;; amdgpu-corpus repo=ROCm/rocSOLVER kind=compiled arch=gfx1030 opt=O3
	.amdgcn_target "amdgcn-amd-amdhsa--gfx1030"
	.amdhsa_code_object_version 6
	.section	.text._ZN9rocsolver6v33100L18getri_kernel_smallILi1EdPdEEvT1_iilPiilS4_bb,"axG",@progbits,_ZN9rocsolver6v33100L18getri_kernel_smallILi1EdPdEEvT1_iilPiilS4_bb,comdat
	.globl	_ZN9rocsolver6v33100L18getri_kernel_smallILi1EdPdEEvT1_iilPiilS4_bb ; -- Begin function _ZN9rocsolver6v33100L18getri_kernel_smallILi1EdPdEEvT1_iilPiilS4_bb
	.p2align	8
	.type	_ZN9rocsolver6v33100L18getri_kernel_smallILi1EdPdEEvT1_iilPiilS4_bb,@function
_ZN9rocsolver6v33100L18getri_kernel_smallILi1EdPdEEvT1_iilPiilS4_bb: ; @_ZN9rocsolver6v33100L18getri_kernel_smallILi1EdPdEEvT1_iilPiilS4_bb
; %bb.0:
	s_mov_b32 s1, 0
	s_mov_b32 s0, exec_lo
	v_cmpx_eq_u32_e32 0, v0
	s_cbranch_execz .LBB0_4
; %bb.1:
	s_clause 0x4
	s_load_dword s2, s[4:5], 0x8
	s_load_dword s0, s[4:5], 0x38
	s_load_dwordx2 s[8:9], s[4:5], 0x10
	s_load_dwordx2 s[10:11], s[4:5], 0x0
	s_load_dwordx2 s[4:5], s[4:5], 0x30
	s_waitcnt lgkmcnt(0)
	s_ashr_i32 s3, s2, 31
	s_bitcmp1_b32 s0, 0
	s_mul_hi_u32 s12, s8, s6
	s_cselect_b32 s0, -1, 0
	s_ashr_i32 s7, s6, 31
	s_mul_i32 s9, s9, s6
	s_mul_i32 s13, s8, s7
	;; [unrolled: 1-line block ×3, first 2 shown]
	s_add_i32 s12, s12, s13
	s_add_i32 s9, s12, s9
	s_lshl_b64 s[8:9], s[8:9], 3
	s_add_u32 s8, s10, s8
	s_addc_u32 s9, s11, s9
	s_lshl_b64 s[2:3], s[2:3], 3
	s_add_u32 s2, s8, s2
	s_addc_u32 s3, s9, s3
	s_and_b32 vcc_lo, exec_lo, s0
	s_load_dwordx2 s[8:9], s[2:3], 0x0
	s_cbranch_vccnz .LBB0_5
; %bb.2:
	s_lshl_b64 s[0:1], s[6:7], 2
	s_add_u32 s0, s4, s0
	s_addc_u32 s1, s5, s1
	s_load_dword s0, s[0:1], 0x0
	s_mov_b32 s1, -1
	s_waitcnt lgkmcnt(0)
	s_cmp_eq_u32 s0, 0
	s_cselect_b32 s0, -1, 0
	s_cbranch_execz .LBB0_6
; %bb.3:
	s_waitcnt lgkmcnt(0)
	v_mov_b32_e32 v0, s8
	v_mov_b32_e32 v1, s9
	s_and_b32 vcc_lo, exec_lo, s1
	s_cbranch_vccnz .LBB0_14
.LBB0_4:
	s_endpgm
.LBB0_5:
                                        ; implicit-def: $sgpr0
.LBB0_6:
	s_waitcnt lgkmcnt(0)
	v_cmp_neq_f64_e64 s0, s[8:9], 0
	v_mov_b32_e32 v0, 0
	ds_write_b32 v0, v0
	s_waitcnt lgkmcnt(0)
	s_barrier
	buffer_gl0_inv
	s_and_b32 vcc_lo, exec_lo, s0
	s_cbranch_vccnz .LBB0_11
; %bb.7:
	ds_read_b32 v1, v0
	s_mov_b32 s10, 0
	s_waitcnt lgkmcnt(0)
	v_cmp_ne_u32_e32 vcc_lo, 0, v1
	v_cmp_gt_i32_e64 s0, 2, v1
	s_and_b32 s0, vcc_lo, s0
	s_and_b32 vcc_lo, exec_lo, s0
	s_cbranch_vccnz .LBB0_11
; %bb.8:
	v_mov_b32_e32 v2, 1
	v_mov_b32_e32 v3, 0
.LBB0_9:                                ; =>This Inner Loop Header: Depth=1
	ds_cmpst_rtn_b32 v1, v3, v1, v2
	s_waitcnt lgkmcnt(0)
	v_cmp_ne_u32_e32 vcc_lo, 0, v1
	v_cmp_gt_i32_e64 s0, 2, v1
	s_and_b32 s0, vcc_lo, s0
	s_and_b32 s0, exec_lo, s0
	s_or_b32 s10, s0, s10
	s_andn2_b32 exec_lo, exec_lo, s10
	s_cbranch_execnz .LBB0_9
; %bb.10:
	s_or_b32 exec_lo, exec_lo, s10
.LBB0_11:
	s_barrier
	buffer_gl0_inv
	ds_read_b32 v1, v0
	s_lshl_b64 s[6:7], s[6:7], 2
	s_add_u32 s4, s4, s6
	s_addc_u32 s5, s5, s7
	s_waitcnt lgkmcnt(0)
	v_cmp_ne_u32_e32 vcc_lo, 0, v1
	global_store_dword v0, v1, s[4:5]
	s_cbranch_vccz .LBB0_13
; %bb.12:
                                        ; implicit-def: $vgpr0_vgpr1
	s_mov_b32 s0, -1
	s_and_b32 vcc_lo, exec_lo, s1
	s_cbranch_vccz .LBB0_4
	s_branch .LBB0_14
.LBB0_13:
	v_div_scale_f64 v[0:1], null, s[8:9], s[8:9], 1.0
	v_rcp_f64_e32 v[2:3], v[0:1]
	v_fma_f64 v[4:5], -v[0:1], v[2:3], 1.0
	v_fma_f64 v[2:3], v[2:3], v[4:5], v[2:3]
	v_fma_f64 v[4:5], -v[0:1], v[2:3], 1.0
	v_fma_f64 v[2:3], v[2:3], v[4:5], v[2:3]
	v_div_scale_f64 v[4:5], vcc_lo, 1.0, s[8:9], 1.0
	v_mul_f64 v[6:7], v[4:5], v[2:3]
	v_fma_f64 v[0:1], -v[0:1], v[6:7], v[4:5]
	v_div_fmas_f64 v[0:1], v[0:1], v[2:3], v[6:7]
	v_div_fixup_f64 v[0:1], v[0:1], s[8:9], 1.0
	s_mov_b32 s0, -1
	s_cbranch_execz .LBB0_4
.LBB0_14:
	s_andn2_b32 vcc_lo, exec_lo, s0
	s_cbranch_vccnz .LBB0_4
; %bb.15:
	v_mov_b32_e32 v2, 0
	global_store_dwordx2 v2, v[0:1], s[2:3]
	s_endpgm
	.section	.rodata,"a",@progbits
	.p2align	6, 0x0
	.amdhsa_kernel _ZN9rocsolver6v33100L18getri_kernel_smallILi1EdPdEEvT1_iilPiilS4_bb
		.amdhsa_group_segment_fixed_size 4
		.amdhsa_private_segment_fixed_size 0
		.amdhsa_kernarg_size 60
		.amdhsa_user_sgpr_count 6
		.amdhsa_user_sgpr_private_segment_buffer 1
		.amdhsa_user_sgpr_dispatch_ptr 0
		.amdhsa_user_sgpr_queue_ptr 0
		.amdhsa_user_sgpr_kernarg_segment_ptr 1
		.amdhsa_user_sgpr_dispatch_id 0
		.amdhsa_user_sgpr_flat_scratch_init 0
		.amdhsa_user_sgpr_private_segment_size 0
		.amdhsa_wavefront_size32 1
		.amdhsa_uses_dynamic_stack 0
		.amdhsa_system_sgpr_private_segment_wavefront_offset 0
		.amdhsa_system_sgpr_workgroup_id_x 1
		.amdhsa_system_sgpr_workgroup_id_y 0
		.amdhsa_system_sgpr_workgroup_id_z 0
		.amdhsa_system_sgpr_workgroup_info 0
		.amdhsa_system_vgpr_workitem_id 0
		.amdhsa_next_free_vgpr 8
		.amdhsa_next_free_sgpr 14
		.amdhsa_reserve_vcc 1
		.amdhsa_reserve_flat_scratch 0
		.amdhsa_float_round_mode_32 0
		.amdhsa_float_round_mode_16_64 0
		.amdhsa_float_denorm_mode_32 3
		.amdhsa_float_denorm_mode_16_64 3
		.amdhsa_dx10_clamp 1
		.amdhsa_ieee_mode 1
		.amdhsa_fp16_overflow 0
		.amdhsa_workgroup_processor_mode 1
		.amdhsa_memory_ordered 1
		.amdhsa_forward_progress 1
		.amdhsa_shared_vgpr_count 0
		.amdhsa_exception_fp_ieee_invalid_op 0
		.amdhsa_exception_fp_denorm_src 0
		.amdhsa_exception_fp_ieee_div_zero 0
		.amdhsa_exception_fp_ieee_overflow 0
		.amdhsa_exception_fp_ieee_underflow 0
		.amdhsa_exception_fp_ieee_inexact 0
		.amdhsa_exception_int_div_zero 0
	.end_amdhsa_kernel
	.section	.text._ZN9rocsolver6v33100L18getri_kernel_smallILi1EdPdEEvT1_iilPiilS4_bb,"axG",@progbits,_ZN9rocsolver6v33100L18getri_kernel_smallILi1EdPdEEvT1_iilPiilS4_bb,comdat
.Lfunc_end0:
	.size	_ZN9rocsolver6v33100L18getri_kernel_smallILi1EdPdEEvT1_iilPiilS4_bb, .Lfunc_end0-_ZN9rocsolver6v33100L18getri_kernel_smallILi1EdPdEEvT1_iilPiilS4_bb
                                        ; -- End function
	.set _ZN9rocsolver6v33100L18getri_kernel_smallILi1EdPdEEvT1_iilPiilS4_bb.num_vgpr, 8
	.set _ZN9rocsolver6v33100L18getri_kernel_smallILi1EdPdEEvT1_iilPiilS4_bb.num_agpr, 0
	.set _ZN9rocsolver6v33100L18getri_kernel_smallILi1EdPdEEvT1_iilPiilS4_bb.numbered_sgpr, 14
	.set _ZN9rocsolver6v33100L18getri_kernel_smallILi1EdPdEEvT1_iilPiilS4_bb.num_named_barrier, 0
	.set _ZN9rocsolver6v33100L18getri_kernel_smallILi1EdPdEEvT1_iilPiilS4_bb.private_seg_size, 0
	.set _ZN9rocsolver6v33100L18getri_kernel_smallILi1EdPdEEvT1_iilPiilS4_bb.uses_vcc, 1
	.set _ZN9rocsolver6v33100L18getri_kernel_smallILi1EdPdEEvT1_iilPiilS4_bb.uses_flat_scratch, 0
	.set _ZN9rocsolver6v33100L18getri_kernel_smallILi1EdPdEEvT1_iilPiilS4_bb.has_dyn_sized_stack, 0
	.set _ZN9rocsolver6v33100L18getri_kernel_smallILi1EdPdEEvT1_iilPiilS4_bb.has_recursion, 0
	.set _ZN9rocsolver6v33100L18getri_kernel_smallILi1EdPdEEvT1_iilPiilS4_bb.has_indirect_call, 0
	.section	.AMDGPU.csdata,"",@progbits
; Kernel info:
; codeLenInByte = 536
; TotalNumSgprs: 16
; NumVgprs: 8
; ScratchSize: 0
; MemoryBound: 0
; FloatMode: 240
; IeeeMode: 1
; LDSByteSize: 4 bytes/workgroup (compile time only)
; SGPRBlocks: 0
; VGPRBlocks: 0
; NumSGPRsForWavesPerEU: 16
; NumVGPRsForWavesPerEU: 8
; Occupancy: 16
; WaveLimiterHint : 0
; COMPUTE_PGM_RSRC2:SCRATCH_EN: 0
; COMPUTE_PGM_RSRC2:USER_SGPR: 6
; COMPUTE_PGM_RSRC2:TRAP_HANDLER: 0
; COMPUTE_PGM_RSRC2:TGID_X_EN: 1
; COMPUTE_PGM_RSRC2:TGID_Y_EN: 0
; COMPUTE_PGM_RSRC2:TGID_Z_EN: 0
; COMPUTE_PGM_RSRC2:TIDIG_COMP_CNT: 0
	.section	.text._ZN9rocsolver6v33100L18getri_kernel_smallILi2EdPdEEvT1_iilPiilS4_bb,"axG",@progbits,_ZN9rocsolver6v33100L18getri_kernel_smallILi2EdPdEEvT1_iilPiilS4_bb,comdat
	.globl	_ZN9rocsolver6v33100L18getri_kernel_smallILi2EdPdEEvT1_iilPiilS4_bb ; -- Begin function _ZN9rocsolver6v33100L18getri_kernel_smallILi2EdPdEEvT1_iilPiilS4_bb
	.p2align	8
	.type	_ZN9rocsolver6v33100L18getri_kernel_smallILi2EdPdEEvT1_iilPiilS4_bb,@function
_ZN9rocsolver6v33100L18getri_kernel_smallILi2EdPdEEvT1_iilPiilS4_bb: ; @_ZN9rocsolver6v33100L18getri_kernel_smallILi2EdPdEEvT1_iilPiilS4_bb
; %bb.0:
	s_mov_b32 s0, exec_lo
	v_cmpx_gt_u32_e32 2, v0
	s_cbranch_execz .LBB1_16
; %bb.1:
	s_clause 0x2
	s_load_dword s7, s[4:5], 0x38
	s_load_dwordx4 s[8:11], s[4:5], 0x10
	s_load_dwordx4 s[0:3], s[4:5], 0x28
	s_waitcnt lgkmcnt(0)
	s_bitcmp1_b32 s7, 8
	s_cselect_b32 s14, -1, 0
	s_bfe_u32 s12, s7, 0x10008
	s_ashr_i32 s7, s6, 31
	s_cmp_eq_u32 s12, 0
                                        ; implicit-def: $sgpr12_sgpr13
	s_cbranch_scc1 .LBB1_3
; %bb.2:
	s_load_dword s12, s[4:5], 0x20
	s_mul_i32 s13, s0, s7
	s_mul_hi_u32 s15, s0, s6
	s_mul_i32 s1, s1, s6
	s_add_i32 s13, s15, s13
	s_mul_i32 s0, s0, s6
	s_add_i32 s1, s13, s1
	s_lshl_b64 s[0:1], s[0:1], 2
	s_waitcnt lgkmcnt(0)
	s_ashr_i32 s13, s12, 31
	s_add_u32 s10, s10, s0
	s_addc_u32 s11, s11, s1
	s_lshl_b64 s[0:1], s[12:13], 2
	s_add_u32 s12, s10, s0
	s_addc_u32 s13, s11, s1
.LBB1_3:
	s_clause 0x1
	s_load_dwordx4 s[16:19], s[4:5], 0x0
	s_load_dword s10, s[4:5], 0x38
	s_mul_i32 s0, s8, s7
	s_mul_hi_u32 s1, s8, s6
	s_mul_i32 s4, s9, s6
	s_add_i32 s1, s1, s0
	s_mul_i32 s0, s8, s6
	s_add_i32 s1, s1, s4
	v_lshlrev_b32_e32 v11, 3, v0
	s_lshl_b64 s[0:1], s[0:1], 3
	s_waitcnt lgkmcnt(0)
	s_ashr_i32 s5, s18, 31
	s_mov_b32 s4, s18
	s_add_u32 s8, s16, s0
	s_addc_u32 s9, s17, s1
	s_lshl_b64 s[0:1], s[4:5], 3
	s_mov_b32 s4, s19
	s_add_u32 s0, s8, s0
	s_addc_u32 s1, s9, s1
	v_add_co_u32 v5, s8, s0, v11
	s_ashr_i32 s5, s19, 31
	v_add_co_ci_u32_e64 v6, null, s1, 0, s8
	s_lshl_b64 s[4:5], s[4:5], 3
	s_bitcmp0_b32 s10, 0
	v_add_co_u32 v7, vcc_lo, v5, s4
	v_add_co_ci_u32_e64 v8, null, s5, v6, vcc_lo
	s_clause 0x1
	global_load_dwordx2 v[1:2], v11, s[0:1]
	global_load_dwordx2 v[3:4], v[7:8], off
	s_mov_b32 s0, -1
	s_cbranch_scc1 .LBB1_14
; %bb.4:
	v_cmp_eq_u32_e64 s0, 0, v0
	s_and_saveexec_b32 s1, s0
; %bb.5:
	v_mov_b32_e32 v9, 0
	ds_write_b32 v9, v9 offset:32
; %bb.6:
	s_or_b32 exec_lo, exec_lo, s1
	v_cmp_eq_u32_e32 vcc_lo, 1, v0
	s_mov_b32 s4, exec_lo
	s_waitcnt vmcnt(0) lgkmcnt(0)
	s_barrier
	buffer_gl0_inv
	v_cndmask_b32_e32 v10, v2, v4, vcc_lo
	v_cndmask_b32_e32 v9, v1, v3, vcc_lo
	v_cmpx_eq_f64_e32 0, v[9:10]
	s_cbranch_execz .LBB1_10
; %bb.7:
	v_mov_b32_e32 v12, 0
	s_mov_b32 s5, 0
	ds_read_b32 v13, v12 offset:32
	s_waitcnt lgkmcnt(0)
	v_readfirstlane_b32 s1, v13
	v_add_nc_u32_e32 v13, 1, v0
	s_cmp_eq_u32 s1, 0
	v_cmp_gt_i32_e32 vcc_lo, s1, v13
	s_cselect_b32 s8, -1, 0
	s_or_b32 s8, s8, vcc_lo
	s_and_b32 exec_lo, exec_lo, s8
	s_cbranch_execz .LBB1_10
; %bb.8:
	v_mov_b32_e32 v14, s1
.LBB1_9:                                ; =>This Inner Loop Header: Depth=1
	ds_cmpst_rtn_b32 v14, v12, v14, v13 offset:32
	s_waitcnt lgkmcnt(0)
	v_cmp_ne_u32_e32 vcc_lo, 0, v14
	v_cmp_le_i32_e64 s1, v14, v13
	s_and_b32 s1, vcc_lo, s1
	s_and_b32 s1, exec_lo, s1
	s_or_b32 s5, s1, s5
	s_andn2_b32 exec_lo, exec_lo, s5
	s_cbranch_execnz .LBB1_9
.LBB1_10:
	s_or_b32 exec_lo, exec_lo, s4
	v_mov_b32_e32 v12, 0
	s_barrier
	buffer_gl0_inv
	ds_read_b32 v13, v12 offset:32
	s_and_saveexec_b32 s1, s0
	s_cbranch_execz .LBB1_12
; %bb.11:
	s_lshl_b64 s[4:5], s[6:7], 2
	s_add_u32 s4, s2, s4
	s_addc_u32 s5, s3, s5
	s_waitcnt lgkmcnt(0)
	global_store_dword v12, v13, s[4:5]
.LBB1_12:
	s_or_b32 exec_lo, exec_lo, s1
	s_waitcnt lgkmcnt(0)
	v_cmp_ne_u32_e32 vcc_lo, 0, v13
	s_cbranch_vccz .LBB1_17
; %bb.13:
	s_mov_b32 s0, 0
                                        ; implicit-def: $vgpr1_vgpr2_vgpr3_vgpr4
.LBB1_14:
	s_and_b32 vcc_lo, exec_lo, s0
	s_cbranch_vccz .LBB1_16
.LBB1_15:
	s_lshl_b64 s[0:1], s[6:7], 2
	v_mov_b32_e32 v9, 0
	s_add_u32 s0, s2, s0
	s_addc_u32 s1, s3, s1
	global_load_dword v9, v9, s[0:1]
	s_waitcnt vmcnt(0)
	v_cmp_ne_u32_e32 vcc_lo, 0, v9
	s_cbranch_vccz .LBB1_20
.LBB1_16:
	s_endpgm
.LBB1_17:
	v_div_scale_f64 v[12:13], null, v[9:10], v[9:10], 1.0
	v_div_scale_f64 v[18:19], vcc_lo, 1.0, v[9:10], 1.0
	v_rcp_f64_e32 v[14:15], v[12:13]
	v_fma_f64 v[16:17], -v[12:13], v[14:15], 1.0
	v_fma_f64 v[14:15], v[14:15], v[16:17], v[14:15]
	v_fma_f64 v[16:17], -v[12:13], v[14:15], 1.0
	v_fma_f64 v[14:15], v[14:15], v[16:17], v[14:15]
	v_mul_f64 v[16:17], v[18:19], v[14:15]
	v_fma_f64 v[12:13], -v[12:13], v[16:17], v[18:19]
	v_div_fmas_f64 v[12:13], v[12:13], v[14:15], v[16:17]
	v_cmp_eq_u32_e32 vcc_lo, 1, v0
	v_div_fixup_f64 v[9:10], v[12:13], v[9:10], 1.0
	v_cndmask_b32_e32 v4, v4, v10, vcc_lo
	v_cndmask_b32_e32 v3, v3, v9, vcc_lo
	v_cmp_eq_u32_e32 vcc_lo, 0, v0
	v_cndmask_b32_e32 v2, v2, v10, vcc_lo
	v_xor_b32_e32 v10, 0x80000000, v10
	v_cndmask_b32_e32 v1, v1, v9, vcc_lo
	ds_write2_b64 v11, v[9:10], v[3:4] offset1:2
	s_waitcnt lgkmcnt(0)
	s_waitcnt_vscnt null, 0x0
	s_barrier
	buffer_gl0_inv
	s_and_saveexec_b32 s1, s0
	s_cbranch_execz .LBB1_19
; %bb.18:
	v_mov_b32_e32 v3, 0
	ds_read2_b64 v[9:12], v3 offset0:1 offset1:2
	s_waitcnt lgkmcnt(0)
	v_fma_f64 v[3:4], v[1:2], v[11:12], 0
	v_mul_f64 v[3:4], v[3:4], v[9:10]
.LBB1_19:
	s_or_b32 exec_lo, exec_lo, s1
	s_barrier
	buffer_gl0_inv
	s_cbranch_execnz .LBB1_15
	s_branch .LBB1_16
.LBB1_20:
	s_mov_b32 s0, exec_lo
	v_cmpx_eq_u32_e32 1, v0
	s_cbranch_execz .LBB1_22
; %bb.21:
	s_mov_b32 s1, 0
	v_mov_b32_e32 v12, v4
	v_mov_b32_e32 v9, v1
	;; [unrolled: 1-line block ×7, first 2 shown]
	ds_write_b64 v0, v[1:2] offset:24
	v_mov_b32_e32 v1, v9
	v_mov_b32_e32 v2, v10
	;; [unrolled: 1-line block ×4, first 2 shown]
.LBB1_22:
	s_or_b32 exec_lo, exec_lo, s0
	v_mov_b32_e32 v0, 0
	s_waitcnt lgkmcnt(0)
	s_waitcnt_vscnt null, 0x0
	s_barrier
	buffer_gl0_inv
	s_and_b32 vcc_lo, exec_lo, s14
	ds_read_b64 v[9:10], v0 offset:24
	s_waitcnt lgkmcnt(0)
	v_fma_f64 v[9:10], v[3:4], v[9:10], 0
	v_add_f64 v[1:2], v[1:2], -v[9:10]
	s_cbranch_vccz .LBB1_24
; %bb.23:
	global_load_dword v0, v0, s[12:13]
	s_waitcnt vmcnt(0)
	v_add_nc_u32_e32 v0, -1, v0
	v_cmp_eq_u32_e32 vcc_lo, 1, v0
	v_cmp_eq_u32_e64 s0, 0, v0
	v_cndmask_b32_e32 v9, v2, v4, vcc_lo
	v_cndmask_b32_e32 v10, v1, v3, vcc_lo
	;; [unrolled: 1-line block ×4, first 2 shown]
	v_cndmask_b32_e64 v9, v9, v2, s0
	v_cndmask_b32_e64 v10, v10, v1, s0
	v_cndmask_b32_e64 v3, v0, v3, s0
	v_cndmask_b32_e64 v4, v11, v4, s0
	v_cndmask_b32_e64 v2, v9, v2, s0
	v_cndmask_b32_e64 v1, v10, v1, s0
.LBB1_24:
	global_store_dwordx2 v[5:6], v[1:2], off
	global_store_dwordx2 v[7:8], v[3:4], off
	s_endpgm
	.section	.rodata,"a",@progbits
	.p2align	6, 0x0
	.amdhsa_kernel _ZN9rocsolver6v33100L18getri_kernel_smallILi2EdPdEEvT1_iilPiilS4_bb
		.amdhsa_group_segment_fixed_size 40
		.amdhsa_private_segment_fixed_size 0
		.amdhsa_kernarg_size 60
		.amdhsa_user_sgpr_count 6
		.amdhsa_user_sgpr_private_segment_buffer 1
		.amdhsa_user_sgpr_dispatch_ptr 0
		.amdhsa_user_sgpr_queue_ptr 0
		.amdhsa_user_sgpr_kernarg_segment_ptr 1
		.amdhsa_user_sgpr_dispatch_id 0
		.amdhsa_user_sgpr_flat_scratch_init 0
		.amdhsa_user_sgpr_private_segment_size 0
		.amdhsa_wavefront_size32 1
		.amdhsa_uses_dynamic_stack 0
		.amdhsa_system_sgpr_private_segment_wavefront_offset 0
		.amdhsa_system_sgpr_workgroup_id_x 1
		.amdhsa_system_sgpr_workgroup_id_y 0
		.amdhsa_system_sgpr_workgroup_id_z 0
		.amdhsa_system_sgpr_workgroup_info 0
		.amdhsa_system_vgpr_workitem_id 0
		.amdhsa_next_free_vgpr 20
		.amdhsa_next_free_sgpr 20
		.amdhsa_reserve_vcc 1
		.amdhsa_reserve_flat_scratch 0
		.amdhsa_float_round_mode_32 0
		.amdhsa_float_round_mode_16_64 0
		.amdhsa_float_denorm_mode_32 3
		.amdhsa_float_denorm_mode_16_64 3
		.amdhsa_dx10_clamp 1
		.amdhsa_ieee_mode 1
		.amdhsa_fp16_overflow 0
		.amdhsa_workgroup_processor_mode 1
		.amdhsa_memory_ordered 1
		.amdhsa_forward_progress 1
		.amdhsa_shared_vgpr_count 0
		.amdhsa_exception_fp_ieee_invalid_op 0
		.amdhsa_exception_fp_denorm_src 0
		.amdhsa_exception_fp_ieee_div_zero 0
		.amdhsa_exception_fp_ieee_overflow 0
		.amdhsa_exception_fp_ieee_underflow 0
		.amdhsa_exception_fp_ieee_inexact 0
		.amdhsa_exception_int_div_zero 0
	.end_amdhsa_kernel
	.section	.text._ZN9rocsolver6v33100L18getri_kernel_smallILi2EdPdEEvT1_iilPiilS4_bb,"axG",@progbits,_ZN9rocsolver6v33100L18getri_kernel_smallILi2EdPdEEvT1_iilPiilS4_bb,comdat
.Lfunc_end1:
	.size	_ZN9rocsolver6v33100L18getri_kernel_smallILi2EdPdEEvT1_iilPiilS4_bb, .Lfunc_end1-_ZN9rocsolver6v33100L18getri_kernel_smallILi2EdPdEEvT1_iilPiilS4_bb
                                        ; -- End function
	.set _ZN9rocsolver6v33100L18getri_kernel_smallILi2EdPdEEvT1_iilPiilS4_bb.num_vgpr, 20
	.set _ZN9rocsolver6v33100L18getri_kernel_smallILi2EdPdEEvT1_iilPiilS4_bb.num_agpr, 0
	.set _ZN9rocsolver6v33100L18getri_kernel_smallILi2EdPdEEvT1_iilPiilS4_bb.numbered_sgpr, 20
	.set _ZN9rocsolver6v33100L18getri_kernel_smallILi2EdPdEEvT1_iilPiilS4_bb.num_named_barrier, 0
	.set _ZN9rocsolver6v33100L18getri_kernel_smallILi2EdPdEEvT1_iilPiilS4_bb.private_seg_size, 0
	.set _ZN9rocsolver6v33100L18getri_kernel_smallILi2EdPdEEvT1_iilPiilS4_bb.uses_vcc, 1
	.set _ZN9rocsolver6v33100L18getri_kernel_smallILi2EdPdEEvT1_iilPiilS4_bb.uses_flat_scratch, 0
	.set _ZN9rocsolver6v33100L18getri_kernel_smallILi2EdPdEEvT1_iilPiilS4_bb.has_dyn_sized_stack, 0
	.set _ZN9rocsolver6v33100L18getri_kernel_smallILi2EdPdEEvT1_iilPiilS4_bb.has_recursion, 0
	.set _ZN9rocsolver6v33100L18getri_kernel_smallILi2EdPdEEvT1_iilPiilS4_bb.has_indirect_call, 0
	.section	.AMDGPU.csdata,"",@progbits
; Kernel info:
; codeLenInByte = 1044
; TotalNumSgprs: 22
; NumVgprs: 20
; ScratchSize: 0
; MemoryBound: 0
; FloatMode: 240
; IeeeMode: 1
; LDSByteSize: 40 bytes/workgroup (compile time only)
; SGPRBlocks: 0
; VGPRBlocks: 2
; NumSGPRsForWavesPerEU: 22
; NumVGPRsForWavesPerEU: 20
; Occupancy: 16
; WaveLimiterHint : 0
; COMPUTE_PGM_RSRC2:SCRATCH_EN: 0
; COMPUTE_PGM_RSRC2:USER_SGPR: 6
; COMPUTE_PGM_RSRC2:TRAP_HANDLER: 0
; COMPUTE_PGM_RSRC2:TGID_X_EN: 1
; COMPUTE_PGM_RSRC2:TGID_Y_EN: 0
; COMPUTE_PGM_RSRC2:TGID_Z_EN: 0
; COMPUTE_PGM_RSRC2:TIDIG_COMP_CNT: 0
	.section	.text._ZN9rocsolver6v33100L18getri_kernel_smallILi3EdPdEEvT1_iilPiilS4_bb,"axG",@progbits,_ZN9rocsolver6v33100L18getri_kernel_smallILi3EdPdEEvT1_iilPiilS4_bb,comdat
	.globl	_ZN9rocsolver6v33100L18getri_kernel_smallILi3EdPdEEvT1_iilPiilS4_bb ; -- Begin function _ZN9rocsolver6v33100L18getri_kernel_smallILi3EdPdEEvT1_iilPiilS4_bb
	.p2align	8
	.type	_ZN9rocsolver6v33100L18getri_kernel_smallILi3EdPdEEvT1_iilPiilS4_bb,@function
_ZN9rocsolver6v33100L18getri_kernel_smallILi3EdPdEEvT1_iilPiilS4_bb: ; @_ZN9rocsolver6v33100L18getri_kernel_smallILi3EdPdEEvT1_iilPiilS4_bb
; %bb.0:
	s_mov_b32 s0, exec_lo
	v_cmpx_gt_u32_e32 3, v0
	s_cbranch_execz .LBB2_16
; %bb.1:
	s_clause 0x2
	s_load_dword s7, s[4:5], 0x38
	s_load_dwordx4 s[0:3], s[4:5], 0x10
	s_load_dwordx4 s[8:11], s[4:5], 0x28
                                        ; implicit-def: $sgpr16_sgpr17
	s_waitcnt lgkmcnt(0)
	s_bitcmp1_b32 s7, 8
	s_cselect_b32 s18, -1, 0
	s_bfe_u32 s12, s7, 0x10008
	s_ashr_i32 s7, s6, 31
	s_cmp_eq_u32 s12, 0
	s_cbranch_scc1 .LBB2_3
; %bb.2:
	s_load_dword s12, s[4:5], 0x20
	s_mul_i32 s13, s8, s7
	s_mul_hi_u32 s14, s8, s6
	s_mul_i32 s9, s9, s6
	s_add_i32 s13, s14, s13
	s_mul_i32 s8, s8, s6
	s_add_i32 s9, s13, s9
	s_lshl_b64 s[8:9], s[8:9], 2
	s_waitcnt lgkmcnt(0)
	s_ashr_i32 s13, s12, 31
	s_add_u32 s8, s2, s8
	s_addc_u32 s9, s3, s9
	s_lshl_b64 s[2:3], s[12:13], 2
	s_add_u32 s16, s8, s2
	s_addc_u32 s17, s9, s3
.LBB2_3:
	s_clause 0x1
	s_load_dwordx4 s[12:15], s[4:5], 0x0
	s_load_dword s4, s[4:5], 0x38
	s_mul_i32 s2, s0, s7
	s_mul_hi_u32 s3, s0, s6
	s_mul_i32 s1, s1, s6
	s_add_i32 s2, s3, s2
	s_mul_i32 s0, s0, s6
	s_add_i32 s1, s2, s1
	v_lshlrev_b32_e32 v15, 3, v0
	s_lshl_b64 s[0:1], s[0:1], 3
	s_waitcnt lgkmcnt(0)
	v_add3_u32 v1, s15, s15, v0
	s_ashr_i32 s3, s14, 31
	s_mov_b32 s2, s14
	s_add_u32 s5, s12, s0
	s_addc_u32 s8, s13, s1
	s_lshl_b64 s[0:1], s[2:3], 3
	v_ashrrev_i32_e32 v2, 31, v1
	s_add_u32 s0, s5, s0
	s_addc_u32 s1, s8, s1
	v_add_co_u32 v7, s5, s0, v15
	s_mov_b32 s2, s15
	s_ashr_i32 s3, s15, 31
	v_lshlrev_b64 v[1:2], 3, v[1:2]
	v_add_co_ci_u32_e64 v8, null, s1, 0, s5
	s_lshl_b64 s[2:3], s[2:3], 3
	s_bitcmp0_b32 s4, 0
	v_add_co_u32 v11, vcc_lo, v7, s2
	v_add_co_ci_u32_e64 v12, null, s3, v8, vcc_lo
	v_add_co_u32 v9, vcc_lo, s0, v1
	v_add_co_ci_u32_e64 v10, null, s1, v2, vcc_lo
	s_clause 0x2
	global_load_dwordx2 v[1:2], v15, s[0:1]
	global_load_dwordx2 v[3:4], v[11:12], off
	global_load_dwordx2 v[5:6], v[9:10], off
	s_mov_b32 s0, -1
	s_cbranch_scc1 .LBB2_14
; %bb.4:
	v_cmp_eq_u32_e64 s0, 0, v0
	s_and_saveexec_b32 s1, s0
; %bb.5:
	v_mov_b32_e32 v13, 0
	ds_write_b32 v13, v13 offset:24
; %bb.6:
	s_or_b32 exec_lo, exec_lo, s1
	v_cmp_eq_u32_e32 vcc_lo, 1, v0
	s_mov_b32 s2, exec_lo
	s_waitcnt vmcnt(0) lgkmcnt(0)
	s_barrier
	buffer_gl0_inv
	v_cndmask_b32_e32 v13, v2, v4, vcc_lo
	v_cndmask_b32_e32 v16, v1, v3, vcc_lo
	v_cmp_eq_u32_e32 vcc_lo, 2, v0
	v_cndmask_b32_e32 v14, v13, v6, vcc_lo
	v_cndmask_b32_e32 v13, v16, v5, vcc_lo
	v_cmpx_eq_f64_e32 0, v[13:14]
	s_cbranch_execz .LBB2_10
; %bb.7:
	v_mov_b32_e32 v16, 0
	s_mov_b32 s3, 0
	ds_read_b32 v17, v16 offset:24
	s_waitcnt lgkmcnt(0)
	v_readfirstlane_b32 s1, v17
	v_add_nc_u32_e32 v17, 1, v0
	s_cmp_eq_u32 s1, 0
	v_cmp_gt_i32_e32 vcc_lo, s1, v17
	s_cselect_b32 s4, -1, 0
	s_or_b32 s4, s4, vcc_lo
	s_and_b32 exec_lo, exec_lo, s4
	s_cbranch_execz .LBB2_10
; %bb.8:
	v_mov_b32_e32 v18, s1
.LBB2_9:                                ; =>This Inner Loop Header: Depth=1
	ds_cmpst_rtn_b32 v18, v16, v18, v17 offset:24
	s_waitcnt lgkmcnt(0)
	v_cmp_ne_u32_e32 vcc_lo, 0, v18
	v_cmp_le_i32_e64 s1, v18, v17
	s_and_b32 s1, vcc_lo, s1
	s_and_b32 s1, exec_lo, s1
	s_or_b32 s3, s1, s3
	s_andn2_b32 exec_lo, exec_lo, s3
	s_cbranch_execnz .LBB2_9
.LBB2_10:
	s_or_b32 exec_lo, exec_lo, s2
	v_mov_b32_e32 v16, 0
	s_barrier
	buffer_gl0_inv
	ds_read_b32 v17, v16 offset:24
	s_and_saveexec_b32 s1, s0
	s_cbranch_execz .LBB2_12
; %bb.11:
	s_lshl_b64 s[2:3], s[6:7], 2
	s_add_u32 s2, s10, s2
	s_addc_u32 s3, s11, s3
	s_waitcnt lgkmcnt(0)
	global_store_dword v16, v17, s[2:3]
.LBB2_12:
	s_or_b32 exec_lo, exec_lo, s1
	s_waitcnt lgkmcnt(0)
	v_cmp_ne_u32_e32 vcc_lo, 0, v17
	s_cbranch_vccz .LBB2_17
; %bb.13:
	s_mov_b32 s0, 0
                                        ; implicit-def: $vgpr1_vgpr2_vgpr3_vgpr4_vgpr5_vgpr6
.LBB2_14:
	s_and_b32 vcc_lo, exec_lo, s0
	s_cbranch_vccz .LBB2_16
.LBB2_15:
	s_lshl_b64 s[0:1], s[6:7], 2
	v_mov_b32_e32 v13, 0
	s_add_u32 s0, s10, s0
	s_addc_u32 s1, s11, s1
	global_load_dword v13, v13, s[0:1]
	s_waitcnt vmcnt(0)
	v_cmp_ne_u32_e32 vcc_lo, 0, v13
	s_cbranch_vccz .LBB2_24
.LBB2_16:
	s_endpgm
.LBB2_17:
	v_div_scale_f64 v[16:17], null, v[13:14], v[13:14], 1.0
	v_div_scale_f64 v[22:23], vcc_lo, 1.0, v[13:14], 1.0
	v_cmp_eq_u32_e64 s1, 2, v0
	v_cmp_eq_u32_e64 s2, 0, v0
	v_rcp_f64_e32 v[18:19], v[16:17]
	v_fma_f64 v[20:21], -v[16:17], v[18:19], 1.0
	v_fma_f64 v[18:19], v[18:19], v[20:21], v[18:19]
	v_fma_f64 v[20:21], -v[16:17], v[18:19], 1.0
	v_fma_f64 v[18:19], v[18:19], v[20:21], v[18:19]
	v_mul_f64 v[20:21], v[22:23], v[18:19]
	v_fma_f64 v[16:17], -v[16:17], v[20:21], v[22:23]
	v_div_fmas_f64 v[16:17], v[16:17], v[18:19], v[20:21]
	v_cmp_eq_u32_e32 vcc_lo, 1, v0
	v_div_fixup_f64 v[13:14], v[16:17], v[13:14], 1.0
	v_add_nc_u32_e32 v16, 32, v15
	v_cndmask_b32_e32 v4, v4, v14, vcc_lo
	v_cndmask_b32_e32 v3, v3, v13, vcc_lo
	v_xor_b32_e32 v18, 0x80000000, v14
	v_mov_b32_e32 v17, v13
	v_cndmask_b32_e64 v6, v6, v14, s1
	v_cndmask_b32_e64 v5, v5, v13, s1
	;; [unrolled: 1-line block ×4, first 2 shown]
	ds_write2_b64 v15, v[17:18], v[3:4] offset1:4
	s_waitcnt lgkmcnt(0)
	s_waitcnt_vscnt null, 0x0
	s_barrier
	buffer_gl0_inv
	s_and_saveexec_b32 s1, s0
	s_cbranch_execz .LBB2_19
; %bb.18:
	ds_read_b64 v[3:4], v16
	v_mov_b32_e32 v15, 0
	ds_read_b64 v[17:18], v15 offset:8
	s_waitcnt lgkmcnt(1)
	v_fma_f64 v[3:4], v[13:14], v[3:4], 0
	s_waitcnt lgkmcnt(0)
	v_mul_f64 v[3:4], v[3:4], v[17:18]
.LBB2_19:
	s_or_b32 exec_lo, exec_lo, s1
	s_mov_b32 s1, exec_lo
	s_barrier
	buffer_gl0_inv
	ds_write_b64 v16, v[5:6]
	s_waitcnt lgkmcnt(0)
	s_barrier
	buffer_gl0_inv
	v_cmpx_ne_u32_e32 2, v0
	s_cbranch_execz .LBB2_23
; %bb.20:
	ds_read_b64 v[13:14], v16
	v_cmp_eq_u32_e32 vcc_lo, 1, v0
	v_cndmask_b32_e32 v15, v2, v4, vcc_lo
	v_cndmask_b32_e32 v16, v1, v3, vcc_lo
	v_cmp_eq_u32_e32 vcc_lo, 2, v0
	v_cndmask_b32_e32 v6, v15, v6, vcc_lo
	v_cndmask_b32_e32 v5, v16, v5, vcc_lo
	s_waitcnt lgkmcnt(0)
	v_fma_f64 v[5:6], v[5:6], v[13:14], 0
	s_and_saveexec_b32 s2, s0
	s_cbranch_execz .LBB2_22
; %bb.21:
	v_mov_b32_e32 v13, 0
	ds_read_b64 v[13:14], v13 offset:40
	s_waitcnt lgkmcnt(0)
	v_fma_f64 v[5:6], v[3:4], v[13:14], v[5:6]
.LBB2_22:
	s_or_b32 exec_lo, exec_lo, s2
	v_mov_b32_e32 v13, 0
	ds_read_b64 v[13:14], v13 offset:16
	s_waitcnt lgkmcnt(0)
	v_mul_f64 v[5:6], v[5:6], v[13:14]
.LBB2_23:
	s_or_b32 exec_lo, exec_lo, s1
	s_barrier
	buffer_gl0_inv
	s_cbranch_execnz .LBB2_15
	s_branch .LBB2_16
.LBB2_24:
	v_lshl_add_u32 v13, v0, 3, 32
	s_mov_b32 s0, exec_lo
	v_cmpx_eq_u32_e32 2, v0
	s_cbranch_execz .LBB2_26
; %bb.25:
	s_mov_b32 s1, 0
	v_mov_b32_e32 v19, v6
	v_mov_b32_e32 v17, v4
	;; [unrolled: 1-line block ×8, first 2 shown]
	ds_write_b64 v13, v[3:4]
	v_mov_b32_e32 v1, v14
	v_mov_b32_e32 v2, v15
	;; [unrolled: 1-line block ×6, first 2 shown]
.LBB2_26:
	s_or_b32 exec_lo, exec_lo, s0
	v_mov_b32_e32 v14, 0
	s_waitcnt lgkmcnt(0)
	s_waitcnt_vscnt null, 0x0
	s_barrier
	buffer_gl0_inv
	s_mov_b32 s1, 0
	ds_read_b64 v[15:16], v14 offset:48
	s_mov_b32 s0, exec_lo
	s_waitcnt lgkmcnt(0)
	v_fma_f64 v[15:16], v[5:6], v[15:16], 0
	v_add_f64 v[3:4], v[3:4], -v[15:16]
	v_cmpx_ne_u32_e32 0, v0
	s_cbranch_execz .LBB2_28
; %bb.27:
	v_mov_b32_e32 v20, v6
	v_mov_b32_e32 v15, v1
	;; [unrolled: 1-line block ×8, first 2 shown]
	ds_write_b64 v13, v[1:2]
	v_mov_b32_e32 v1, v15
	v_mov_b32_e32 v4, v18
	;; [unrolled: 1-line block ×6, first 2 shown]
.LBB2_28:
	s_or_b32 exec_lo, exec_lo, s0
	s_waitcnt lgkmcnt(0)
	s_barrier
	buffer_gl0_inv
	ds_read2_b64 v[13:16], v14 offset0:5 offset1:6
	s_and_b32 vcc_lo, exec_lo, s18
	s_waitcnt lgkmcnt(0)
	v_fma_f64 v[13:14], v[3:4], v[13:14], 0
	v_fma_f64 v[13:14], v[5:6], v[15:16], v[13:14]
	v_add_f64 v[1:2], v[1:2], -v[13:14]
	s_cbranch_vccz .LBB2_33
; %bb.29:
	v_mov_b32_e32 v0, 0
	global_load_dword v13, v0, s[16:17] offset:4
	s_waitcnt vmcnt(0)
	v_readfirstlane_b32 s1, v13
	s_add_i32 s1, s1, -1
	s_cmp_lg_u32 s1, 1
	s_cbranch_scc0 .LBB2_31
; %bb.30:
	s_cmp_eq_u32 s1, 1
	s_cselect_b32 vcc_lo, -1, 0
	s_cmp_eq_u32 s1, 2
	v_cndmask_b32_e32 v13, v1, v3, vcc_lo
	v_cndmask_b32_e32 v14, v2, v4, vcc_lo
	s_cselect_b32 s0, -1, 0
	s_cmp_eq_u32 s1, 0
	v_cndmask_b32_e64 v18, v6, v4, s0
	v_cndmask_b32_e64 v13, v13, v5, s0
	;; [unrolled: 1-line block ×3, first 2 shown]
	s_cselect_b32 s1, -1, 0
	v_cndmask_b32_e64 v17, v5, v3, s0
	v_cndmask_b32_e64 v14, v2, v4, s1
	v_cndmask_b32_e32 v15, v13, v3, vcc_lo
	v_cndmask_b32_e64 v13, v1, v3, s1
	v_cndmask_b32_e32 v16, v16, v4, vcc_lo
	v_mov_b32_e32 v1, v13
	v_mov_b32_e32 v2, v14
	;; [unrolled: 1-line block ×6, first 2 shown]
.LBB2_31:
	global_load_dword v0, v0, s[16:17]
	s_waitcnt vmcnt(0)
	v_readfirstlane_b32 s1, v0
	s_add_i32 s1, s1, -1
	s_cmp_eq_u32 s1, 0
	s_cbranch_scc1 .LBB2_33
; %bb.32:
	s_cmp_eq_u32 s1, 1
	s_cselect_b32 vcc_lo, -1, 0
	s_cmp_eq_u32 s1, 2
	v_cndmask_b32_e32 v0, v1, v3, vcc_lo
	v_cndmask_b32_e32 v13, v2, v4, vcc_lo
	s_cselect_b32 s0, -1, 0
	s_cmp_eq_u32 s1, 0
	v_cndmask_b32_e64 v18, v6, v2, s0
	v_cndmask_b32_e64 v0, v0, v5, s0
	;; [unrolled: 1-line block ×4, first 2 shown]
	s_cselect_b32 s0, -1, 0
	v_cndmask_b32_e32 v16, v4, v2, vcc_lo
	v_cndmask_b32_e32 v15, v3, v1, vcc_lo
	v_cndmask_b32_e64 v14, v13, v2, s0
	v_cndmask_b32_e64 v13, v0, v1, s0
	v_mov_b32_e32 v1, v13
	v_mov_b32_e32 v2, v14
	;; [unrolled: 1-line block ×6, first 2 shown]
.LBB2_33:
	global_store_dwordx2 v[7:8], v[1:2], off
	global_store_dwordx2 v[11:12], v[3:4], off
	;; [unrolled: 1-line block ×3, first 2 shown]
	s_endpgm
	.section	.rodata,"a",@progbits
	.p2align	6, 0x0
	.amdhsa_kernel _ZN9rocsolver6v33100L18getri_kernel_smallILi3EdPdEEvT1_iilPiilS4_bb
		.amdhsa_group_segment_fixed_size 56
		.amdhsa_private_segment_fixed_size 0
		.amdhsa_kernarg_size 60
		.amdhsa_user_sgpr_count 6
		.amdhsa_user_sgpr_private_segment_buffer 1
		.amdhsa_user_sgpr_dispatch_ptr 0
		.amdhsa_user_sgpr_queue_ptr 0
		.amdhsa_user_sgpr_kernarg_segment_ptr 1
		.amdhsa_user_sgpr_dispatch_id 0
		.amdhsa_user_sgpr_flat_scratch_init 0
		.amdhsa_user_sgpr_private_segment_size 0
		.amdhsa_wavefront_size32 1
		.amdhsa_uses_dynamic_stack 0
		.amdhsa_system_sgpr_private_segment_wavefront_offset 0
		.amdhsa_system_sgpr_workgroup_id_x 1
		.amdhsa_system_sgpr_workgroup_id_y 0
		.amdhsa_system_sgpr_workgroup_id_z 0
		.amdhsa_system_sgpr_workgroup_info 0
		.amdhsa_system_vgpr_workitem_id 0
		.amdhsa_next_free_vgpr 24
		.amdhsa_next_free_sgpr 19
		.amdhsa_reserve_vcc 1
		.amdhsa_reserve_flat_scratch 0
		.amdhsa_float_round_mode_32 0
		.amdhsa_float_round_mode_16_64 0
		.amdhsa_float_denorm_mode_32 3
		.amdhsa_float_denorm_mode_16_64 3
		.amdhsa_dx10_clamp 1
		.amdhsa_ieee_mode 1
		.amdhsa_fp16_overflow 0
		.amdhsa_workgroup_processor_mode 1
		.amdhsa_memory_ordered 1
		.amdhsa_forward_progress 1
		.amdhsa_shared_vgpr_count 0
		.amdhsa_exception_fp_ieee_invalid_op 0
		.amdhsa_exception_fp_denorm_src 0
		.amdhsa_exception_fp_ieee_div_zero 0
		.amdhsa_exception_fp_ieee_overflow 0
		.amdhsa_exception_fp_ieee_underflow 0
		.amdhsa_exception_fp_ieee_inexact 0
		.amdhsa_exception_int_div_zero 0
	.end_amdhsa_kernel
	.section	.text._ZN9rocsolver6v33100L18getri_kernel_smallILi3EdPdEEvT1_iilPiilS4_bb,"axG",@progbits,_ZN9rocsolver6v33100L18getri_kernel_smallILi3EdPdEEvT1_iilPiilS4_bb,comdat
.Lfunc_end2:
	.size	_ZN9rocsolver6v33100L18getri_kernel_smallILi3EdPdEEvT1_iilPiilS4_bb, .Lfunc_end2-_ZN9rocsolver6v33100L18getri_kernel_smallILi3EdPdEEvT1_iilPiilS4_bb
                                        ; -- End function
	.set _ZN9rocsolver6v33100L18getri_kernel_smallILi3EdPdEEvT1_iilPiilS4_bb.num_vgpr, 24
	.set _ZN9rocsolver6v33100L18getri_kernel_smallILi3EdPdEEvT1_iilPiilS4_bb.num_agpr, 0
	.set _ZN9rocsolver6v33100L18getri_kernel_smallILi3EdPdEEvT1_iilPiilS4_bb.numbered_sgpr, 19
	.set _ZN9rocsolver6v33100L18getri_kernel_smallILi3EdPdEEvT1_iilPiilS4_bb.num_named_barrier, 0
	.set _ZN9rocsolver6v33100L18getri_kernel_smallILi3EdPdEEvT1_iilPiilS4_bb.private_seg_size, 0
	.set _ZN9rocsolver6v33100L18getri_kernel_smallILi3EdPdEEvT1_iilPiilS4_bb.uses_vcc, 1
	.set _ZN9rocsolver6v33100L18getri_kernel_smallILi3EdPdEEvT1_iilPiilS4_bb.uses_flat_scratch, 0
	.set _ZN9rocsolver6v33100L18getri_kernel_smallILi3EdPdEEvT1_iilPiilS4_bb.has_dyn_sized_stack, 0
	.set _ZN9rocsolver6v33100L18getri_kernel_smallILi3EdPdEEvT1_iilPiilS4_bb.has_recursion, 0
	.set _ZN9rocsolver6v33100L18getri_kernel_smallILi3EdPdEEvT1_iilPiilS4_bb.has_indirect_call, 0
	.section	.AMDGPU.csdata,"",@progbits
; Kernel info:
; codeLenInByte = 1668
; TotalNumSgprs: 21
; NumVgprs: 24
; ScratchSize: 0
; MemoryBound: 0
; FloatMode: 240
; IeeeMode: 1
; LDSByteSize: 56 bytes/workgroup (compile time only)
; SGPRBlocks: 0
; VGPRBlocks: 2
; NumSGPRsForWavesPerEU: 21
; NumVGPRsForWavesPerEU: 24
; Occupancy: 16
; WaveLimiterHint : 0
; COMPUTE_PGM_RSRC2:SCRATCH_EN: 0
; COMPUTE_PGM_RSRC2:USER_SGPR: 6
; COMPUTE_PGM_RSRC2:TRAP_HANDLER: 0
; COMPUTE_PGM_RSRC2:TGID_X_EN: 1
; COMPUTE_PGM_RSRC2:TGID_Y_EN: 0
; COMPUTE_PGM_RSRC2:TGID_Z_EN: 0
; COMPUTE_PGM_RSRC2:TIDIG_COMP_CNT: 0
	.section	.text._ZN9rocsolver6v33100L18getri_kernel_smallILi4EdPdEEvT1_iilPiilS4_bb,"axG",@progbits,_ZN9rocsolver6v33100L18getri_kernel_smallILi4EdPdEEvT1_iilPiilS4_bb,comdat
	.globl	_ZN9rocsolver6v33100L18getri_kernel_smallILi4EdPdEEvT1_iilPiilS4_bb ; -- Begin function _ZN9rocsolver6v33100L18getri_kernel_smallILi4EdPdEEvT1_iilPiilS4_bb
	.p2align	8
	.type	_ZN9rocsolver6v33100L18getri_kernel_smallILi4EdPdEEvT1_iilPiilS4_bb,@function
_ZN9rocsolver6v33100L18getri_kernel_smallILi4EdPdEEvT1_iilPiilS4_bb: ; @_ZN9rocsolver6v33100L18getri_kernel_smallILi4EdPdEEvT1_iilPiilS4_bb
; %bb.0:
	s_mov_b32 s0, exec_lo
	v_cmpx_gt_u32_e32 4, v0
	s_cbranch_execz .LBB3_16
; %bb.1:
	s_clause 0x2
	s_load_dword s0, s[4:5], 0x38
	s_load_dwordx4 s[12:15], s[4:5], 0x10
	s_load_dwordx4 s[8:11], s[4:5], 0x28
                                        ; implicit-def: $sgpr16_sgpr17
	s_waitcnt lgkmcnt(0)
	s_bitcmp1_b32 s0, 8
	s_cselect_b32 s18, -1, 0
	s_bfe_u32 s0, s0, 0x10008
	s_ashr_i32 s7, s6, 31
	s_cmp_eq_u32 s0, 0
	s_cbranch_scc1 .LBB3_3
; %bb.2:
	s_load_dword s0, s[4:5], 0x20
	s_mul_i32 s1, s8, s7
	s_mul_hi_u32 s2, s8, s6
	s_mul_i32 s3, s9, s6
	s_add_i32 s1, s2, s1
	s_mul_i32 s2, s8, s6
	s_add_i32 s3, s1, s3
	s_lshl_b64 s[2:3], s[2:3], 2
	s_waitcnt lgkmcnt(0)
	s_ashr_i32 s1, s0, 31
	s_add_u32 s2, s14, s2
	s_addc_u32 s3, s15, s3
	s_lshl_b64 s[0:1], s[0:1], 2
	s_add_u32 s16, s2, s0
	s_addc_u32 s17, s3, s1
.LBB3_3:
	s_clause 0x1
	s_load_dwordx4 s[0:3], s[4:5], 0x0
	s_load_dword s14, s[4:5], 0x38
	s_mul_i32 s4, s12, s7
	s_mul_hi_u32 s5, s12, s6
	s_mul_i32 s8, s13, s6
	s_add_i32 s5, s5, s4
	s_mul_i32 s4, s12, s6
	s_add_i32 s5, s5, s8
	v_lshlrev_b32_e32 v20, 3, v0
	s_lshl_b64 s[4:5], s[4:5], 3
	s_waitcnt lgkmcnt(0)
	v_add3_u32 v1, s3, s3, v0
	s_ashr_i32 s9, s2, 31
	s_mov_b32 s8, s2
	s_add_u32 s2, s0, s4
	s_addc_u32 s5, s1, s5
	v_add_nc_u32_e32 v3, s3, v1
	s_lshl_b64 s[0:1], s[8:9], 3
	v_ashrrev_i32_e32 v2, 31, v1
	s_add_u32 s0, s2, s0
	s_addc_u32 s1, s5, s1
	v_ashrrev_i32_e32 v4, 31, v3
	v_add_co_u32 v10, s2, s0, v20
	s_mov_b32 s4, s3
	s_ashr_i32 s5, s3, 31
	v_lshlrev_b64 v[1:2], 3, v[1:2]
	v_add_co_ci_u32_e64 v11, null, s1, 0, s2
	s_lshl_b64 s[2:3], s[4:5], 3
	v_lshlrev_b64 v[3:4], 3, v[3:4]
	v_add_co_u32 v12, vcc_lo, v10, s2
	v_add_co_ci_u32_e64 v13, null, s3, v11, vcc_lo
	v_add_co_u32 v16, vcc_lo, s0, v1
	v_add_co_ci_u32_e64 v17, null, s1, v2, vcc_lo
	;; [unrolled: 2-line block ×3, first 2 shown]
	s_clause 0x3
	global_load_dwordx2 v[2:3], v20, s[0:1]
	global_load_dwordx2 v[4:5], v[12:13], off
	global_load_dwordx2 v[6:7], v[16:17], off
	;; [unrolled: 1-line block ×3, first 2 shown]
	v_mov_b32_e32 v1, 0
	s_bitcmp0_b32 s14, 0
	s_mov_b32 s0, -1
	s_cbranch_scc1 .LBB3_14
; %bb.4:
	v_cmp_eq_u32_e64 s0, 0, v0
	s_and_saveexec_b32 s1, s0
; %bb.5:
	v_mov_b32_e32 v18, 0
	ds_write_b32 v18, v18 offset:64
; %bb.6:
	s_or_b32 exec_lo, exec_lo, s1
	v_cmp_eq_u32_e32 vcc_lo, 1, v0
	s_mov_b32 s2, exec_lo
	s_waitcnt vmcnt(0) lgkmcnt(0)
	s_barrier
	buffer_gl0_inv
	v_cndmask_b32_e32 v18, v3, v5, vcc_lo
	v_cndmask_b32_e32 v19, v2, v4, vcc_lo
	v_cmp_eq_u32_e32 vcc_lo, 2, v0
	v_cndmask_b32_e32 v18, v18, v7, vcc_lo
	v_cndmask_b32_e32 v21, v19, v6, vcc_lo
	v_cmp_eq_u32_e32 vcc_lo, 3, v0
	v_cndmask_b32_e32 v19, v18, v9, vcc_lo
	v_cndmask_b32_e32 v18, v21, v8, vcc_lo
	v_cmpx_eq_f64_e32 0, v[18:19]
	s_cbranch_execz .LBB3_10
; %bb.7:
	v_mov_b32_e32 v21, 0
	s_mov_b32 s3, 0
	ds_read_b32 v22, v21 offset:64
	s_waitcnt lgkmcnt(0)
	v_readfirstlane_b32 s1, v22
	v_add_nc_u32_e32 v22, 1, v0
	s_cmp_eq_u32 s1, 0
	v_cmp_gt_i32_e32 vcc_lo, s1, v22
	s_cselect_b32 s4, -1, 0
	s_or_b32 s4, s4, vcc_lo
	s_and_b32 exec_lo, exec_lo, s4
	s_cbranch_execz .LBB3_10
; %bb.8:
	v_mov_b32_e32 v23, s1
.LBB3_9:                                ; =>This Inner Loop Header: Depth=1
	ds_cmpst_rtn_b32 v23, v21, v23, v22 offset:64
	s_waitcnt lgkmcnt(0)
	v_cmp_ne_u32_e32 vcc_lo, 0, v23
	v_cmp_le_i32_e64 s1, v23, v22
	s_and_b32 s1, vcc_lo, s1
	s_and_b32 s1, exec_lo, s1
	s_or_b32 s3, s1, s3
	s_andn2_b32 exec_lo, exec_lo, s3
	s_cbranch_execnz .LBB3_9
.LBB3_10:
	s_or_b32 exec_lo, exec_lo, s2
	v_mov_b32_e32 v21, 0
	s_barrier
	buffer_gl0_inv
	ds_read_b32 v22, v21 offset:64
	s_and_saveexec_b32 s1, s0
	s_cbranch_execz .LBB3_12
; %bb.11:
	s_lshl_b64 s[2:3], s[6:7], 2
	s_add_u32 s2, s10, s2
	s_addc_u32 s3, s11, s3
	s_waitcnt lgkmcnt(0)
	global_store_dword v21, v22, s[2:3]
.LBB3_12:
	s_or_b32 exec_lo, exec_lo, s1
	s_waitcnt lgkmcnt(0)
	v_cmp_ne_u32_e32 vcc_lo, 0, v22
	s_cbranch_vccz .LBB3_17
; %bb.13:
	s_mov_b32 s0, 0
                                        ; implicit-def: $vgpr2_vgpr3_vgpr4_vgpr5_vgpr6_vgpr7_vgpr8_vgpr9
.LBB3_14:
	s_and_b32 vcc_lo, exec_lo, s0
	s_cbranch_vccz .LBB3_16
.LBB3_15:
	s_lshl_b64 s[0:1], s[6:7], 2
	v_mov_b32_e32 v1, 0
	s_add_u32 s0, s10, s0
	s_addc_u32 s1, s11, s1
	global_load_dword v1, v1, s[0:1]
	s_waitcnt vmcnt(0)
	v_cmp_ne_u32_e32 vcc_lo, 0, v1
	s_cbranch_vccz .LBB3_28
.LBB3_16:
	s_endpgm
.LBB3_17:
	v_div_scale_f64 v[21:22], null, v[18:19], v[18:19], 1.0
	v_div_scale_f64 v[27:28], vcc_lo, 1.0, v[18:19], 1.0
	v_cmp_eq_u32_e64 s1, 2, v0
	v_cmp_eq_u32_e64 s2, 1, v0
	;; [unrolled: 1-line block ×3, first 2 shown]
	v_rcp_f64_e32 v[23:24], v[21:22]
	v_fma_f64 v[25:26], -v[21:22], v[23:24], 1.0
	v_fma_f64 v[23:24], v[23:24], v[25:26], v[23:24]
	v_fma_f64 v[25:26], -v[21:22], v[23:24], 1.0
	v_fma_f64 v[23:24], v[23:24], v[25:26], v[23:24]
	v_mul_f64 v[25:26], v[27:28], v[23:24]
	v_fma_f64 v[21:22], -v[21:22], v[25:26], v[27:28]
	v_div_fmas_f64 v[21:22], v[21:22], v[23:24], v[25:26]
	v_cmp_eq_u32_e32 vcc_lo, 3, v0
	v_div_fixup_f64 v[18:19], v[21:22], v[18:19], 1.0
	v_add_nc_u32_e32 v21, 32, v20
	v_cndmask_b32_e32 v9, v9, v19, vcc_lo
	v_cndmask_b32_e32 v8, v8, v18, vcc_lo
	v_cndmask_b32_e64 v5, v5, v19, s2
	v_cndmask_b32_e64 v4, v4, v18, s2
	v_xor_b32_e32 v23, 0x80000000, v19
	v_mov_b32_e32 v22, v18
	v_cndmask_b32_e64 v7, v7, v19, s1
	v_cndmask_b32_e64 v6, v6, v18, s1
	;; [unrolled: 1-line block ×4, first 2 shown]
	ds_write2_b64 v20, v[22:23], v[4:5] offset1:4
	s_waitcnt lgkmcnt(0)
	s_waitcnt_vscnt null, 0x0
	s_barrier
	buffer_gl0_inv
	s_and_saveexec_b32 s1, s0
	s_cbranch_execz .LBB3_19
; %bb.18:
	ds_read_b64 v[4:5], v21
	v_mov_b32_e32 v20, 0
	ds_read_b64 v[22:23], v20 offset:8
	s_waitcnt lgkmcnt(1)
	v_fma_f64 v[4:5], v[18:19], v[4:5], 0
	s_waitcnt lgkmcnt(0)
	v_mul_f64 v[4:5], v[4:5], v[22:23]
.LBB3_19:
	s_or_b32 exec_lo, exec_lo, s1
	s_mov_b32 s1, exec_lo
	s_barrier
	buffer_gl0_inv
	ds_write_b64 v21, v[6:7]
	s_waitcnt lgkmcnt(0)
	s_barrier
	buffer_gl0_inv
	v_cmpx_gt_u32_e32 2, v0
	s_cbranch_execz .LBB3_23
; %bb.20:
	v_cmp_eq_u32_e32 vcc_lo, 1, v0
	ds_read_b64 v[18:19], v21
	v_cndmask_b32_e32 v20, v3, v5, vcc_lo
	v_cndmask_b32_e32 v22, v2, v4, vcc_lo
	v_cmp_eq_u32_e32 vcc_lo, 2, v0
	v_cndmask_b32_e32 v7, v20, v7, vcc_lo
	v_cndmask_b32_e32 v6, v22, v6, vcc_lo
	v_cmp_eq_u32_e32 vcc_lo, 3, v0
	v_cndmask_b32_e32 v7, v7, v9, vcc_lo
	v_cndmask_b32_e32 v6, v6, v8, vcc_lo
	s_waitcnt lgkmcnt(0)
	v_fma_f64 v[6:7], v[6:7], v[18:19], 0
	s_and_saveexec_b32 s2, s0
	s_cbranch_execz .LBB3_22
; %bb.21:
	v_mov_b32_e32 v18, 0
	ds_read_b64 v[18:19], v18 offset:40
	s_waitcnt lgkmcnt(0)
	v_fma_f64 v[6:7], v[4:5], v[18:19], v[6:7]
.LBB3_22:
	s_or_b32 exec_lo, exec_lo, s2
	v_mov_b32_e32 v18, 0
	ds_read_b64 v[18:19], v18 offset:16
	s_waitcnt lgkmcnt(0)
	v_mul_f64 v[6:7], v[6:7], v[18:19]
.LBB3_23:
	s_or_b32 exec_lo, exec_lo, s1
	s_mov_b32 s1, exec_lo
	s_barrier
	buffer_gl0_inv
	ds_write_b64 v21, v[8:9]
	s_waitcnt lgkmcnt(0)
	s_barrier
	buffer_gl0_inv
	v_cmpx_ne_u32_e32 3, v0
	s_cbranch_execz .LBB3_27
; %bb.24:
	v_mov_b32_e32 v18, 0
	v_mov_b32_e32 v21, v1
	v_lshl_add_u32 v22, v0, 3, 32
	v_mov_b32_e32 v19, 0
	v_mov_b32_e32 v20, v0
	s_mov_b32 s2, 0
	.p2align	6
.LBB3_25:                               ; =>This Inner Loop Header: Depth=1
	ds_read_b64 v[23:24], v22
	v_cmp_eq_u32_e32 vcc_lo, 1, v20
	v_cmp_eq_u32_e64 s0, 2, v20
	v_add_nc_u32_e32 v22, 8, v22
	v_cndmask_b32_e32 v1, v3, v5, vcc_lo
	v_cndmask_b32_e32 v25, v2, v4, vcc_lo
	v_cmp_eq_u32_e32 vcc_lo, 3, v20
	v_cndmask_b32_e64 v1, v1, v7, s0
	v_cndmask_b32_e64 v25, v25, v6, s0
	v_cndmask_b32_e32 v26, v1, v9, vcc_lo
	v_cndmask_b32_e32 v25, v25, v8, vcc_lo
	v_add_co_u32 v20, vcc_lo, v20, 1
	v_add_co_ci_u32_e64 v21, null, 0, v21, vcc_lo
	s_waitcnt lgkmcnt(0)
	v_fma_f64 v[18:19], v[25:26], v[23:24], v[18:19]
	v_add_nc_u32_e32 v1, -1, v20
	v_cmp_lt_u32_e32 vcc_lo, 1, v1
	s_or_b32 s2, vcc_lo, s2
	s_andn2_b32 exec_lo, exec_lo, s2
	s_cbranch_execnz .LBB3_25
; %bb.26:
	s_or_b32 exec_lo, exec_lo, s2
	v_mov_b32_e32 v1, 0
	ds_read_b64 v[8:9], v1 offset:24
	s_waitcnt lgkmcnt(0)
	v_mul_f64 v[8:9], v[18:19], v[8:9]
.LBB3_27:
	s_or_b32 exec_lo, exec_lo, s1
	s_barrier
	buffer_gl0_inv
	s_cbranch_execnz .LBB3_15
	s_branch .LBB3_16
.LBB3_28:
	v_lshl_add_u32 v1, v0, 3, 32
	s_mov_b32 s0, exec_lo
	v_cmpx_eq_u32_e32 3, v0
	s_cbranch_execz .LBB3_30
; %bb.29:
	s_mov_b32 s1, 0
	v_mov_b32_e32 v25, v9
	v_mov_b32_e32 v23, v7
	;; [unrolled: 1-line block ×10, first 2 shown]
	ds_write_b64 v1, v[6:7]
	v_mov_b32_e32 v2, v18
	v_mov_b32_e32 v3, v19
	;; [unrolled: 1-line block ×8, first 2 shown]
.LBB3_30:
	s_or_b32 exec_lo, exec_lo, s0
	v_mov_b32_e32 v18, 0
	s_waitcnt lgkmcnt(0)
	s_waitcnt_vscnt null, 0x0
	s_barrier
	buffer_gl0_inv
	s_mov_b32 s0, exec_lo
	ds_read_b64 v[19:20], v18 offset:56
	s_waitcnt lgkmcnt(0)
	v_fma_f64 v[19:20], v[8:9], v[19:20], 0
	v_add_f64 v[6:7], v[6:7], -v[19:20]
	v_cmpx_lt_u32_e32 1, v0
	s_cbranch_execz .LBB3_32
; %bb.31:
	s_mov_b32 s1, 0
	v_mov_b32_e32 v26, v9
	v_mov_b32_e32 v22, v5
	;; [unrolled: 1-line block ×10, first 2 shown]
	ds_write_b64 v1, v[4:5]
	v_mov_b32_e32 v2, v19
	v_mov_b32_e32 v3, v20
	;; [unrolled: 1-line block ×8, first 2 shown]
.LBB3_32:
	s_or_b32 exec_lo, exec_lo, s0
	s_waitcnt lgkmcnt(0)
	s_barrier
	buffer_gl0_inv
	ds_read_b128 v[18:21], v18 offset:48
	s_mov_b32 s1, 0
	s_mov_b32 s0, exec_lo
	s_waitcnt lgkmcnt(0)
	v_fma_f64 v[18:19], v[6:7], v[18:19], 0
	v_fma_f64 v[18:19], v[8:9], v[20:21], v[18:19]
	v_add_f64 v[4:5], v[4:5], -v[18:19]
	v_cmpx_ne_u32_e32 0, v0
	s_cbranch_execz .LBB3_34
; %bb.33:
	v_mov_b32_e32 v25, v9
	v_mov_b32_e32 v18, v2
	;; [unrolled: 1-line block ×10, first 2 shown]
	ds_write_b64 v1, v[2:3]
	v_mov_b32_e32 v2, v18
	v_mov_b32_e32 v5, v21
	;; [unrolled: 1-line block ×8, first 2 shown]
.LBB3_34:
	s_or_b32 exec_lo, exec_lo, s0
	v_mov_b32_e32 v0, 0
	s_waitcnt lgkmcnt(0)
	s_barrier
	buffer_gl0_inv
	s_and_b32 vcc_lo, exec_lo, s18
	ds_read2_b64 v[18:21], v0 offset0:5 offset1:6
	ds_read_b64 v[22:23], v0 offset:56
	s_waitcnt lgkmcnt(1)
	v_fma_f64 v[18:19], v[4:5], v[18:19], 0
	v_fma_f64 v[18:19], v[6:7], v[20:21], v[18:19]
	s_waitcnt lgkmcnt(0)
	v_fma_f64 v[18:19], v[8:9], v[22:23], v[18:19]
	v_add_f64 v[2:3], v[2:3], -v[18:19]
	s_cbranch_vccz .LBB3_41
; %bb.35:
	global_load_dword v0, v0, s[16:17] offset:8
	s_waitcnt vmcnt(0)
	v_readfirstlane_b32 s1, v0
	s_add_i32 s1, s1, -1
	s_cmp_lg_u32 s1, 2
	s_cbranch_scc0 .LBB3_37
; %bb.36:
	s_cmp_eq_u32 s1, 1
	s_cselect_b32 vcc_lo, -1, 0
	s_cmp_eq_u32 s1, 2
	v_cndmask_b32_e32 v0, v2, v4, vcc_lo
	v_cndmask_b32_e32 v1, v3, v5, vcc_lo
	s_cselect_b32 s0, -1, 0
	s_cmp_eq_u32 s1, 3
	v_cndmask_b32_e32 v21, v5, v7, vcc_lo
	v_cndmask_b32_e64 v0, v0, v6, s0
	v_cndmask_b32_e64 v1, v1, v7, s0
	v_cndmask_b32_e32 v20, v4, v6, vcc_lo
	s_cselect_b32 vcc_lo, -1, 0
	s_cmp_eq_u32 s1, 0
	v_cndmask_b32_e32 v0, v0, v8, vcc_lo
	v_cndmask_b32_e32 v1, v1, v9, vcc_lo
	;; [unrolled: 1-line block ×4, first 2 shown]
	s_cselect_b32 vcc_lo, -1, 0
	v_cndmask_b32_e64 v22, v0, v6, s0
	v_cndmask_b32_e32 v18, v2, v6, vcc_lo
	v_cndmask_b32_e64 v23, v1, v7, s0
	v_cndmask_b32_e32 v19, v3, v7, vcc_lo
	v_mov_b32_e32 v2, v18
	v_mov_b32_e32 v4, v20
	;; [unrolled: 1-line block ×8, first 2 shown]
.LBB3_37:
	v_mov_b32_e32 v0, 0
	global_load_dword v1, v0, s[16:17] offset:4
	s_waitcnt vmcnt(0)
	v_readfirstlane_b32 s1, v1
	s_add_i32 s1, s1, -1
	s_cmp_eq_u32 s1, 1
	s_cbranch_scc1 .LBB3_39
; %bb.38:
	s_cselect_b32 vcc_lo, -1, 0
	s_cmp_eq_u32 s1, 2
	v_cndmask_b32_e32 v1, v2, v4, vcc_lo
	v_cndmask_b32_e32 v18, v3, v5, vcc_lo
	s_cselect_b32 s0, -1, 0
	s_cmp_eq_u32 s1, 3
	v_cndmask_b32_e64 v23, v7, v5, s0
	v_cndmask_b32_e64 v1, v1, v6, s0
	;; [unrolled: 1-line block ×4, first 2 shown]
	s_cselect_b32 s0, -1, 0
	s_cmp_eq_u32 s1, 0
	v_cndmask_b32_e64 v1, v1, v8, s0
	v_cndmask_b32_e64 v6, v18, v9, s0
	;; [unrolled: 1-line block ×4, first 2 shown]
	v_cndmask_b32_e32 v20, v1, v4, vcc_lo
	v_cndmask_b32_e32 v21, v6, v5, vcc_lo
	s_cselect_b32 vcc_lo, -1, 0
	v_cndmask_b32_e32 v18, v2, v4, vcc_lo
	v_cndmask_b32_e32 v19, v3, v5, vcc_lo
	v_mov_b32_e32 v2, v18
	v_mov_b32_e32 v3, v19
	;; [unrolled: 1-line block ×8, first 2 shown]
.LBB3_39:
	global_load_dword v0, v0, s[16:17]
	s_waitcnt vmcnt(0)
	v_readfirstlane_b32 s2, v0
	s_add_i32 s2, s2, -1
	s_cmp_eq_u32 s2, 0
	s_cbranch_scc1 .LBB3_41
; %bb.40:
	s_cmp_eq_u32 s2, 1
	s_cselect_b32 vcc_lo, -1, 0
	s_cmp_eq_u32 s2, 2
	v_cndmask_b32_e32 v0, v2, v4, vcc_lo
	v_cndmask_b32_e32 v1, v3, v5, vcc_lo
	s_cselect_b32 s0, -1, 0
	s_cmp_eq_u32 s2, 3
	v_cndmask_b32_e64 v23, v7, v3, s0
	v_cndmask_b32_e64 v0, v0, v6, s0
	;; [unrolled: 1-line block ×3, first 2 shown]
	s_cselect_b32 s1, -1, 0
	s_cmp_eq_u32 s2, 0
	v_cndmask_b32_e64 v22, v6, v2, s0
	v_cndmask_b32_e64 v0, v0, v8, s1
	;; [unrolled: 1-line block ×3, first 2 shown]
	s_cselect_b32 s0, -1, 0
	v_cndmask_b32_e64 v25, v9, v3, s1
	v_cndmask_b32_e64 v24, v8, v2, s1
	;; [unrolled: 1-line block ×4, first 2 shown]
	v_cndmask_b32_e32 v21, v5, v3, vcc_lo
	v_cndmask_b32_e32 v20, v4, v2, vcc_lo
	v_mov_b32_e32 v2, v18
	v_mov_b32_e32 v3, v19
	;; [unrolled: 1-line block ×8, first 2 shown]
.LBB3_41:
	global_store_dwordx2 v[10:11], v[2:3], off
	global_store_dwordx2 v[12:13], v[4:5], off
	;; [unrolled: 1-line block ×4, first 2 shown]
	s_endpgm
	.section	.rodata,"a",@progbits
	.p2align	6, 0x0
	.amdhsa_kernel _ZN9rocsolver6v33100L18getri_kernel_smallILi4EdPdEEvT1_iilPiilS4_bb
		.amdhsa_group_segment_fixed_size 72
		.amdhsa_private_segment_fixed_size 0
		.amdhsa_kernarg_size 60
		.amdhsa_user_sgpr_count 6
		.amdhsa_user_sgpr_private_segment_buffer 1
		.amdhsa_user_sgpr_dispatch_ptr 0
		.amdhsa_user_sgpr_queue_ptr 0
		.amdhsa_user_sgpr_kernarg_segment_ptr 1
		.amdhsa_user_sgpr_dispatch_id 0
		.amdhsa_user_sgpr_flat_scratch_init 0
		.amdhsa_user_sgpr_private_segment_size 0
		.amdhsa_wavefront_size32 1
		.amdhsa_uses_dynamic_stack 0
		.amdhsa_system_sgpr_private_segment_wavefront_offset 0
		.amdhsa_system_sgpr_workgroup_id_x 1
		.amdhsa_system_sgpr_workgroup_id_y 0
		.amdhsa_system_sgpr_workgroup_id_z 0
		.amdhsa_system_sgpr_workgroup_info 0
		.amdhsa_system_vgpr_workitem_id 0
		.amdhsa_next_free_vgpr 29
		.amdhsa_next_free_sgpr 19
		.amdhsa_reserve_vcc 1
		.amdhsa_reserve_flat_scratch 0
		.amdhsa_float_round_mode_32 0
		.amdhsa_float_round_mode_16_64 0
		.amdhsa_float_denorm_mode_32 3
		.amdhsa_float_denorm_mode_16_64 3
		.amdhsa_dx10_clamp 1
		.amdhsa_ieee_mode 1
		.amdhsa_fp16_overflow 0
		.amdhsa_workgroup_processor_mode 1
		.amdhsa_memory_ordered 1
		.amdhsa_forward_progress 1
		.amdhsa_shared_vgpr_count 0
		.amdhsa_exception_fp_ieee_invalid_op 0
		.amdhsa_exception_fp_denorm_src 0
		.amdhsa_exception_fp_ieee_div_zero 0
		.amdhsa_exception_fp_ieee_overflow 0
		.amdhsa_exception_fp_ieee_underflow 0
		.amdhsa_exception_fp_ieee_inexact 0
		.amdhsa_exception_int_div_zero 0
	.end_amdhsa_kernel
	.section	.text._ZN9rocsolver6v33100L18getri_kernel_smallILi4EdPdEEvT1_iilPiilS4_bb,"axG",@progbits,_ZN9rocsolver6v33100L18getri_kernel_smallILi4EdPdEEvT1_iilPiilS4_bb,comdat
.Lfunc_end3:
	.size	_ZN9rocsolver6v33100L18getri_kernel_smallILi4EdPdEEvT1_iilPiilS4_bb, .Lfunc_end3-_ZN9rocsolver6v33100L18getri_kernel_smallILi4EdPdEEvT1_iilPiilS4_bb
                                        ; -- End function
	.set _ZN9rocsolver6v33100L18getri_kernel_smallILi4EdPdEEvT1_iilPiilS4_bb.num_vgpr, 29
	.set _ZN9rocsolver6v33100L18getri_kernel_smallILi4EdPdEEvT1_iilPiilS4_bb.num_agpr, 0
	.set _ZN9rocsolver6v33100L18getri_kernel_smallILi4EdPdEEvT1_iilPiilS4_bb.numbered_sgpr, 19
	.set _ZN9rocsolver6v33100L18getri_kernel_smallILi4EdPdEEvT1_iilPiilS4_bb.num_named_barrier, 0
	.set _ZN9rocsolver6v33100L18getri_kernel_smallILi4EdPdEEvT1_iilPiilS4_bb.private_seg_size, 0
	.set _ZN9rocsolver6v33100L18getri_kernel_smallILi4EdPdEEvT1_iilPiilS4_bb.uses_vcc, 1
	.set _ZN9rocsolver6v33100L18getri_kernel_smallILi4EdPdEEvT1_iilPiilS4_bb.uses_flat_scratch, 0
	.set _ZN9rocsolver6v33100L18getri_kernel_smallILi4EdPdEEvT1_iilPiilS4_bb.has_dyn_sized_stack, 0
	.set _ZN9rocsolver6v33100L18getri_kernel_smallILi4EdPdEEvT1_iilPiilS4_bb.has_recursion, 0
	.set _ZN9rocsolver6v33100L18getri_kernel_smallILi4EdPdEEvT1_iilPiilS4_bb.has_indirect_call, 0
	.section	.AMDGPU.csdata,"",@progbits
; Kernel info:
; codeLenInByte = 2440
; TotalNumSgprs: 21
; NumVgprs: 29
; ScratchSize: 0
; MemoryBound: 0
; FloatMode: 240
; IeeeMode: 1
; LDSByteSize: 72 bytes/workgroup (compile time only)
; SGPRBlocks: 0
; VGPRBlocks: 3
; NumSGPRsForWavesPerEU: 21
; NumVGPRsForWavesPerEU: 29
; Occupancy: 16
; WaveLimiterHint : 0
; COMPUTE_PGM_RSRC2:SCRATCH_EN: 0
; COMPUTE_PGM_RSRC2:USER_SGPR: 6
; COMPUTE_PGM_RSRC2:TRAP_HANDLER: 0
; COMPUTE_PGM_RSRC2:TGID_X_EN: 1
; COMPUTE_PGM_RSRC2:TGID_Y_EN: 0
; COMPUTE_PGM_RSRC2:TGID_Z_EN: 0
; COMPUTE_PGM_RSRC2:TIDIG_COMP_CNT: 0
	.section	.text._ZN9rocsolver6v33100L18getri_kernel_smallILi5EdPdEEvT1_iilPiilS4_bb,"axG",@progbits,_ZN9rocsolver6v33100L18getri_kernel_smallILi5EdPdEEvT1_iilPiilS4_bb,comdat
	.globl	_ZN9rocsolver6v33100L18getri_kernel_smallILi5EdPdEEvT1_iilPiilS4_bb ; -- Begin function _ZN9rocsolver6v33100L18getri_kernel_smallILi5EdPdEEvT1_iilPiilS4_bb
	.p2align	8
	.type	_ZN9rocsolver6v33100L18getri_kernel_smallILi5EdPdEEvT1_iilPiilS4_bb,@function
_ZN9rocsolver6v33100L18getri_kernel_smallILi5EdPdEEvT1_iilPiilS4_bb: ; @_ZN9rocsolver6v33100L18getri_kernel_smallILi5EdPdEEvT1_iilPiilS4_bb
; %bb.0:
	s_mov_b32 s0, exec_lo
	v_cmpx_gt_u32_e32 5, v0
	s_cbranch_execz .LBB4_16
; %bb.1:
	s_clause 0x2
	s_load_dword s0, s[4:5], 0x38
	s_load_dwordx4 s[12:15], s[4:5], 0x10
	s_load_dwordx4 s[8:11], s[4:5], 0x28
                                        ; implicit-def: $sgpr16_sgpr17
	s_waitcnt lgkmcnt(0)
	s_bitcmp1_b32 s0, 8
	s_cselect_b32 s18, -1, 0
	s_bfe_u32 s0, s0, 0x10008
	s_ashr_i32 s7, s6, 31
	s_cmp_eq_u32 s0, 0
	s_cbranch_scc1 .LBB4_3
; %bb.2:
	s_load_dword s0, s[4:5], 0x20
	s_mul_i32 s1, s8, s7
	s_mul_hi_u32 s2, s8, s6
	s_mul_i32 s3, s9, s6
	s_add_i32 s1, s2, s1
	s_mul_i32 s2, s8, s6
	s_add_i32 s3, s1, s3
	s_lshl_b64 s[2:3], s[2:3], 2
	s_waitcnt lgkmcnt(0)
	s_ashr_i32 s1, s0, 31
	s_add_u32 s2, s14, s2
	s_addc_u32 s3, s15, s3
	s_lshl_b64 s[0:1], s[0:1], 2
	s_add_u32 s16, s2, s0
	s_addc_u32 s17, s3, s1
.LBB4_3:
	s_clause 0x1
	s_load_dwordx4 s[0:3], s[4:5], 0x0
	s_load_dword s14, s[4:5], 0x38
	s_mul_i32 s4, s12, s7
	s_mul_hi_u32 s5, s12, s6
	s_mul_i32 s8, s13, s6
	s_add_i32 s5, s5, s4
	s_mul_i32 s4, s12, s6
	s_add_i32 s5, s5, s8
	v_lshlrev_b32_e32 v14, 3, v0
	s_lshl_b64 s[4:5], s[4:5], 3
	s_waitcnt lgkmcnt(0)
	v_add3_u32 v1, s3, s3, v0
	s_ashr_i32 s9, s2, 31
	s_mov_b32 s8, s2
	s_add_u32 s2, s0, s4
	s_addc_u32 s5, s1, s5
	v_add_nc_u32_e32 v3, s3, v1
	s_lshl_b64 s[0:1], s[8:9], 3
	v_ashrrev_i32_e32 v2, 31, v1
	s_add_u32 s0, s2, s0
	s_addc_u32 s1, s5, s1
	v_add_nc_u32_e32 v5, s3, v3
	v_add_co_u32 v28, s2, s0, v14
	s_mov_b32 s4, s3
	s_ashr_i32 s5, s3, 31
	v_lshlrev_b64 v[1:2], 3, v[1:2]
	v_add_co_ci_u32_e64 v29, null, s1, 0, s2
	v_ashrrev_i32_e32 v4, 31, v3
	s_lshl_b64 s[4:5], s[4:5], 3
	v_ashrrev_i32_e32 v6, 31, v5
	v_add_co_u32 v30, vcc_lo, v28, s4
	v_add_co_ci_u32_e64 v31, null, s5, v29, vcc_lo
	v_lshlrev_b64 v[3:4], 3, v[3:4]
	v_add_co_u32 v32, vcc_lo, s0, v1
	v_add_co_ci_u32_e64 v33, null, s1, v2, vcc_lo
	v_lshlrev_b64 v[1:2], 3, v[5:6]
	v_add_co_u32 v36, vcc_lo, s0, v3
	v_add_co_ci_u32_e64 v37, null, s1, v4, vcc_lo
	s_bitcmp0_b32 s14, 0
	v_add_co_u32 v34, vcc_lo, s0, v1
	v_add_co_ci_u32_e64 v35, null, s1, v2, vcc_lo
	s_clause 0x4
	global_load_dwordx2 v[2:3], v14, s[0:1]
	global_load_dwordx2 v[4:5], v[30:31], off
	global_load_dwordx2 v[6:7], v[32:33], off
	;; [unrolled: 1-line block ×4, first 2 shown]
	v_mov_b32_e32 v1, 0
	s_mov_b32 s0, -1
	s_cbranch_scc1 .LBB4_14
; %bb.4:
	v_cmp_eq_u32_e64 s0, 0, v0
	s_and_saveexec_b32 s1, s0
; %bb.5:
	v_mov_b32_e32 v12, 0
	ds_write_b32 v12, v12 offset:40
; %bb.6:
	s_or_b32 exec_lo, exec_lo, s1
	v_cmp_eq_u32_e32 vcc_lo, 1, v0
	s_mov_b32 s2, exec_lo
	s_waitcnt vmcnt(0) lgkmcnt(0)
	s_barrier
	buffer_gl0_inv
	v_cndmask_b32_e32 v12, v3, v5, vcc_lo
	v_cndmask_b32_e32 v13, v2, v4, vcc_lo
	v_cmp_eq_u32_e32 vcc_lo, 2, v0
	v_cndmask_b32_e32 v12, v12, v7, vcc_lo
	v_cndmask_b32_e32 v13, v13, v6, vcc_lo
	v_cmp_eq_u32_e32 vcc_lo, 3, v0
	;; [unrolled: 3-line block ×3, first 2 shown]
	v_cndmask_b32_e32 v13, v12, v11, vcc_lo
	v_cndmask_b32_e32 v12, v15, v10, vcc_lo
	v_cmpx_eq_f64_e32 0, v[12:13]
	s_cbranch_execz .LBB4_10
; %bb.7:
	v_mov_b32_e32 v15, 0
	s_mov_b32 s3, 0
	ds_read_b32 v16, v15 offset:40
	s_waitcnt lgkmcnt(0)
	v_readfirstlane_b32 s1, v16
	v_add_nc_u32_e32 v16, 1, v0
	s_cmp_eq_u32 s1, 0
	v_cmp_gt_i32_e32 vcc_lo, s1, v16
	s_cselect_b32 s4, -1, 0
	s_or_b32 s4, s4, vcc_lo
	s_and_b32 exec_lo, exec_lo, s4
	s_cbranch_execz .LBB4_10
; %bb.8:
	v_mov_b32_e32 v17, s1
.LBB4_9:                                ; =>This Inner Loop Header: Depth=1
	ds_cmpst_rtn_b32 v17, v15, v17, v16 offset:40
	s_waitcnt lgkmcnt(0)
	v_cmp_ne_u32_e32 vcc_lo, 0, v17
	v_cmp_le_i32_e64 s1, v17, v16
	s_and_b32 s1, vcc_lo, s1
	s_and_b32 s1, exec_lo, s1
	s_or_b32 s3, s1, s3
	s_andn2_b32 exec_lo, exec_lo, s3
	s_cbranch_execnz .LBB4_9
.LBB4_10:
	s_or_b32 exec_lo, exec_lo, s2
	v_mov_b32_e32 v15, 0
	s_barrier
	buffer_gl0_inv
	ds_read_b32 v16, v15 offset:40
	s_and_saveexec_b32 s1, s0
	s_cbranch_execz .LBB4_12
; %bb.11:
	s_lshl_b64 s[2:3], s[6:7], 2
	s_add_u32 s2, s10, s2
	s_addc_u32 s3, s11, s3
	s_waitcnt lgkmcnt(0)
	global_store_dword v15, v16, s[2:3]
.LBB4_12:
	s_or_b32 exec_lo, exec_lo, s1
	s_waitcnt lgkmcnt(0)
	v_cmp_ne_u32_e32 vcc_lo, 0, v16
	s_cbranch_vccz .LBB4_17
; %bb.13:
	s_mov_b32 s0, 0
                                        ; implicit-def: $vgpr2_vgpr3_vgpr4_vgpr5_vgpr6_vgpr7_vgpr8_vgpr9_vgpr10_vgpr11_vgpr12_vgpr13_vgpr14_vgpr15_vgpr16_vgpr17
.LBB4_14:
	s_and_b32 vcc_lo, exec_lo, s0
	s_cbranch_vccz .LBB4_16
.LBB4_15:
	s_lshl_b64 s[0:1], s[6:7], 2
	v_mov_b32_e32 v1, 0
	s_add_u32 s0, s10, s0
	s_addc_u32 s1, s11, s1
	global_load_dword v1, v1, s[0:1]
	s_waitcnt vmcnt(0)
	v_cmp_ne_u32_e32 vcc_lo, 0, v1
	s_cbranch_vccz .LBB4_32
.LBB4_16:
	s_endpgm
.LBB4_17:
	v_div_scale_f64 v[15:16], null, v[12:13], v[12:13], 1.0
	v_div_scale_f64 v[21:22], vcc_lo, 1.0, v[12:13], 1.0
	v_cmp_eq_u32_e64 s1, 3, v0
	v_cmp_eq_u32_e64 s2, 2, v0
	;; [unrolled: 1-line block ×4, first 2 shown]
	v_rcp_f64_e32 v[17:18], v[15:16]
	v_fma_f64 v[19:20], -v[15:16], v[17:18], 1.0
	v_fma_f64 v[17:18], v[17:18], v[19:20], v[17:18]
	v_fma_f64 v[19:20], -v[15:16], v[17:18], 1.0
	v_fma_f64 v[17:18], v[17:18], v[19:20], v[17:18]
	v_mul_f64 v[19:20], v[21:22], v[17:18]
	v_fma_f64 v[15:16], -v[15:16], v[19:20], v[21:22]
	v_div_fmas_f64 v[15:16], v[15:16], v[17:18], v[19:20]
	v_cmp_eq_u32_e32 vcc_lo, 4, v0
	v_div_fixup_f64 v[12:13], v[15:16], v[12:13], 1.0
	v_add_nc_u32_e32 v16, 48, v14
	v_cndmask_b32_e32 v11, v11, v13, vcc_lo
	v_cndmask_b32_e32 v10, v10, v12, vcc_lo
	v_cndmask_b32_e64 v9, v9, v13, s1
	v_cndmask_b32_e64 v8, v8, v12, s1
	;; [unrolled: 1-line block ×4, first 2 shown]
	v_xor_b32_e32 v18, 0x80000000, v13
	v_mov_b32_e32 v17, v12
	v_cndmask_b32_e64 v7, v7, v13, s2
	v_cndmask_b32_e64 v6, v6, v12, s2
	;; [unrolled: 1-line block ×4, first 2 shown]
	ds_write2_b64 v14, v[17:18], v[4:5] offset1:6
	s_waitcnt lgkmcnt(0)
	s_waitcnt_vscnt null, 0x0
	s_barrier
	buffer_gl0_inv
	s_and_saveexec_b32 s1, s0
	s_cbranch_execz .LBB4_19
; %bb.18:
	ds_read_b64 v[4:5], v16
	v_mov_b32_e32 v14, 0
	ds_read_b64 v[14:15], v14 offset:8
	s_waitcnt lgkmcnt(1)
	v_fma_f64 v[4:5], v[12:13], v[4:5], 0
	s_waitcnt lgkmcnt(0)
	v_mul_f64 v[4:5], v[4:5], v[14:15]
.LBB4_19:
	s_or_b32 exec_lo, exec_lo, s1
	s_mov_b32 s2, exec_lo
	s_barrier
	buffer_gl0_inv
	ds_write_b64 v16, v[6:7]
	s_waitcnt lgkmcnt(0)
	s_barrier
	buffer_gl0_inv
	v_cmpx_gt_u32_e32 2, v0
	s_cbranch_execz .LBB4_23
; %bb.20:
	v_cmp_eq_u32_e32 vcc_lo, 1, v0
	v_cmp_eq_u32_e64 s1, 2, v0
	ds_read_b64 v[12:13], v16
	v_cndmask_b32_e32 v14, v3, v5, vcc_lo
	v_cndmask_b32_e32 v15, v2, v4, vcc_lo
	v_cmp_eq_u32_e32 vcc_lo, 3, v0
	v_cndmask_b32_e64 v7, v14, v7, s1
	v_cndmask_b32_e64 v6, v15, v6, s1
	v_cndmask_b32_e32 v7, v7, v9, vcc_lo
	v_cndmask_b32_e32 v6, v6, v8, vcc_lo
	v_cmp_eq_u32_e32 vcc_lo, 4, v0
	v_cndmask_b32_e32 v7, v7, v11, vcc_lo
	v_cndmask_b32_e32 v6, v6, v10, vcc_lo
	s_waitcnt lgkmcnt(0)
	v_fma_f64 v[6:7], v[6:7], v[12:13], 0
	s_and_saveexec_b32 s1, s0
	s_cbranch_execz .LBB4_22
; %bb.21:
	v_mov_b32_e32 v12, 0
	ds_read_b64 v[12:13], v12 offset:56
	s_waitcnt lgkmcnt(0)
	v_fma_f64 v[6:7], v[4:5], v[12:13], v[6:7]
.LBB4_22:
	s_or_b32 exec_lo, exec_lo, s1
	v_mov_b32_e32 v12, 0
	ds_read_b64 v[12:13], v12 offset:16
	s_waitcnt lgkmcnt(0)
	v_mul_f64 v[6:7], v[6:7], v[12:13]
.LBB4_23:
	s_or_b32 exec_lo, exec_lo, s2
	s_mov_b32 s1, exec_lo
	s_barrier
	buffer_gl0_inv
	ds_write_b64 v16, v[8:9]
	s_waitcnt lgkmcnt(0)
	s_barrier
	buffer_gl0_inv
	v_cmpx_gt_u32_e32 3, v0
	s_cbranch_execz .LBB4_27
; %bb.24:
	v_mov_b32_e32 v12, 0
	v_mov_b32_e32 v15, v1
	v_lshl_add_u32 v17, v0, 3, 48
	v_mov_b32_e32 v13, 0
	v_mov_b32_e32 v14, v0
	s_mov_b32 s2, 0
	.p2align	6
.LBB4_25:                               ; =>This Inner Loop Header: Depth=1
	v_cmp_eq_u32_e32 vcc_lo, 1, v14
	v_cmp_eq_u32_e64 s0, 2, v14
	ds_read_b64 v[18:19], v17
	v_add_nc_u32_e32 v17, 8, v17
	v_cndmask_b32_e32 v20, v3, v5, vcc_lo
	v_cndmask_b32_e32 v21, v2, v4, vcc_lo
	v_cmp_eq_u32_e32 vcc_lo, 3, v14
	v_cndmask_b32_e64 v20, v20, v7, s0
	v_cndmask_b32_e64 v21, v21, v6, s0
	v_cmp_eq_u32_e64 s0, 4, v14
	v_cndmask_b32_e32 v20, v20, v9, vcc_lo
	v_cndmask_b32_e32 v22, v21, v8, vcc_lo
	v_add_co_u32 v14, vcc_lo, v14, 1
	v_add_co_ci_u32_e64 v15, null, 0, v15, vcc_lo
	v_cndmask_b32_e64 v21, v20, v11, s0
	v_cndmask_b32_e64 v20, v22, v10, s0
	s_waitcnt lgkmcnt(0)
	v_fma_f64 v[12:13], v[20:21], v[18:19], v[12:13]
	v_add_nc_u32_e32 v18, -1, v14
	v_cmp_lt_u32_e32 vcc_lo, 1, v18
	s_or_b32 s2, vcc_lo, s2
	s_andn2_b32 exec_lo, exec_lo, s2
	s_cbranch_execnz .LBB4_25
; %bb.26:
	s_or_b32 exec_lo, exec_lo, s2
	v_mov_b32_e32 v8, 0
	ds_read_b64 v[8:9], v8 offset:24
	s_waitcnt lgkmcnt(0)
	v_mul_f64 v[8:9], v[12:13], v[8:9]
.LBB4_27:
	s_or_b32 exec_lo, exec_lo, s1
	s_mov_b32 s1, exec_lo
	s_barrier
	buffer_gl0_inv
	ds_write_b64 v16, v[10:11]
	s_waitcnt lgkmcnt(0)
	s_barrier
	buffer_gl0_inv
	v_cmpx_ne_u32_e32 4, v0
	s_cbranch_execz .LBB4_31
; %bb.28:
	v_mov_b32_e32 v12, 0
	v_mov_b32_e32 v15, v1
	v_lshl_add_u32 v16, v0, 3, 48
	v_mov_b32_e32 v13, 0
	v_mov_b32_e32 v14, v0
	s_mov_b32 s2, 0
	.p2align	6
.LBB4_29:                               ; =>This Inner Loop Header: Depth=1
	v_cmp_eq_u32_e32 vcc_lo, 1, v14
	v_cmp_eq_u32_e64 s0, 2, v14
	ds_read_b64 v[17:18], v16
	v_add_nc_u32_e32 v16, 8, v16
	v_cndmask_b32_e32 v1, v3, v5, vcc_lo
	v_cndmask_b32_e32 v19, v2, v4, vcc_lo
	v_cmp_eq_u32_e32 vcc_lo, 3, v14
	v_cndmask_b32_e64 v1, v1, v7, s0
	v_cndmask_b32_e64 v19, v19, v6, s0
	v_cmp_eq_u32_e64 s0, 4, v14
	v_cndmask_b32_e32 v1, v1, v9, vcc_lo
	v_cndmask_b32_e32 v19, v19, v8, vcc_lo
	v_add_co_u32 v14, vcc_lo, v14, 1
	v_add_co_ci_u32_e64 v15, null, 0, v15, vcc_lo
	v_cndmask_b32_e64 v20, v1, v11, s0
	v_cndmask_b32_e64 v19, v19, v10, s0
	v_add_nc_u32_e32 v1, -1, v14
	s_waitcnt lgkmcnt(0)
	v_fma_f64 v[12:13], v[19:20], v[17:18], v[12:13]
	v_cmp_lt_u32_e32 vcc_lo, 2, v1
	s_or_b32 s2, vcc_lo, s2
	s_andn2_b32 exec_lo, exec_lo, s2
	s_cbranch_execnz .LBB4_29
; %bb.30:
	s_or_b32 exec_lo, exec_lo, s2
	v_mov_b32_e32 v1, 0
	ds_read_b64 v[10:11], v1 offset:32
	s_waitcnt lgkmcnt(0)
	v_mul_f64 v[10:11], v[12:13], v[10:11]
.LBB4_31:
	s_or_b32 exec_lo, exec_lo, s1
	s_barrier
	buffer_gl0_inv
	s_cbranch_execnz .LBB4_15
	s_branch .LBB4_16
.LBB4_32:
	v_lshl_add_u32 v1, v0, 3, 48
	s_mov_b32 s0, exec_lo
	v_cmpx_eq_u32_e32 4, v0
	s_cbranch_execz .LBB4_34
; %bb.33:
	v_mov_b32_e32 v18, 0
	v_mov_b32_e32 v12, v2
	;; [unrolled: 1-line block ×10, first 2 shown]
	ds_write_b64 v1, v[8:9]
	v_mov_b32_e32 v2, v12
	v_mov_b32_e32 v3, v13
	v_mov_b32_e32 v4, v14
	v_mov_b32_e32 v5, v15
	v_mov_b32_e32 v6, v16
	v_mov_b32_e32 v7, v17
	v_mov_b32_e32 v8, v18
	v_mov_b32_e32 v9, v19
	v_mov_b32_e32 v10, v20
	v_mov_b32_e32 v11, v21
	v_mov_b32_e32 v12, v22
	v_mov_b32_e32 v13, v23
	v_mov_b32_e32 v14, v24
	v_mov_b32_e32 v15, v25
	v_mov_b32_e32 v16, v26
	v_mov_b32_e32 v17, v27
.LBB4_34:
	s_or_b32 exec_lo, exec_lo, s0
	v_mov_b32_e32 v18, 0
	s_waitcnt lgkmcnt(0)
	s_waitcnt_vscnt null, 0x0
	s_barrier
	buffer_gl0_inv
	s_mov_b32 s0, exec_lo
	ds_read_b64 v[12:13], v18 offset:80
	s_waitcnt lgkmcnt(0)
	v_fma_f64 v[12:13], v[10:11], v[12:13], 0
	v_add_f64 v[8:9], v[8:9], -v[12:13]
	v_cmpx_lt_u32_e32 2, v0
	s_cbranch_execz .LBB4_36
; %bb.35:
	v_mov_b32_e32 v14, v2
	v_mov_b32_e32 v19, v18
	;; [unrolled: 1-line block ×9, first 2 shown]
	ds_write_b64 v1, v[6:7]
	v_mov_b32_e32 v2, v14
	v_mov_b32_e32 v3, v15
	;; [unrolled: 1-line block ×16, first 2 shown]
.LBB4_36:
	s_or_b32 exec_lo, exec_lo, s0
	s_waitcnt lgkmcnt(0)
	s_barrier
	buffer_gl0_inv
	ds_read2_b64 v[12:15], v18 offset0:9 offset1:10
	s_mov_b32 s0, exec_lo
	s_waitcnt lgkmcnt(0)
	v_fma_f64 v[12:13], v[8:9], v[12:13], 0
	v_fma_f64 v[12:13], v[10:11], v[14:15], v[12:13]
	v_add_f64 v[6:7], v[6:7], -v[12:13]
	v_cmpx_lt_u32_e32 1, v0
	s_cbranch_execz .LBB4_38
; %bb.37:
	v_mov_b32_e32 v14, 0
	v_mov_b32_e32 v12, v2
	;; [unrolled: 1-line block ×10, first 2 shown]
	ds_write_b64 v1, v[4:5]
	v_mov_b32_e32 v2, v12
	v_mov_b32_e32 v3, v13
	v_mov_b32_e32 v4, v14
	v_mov_b32_e32 v5, v15
	v_mov_b32_e32 v6, v16
	v_mov_b32_e32 v7, v17
	v_mov_b32_e32 v8, v18
	v_mov_b32_e32 v9, v19
	v_mov_b32_e32 v10, v20
	v_mov_b32_e32 v11, v21
	v_mov_b32_e32 v12, v22
	v_mov_b32_e32 v13, v23
	v_mov_b32_e32 v14, v24
	v_mov_b32_e32 v15, v25
	v_mov_b32_e32 v16, v26
	v_mov_b32_e32 v17, v27
.LBB4_38:
	s_or_b32 exec_lo, exec_lo, s0
	v_mov_b32_e32 v18, 0
	s_waitcnt lgkmcnt(0)
	s_barrier
	buffer_gl0_inv
	s_mov_b32 s0, exec_lo
	ds_read_b128 v[12:15], v18 offset:64
	ds_read_b64 v[16:17], v18 offset:80
	s_waitcnt lgkmcnt(1)
	v_fma_f64 v[12:13], v[6:7], v[12:13], 0
	v_fma_f64 v[12:13], v[8:9], v[14:15], v[12:13]
	s_waitcnt lgkmcnt(0)
	v_fma_f64 v[12:13], v[10:11], v[16:17], v[12:13]
	v_add_f64 v[4:5], v[4:5], -v[12:13]
	v_cmpx_ne_u32_e32 0, v0
	s_cbranch_execz .LBB4_40
; %bb.39:
	v_mov_b32_e32 v19, v18
	v_mov_b32_e32 v20, v4
	;; [unrolled: 1-line block ×9, first 2 shown]
	ds_write_b64 v1, v[2:3]
	v_mov_b32_e32 v2, v18
	v_mov_b32_e32 v3, v19
	;; [unrolled: 1-line block ×16, first 2 shown]
.LBB4_40:
	s_or_b32 exec_lo, exec_lo, s0
	s_waitcnt lgkmcnt(0)
	s_barrier
	buffer_gl0_inv
	ds_read2_b64 v[12:15], v18 offset0:7 offset1:8
	ds_read2_b64 v[16:19], v18 offset0:9 offset1:10
	s_and_b32 vcc_lo, exec_lo, s18
	s_waitcnt lgkmcnt(1)
	v_fma_f64 v[0:1], v[4:5], v[12:13], 0
	v_fma_f64 v[0:1], v[6:7], v[14:15], v[0:1]
	s_waitcnt lgkmcnt(0)
	v_fma_f64 v[0:1], v[8:9], v[16:17], v[0:1]
	v_fma_f64 v[0:1], v[10:11], v[18:19], v[0:1]
	v_add_f64 v[2:3], v[2:3], -v[0:1]
	s_cbranch_vccz .LBB4_49
; %bb.41:
	v_mov_b32_e32 v0, 0
	global_load_dword v1, v0, s[16:17] offset:12
	s_waitcnt vmcnt(0)
	v_readfirstlane_b32 s1, v1
	s_add_i32 s1, s1, -1
	s_cmp_lg_u32 s1, 3
	s_cbranch_scc0 .LBB4_43
; %bb.42:
	s_cmp_eq_u32 s1, 1
	s_cselect_b32 vcc_lo, -1, 0
	s_cmp_eq_u32 s1, 2
	v_cndmask_b32_e32 v1, v2, v4, vcc_lo
	v_cndmask_b32_e32 v12, v3, v5, vcc_lo
	s_cselect_b32 s0, -1, 0
	v_cndmask_b32_e32 v13, v5, v9, vcc_lo
	s_cmp_eq_u32 s1, 3
	v_cndmask_b32_e64 v1, v1, v6, s0
	v_cndmask_b32_e64 v5, v12, v7, s0
	v_cndmask_b32_e32 v12, v4, v8, vcc_lo
	s_cselect_b32 vcc_lo, -1, 0
	s_cmp_eq_u32 s1, 4
	v_cndmask_b32_e32 v1, v1, v8, vcc_lo
	v_cndmask_b32_e32 v4, v5, v9, vcc_lo
	v_cndmask_b32_e64 v15, v7, v9, s0
	v_cndmask_b32_e64 v14, v6, v8, s0
	s_cselect_b32 s0, -1, 0
	s_cmp_eq_u32 s1, 0
	v_cndmask_b32_e64 v1, v1, v10, s0
	v_cndmask_b32_e64 v4, v4, v11, s0
	;; [unrolled: 1-line block ×4, first 2 shown]
	v_cndmask_b32_e32 v16, v1, v8, vcc_lo
	v_cndmask_b32_e32 v17, v4, v9, vcc_lo
	s_cselect_b32 vcc_lo, -1, 0
	v_cndmask_b32_e32 v10, v2, v8, vcc_lo
	v_cndmask_b32_e32 v11, v3, v9, vcc_lo
	v_mov_b32_e32 v2, v10
	v_mov_b32_e32 v3, v11
	;; [unrolled: 1-line block ×16, first 2 shown]
.LBB4_43:
	global_load_dword v0, v0, s[16:17] offset:8
	s_waitcnt vmcnt(0)
	v_readfirstlane_b32 s1, v0
	s_add_i32 s1, s1, -1
	s_cmp_eq_u32 s1, 2
	s_cbranch_scc1 .LBB4_45
; %bb.44:
	s_cmp_eq_u32 s1, 1
	s_cselect_b32 vcc_lo, -1, 0
	s_cmp_eq_u32 s1, 2
	v_cndmask_b32_e32 v0, v2, v4, vcc_lo
	v_cndmask_b32_e32 v1, v3, v5, vcc_lo
	s_cselect_b32 s0, -1, 0
	s_cmp_eq_u32 s1, 3
	v_cndmask_b32_e32 v13, v5, v7, vcc_lo
	v_cndmask_b32_e64 v0, v0, v6, s0
	v_cndmask_b32_e64 v1, v1, v7, s0
	v_cndmask_b32_e32 v12, v4, v6, vcc_lo
	s_cselect_b32 vcc_lo, -1, 0
	s_cmp_eq_u32 s1, 4
	v_cndmask_b32_e32 v0, v0, v8, vcc_lo
	v_cndmask_b32_e32 v1, v1, v9, vcc_lo
	;; [unrolled: 1-line block ×4, first 2 shown]
	s_cselect_b32 vcc_lo, -1, 0
	s_cmp_eq_u32 s1, 0
	v_cndmask_b32_e32 v0, v0, v10, vcc_lo
	v_cndmask_b32_e32 v1, v1, v11, vcc_lo
	;; [unrolled: 1-line block ×4, first 2 shown]
	s_cselect_b32 vcc_lo, -1, 0
	v_cndmask_b32_e64 v14, v0, v6, s0
	v_cndmask_b32_e32 v10, v2, v6, vcc_lo
	v_cndmask_b32_e64 v15, v1, v7, s0
	v_cndmask_b32_e32 v11, v3, v7, vcc_lo
	v_mov_b32_e32 v2, v10
	v_mov_b32_e32 v3, v11
	;; [unrolled: 1-line block ×16, first 2 shown]
.LBB4_45:
	v_mov_b32_e32 v0, 0
	global_load_dword v1, v0, s[16:17] offset:4
	s_waitcnt vmcnt(0)
	v_readfirstlane_b32 s2, v1
	s_add_i32 s2, s2, -1
	s_cmp_eq_u32 s2, 1
	s_cbranch_scc1 .LBB4_47
; %bb.46:
	s_cselect_b32 vcc_lo, -1, 0
	s_cmp_eq_u32 s2, 2
	v_cndmask_b32_e32 v1, v2, v4, vcc_lo
	v_cndmask_b32_e32 v12, v3, v5, vcc_lo
	s_cselect_b32 s0, -1, 0
	s_cmp_eq_u32 s2, 3
	s_cselect_b32 s1, -1, 0
	v_cndmask_b32_e64 v1, v1, v6, s0
	v_cndmask_b32_e64 v13, v12, v7, s0
	;; [unrolled: 1-line block ×3, first 2 shown]
	s_cmp_eq_u32 s2, 4
	v_cndmask_b32_e64 v14, v9, v5, s1
	v_cndmask_b32_e64 v1, v1, v8, s1
	;; [unrolled: 1-line block ×4, first 2 shown]
	s_cselect_b32 s1, -1, 0
	s_cmp_eq_u32 s2, 0
	v_cndmask_b32_e64 v1, v1, v10, s1
	v_cndmask_b32_e64 v7, v7, v11, s1
	;; [unrolled: 1-line block ×5, first 2 shown]
	v_cndmask_b32_e32 v9, v1, v4, vcc_lo
	v_cndmask_b32_e32 v10, v7, v5, vcc_lo
	s_cselect_b32 vcc_lo, -1, 0
	v_cndmask_b32_e32 v7, v2, v4, vcc_lo
	v_cndmask_b32_e32 v8, v3, v5, vcc_lo
	v_mov_b32_e32 v2, v7
	v_mov_b32_e32 v3, v8
	;; [unrolled: 1-line block ×16, first 2 shown]
.LBB4_47:
	global_load_dword v0, v0, s[16:17]
	s_waitcnt vmcnt(0)
	v_readfirstlane_b32 s3, v0
	s_add_i32 s3, s3, -1
	s_cmp_eq_u32 s3, 0
	s_cbranch_scc1 .LBB4_49
; %bb.48:
	s_cmp_eq_u32 s3, 1
	s_cselect_b32 vcc_lo, -1, 0
	s_cmp_eq_u32 s3, 2
	v_cndmask_b32_e32 v0, v2, v4, vcc_lo
	s_cselect_b32 s0, -1, 0
	v_cndmask_b32_e32 v1, v3, v5, vcc_lo
	s_cmp_eq_u32 s3, 3
	v_cndmask_b32_e64 v12, v7, v3, s0
	v_cndmask_b32_e64 v0, v0, v6, s0
	s_cselect_b32 s1, -1, 0
	v_cndmask_b32_e64 v1, v1, v7, s0
	s_cmp_eq_u32 s3, 4
	v_cndmask_b32_e64 v14, v9, v3, s1
	v_cndmask_b32_e64 v0, v0, v8, s1
	s_cselect_b32 s2, -1, 0
	v_cndmask_b32_e64 v1, v1, v9, s1
	;; [unrolled: 5-line block ×3, first 2 shown]
	v_cndmask_b32_e64 v16, v11, v3, s2
	v_cndmask_b32_e64 v15, v10, v2, s2
	v_cndmask_b32_e64 v7, v0, v2, s1
	v_cndmask_b32_e64 v11, v6, v2, s0
	v_cndmask_b32_e64 v8, v1, v3, s1
	v_cndmask_b32_e32 v10, v5, v3, vcc_lo
	v_cndmask_b32_e32 v9, v4, v2, vcc_lo
	v_mov_b32_e32 v2, v7
	v_mov_b32_e32 v3, v8
	v_mov_b32_e32 v4, v9
	v_mov_b32_e32 v5, v10
	v_mov_b32_e32 v6, v11
	v_mov_b32_e32 v7, v12
	v_mov_b32_e32 v8, v13
	v_mov_b32_e32 v9, v14
	v_mov_b32_e32 v10, v15
	v_mov_b32_e32 v11, v16
	v_mov_b32_e32 v12, v17
	v_mov_b32_e32 v13, v18
	v_mov_b32_e32 v14, v19
	v_mov_b32_e32 v15, v20
	v_mov_b32_e32 v16, v21
	v_mov_b32_e32 v17, v22
.LBB4_49:
	global_store_dwordx2 v[28:29], v[2:3], off
	global_store_dwordx2 v[30:31], v[4:5], off
	;; [unrolled: 1-line block ×5, first 2 shown]
	s_endpgm
	.section	.rodata,"a",@progbits
	.p2align	6, 0x0
	.amdhsa_kernel _ZN9rocsolver6v33100L18getri_kernel_smallILi5EdPdEEvT1_iilPiilS4_bb
		.amdhsa_group_segment_fixed_size 88
		.amdhsa_private_segment_fixed_size 0
		.amdhsa_kernarg_size 60
		.amdhsa_user_sgpr_count 6
		.amdhsa_user_sgpr_private_segment_buffer 1
		.amdhsa_user_sgpr_dispatch_ptr 0
		.amdhsa_user_sgpr_queue_ptr 0
		.amdhsa_user_sgpr_kernarg_segment_ptr 1
		.amdhsa_user_sgpr_dispatch_id 0
		.amdhsa_user_sgpr_flat_scratch_init 0
		.amdhsa_user_sgpr_private_segment_size 0
		.amdhsa_wavefront_size32 1
		.amdhsa_uses_dynamic_stack 0
		.amdhsa_system_sgpr_private_segment_wavefront_offset 0
		.amdhsa_system_sgpr_workgroup_id_x 1
		.amdhsa_system_sgpr_workgroup_id_y 0
		.amdhsa_system_sgpr_workgroup_id_z 0
		.amdhsa_system_sgpr_workgroup_info 0
		.amdhsa_system_vgpr_workitem_id 0
		.amdhsa_next_free_vgpr 38
		.amdhsa_next_free_sgpr 19
		.amdhsa_reserve_vcc 1
		.amdhsa_reserve_flat_scratch 0
		.amdhsa_float_round_mode_32 0
		.amdhsa_float_round_mode_16_64 0
		.amdhsa_float_denorm_mode_32 3
		.amdhsa_float_denorm_mode_16_64 3
		.amdhsa_dx10_clamp 1
		.amdhsa_ieee_mode 1
		.amdhsa_fp16_overflow 0
		.amdhsa_workgroup_processor_mode 1
		.amdhsa_memory_ordered 1
		.amdhsa_forward_progress 1
		.amdhsa_shared_vgpr_count 0
		.amdhsa_exception_fp_ieee_invalid_op 0
		.amdhsa_exception_fp_denorm_src 0
		.amdhsa_exception_fp_ieee_div_zero 0
		.amdhsa_exception_fp_ieee_overflow 0
		.amdhsa_exception_fp_ieee_underflow 0
		.amdhsa_exception_fp_ieee_inexact 0
		.amdhsa_exception_int_div_zero 0
	.end_amdhsa_kernel
	.section	.text._ZN9rocsolver6v33100L18getri_kernel_smallILi5EdPdEEvT1_iilPiilS4_bb,"axG",@progbits,_ZN9rocsolver6v33100L18getri_kernel_smallILi5EdPdEEvT1_iilPiilS4_bb,comdat
.Lfunc_end4:
	.size	_ZN9rocsolver6v33100L18getri_kernel_smallILi5EdPdEEvT1_iilPiilS4_bb, .Lfunc_end4-_ZN9rocsolver6v33100L18getri_kernel_smallILi5EdPdEEvT1_iilPiilS4_bb
                                        ; -- End function
	.set _ZN9rocsolver6v33100L18getri_kernel_smallILi5EdPdEEvT1_iilPiilS4_bb.num_vgpr, 38
	.set _ZN9rocsolver6v33100L18getri_kernel_smallILi5EdPdEEvT1_iilPiilS4_bb.num_agpr, 0
	.set _ZN9rocsolver6v33100L18getri_kernel_smallILi5EdPdEEvT1_iilPiilS4_bb.numbered_sgpr, 19
	.set _ZN9rocsolver6v33100L18getri_kernel_smallILi5EdPdEEvT1_iilPiilS4_bb.num_named_barrier, 0
	.set _ZN9rocsolver6v33100L18getri_kernel_smallILi5EdPdEEvT1_iilPiilS4_bb.private_seg_size, 0
	.set _ZN9rocsolver6v33100L18getri_kernel_smallILi5EdPdEEvT1_iilPiilS4_bb.uses_vcc, 1
	.set _ZN9rocsolver6v33100L18getri_kernel_smallILi5EdPdEEvT1_iilPiilS4_bb.uses_flat_scratch, 0
	.set _ZN9rocsolver6v33100L18getri_kernel_smallILi5EdPdEEvT1_iilPiilS4_bb.has_dyn_sized_stack, 0
	.set _ZN9rocsolver6v33100L18getri_kernel_smallILi5EdPdEEvT1_iilPiilS4_bb.has_recursion, 0
	.set _ZN9rocsolver6v33100L18getri_kernel_smallILi5EdPdEEvT1_iilPiilS4_bb.has_indirect_call, 0
	.section	.AMDGPU.csdata,"",@progbits
; Kernel info:
; codeLenInByte = 3580
; TotalNumSgprs: 21
; NumVgprs: 38
; ScratchSize: 0
; MemoryBound: 0
; FloatMode: 240
; IeeeMode: 1
; LDSByteSize: 88 bytes/workgroup (compile time only)
; SGPRBlocks: 0
; VGPRBlocks: 4
; NumSGPRsForWavesPerEU: 21
; NumVGPRsForWavesPerEU: 38
; Occupancy: 16
; WaveLimiterHint : 0
; COMPUTE_PGM_RSRC2:SCRATCH_EN: 0
; COMPUTE_PGM_RSRC2:USER_SGPR: 6
; COMPUTE_PGM_RSRC2:TRAP_HANDLER: 0
; COMPUTE_PGM_RSRC2:TGID_X_EN: 1
; COMPUTE_PGM_RSRC2:TGID_Y_EN: 0
; COMPUTE_PGM_RSRC2:TGID_Z_EN: 0
; COMPUTE_PGM_RSRC2:TIDIG_COMP_CNT: 0
	.section	.text._ZN9rocsolver6v33100L18getri_kernel_smallILi6EdPdEEvT1_iilPiilS4_bb,"axG",@progbits,_ZN9rocsolver6v33100L18getri_kernel_smallILi6EdPdEEvT1_iilPiilS4_bb,comdat
	.globl	_ZN9rocsolver6v33100L18getri_kernel_smallILi6EdPdEEvT1_iilPiilS4_bb ; -- Begin function _ZN9rocsolver6v33100L18getri_kernel_smallILi6EdPdEEvT1_iilPiilS4_bb
	.p2align	8
	.type	_ZN9rocsolver6v33100L18getri_kernel_smallILi6EdPdEEvT1_iilPiilS4_bb,@function
_ZN9rocsolver6v33100L18getri_kernel_smallILi6EdPdEEvT1_iilPiilS4_bb: ; @_ZN9rocsolver6v33100L18getri_kernel_smallILi6EdPdEEvT1_iilPiilS4_bb
; %bb.0:
	s_mov_b32 s0, exec_lo
	v_cmpx_gt_u32_e32 6, v0
	s_cbranch_execz .LBB5_16
; %bb.1:
	s_clause 0x2
	s_load_dword s0, s[4:5], 0x38
	s_load_dwordx4 s[12:15], s[4:5], 0x10
	s_load_dwordx4 s[8:11], s[4:5], 0x28
                                        ; implicit-def: $sgpr16_sgpr17
	s_waitcnt lgkmcnt(0)
	s_bitcmp1_b32 s0, 8
	s_cselect_b32 s18, -1, 0
	s_bfe_u32 s0, s0, 0x10008
	s_ashr_i32 s7, s6, 31
	s_cmp_eq_u32 s0, 0
	s_cbranch_scc1 .LBB5_3
; %bb.2:
	s_load_dword s0, s[4:5], 0x20
	s_mul_i32 s1, s8, s7
	s_mul_hi_u32 s2, s8, s6
	s_mul_i32 s3, s9, s6
	s_add_i32 s1, s2, s1
	s_mul_i32 s2, s8, s6
	s_add_i32 s3, s1, s3
	s_lshl_b64 s[2:3], s[2:3], 2
	s_waitcnt lgkmcnt(0)
	s_ashr_i32 s1, s0, 31
	s_add_u32 s2, s14, s2
	s_addc_u32 s3, s15, s3
	s_lshl_b64 s[0:1], s[0:1], 2
	s_add_u32 s16, s2, s0
	s_addc_u32 s17, s3, s1
.LBB5_3:
	s_clause 0x1
	s_load_dwordx4 s[0:3], s[4:5], 0x0
	s_load_dword s14, s[4:5], 0x38
	s_mul_i32 s4, s12, s7
	s_mul_hi_u32 s5, s12, s6
	s_mul_i32 s8, s13, s6
	s_add_i32 s5, s5, s4
	s_mul_i32 s4, s12, s6
	s_add_i32 s5, s5, s8
	v_lshlrev_b32_e32 v16, 3, v0
	s_lshl_b64 s[4:5], s[4:5], 3
	v_mov_b32_e32 v1, 0
	s_waitcnt lgkmcnt(0)
	v_add3_u32 v4, s3, s3, v0
	s_ashr_i32 s9, s2, 31
	s_mov_b32 s8, s2
	s_add_u32 s2, s0, s4
	s_addc_u32 s5, s1, s5
	v_add_nc_u32_e32 v6, s3, v4
	s_lshl_b64 s[0:1], s[8:9], 3
	v_ashrrev_i32_e32 v5, 31, v4
	s_add_u32 s0, s2, s0
	s_addc_u32 s1, s5, s1
	v_add_nc_u32_e32 v8, s3, v6
	v_ashrrev_i32_e32 v7, 31, v6
	v_add_co_u32 v28, s2, s0, v16
	s_mov_b32 s4, s3
	s_ashr_i32 s5, s3, 31
	v_lshlrev_b64 v[4:5], 3, v[4:5]
	v_add_nc_u32_e32 v10, s3, v8
	v_add_co_ci_u32_e64 v29, null, s1, 0, s2
	s_lshl_b64 s[4:5], s[4:5], 3
	v_lshlrev_b64 v[6:7], 3, v[6:7]
	v_ashrrev_i32_e32 v9, 31, v8
	v_add_co_u32 v30, vcc_lo, v28, s4
	v_ashrrev_i32_e32 v11, 31, v10
	v_add_co_ci_u32_e64 v31, null, s5, v29, vcc_lo
	v_add_co_u32 v32, vcc_lo, s0, v4
	v_add_co_ci_u32_e64 v33, null, s1, v5, vcc_lo
	v_lshlrev_b64 v[4:5], 3, v[8:9]
	v_add_co_u32 v34, vcc_lo, s0, v6
	v_add_co_ci_u32_e64 v35, null, s1, v7, vcc_lo
	v_lshlrev_b64 v[6:7], 3, v[10:11]
	v_add_co_u32 v38, vcc_lo, s0, v4
	v_add_co_ci_u32_e64 v39, null, s1, v5, vcc_lo
	global_load_dwordx2 v[2:3], v16, s[0:1]
	v_add_co_u32 v36, vcc_lo, s0, v6
	v_add_co_ci_u32_e64 v37, null, s1, v7, vcc_lo
	s_clause 0x4
	global_load_dwordx2 v[4:5], v[30:31], off
	global_load_dwordx2 v[6:7], v[32:33], off
	;; [unrolled: 1-line block ×5, first 2 shown]
	s_bitcmp0_b32 s14, 0
	s_mov_b32 s0, -1
	s_cbranch_scc1 .LBB5_14
; %bb.4:
	v_cmp_eq_u32_e64 s0, 0, v0
	s_and_saveexec_b32 s1, s0
; %bb.5:
	v_mov_b32_e32 v14, 0
	ds_write_b32 v14, v14 offset:96
; %bb.6:
	s_or_b32 exec_lo, exec_lo, s1
	v_cmp_eq_u32_e32 vcc_lo, 1, v0
	s_mov_b32 s2, exec_lo
	s_waitcnt vmcnt(0) lgkmcnt(0)
	s_barrier
	buffer_gl0_inv
	v_cndmask_b32_e32 v14, v3, v5, vcc_lo
	v_cndmask_b32_e32 v15, v2, v4, vcc_lo
	v_cmp_eq_u32_e32 vcc_lo, 2, v0
	v_cndmask_b32_e32 v14, v14, v7, vcc_lo
	v_cndmask_b32_e32 v15, v15, v6, vcc_lo
	v_cmp_eq_u32_e32 vcc_lo, 3, v0
	;; [unrolled: 3-line block ×4, first 2 shown]
	v_cndmask_b32_e32 v15, v14, v13, vcc_lo
	v_cndmask_b32_e32 v14, v17, v12, vcc_lo
	v_cmpx_eq_f64_e32 0, v[14:15]
	s_cbranch_execz .LBB5_10
; %bb.7:
	v_mov_b32_e32 v17, 0
	s_mov_b32 s3, 0
	ds_read_b32 v18, v17 offset:96
	s_waitcnt lgkmcnt(0)
	v_readfirstlane_b32 s1, v18
	v_add_nc_u32_e32 v18, 1, v0
	s_cmp_eq_u32 s1, 0
	v_cmp_gt_i32_e32 vcc_lo, s1, v18
	s_cselect_b32 s4, -1, 0
	s_or_b32 s4, s4, vcc_lo
	s_and_b32 exec_lo, exec_lo, s4
	s_cbranch_execz .LBB5_10
; %bb.8:
	v_mov_b32_e32 v19, s1
.LBB5_9:                                ; =>This Inner Loop Header: Depth=1
	ds_cmpst_rtn_b32 v19, v17, v19, v18 offset:96
	s_waitcnt lgkmcnt(0)
	v_cmp_ne_u32_e32 vcc_lo, 0, v19
	v_cmp_le_i32_e64 s1, v19, v18
	s_and_b32 s1, vcc_lo, s1
	s_and_b32 s1, exec_lo, s1
	s_or_b32 s3, s1, s3
	s_andn2_b32 exec_lo, exec_lo, s3
	s_cbranch_execnz .LBB5_9
.LBB5_10:
	s_or_b32 exec_lo, exec_lo, s2
	v_mov_b32_e32 v17, 0
	s_barrier
	buffer_gl0_inv
	ds_read_b32 v18, v17 offset:96
	s_and_saveexec_b32 s1, s0
	s_cbranch_execz .LBB5_12
; %bb.11:
	s_lshl_b64 s[2:3], s[6:7], 2
	s_add_u32 s2, s10, s2
	s_addc_u32 s3, s11, s3
	s_waitcnt lgkmcnt(0)
	global_store_dword v17, v18, s[2:3]
.LBB5_12:
	s_or_b32 exec_lo, exec_lo, s1
	s_waitcnt lgkmcnt(0)
	v_cmp_ne_u32_e32 vcc_lo, 0, v18
	s_cbranch_vccz .LBB5_17
; %bb.13:
	s_mov_b32 s0, 0
                                        ; implicit-def: $vgpr2_vgpr3_vgpr4_vgpr5_vgpr6_vgpr7_vgpr8_vgpr9_vgpr10_vgpr11_vgpr12_vgpr13_vgpr14_vgpr15_vgpr16_vgpr17
.LBB5_14:
	s_and_b32 vcc_lo, exec_lo, s0
	s_cbranch_vccz .LBB5_16
.LBB5_15:
	s_lshl_b64 s[0:1], s[6:7], 2
	v_mov_b32_e32 v1, 0
	s_add_u32 s0, s10, s0
	s_addc_u32 s1, s11, s1
	global_load_dword v1, v1, s[0:1]
	s_waitcnt vmcnt(0)
	v_cmp_ne_u32_e32 vcc_lo, 0, v1
	s_cbranch_vccz .LBB5_36
.LBB5_16:
	s_endpgm
.LBB5_17:
	v_div_scale_f64 v[17:18], null, v[14:15], v[14:15], 1.0
	v_div_scale_f64 v[23:24], vcc_lo, 1.0, v[14:15], 1.0
	v_cmp_eq_u32_e64 s1, 4, v0
	v_cmp_eq_u32_e64 s2, 3, v0
	;; [unrolled: 1-line block ×5, first 2 shown]
	v_rcp_f64_e32 v[19:20], v[17:18]
	v_fma_f64 v[21:22], -v[17:18], v[19:20], 1.0
	v_fma_f64 v[19:20], v[19:20], v[21:22], v[19:20]
	v_fma_f64 v[21:22], -v[17:18], v[19:20], 1.0
	v_fma_f64 v[19:20], v[19:20], v[21:22], v[19:20]
	v_mul_f64 v[21:22], v[23:24], v[19:20]
	v_fma_f64 v[17:18], -v[17:18], v[21:22], v[23:24]
	v_div_fmas_f64 v[17:18], v[17:18], v[19:20], v[21:22]
	v_cmp_eq_u32_e32 vcc_lo, 5, v0
	v_div_fixup_f64 v[14:15], v[17:18], v[14:15], 1.0
	v_add_nc_u32_e32 v18, 48, v16
	v_cndmask_b32_e32 v13, v13, v15, vcc_lo
	v_cndmask_b32_e32 v12, v12, v14, vcc_lo
	v_cndmask_b32_e64 v11, v11, v15, s1
	v_cndmask_b32_e64 v10, v10, v14, s1
	;; [unrolled: 1-line block ×6, first 2 shown]
	v_xor_b32_e32 v20, 0x80000000, v15
	v_mov_b32_e32 v19, v14
	v_cndmask_b32_e64 v7, v7, v15, s3
	v_cndmask_b32_e64 v6, v6, v14, s3
	;; [unrolled: 1-line block ×4, first 2 shown]
	ds_write2_b64 v16, v[19:20], v[4:5] offset1:6
	s_waitcnt lgkmcnt(0)
	s_waitcnt_vscnt null, 0x0
	s_barrier
	buffer_gl0_inv
	s_and_saveexec_b32 s1, s0
	s_cbranch_execz .LBB5_19
; %bb.18:
	ds_read_b64 v[4:5], v18
	v_mov_b32_e32 v16, 0
	ds_read_b64 v[16:17], v16 offset:8
	s_waitcnt lgkmcnt(1)
	v_fma_f64 v[4:5], v[14:15], v[4:5], 0
	s_waitcnt lgkmcnt(0)
	v_mul_f64 v[4:5], v[4:5], v[16:17]
.LBB5_19:
	s_or_b32 exec_lo, exec_lo, s1
	s_mov_b32 s2, exec_lo
	s_barrier
	buffer_gl0_inv
	ds_write_b64 v18, v[6:7]
	s_waitcnt lgkmcnt(0)
	s_barrier
	buffer_gl0_inv
	v_cmpx_gt_u32_e32 2, v0
	s_cbranch_execz .LBB5_23
; %bb.20:
	v_cmp_eq_u32_e32 vcc_lo, 1, v0
	v_cmp_eq_u32_e64 s1, 3, v0
	v_cndmask_b32_e32 v14, v3, v5, vcc_lo
	v_cndmask_b32_e32 v15, v2, v4, vcc_lo
	v_cmp_eq_u32_e32 vcc_lo, 2, v0
	v_cndmask_b32_e32 v14, v14, v7, vcc_lo
	v_cndmask_b32_e32 v15, v15, v6, vcc_lo
	ds_read_b64 v[6:7], v18
	v_cmp_eq_u32_e32 vcc_lo, 4, v0
	v_cndmask_b32_e64 v14, v14, v9, s1
	v_cndmask_b32_e64 v15, v15, v8, s1
	v_cndmask_b32_e32 v14, v14, v11, vcc_lo
	v_cndmask_b32_e32 v16, v15, v10, vcc_lo
	v_cmp_eq_u32_e32 vcc_lo, 5, v0
	v_cndmask_b32_e32 v15, v14, v13, vcc_lo
	v_cndmask_b32_e32 v14, v16, v12, vcc_lo
	s_waitcnt lgkmcnt(0)
	v_fma_f64 v[6:7], v[14:15], v[6:7], 0
	s_and_saveexec_b32 s1, s0
	s_cbranch_execz .LBB5_22
; %bb.21:
	v_mov_b32_e32 v14, 0
	ds_read_b64 v[14:15], v14 offset:56
	s_waitcnt lgkmcnt(0)
	v_fma_f64 v[6:7], v[4:5], v[14:15], v[6:7]
.LBB5_22:
	s_or_b32 exec_lo, exec_lo, s1
	v_mov_b32_e32 v14, 0
	ds_read_b64 v[14:15], v14 offset:16
	s_waitcnt lgkmcnt(0)
	v_mul_f64 v[6:7], v[6:7], v[14:15]
.LBB5_23:
	s_or_b32 exec_lo, exec_lo, s2
	s_mov_b32 s1, exec_lo
	s_barrier
	buffer_gl0_inv
	ds_write_b64 v18, v[8:9]
	s_waitcnt lgkmcnt(0)
	s_barrier
	buffer_gl0_inv
	v_cmpx_gt_u32_e32 3, v0
	s_cbranch_execz .LBB5_27
; %bb.24:
	v_mov_b32_e32 v14, 0
	v_mov_b32_e32 v17, v1
	v_lshl_add_u32 v19, v0, 3, 48
	v_mov_b32_e32 v15, 0
	v_mov_b32_e32 v16, v0
	s_mov_b32 s2, 0
	s_inst_prefetch 0x1
	.p2align	6
.LBB5_25:                               ; =>This Inner Loop Header: Depth=1
	v_cmp_eq_u32_e32 vcc_lo, 1, v16
	v_cmp_eq_u32_e64 s0, 2, v16
	ds_read_b64 v[20:21], v19
	v_add_nc_u32_e32 v19, 8, v19
	v_cndmask_b32_e32 v22, v3, v5, vcc_lo
	v_cndmask_b32_e32 v23, v2, v4, vcc_lo
	v_cmp_eq_u32_e32 vcc_lo, 3, v16
	v_cndmask_b32_e64 v22, v22, v7, s0
	v_cndmask_b32_e64 v23, v23, v6, s0
	v_cmp_eq_u32_e64 s0, 4, v16
	v_cndmask_b32_e32 v22, v22, v9, vcc_lo
	v_cndmask_b32_e32 v23, v23, v8, vcc_lo
	v_cmp_eq_u32_e32 vcc_lo, 5, v16
	v_cndmask_b32_e64 v22, v22, v11, s0
	v_cndmask_b32_e64 v24, v23, v10, s0
	v_cndmask_b32_e32 v23, v22, v13, vcc_lo
	v_cndmask_b32_e32 v22, v24, v12, vcc_lo
	v_add_co_u32 v16, vcc_lo, v16, 1
	v_add_co_ci_u32_e64 v17, null, 0, v17, vcc_lo
	s_waitcnt lgkmcnt(0)
	v_fma_f64 v[14:15], v[22:23], v[20:21], v[14:15]
	v_add_nc_u32_e32 v20, -1, v16
	v_cmp_lt_u32_e32 vcc_lo, 1, v20
	s_or_b32 s2, vcc_lo, s2
	s_andn2_b32 exec_lo, exec_lo, s2
	s_cbranch_execnz .LBB5_25
; %bb.26:
	s_inst_prefetch 0x2
	s_or_b32 exec_lo, exec_lo, s2
	v_mov_b32_e32 v8, 0
	ds_read_b64 v[8:9], v8 offset:24
	s_waitcnt lgkmcnt(0)
	v_mul_f64 v[8:9], v[14:15], v[8:9]
.LBB5_27:
	s_or_b32 exec_lo, exec_lo, s1
	s_mov_b32 s1, exec_lo
	s_barrier
	buffer_gl0_inv
	ds_write_b64 v18, v[10:11]
	s_waitcnt lgkmcnt(0)
	s_barrier
	buffer_gl0_inv
	v_cmpx_gt_u32_e32 4, v0
	s_cbranch_execz .LBB5_31
; %bb.28:
	v_mov_b32_e32 v14, 0
	v_mov_b32_e32 v17, v1
	v_lshl_add_u32 v19, v0, 3, 48
	v_mov_b32_e32 v15, 0
	v_mov_b32_e32 v16, v0
	s_mov_b32 s2, 0
	s_inst_prefetch 0x1
	.p2align	6
.LBB5_29:                               ; =>This Inner Loop Header: Depth=1
	v_cmp_eq_u32_e32 vcc_lo, 1, v16
	v_cmp_eq_u32_e64 s0, 2, v16
	ds_read_b64 v[20:21], v19
	v_add_nc_u32_e32 v19, 8, v19
	v_cndmask_b32_e32 v22, v3, v5, vcc_lo
	v_cndmask_b32_e32 v23, v2, v4, vcc_lo
	v_cmp_eq_u32_e32 vcc_lo, 3, v16
	v_cndmask_b32_e64 v22, v22, v7, s0
	v_cndmask_b32_e64 v23, v23, v6, s0
	v_cmp_eq_u32_e64 s0, 4, v16
	v_cndmask_b32_e32 v22, v22, v9, vcc_lo
	v_cndmask_b32_e32 v23, v23, v8, vcc_lo
	v_cmp_eq_u32_e32 vcc_lo, 5, v16
	v_cndmask_b32_e64 v22, v22, v11, s0
	v_cndmask_b32_e64 v24, v23, v10, s0
	v_cndmask_b32_e32 v23, v22, v13, vcc_lo
	v_cndmask_b32_e32 v22, v24, v12, vcc_lo
	v_add_co_u32 v16, vcc_lo, v16, 1
	v_add_co_ci_u32_e64 v17, null, 0, v17, vcc_lo
	s_waitcnt lgkmcnt(0)
	v_fma_f64 v[14:15], v[22:23], v[20:21], v[14:15]
	v_add_nc_u32_e32 v20, -1, v16
	v_cmp_lt_u32_e32 vcc_lo, 2, v20
	s_or_b32 s2, vcc_lo, s2
	s_andn2_b32 exec_lo, exec_lo, s2
	s_cbranch_execnz .LBB5_29
; %bb.30:
	s_inst_prefetch 0x2
	s_or_b32 exec_lo, exec_lo, s2
	v_mov_b32_e32 v10, 0
	ds_read_b64 v[10:11], v10 offset:32
	s_waitcnt lgkmcnt(0)
	v_mul_f64 v[10:11], v[14:15], v[10:11]
.LBB5_31:
	s_or_b32 exec_lo, exec_lo, s1
	s_mov_b32 s1, exec_lo
	s_barrier
	buffer_gl0_inv
	ds_write_b64 v18, v[12:13]
	s_waitcnt lgkmcnt(0)
	s_barrier
	buffer_gl0_inv
	v_cmpx_ne_u32_e32 5, v0
	s_cbranch_execz .LBB5_35
; %bb.32:
	v_mov_b32_e32 v14, 0
	v_mov_b32_e32 v17, v1
	v_lshl_add_u32 v18, v0, 3, 48
	v_mov_b32_e32 v15, 0
	v_mov_b32_e32 v16, v0
	s_mov_b32 s2, 0
	s_inst_prefetch 0x1
	.p2align	6
.LBB5_33:                               ; =>This Inner Loop Header: Depth=1
	v_cmp_eq_u32_e32 vcc_lo, 1, v16
	v_cmp_eq_u32_e64 s0, 2, v16
	ds_read_b64 v[19:20], v18
	v_add_nc_u32_e32 v18, 8, v18
	v_cndmask_b32_e32 v1, v3, v5, vcc_lo
	v_cndmask_b32_e32 v21, v2, v4, vcc_lo
	v_cmp_eq_u32_e32 vcc_lo, 3, v16
	v_cndmask_b32_e64 v1, v1, v7, s0
	v_cndmask_b32_e64 v21, v21, v6, s0
	v_cmp_eq_u32_e64 s0, 4, v16
	v_cndmask_b32_e32 v1, v1, v9, vcc_lo
	v_cndmask_b32_e32 v21, v21, v8, vcc_lo
	v_cmp_eq_u32_e32 vcc_lo, 5, v16
	v_cndmask_b32_e64 v1, v1, v11, s0
	v_cndmask_b32_e64 v21, v21, v10, s0
	v_cndmask_b32_e32 v22, v1, v13, vcc_lo
	v_cndmask_b32_e32 v21, v21, v12, vcc_lo
	v_add_co_u32 v16, vcc_lo, v16, 1
	v_add_co_ci_u32_e64 v17, null, 0, v17, vcc_lo
	s_waitcnt lgkmcnt(0)
	v_fma_f64 v[14:15], v[21:22], v[19:20], v[14:15]
	v_add_nc_u32_e32 v1, -1, v16
	v_cmp_lt_u32_e32 vcc_lo, 3, v1
	s_or_b32 s2, vcc_lo, s2
	s_andn2_b32 exec_lo, exec_lo, s2
	s_cbranch_execnz .LBB5_33
; %bb.34:
	s_inst_prefetch 0x2
	s_or_b32 exec_lo, exec_lo, s2
	v_mov_b32_e32 v1, 0
	ds_read_b64 v[12:13], v1 offset:40
	s_waitcnt lgkmcnt(0)
	v_mul_f64 v[12:13], v[14:15], v[12:13]
.LBB5_35:
	s_or_b32 exec_lo, exec_lo, s1
	s_barrier
	buffer_gl0_inv
	s_cbranch_execnz .LBB5_15
	s_branch .LBB5_16
.LBB5_36:
	v_lshl_add_u32 v1, v0, 3, 48
	s_mov_b32 s0, exec_lo
	v_cmpx_eq_u32_e32 5, v0
	s_cbranch_execz .LBB5_38
; %bb.37:
	v_mov_b32_e32 v22, 0
	v_mov_b32_e32 v14, v2
	;; [unrolled: 1-line block ×12, first 2 shown]
	ds_write_b64 v1, v[10:11]
	v_mov_b32_e32 v2, v14
	v_mov_b32_e32 v3, v15
	;; [unrolled: 1-line block ×16, first 2 shown]
.LBB5_38:
	s_or_b32 exec_lo, exec_lo, s0
	v_mov_b32_e32 v20, 0
	s_waitcnt lgkmcnt(0)
	s_waitcnt_vscnt null, 0x0
	s_barrier
	buffer_gl0_inv
	s_mov_b32 s0, exec_lo
	ds_read_b64 v[14:15], v20 offset:88
	s_waitcnt lgkmcnt(0)
	v_fma_f64 v[14:15], v[12:13], v[14:15], 0
	v_add_f64 v[10:11], v[10:11], -v[14:15]
	v_cmpx_lt_u32_e32 3, v0
	s_cbranch_execz .LBB5_40
; %bb.39:
	v_mov_b32_e32 v14, v2
	v_mov_b32_e32 v18, v6
	;; [unrolled: 1-line block ×11, first 2 shown]
	ds_write_b64 v1, v[8:9]
	v_mov_b32_e32 v2, v14
	v_mov_b32_e32 v3, v15
	;; [unrolled: 1-line block ×16, first 2 shown]
.LBB5_40:
	s_or_b32 exec_lo, exec_lo, s0
	s_waitcnt lgkmcnt(0)
	s_barrier
	buffer_gl0_inv
	ds_read_b128 v[14:17], v20 offset:80
	s_mov_b32 s0, exec_lo
	s_waitcnt lgkmcnt(0)
	v_fma_f64 v[14:15], v[10:11], v[14:15], 0
	v_fma_f64 v[14:15], v[12:13], v[16:17], v[14:15]
	v_add_f64 v[8:9], v[8:9], -v[14:15]
	v_cmpx_lt_u32_e32 2, v0
	s_cbranch_execz .LBB5_42
; %bb.41:
	v_mov_b32_e32 v18, 0
	v_mov_b32_e32 v14, v2
	v_mov_b32_e32 v20, v8
	v_mov_b32_e32 v21, v9
	v_mov_b32_e32 v22, v10
	v_mov_b32_e32 v19, v18
	v_mov_b32_e32 v23, v11
	v_mov_b32_e32 v24, v12
	v_mov_b32_e32 v25, v13
	v_mov_b32_e32 v15, v3
	v_mov_b32_e32 v16, v4
	v_mov_b32_e32 v17, v5
	ds_write_b64 v1, v[6:7]
	v_mov_b32_e32 v2, v14
	v_mov_b32_e32 v3, v15
	;; [unrolled: 1-line block ×16, first 2 shown]
.LBB5_42:
	s_or_b32 exec_lo, exec_lo, s0
	v_mov_b32_e32 v18, 0
	s_waitcnt lgkmcnt(0)
	s_barrier
	buffer_gl0_inv
	s_mov_b32 s0, exec_lo
	ds_read2_b64 v[14:17], v18 offset0:9 offset1:10
	ds_read_b64 v[19:20], v18 offset:88
	s_waitcnt lgkmcnt(1)
	v_fma_f64 v[14:15], v[8:9], v[14:15], 0
	v_fma_f64 v[14:15], v[10:11], v[16:17], v[14:15]
	s_waitcnt lgkmcnt(0)
	v_fma_f64 v[14:15], v[12:13], v[19:20], v[14:15]
	v_add_f64 v[6:7], v[6:7], -v[14:15]
	v_cmpx_lt_u32_e32 1, v0
	s_cbranch_execz .LBB5_44
; %bb.43:
	v_mov_b32_e32 v16, v2
	v_mov_b32_e32 v19, v18
	;; [unrolled: 1-line block ×11, first 2 shown]
	ds_write_b64 v1, v[4:5]
	v_mov_b32_e32 v2, v16
	v_mov_b32_e32 v3, v17
	;; [unrolled: 1-line block ×16, first 2 shown]
.LBB5_44:
	s_or_b32 exec_lo, exec_lo, s0
	s_waitcnt lgkmcnt(0)
	s_barrier
	buffer_gl0_inv
	ds_read_b128 v[14:17], v18 offset:64
	ds_read_b128 v[18:21], v18 offset:80
	s_mov_b32 s0, exec_lo
	s_waitcnt lgkmcnt(1)
	v_fma_f64 v[14:15], v[6:7], v[14:15], 0
	v_fma_f64 v[14:15], v[8:9], v[16:17], v[14:15]
	s_waitcnt lgkmcnt(0)
	v_fma_f64 v[14:15], v[10:11], v[18:19], v[14:15]
	v_fma_f64 v[14:15], v[12:13], v[20:21], v[14:15]
	v_add_f64 v[4:5], v[4:5], -v[14:15]
	v_cmpx_ne_u32_e32 0, v0
	s_cbranch_execz .LBB5_46
; %bb.45:
	v_mov_b32_e32 v14, 0
	v_mov_b32_e32 v18, v6
	;; [unrolled: 1-line block ×12, first 2 shown]
	ds_write_b64 v1, v[2:3]
	v_mov_b32_e32 v2, v14
	v_mov_b32_e32 v3, v15
	;; [unrolled: 1-line block ×16, first 2 shown]
.LBB5_46:
	s_or_b32 exec_lo, exec_lo, s0
	v_mov_b32_e32 v0, 0
	s_waitcnt lgkmcnt(0)
	s_barrier
	buffer_gl0_inv
	s_and_b32 vcc_lo, exec_lo, s18
	ds_read2_b64 v[14:17], v0 offset0:7 offset1:8
	ds_read2_b64 v[18:21], v0 offset0:9 offset1:10
	s_waitcnt lgkmcnt(1)
	v_fma_f64 v[14:15], v[4:5], v[14:15], 0
	v_fma_f64 v[14:15], v[6:7], v[16:17], v[14:15]
	ds_read_b64 v[16:17], v0 offset:88
	s_waitcnt lgkmcnt(1)
	v_fma_f64 v[14:15], v[8:9], v[18:19], v[14:15]
	v_fma_f64 v[14:15], v[10:11], v[20:21], v[14:15]
	s_waitcnt lgkmcnt(0)
	v_fma_f64 v[14:15], v[12:13], v[16:17], v[14:15]
	v_add_f64 v[2:3], v[2:3], -v[14:15]
	s_cbranch_vccz .LBB5_57
; %bb.47:
	global_load_dword v0, v0, s[16:17] offset:16
	s_waitcnt vmcnt(0)
	v_readfirstlane_b32 s0, v0
	s_add_i32 s0, s0, -1
	s_cmp_lg_u32 s0, 4
	s_cbranch_scc0 .LBB5_49
; %bb.48:
	s_lshl_b32 m0, s0, 1
	v_movrels_b32_e32 v0, v2
	v_movrels_b32_e32 v1, v3
	v_mov_b32_e32 v27, v17
	v_mov_b32_e32 v26, v16
	;; [unrolled: 1-line block ×18, first 2 shown]
	v_movreld_b32_e32 v12, v10
	v_movreld_b32_e32 v13, v11
	v_mov_b32_e32 v2, v12
	v_mov_b32_e32 v3, v13
	;; [unrolled: 1-line block ×16, first 2 shown]
.LBB5_49:
	v_mov_b32_e32 v0, 0
	global_load_dword v1, v0, s[16:17] offset:12
	s_waitcnt vmcnt(0)
	v_readfirstlane_b32 s0, v1
	s_add_i32 s0, s0, -1
	s_cmp_eq_u32 s0, 3
	s_cbranch_scc1 .LBB5_51
; %bb.50:
	s_lshl_b32 m0, s0, 1
	v_movrels_b32_e32 v1, v2
	v_movrels_b32_e32 v26, v3
	v_mov_b32_e32 v25, v17
	v_mov_b32_e32 v24, v16
	;; [unrolled: 1-line block ×18, first 2 shown]
	v_movreld_b32_e32 v10, v8
	v_movreld_b32_e32 v11, v9
	v_mov_b32_e32 v2, v10
	v_mov_b32_e32 v3, v11
	v_mov_b32_e32 v4, v12
	v_mov_b32_e32 v5, v13
	v_mov_b32_e32 v6, v14
	v_mov_b32_e32 v7, v15
	v_mov_b32_e32 v8, v16
	v_mov_b32_e32 v9, v17
	v_mov_b32_e32 v10, v18
	v_mov_b32_e32 v11, v19
	v_mov_b32_e32 v12, v20
	v_mov_b32_e32 v13, v21
	v_mov_b32_e32 v14, v22
	v_mov_b32_e32 v15, v23
	v_mov_b32_e32 v16, v24
	v_mov_b32_e32 v17, v25
.LBB5_51:
	global_load_dword v0, v0, s[16:17] offset:8
	s_waitcnt vmcnt(0)
	v_readfirstlane_b32 s0, v0
	s_add_i32 s0, s0, -1
	s_cmp_eq_u32 s0, 2
	s_cbranch_scc1 .LBB5_53
; %bb.52:
	s_lshl_b32 m0, s0, 1
	v_movrels_b32_e32 v0, v2
	v_movrels_b32_e32 v1, v3
	v_mov_b32_e32 v23, v17
	v_mov_b32_e32 v22, v16
	;; [unrolled: 1-line block ×18, first 2 shown]
	v_movreld_b32_e32 v8, v6
	v_movreld_b32_e32 v9, v7
	v_mov_b32_e32 v2, v8
	v_mov_b32_e32 v3, v9
	;; [unrolled: 1-line block ×16, first 2 shown]
.LBB5_53:
	v_mov_b32_e32 v0, 0
	global_load_dword v1, v0, s[16:17] offset:4
	s_waitcnt vmcnt(0)
	v_readfirstlane_b32 s0, v1
	s_add_i32 s0, s0, -1
	s_cmp_eq_u32 s0, 1
	s_cbranch_scc1 .LBB5_55
; %bb.54:
	s_lshl_b32 m0, s0, 1
	v_movrels_b32_e32 v1, v2
	v_movrels_b32_e32 v22, v3
	v_mov_b32_e32 v21, v17
	v_mov_b32_e32 v20, v16
	;; [unrolled: 1-line block ×18, first 2 shown]
	v_movreld_b32_e32 v6, v4
	v_movreld_b32_e32 v7, v5
	v_mov_b32_e32 v2, v6
	v_mov_b32_e32 v3, v7
	;; [unrolled: 1-line block ×16, first 2 shown]
.LBB5_55:
	global_load_dword v0, v0, s[16:17]
	s_waitcnt vmcnt(0)
	v_readfirstlane_b32 s0, v0
	s_add_i32 s0, s0, -1
	s_cmp_eq_u32 s0, 0
	s_cbranch_scc1 .LBB5_57
; %bb.56:
	s_lshl_b32 m0, s0, 1
	v_movrels_b32_e32 v0, v2
	v_movrels_b32_e32 v1, v3
	v_mov_b32_e32 v19, v17
	v_mov_b32_e32 v18, v16
	;; [unrolled: 1-line block ×18, first 2 shown]
	v_movreld_b32_e32 v4, v2
	v_movreld_b32_e32 v5, v3
	v_mov_b32_e32 v2, v4
	v_mov_b32_e32 v3, v5
	;; [unrolled: 1-line block ×16, first 2 shown]
.LBB5_57:
	global_store_dwordx2 v[28:29], v[2:3], off
	global_store_dwordx2 v[30:31], v[4:5], off
	;; [unrolled: 1-line block ×6, first 2 shown]
	s_endpgm
	.section	.rodata,"a",@progbits
	.p2align	6, 0x0
	.amdhsa_kernel _ZN9rocsolver6v33100L18getri_kernel_smallILi6EdPdEEvT1_iilPiilS4_bb
		.amdhsa_group_segment_fixed_size 104
		.amdhsa_private_segment_fixed_size 0
		.amdhsa_kernarg_size 60
		.amdhsa_user_sgpr_count 6
		.amdhsa_user_sgpr_private_segment_buffer 1
		.amdhsa_user_sgpr_dispatch_ptr 0
		.amdhsa_user_sgpr_queue_ptr 0
		.amdhsa_user_sgpr_kernarg_segment_ptr 1
		.amdhsa_user_sgpr_dispatch_id 0
		.amdhsa_user_sgpr_flat_scratch_init 0
		.amdhsa_user_sgpr_private_segment_size 0
		.amdhsa_wavefront_size32 1
		.amdhsa_uses_dynamic_stack 0
		.amdhsa_system_sgpr_private_segment_wavefront_offset 0
		.amdhsa_system_sgpr_workgroup_id_x 1
		.amdhsa_system_sgpr_workgroup_id_y 0
		.amdhsa_system_sgpr_workgroup_id_z 0
		.amdhsa_system_sgpr_workgroup_info 0
		.amdhsa_system_vgpr_workitem_id 0
		.amdhsa_next_free_vgpr 40
		.amdhsa_next_free_sgpr 19
		.amdhsa_reserve_vcc 1
		.amdhsa_reserve_flat_scratch 0
		.amdhsa_float_round_mode_32 0
		.amdhsa_float_round_mode_16_64 0
		.amdhsa_float_denorm_mode_32 3
		.amdhsa_float_denorm_mode_16_64 3
		.amdhsa_dx10_clamp 1
		.amdhsa_ieee_mode 1
		.amdhsa_fp16_overflow 0
		.amdhsa_workgroup_processor_mode 1
		.amdhsa_memory_ordered 1
		.amdhsa_forward_progress 1
		.amdhsa_shared_vgpr_count 0
		.amdhsa_exception_fp_ieee_invalid_op 0
		.amdhsa_exception_fp_denorm_src 0
		.amdhsa_exception_fp_ieee_div_zero 0
		.amdhsa_exception_fp_ieee_overflow 0
		.amdhsa_exception_fp_ieee_underflow 0
		.amdhsa_exception_fp_ieee_inexact 0
		.amdhsa_exception_int_div_zero 0
	.end_amdhsa_kernel
	.section	.text._ZN9rocsolver6v33100L18getri_kernel_smallILi6EdPdEEvT1_iilPiilS4_bb,"axG",@progbits,_ZN9rocsolver6v33100L18getri_kernel_smallILi6EdPdEEvT1_iilPiilS4_bb,comdat
.Lfunc_end5:
	.size	_ZN9rocsolver6v33100L18getri_kernel_smallILi6EdPdEEvT1_iilPiilS4_bb, .Lfunc_end5-_ZN9rocsolver6v33100L18getri_kernel_smallILi6EdPdEEvT1_iilPiilS4_bb
                                        ; -- End function
	.set _ZN9rocsolver6v33100L18getri_kernel_smallILi6EdPdEEvT1_iilPiilS4_bb.num_vgpr, 40
	.set _ZN9rocsolver6v33100L18getri_kernel_smallILi6EdPdEEvT1_iilPiilS4_bb.num_agpr, 0
	.set _ZN9rocsolver6v33100L18getri_kernel_smallILi6EdPdEEvT1_iilPiilS4_bb.numbered_sgpr, 19
	.set _ZN9rocsolver6v33100L18getri_kernel_smallILi6EdPdEEvT1_iilPiilS4_bb.num_named_barrier, 0
	.set _ZN9rocsolver6v33100L18getri_kernel_smallILi6EdPdEEvT1_iilPiilS4_bb.private_seg_size, 0
	.set _ZN9rocsolver6v33100L18getri_kernel_smallILi6EdPdEEvT1_iilPiilS4_bb.uses_vcc, 1
	.set _ZN9rocsolver6v33100L18getri_kernel_smallILi6EdPdEEvT1_iilPiilS4_bb.uses_flat_scratch, 0
	.set _ZN9rocsolver6v33100L18getri_kernel_smallILi6EdPdEEvT1_iilPiilS4_bb.has_dyn_sized_stack, 0
	.set _ZN9rocsolver6v33100L18getri_kernel_smallILi6EdPdEEvT1_iilPiilS4_bb.has_recursion, 0
	.set _ZN9rocsolver6v33100L18getri_kernel_smallILi6EdPdEEvT1_iilPiilS4_bb.has_indirect_call, 0
	.section	.AMDGPU.csdata,"",@progbits
; Kernel info:
; codeLenInByte = 4280
; TotalNumSgprs: 21
; NumVgprs: 40
; ScratchSize: 0
; MemoryBound: 0
; FloatMode: 240
; IeeeMode: 1
; LDSByteSize: 104 bytes/workgroup (compile time only)
; SGPRBlocks: 0
; VGPRBlocks: 4
; NumSGPRsForWavesPerEU: 21
; NumVGPRsForWavesPerEU: 40
; Occupancy: 16
; WaveLimiterHint : 0
; COMPUTE_PGM_RSRC2:SCRATCH_EN: 0
; COMPUTE_PGM_RSRC2:USER_SGPR: 6
; COMPUTE_PGM_RSRC2:TRAP_HANDLER: 0
; COMPUTE_PGM_RSRC2:TGID_X_EN: 1
; COMPUTE_PGM_RSRC2:TGID_Y_EN: 0
; COMPUTE_PGM_RSRC2:TGID_Z_EN: 0
; COMPUTE_PGM_RSRC2:TIDIG_COMP_CNT: 0
	.section	.text._ZN9rocsolver6v33100L18getri_kernel_smallILi7EdPdEEvT1_iilPiilS4_bb,"axG",@progbits,_ZN9rocsolver6v33100L18getri_kernel_smallILi7EdPdEEvT1_iilPiilS4_bb,comdat
	.globl	_ZN9rocsolver6v33100L18getri_kernel_smallILi7EdPdEEvT1_iilPiilS4_bb ; -- Begin function _ZN9rocsolver6v33100L18getri_kernel_smallILi7EdPdEEvT1_iilPiilS4_bb
	.p2align	8
	.type	_ZN9rocsolver6v33100L18getri_kernel_smallILi7EdPdEEvT1_iilPiilS4_bb,@function
_ZN9rocsolver6v33100L18getri_kernel_smallILi7EdPdEEvT1_iilPiilS4_bb: ; @_ZN9rocsolver6v33100L18getri_kernel_smallILi7EdPdEEvT1_iilPiilS4_bb
; %bb.0:
	s_mov_b32 s0, exec_lo
	v_cmpx_gt_u32_e32 7, v0
	s_cbranch_execz .LBB6_16
; %bb.1:
	s_clause 0x2
	s_load_dword s0, s[4:5], 0x38
	s_load_dwordx4 s[12:15], s[4:5], 0x10
	s_load_dwordx4 s[8:11], s[4:5], 0x28
                                        ; implicit-def: $sgpr16_sgpr17
	s_waitcnt lgkmcnt(0)
	s_bitcmp1_b32 s0, 8
	s_cselect_b32 s18, -1, 0
	s_bfe_u32 s0, s0, 0x10008
	s_ashr_i32 s7, s6, 31
	s_cmp_eq_u32 s0, 0
	s_cbranch_scc1 .LBB6_3
; %bb.2:
	s_load_dword s0, s[4:5], 0x20
	s_mul_i32 s1, s8, s7
	s_mul_hi_u32 s2, s8, s6
	s_mul_i32 s3, s9, s6
	s_add_i32 s1, s2, s1
	s_mul_i32 s2, s8, s6
	s_add_i32 s3, s1, s3
	s_lshl_b64 s[2:3], s[2:3], 2
	s_waitcnt lgkmcnt(0)
	s_ashr_i32 s1, s0, 31
	s_add_u32 s2, s14, s2
	s_addc_u32 s3, s15, s3
	s_lshl_b64 s[0:1], s[0:1], 2
	s_add_u32 s16, s2, s0
	s_addc_u32 s17, s3, s1
.LBB6_3:
	s_clause 0x1
	s_load_dwordx4 s[0:3], s[4:5], 0x0
	s_load_dword s14, s[4:5], 0x38
	s_mul_i32 s4, s12, s7
	s_mul_hi_u32 s5, s12, s6
	s_mul_i32 s8, s13, s6
	s_add_i32 s5, s5, s4
	s_mul_i32 s4, s12, s6
	s_add_i32 s5, s5, s8
	v_lshlrev_b32_e32 v18, 3, v0
	s_lshl_b64 s[4:5], s[4:5], 3
	v_mov_b32_e32 v1, 0
	s_waitcnt lgkmcnt(0)
	v_add3_u32 v4, s3, s3, v0
	s_ashr_i32 s9, s2, 31
	s_mov_b32 s8, s2
	s_add_u32 s2, s0, s4
	s_addc_u32 s5, s1, s5
	v_add_nc_u32_e32 v6, s3, v4
	s_lshl_b64 s[0:1], s[8:9], 3
	v_ashrrev_i32_e32 v5, 31, v4
	s_add_u32 s0, s2, s0
	s_addc_u32 s1, s5, s1
	v_add_nc_u32_e32 v8, s3, v6
	v_add_co_u32 v32, s2, s0, v18
	s_mov_b32 s4, s3
	s_ashr_i32 s5, s3, 31
	v_lshlrev_b64 v[4:5], 3, v[4:5]
	v_add_co_ci_u32_e64 v33, null, s1, 0, s2
	s_lshl_b64 s[4:5], s[4:5], 3
	v_ashrrev_i32_e32 v7, 31, v6
	v_ashrrev_i32_e32 v9, 31, v8
	v_add_nc_u32_e32 v10, s3, v8
	v_add_co_u32 v34, vcc_lo, v32, s4
	v_add_co_ci_u32_e64 v35, null, s5, v33, vcc_lo
	v_add_co_u32 v36, vcc_lo, s0, v4
	v_lshlrev_b64 v[6:7], 3, v[6:7]
	v_add_co_ci_u32_e64 v37, null, s1, v5, vcc_lo
	v_lshlrev_b64 v[4:5], 3, v[8:9]
	v_add_nc_u32_e32 v8, s3, v10
	v_ashrrev_i32_e32 v11, 31, v10
	v_add_co_u32 v38, vcc_lo, s0, v6
	v_add_co_ci_u32_e64 v39, null, s1, v7, vcc_lo
	v_ashrrev_i32_e32 v9, 31, v8
	v_lshlrev_b64 v[6:7], 3, v[10:11]
	v_add_co_u32 v40, vcc_lo, s0, v4
	v_add_co_ci_u32_e64 v41, null, s1, v5, vcc_lo
	v_lshlrev_b64 v[4:5], 3, v[8:9]
	v_add_co_u32 v44, vcc_lo, s0, v6
	v_add_co_ci_u32_e64 v45, null, s1, v7, vcc_lo
	global_load_dwordx2 v[2:3], v18, s[0:1]
	v_add_co_u32 v42, vcc_lo, s0, v4
	v_add_co_ci_u32_e64 v43, null, s1, v5, vcc_lo
	s_clause 0x5
	global_load_dwordx2 v[4:5], v[34:35], off
	global_load_dwordx2 v[6:7], v[36:37], off
	;; [unrolled: 1-line block ×6, first 2 shown]
	s_bitcmp0_b32 s14, 0
	s_mov_b32 s0, -1
	s_cbranch_scc1 .LBB6_14
; %bb.4:
	v_cmp_eq_u32_e64 s0, 0, v0
	s_and_saveexec_b32 s1, s0
; %bb.5:
	v_mov_b32_e32 v16, 0
	ds_write_b32 v16, v16 offset:56
; %bb.6:
	s_or_b32 exec_lo, exec_lo, s1
	v_cmp_eq_u32_e32 vcc_lo, 1, v0
	s_mov_b32 s2, exec_lo
	s_waitcnt vmcnt(0) lgkmcnt(0)
	s_barrier
	buffer_gl0_inv
	v_cndmask_b32_e32 v16, v3, v5, vcc_lo
	v_cndmask_b32_e32 v17, v2, v4, vcc_lo
	v_cmp_eq_u32_e32 vcc_lo, 2, v0
	v_cndmask_b32_e32 v16, v16, v7, vcc_lo
	v_cndmask_b32_e32 v17, v17, v6, vcc_lo
	v_cmp_eq_u32_e32 vcc_lo, 3, v0
	;; [unrolled: 3-line block ×5, first 2 shown]
	v_cndmask_b32_e32 v17, v16, v15, vcc_lo
	v_cndmask_b32_e32 v16, v19, v14, vcc_lo
	v_cmpx_eq_f64_e32 0, v[16:17]
	s_cbranch_execz .LBB6_10
; %bb.7:
	v_mov_b32_e32 v19, 0
	s_mov_b32 s3, 0
	ds_read_b32 v20, v19 offset:56
	s_waitcnt lgkmcnt(0)
	v_readfirstlane_b32 s1, v20
	v_add_nc_u32_e32 v20, 1, v0
	s_cmp_eq_u32 s1, 0
	v_cmp_gt_i32_e32 vcc_lo, s1, v20
	s_cselect_b32 s4, -1, 0
	s_or_b32 s4, s4, vcc_lo
	s_and_b32 exec_lo, exec_lo, s4
	s_cbranch_execz .LBB6_10
; %bb.8:
	v_mov_b32_e32 v21, s1
.LBB6_9:                                ; =>This Inner Loop Header: Depth=1
	ds_cmpst_rtn_b32 v21, v19, v21, v20 offset:56
	s_waitcnt lgkmcnt(0)
	v_cmp_ne_u32_e32 vcc_lo, 0, v21
	v_cmp_le_i32_e64 s1, v21, v20
	s_and_b32 s1, vcc_lo, s1
	s_and_b32 s1, exec_lo, s1
	s_or_b32 s3, s1, s3
	s_andn2_b32 exec_lo, exec_lo, s3
	s_cbranch_execnz .LBB6_9
.LBB6_10:
	s_or_b32 exec_lo, exec_lo, s2
	v_mov_b32_e32 v19, 0
	s_barrier
	buffer_gl0_inv
	ds_read_b32 v20, v19 offset:56
	s_and_saveexec_b32 s1, s0
	s_cbranch_execz .LBB6_12
; %bb.11:
	s_lshl_b64 s[2:3], s[6:7], 2
	s_add_u32 s2, s10, s2
	s_addc_u32 s3, s11, s3
	s_waitcnt lgkmcnt(0)
	global_store_dword v19, v20, s[2:3]
.LBB6_12:
	s_or_b32 exec_lo, exec_lo, s1
	s_waitcnt lgkmcnt(0)
	v_cmp_ne_u32_e32 vcc_lo, 0, v20
	s_cbranch_vccz .LBB6_17
; %bb.13:
	s_mov_b32 s0, 0
                                        ; implicit-def: $vgpr2_vgpr3_vgpr4_vgpr5_vgpr6_vgpr7_vgpr8_vgpr9_vgpr10_vgpr11_vgpr12_vgpr13_vgpr14_vgpr15_vgpr16_vgpr17
.LBB6_14:
	s_and_b32 vcc_lo, exec_lo, s0
	s_cbranch_vccz .LBB6_16
.LBB6_15:
	s_lshl_b64 s[0:1], s[6:7], 2
	v_mov_b32_e32 v1, 0
	s_add_u32 s0, s10, s0
	s_addc_u32 s1, s11, s1
	global_load_dword v1, v1, s[0:1]
	s_waitcnt vmcnt(0)
	v_cmp_ne_u32_e32 vcc_lo, 0, v1
	s_cbranch_vccz .LBB6_40
.LBB6_16:
	s_endpgm
.LBB6_17:
	v_div_scale_f64 v[19:20], null, v[16:17], v[16:17], 1.0
	v_div_scale_f64 v[25:26], vcc_lo, 1.0, v[16:17], 1.0
	v_cmp_eq_u32_e64 s1, 5, v0
	v_cmp_eq_u32_e64 s2, 4, v0
	;; [unrolled: 1-line block ×6, first 2 shown]
	v_rcp_f64_e32 v[21:22], v[19:20]
	v_fma_f64 v[23:24], -v[19:20], v[21:22], 1.0
	v_fma_f64 v[21:22], v[21:22], v[23:24], v[21:22]
	v_fma_f64 v[23:24], -v[19:20], v[21:22], 1.0
	v_fma_f64 v[21:22], v[21:22], v[23:24], v[21:22]
	v_mul_f64 v[23:24], v[25:26], v[21:22]
	v_fma_f64 v[19:20], -v[19:20], v[23:24], v[25:26]
	v_div_fmas_f64 v[19:20], v[19:20], v[21:22], v[23:24]
	v_cmp_eq_u32_e32 vcc_lo, 6, v0
	v_div_fixup_f64 v[16:17], v[19:20], v[16:17], 1.0
	v_add_nc_u32_e32 v20, 64, v18
	v_cndmask_b32_e32 v15, v15, v17, vcc_lo
	v_cndmask_b32_e32 v14, v14, v16, vcc_lo
	v_cndmask_b32_e64 v13, v13, v17, s1
	v_cndmask_b32_e64 v12, v12, v16, s1
	;; [unrolled: 1-line block ×8, first 2 shown]
	v_xor_b32_e32 v22, 0x80000000, v17
	v_mov_b32_e32 v21, v16
	v_cndmask_b32_e64 v7, v7, v17, s4
	v_cndmask_b32_e64 v6, v6, v16, s4
	;; [unrolled: 1-line block ×4, first 2 shown]
	ds_write2_b64 v18, v[21:22], v[4:5] offset1:8
	s_waitcnt lgkmcnt(0)
	s_waitcnt_vscnt null, 0x0
	s_barrier
	buffer_gl0_inv
	s_and_saveexec_b32 s1, s0
	s_cbranch_execz .LBB6_19
; %bb.18:
	ds_read_b64 v[4:5], v20
	v_mov_b32_e32 v18, 0
	ds_read_b64 v[18:19], v18 offset:8
	s_waitcnt lgkmcnt(1)
	v_fma_f64 v[4:5], v[16:17], v[4:5], 0
	s_waitcnt lgkmcnt(0)
	v_mul_f64 v[4:5], v[4:5], v[18:19]
.LBB6_19:
	s_or_b32 exec_lo, exec_lo, s1
	s_mov_b32 s2, exec_lo
	s_barrier
	buffer_gl0_inv
	ds_write_b64 v20, v[6:7]
	s_waitcnt lgkmcnt(0)
	s_barrier
	buffer_gl0_inv
	v_cmpx_gt_u32_e32 2, v0
	s_cbranch_execz .LBB6_23
; %bb.20:
	v_cmp_eq_u32_e32 vcc_lo, 1, v0
	v_cmp_eq_u32_e64 s1, 4, v0
	v_cndmask_b32_e32 v16, v3, v5, vcc_lo
	v_cndmask_b32_e32 v17, v2, v4, vcc_lo
	v_cmp_eq_u32_e32 vcc_lo, 2, v0
	v_cndmask_b32_e32 v7, v16, v7, vcc_lo
	v_cndmask_b32_e32 v6, v17, v6, vcc_lo
	v_cmp_eq_u32_e32 vcc_lo, 3, v0
	v_cndmask_b32_e32 v16, v7, v9, vcc_lo
	v_cndmask_b32_e32 v17, v6, v8, vcc_lo
	ds_read_b64 v[6:7], v20
	v_cmp_eq_u32_e32 vcc_lo, 5, v0
	v_cndmask_b32_e64 v16, v16, v11, s1
	v_cndmask_b32_e64 v17, v17, v10, s1
	v_cndmask_b32_e32 v16, v16, v13, vcc_lo
	v_cndmask_b32_e32 v18, v17, v12, vcc_lo
	v_cmp_eq_u32_e32 vcc_lo, 6, v0
	v_cndmask_b32_e32 v17, v16, v15, vcc_lo
	v_cndmask_b32_e32 v16, v18, v14, vcc_lo
	s_waitcnt lgkmcnt(0)
	v_fma_f64 v[6:7], v[16:17], v[6:7], 0
	s_and_saveexec_b32 s1, s0
	s_cbranch_execz .LBB6_22
; %bb.21:
	v_mov_b32_e32 v16, 0
	ds_read_b64 v[16:17], v16 offset:72
	s_waitcnt lgkmcnt(0)
	v_fma_f64 v[6:7], v[4:5], v[16:17], v[6:7]
.LBB6_22:
	s_or_b32 exec_lo, exec_lo, s1
	v_mov_b32_e32 v16, 0
	ds_read_b64 v[16:17], v16 offset:16
	s_waitcnt lgkmcnt(0)
	v_mul_f64 v[6:7], v[6:7], v[16:17]
.LBB6_23:
	s_or_b32 exec_lo, exec_lo, s2
	s_mov_b32 s1, exec_lo
	s_barrier
	buffer_gl0_inv
	ds_write_b64 v20, v[8:9]
	s_waitcnt lgkmcnt(0)
	s_barrier
	buffer_gl0_inv
	v_cmpx_gt_u32_e32 3, v0
	s_cbranch_execz .LBB6_27
; %bb.24:
	v_mov_b32_e32 v16, 0
	v_mov_b32_e32 v19, v1
	v_lshl_add_u32 v21, v0, 3, 64
	v_mov_b32_e32 v17, 0
	v_mov_b32_e32 v18, v0
	s_mov_b32 s2, 0
	s_inst_prefetch 0x1
	.p2align	6
.LBB6_25:                               ; =>This Inner Loop Header: Depth=1
	v_cmp_eq_u32_e32 vcc_lo, 1, v18
	v_cmp_eq_u32_e64 s0, 2, v18
	v_cndmask_b32_e32 v22, v3, v5, vcc_lo
	v_cndmask_b32_e32 v23, v2, v4, vcc_lo
	v_cmp_eq_u32_e32 vcc_lo, 3, v18
	v_cndmask_b32_e64 v24, v22, v7, s0
	v_cndmask_b32_e64 v25, v23, v6, s0
	ds_read_b64 v[22:23], v21
	v_cmp_eq_u32_e64 s0, 4, v18
	v_add_nc_u32_e32 v21, 8, v21
	v_cndmask_b32_e32 v24, v24, v9, vcc_lo
	v_cndmask_b32_e32 v25, v25, v8, vcc_lo
	v_cmp_eq_u32_e32 vcc_lo, 5, v18
	v_cndmask_b32_e64 v24, v24, v11, s0
	v_cndmask_b32_e64 v25, v25, v10, s0
	v_cmp_eq_u32_e64 s0, 6, v18
	v_cndmask_b32_e32 v24, v24, v13, vcc_lo
	v_cndmask_b32_e32 v26, v25, v12, vcc_lo
	v_add_co_u32 v18, vcc_lo, v18, 1
	v_add_co_ci_u32_e64 v19, null, 0, v19, vcc_lo
	v_cndmask_b32_e64 v25, v24, v15, s0
	v_cndmask_b32_e64 v24, v26, v14, s0
	s_waitcnt lgkmcnt(0)
	v_fma_f64 v[16:17], v[24:25], v[22:23], v[16:17]
	v_add_nc_u32_e32 v22, -1, v18
	v_cmp_lt_u32_e32 vcc_lo, 1, v22
	s_or_b32 s2, vcc_lo, s2
	s_andn2_b32 exec_lo, exec_lo, s2
	s_cbranch_execnz .LBB6_25
; %bb.26:
	s_inst_prefetch 0x2
	s_or_b32 exec_lo, exec_lo, s2
	v_mov_b32_e32 v8, 0
	ds_read_b64 v[8:9], v8 offset:24
	s_waitcnt lgkmcnt(0)
	v_mul_f64 v[8:9], v[16:17], v[8:9]
.LBB6_27:
	s_or_b32 exec_lo, exec_lo, s1
	s_mov_b32 s1, exec_lo
	s_barrier
	buffer_gl0_inv
	ds_write_b64 v20, v[10:11]
	s_waitcnt lgkmcnt(0)
	s_barrier
	buffer_gl0_inv
	v_cmpx_gt_u32_e32 4, v0
	s_cbranch_execz .LBB6_31
; %bb.28:
	v_mov_b32_e32 v16, 0
	v_mov_b32_e32 v19, v1
	v_lshl_add_u32 v21, v0, 3, 64
	v_mov_b32_e32 v17, 0
	v_mov_b32_e32 v18, v0
	s_mov_b32 s2, 0
	s_inst_prefetch 0x1
	.p2align	6
.LBB6_29:                               ; =>This Inner Loop Header: Depth=1
	v_cmp_eq_u32_e32 vcc_lo, 1, v18
	v_cmp_eq_u32_e64 s0, 2, v18
	v_cndmask_b32_e32 v22, v3, v5, vcc_lo
	v_cndmask_b32_e32 v23, v2, v4, vcc_lo
	v_cmp_eq_u32_e32 vcc_lo, 3, v18
	v_cndmask_b32_e64 v24, v22, v7, s0
	v_cndmask_b32_e64 v25, v23, v6, s0
	ds_read_b64 v[22:23], v21
	v_cmp_eq_u32_e64 s0, 4, v18
	v_add_nc_u32_e32 v21, 8, v21
	v_cndmask_b32_e32 v24, v24, v9, vcc_lo
	v_cndmask_b32_e32 v25, v25, v8, vcc_lo
	v_cmp_eq_u32_e32 vcc_lo, 5, v18
	v_cndmask_b32_e64 v24, v24, v11, s0
	v_cndmask_b32_e64 v25, v25, v10, s0
	v_cmp_eq_u32_e64 s0, 6, v18
	v_cndmask_b32_e32 v24, v24, v13, vcc_lo
	v_cndmask_b32_e32 v26, v25, v12, vcc_lo
	v_add_co_u32 v18, vcc_lo, v18, 1
	v_add_co_ci_u32_e64 v19, null, 0, v19, vcc_lo
	v_cndmask_b32_e64 v25, v24, v15, s0
	v_cndmask_b32_e64 v24, v26, v14, s0
	s_waitcnt lgkmcnt(0)
	v_fma_f64 v[16:17], v[24:25], v[22:23], v[16:17]
	v_add_nc_u32_e32 v22, -1, v18
	v_cmp_lt_u32_e32 vcc_lo, 2, v22
	s_or_b32 s2, vcc_lo, s2
	s_andn2_b32 exec_lo, exec_lo, s2
	s_cbranch_execnz .LBB6_29
; %bb.30:
	s_inst_prefetch 0x2
	s_or_b32 exec_lo, exec_lo, s2
	v_mov_b32_e32 v10, 0
	ds_read_b64 v[10:11], v10 offset:32
	s_waitcnt lgkmcnt(0)
	v_mul_f64 v[10:11], v[16:17], v[10:11]
.LBB6_31:
	s_or_b32 exec_lo, exec_lo, s1
	s_mov_b32 s1, exec_lo
	s_barrier
	buffer_gl0_inv
	ds_write_b64 v20, v[12:13]
	s_waitcnt lgkmcnt(0)
	s_barrier
	buffer_gl0_inv
	v_cmpx_gt_u32_e32 5, v0
	s_cbranch_execz .LBB6_35
; %bb.32:
	v_mov_b32_e32 v16, 0
	v_mov_b32_e32 v19, v1
	v_lshl_add_u32 v21, v0, 3, 64
	v_mov_b32_e32 v17, 0
	v_mov_b32_e32 v18, v0
	s_mov_b32 s2, 0
	s_inst_prefetch 0x1
	.p2align	6
.LBB6_33:                               ; =>This Inner Loop Header: Depth=1
	v_cmp_eq_u32_e32 vcc_lo, 1, v18
	v_cmp_eq_u32_e64 s0, 2, v18
	v_cndmask_b32_e32 v22, v3, v5, vcc_lo
	v_cndmask_b32_e32 v23, v2, v4, vcc_lo
	v_cmp_eq_u32_e32 vcc_lo, 3, v18
	v_cndmask_b32_e64 v24, v22, v7, s0
	v_cndmask_b32_e64 v25, v23, v6, s0
	ds_read_b64 v[22:23], v21
	v_cmp_eq_u32_e64 s0, 4, v18
	v_add_nc_u32_e32 v21, 8, v21
	v_cndmask_b32_e32 v24, v24, v9, vcc_lo
	v_cndmask_b32_e32 v25, v25, v8, vcc_lo
	v_cmp_eq_u32_e32 vcc_lo, 5, v18
	v_cndmask_b32_e64 v24, v24, v11, s0
	v_cndmask_b32_e64 v25, v25, v10, s0
	v_cmp_eq_u32_e64 s0, 6, v18
	v_cndmask_b32_e32 v24, v24, v13, vcc_lo
	v_cndmask_b32_e32 v26, v25, v12, vcc_lo
	v_add_co_u32 v18, vcc_lo, v18, 1
	v_add_co_ci_u32_e64 v19, null, 0, v19, vcc_lo
	v_cndmask_b32_e64 v25, v24, v15, s0
	v_cndmask_b32_e64 v24, v26, v14, s0
	s_waitcnt lgkmcnt(0)
	v_fma_f64 v[16:17], v[24:25], v[22:23], v[16:17]
	v_add_nc_u32_e32 v22, -1, v18
	v_cmp_lt_u32_e32 vcc_lo, 3, v22
	s_or_b32 s2, vcc_lo, s2
	s_andn2_b32 exec_lo, exec_lo, s2
	s_cbranch_execnz .LBB6_33
; %bb.34:
	s_inst_prefetch 0x2
	s_or_b32 exec_lo, exec_lo, s2
	v_mov_b32_e32 v12, 0
	ds_read_b64 v[12:13], v12 offset:40
	s_waitcnt lgkmcnt(0)
	v_mul_f64 v[12:13], v[16:17], v[12:13]
.LBB6_35:
	s_or_b32 exec_lo, exec_lo, s1
	s_mov_b32 s1, exec_lo
	s_barrier
	buffer_gl0_inv
	ds_write_b64 v20, v[14:15]
	s_waitcnt lgkmcnt(0)
	s_barrier
	buffer_gl0_inv
	v_cmpx_ne_u32_e32 6, v0
	s_cbranch_execz .LBB6_39
; %bb.36:
	v_mov_b32_e32 v16, 0
	v_mov_b32_e32 v19, v1
	v_lshl_add_u32 v20, v0, 3, 64
	v_mov_b32_e32 v17, 0
	v_mov_b32_e32 v18, v0
	s_mov_b32 s2, 0
	s_inst_prefetch 0x1
	.p2align	6
.LBB6_37:                               ; =>This Inner Loop Header: Depth=1
	v_cmp_eq_u32_e32 vcc_lo, 1, v18
	v_cmp_eq_u32_e64 s0, 2, v18
	v_cndmask_b32_e32 v1, v3, v5, vcc_lo
	v_cndmask_b32_e32 v21, v2, v4, vcc_lo
	v_cmp_eq_u32_e32 vcc_lo, 3, v18
	v_cndmask_b32_e64 v1, v1, v7, s0
	v_cndmask_b32_e64 v23, v21, v6, s0
	ds_read_b64 v[21:22], v20
	v_cmp_eq_u32_e64 s0, 4, v18
	v_add_nc_u32_e32 v20, 8, v20
	v_cndmask_b32_e32 v1, v1, v9, vcc_lo
	v_cndmask_b32_e32 v23, v23, v8, vcc_lo
	v_cmp_eq_u32_e32 vcc_lo, 5, v18
	v_cndmask_b32_e64 v1, v1, v11, s0
	v_cndmask_b32_e64 v23, v23, v10, s0
	v_cmp_eq_u32_e64 s0, 6, v18
	v_cndmask_b32_e32 v1, v1, v13, vcc_lo
	v_cndmask_b32_e32 v23, v23, v12, vcc_lo
	v_add_co_u32 v18, vcc_lo, v18, 1
	v_add_co_ci_u32_e64 v19, null, 0, v19, vcc_lo
	v_cndmask_b32_e64 v24, v1, v15, s0
	v_cndmask_b32_e64 v23, v23, v14, s0
	v_add_nc_u32_e32 v1, -1, v18
	s_waitcnt lgkmcnt(0)
	v_fma_f64 v[16:17], v[23:24], v[21:22], v[16:17]
	v_cmp_lt_u32_e32 vcc_lo, 4, v1
	s_or_b32 s2, vcc_lo, s2
	s_andn2_b32 exec_lo, exec_lo, s2
	s_cbranch_execnz .LBB6_37
; %bb.38:
	s_inst_prefetch 0x2
	s_or_b32 exec_lo, exec_lo, s2
	v_mov_b32_e32 v1, 0
	ds_read_b64 v[14:15], v1 offset:48
	s_waitcnt lgkmcnt(0)
	v_mul_f64 v[14:15], v[16:17], v[14:15]
.LBB6_39:
	s_or_b32 exec_lo, exec_lo, s1
	s_barrier
	buffer_gl0_inv
	s_cbranch_execnz .LBB6_15
	s_branch .LBB6_16
.LBB6_40:
	v_lshl_add_u32 v1, v0, 3, 64
	s_mov_b32 s0, exec_lo
	v_cmpx_eq_u32_e32 6, v0
	s_cbranch_execz .LBB6_42
; %bb.41:
	v_mov_b32_e32 v26, 0
	v_mov_b32_e32 v16, v2
	v_mov_b32_e32 v18, v4
	v_mov_b32_e32 v19, v5
	v_mov_b32_e32 v20, v6
	v_mov_b32_e32 v21, v7
	v_mov_b32_e32 v22, v8
	v_mov_b32_e32 v23, v9
	v_mov_b32_e32 v24, v10
	v_mov_b32_e32 v25, v11
	v_mov_b32_e32 v27, v26
	v_mov_b32_e32 v28, v14
	v_mov_b32_e32 v29, v15
	v_mov_b32_e32 v17, v3
	ds_write_b64 v1, v[12:13]
	v_mov_b32_e32 v2, v16
	v_mov_b32_e32 v3, v17
	v_mov_b32_e32 v4, v18
	v_mov_b32_e32 v5, v19
	v_mov_b32_e32 v6, v20
	v_mov_b32_e32 v7, v21
	v_mov_b32_e32 v8, v22
	v_mov_b32_e32 v9, v23
	v_mov_b32_e32 v10, v24
	v_mov_b32_e32 v11, v25
	v_mov_b32_e32 v12, v26
	v_mov_b32_e32 v13, v27
	v_mov_b32_e32 v14, v28
	v_mov_b32_e32 v15, v29
	v_mov_b32_e32 v16, v30
	v_mov_b32_e32 v17, v31
.LBB6_42:
	s_or_b32 exec_lo, exec_lo, s0
	v_mov_b32_e32 v24, 0
	s_waitcnt lgkmcnt(0)
	s_waitcnt_vscnt null, 0x0
	s_barrier
	buffer_gl0_inv
	s_mov_b32 s0, exec_lo
	ds_read_b64 v[16:17], v24 offset:112
	s_waitcnt lgkmcnt(0)
	v_fma_f64 v[16:17], v[14:15], v[16:17], 0
	v_add_f64 v[12:13], v[12:13], -v[16:17]
	v_cmpx_lt_u32_e32 4, v0
	s_cbranch_execz .LBB6_44
; %bb.43:
	v_mov_b32_e32 v16, v2
	v_mov_b32_e32 v18, v4
	;; [unrolled: 1-line block ×13, first 2 shown]
	ds_write_b64 v1, v[10:11]
	v_mov_b32_e32 v2, v16
	v_mov_b32_e32 v3, v17
	v_mov_b32_e32 v4, v18
	v_mov_b32_e32 v5, v19
	v_mov_b32_e32 v6, v20
	v_mov_b32_e32 v7, v21
	v_mov_b32_e32 v8, v22
	v_mov_b32_e32 v9, v23
	v_mov_b32_e32 v10, v24
	v_mov_b32_e32 v11, v25
	v_mov_b32_e32 v12, v26
	v_mov_b32_e32 v13, v27
	v_mov_b32_e32 v14, v28
	v_mov_b32_e32 v15, v29
	v_mov_b32_e32 v16, v30
	v_mov_b32_e32 v17, v31
.LBB6_44:
	s_or_b32 exec_lo, exec_lo, s0
	s_waitcnt lgkmcnt(0)
	s_barrier
	buffer_gl0_inv
	ds_read2_b64 v[16:19], v24 offset0:13 offset1:14
	s_mov_b32 s0, exec_lo
	s_waitcnt lgkmcnt(0)
	v_fma_f64 v[16:17], v[12:13], v[16:17], 0
	v_fma_f64 v[16:17], v[14:15], v[18:19], v[16:17]
	v_add_f64 v[10:11], v[10:11], -v[16:17]
	v_cmpx_lt_u32_e32 3, v0
	s_cbranch_execz .LBB6_46
; %bb.45:
	v_mov_b32_e32 v22, 0
	v_mov_b32_e32 v16, v2
	;; [unrolled: 1-line block ×14, first 2 shown]
	ds_write_b64 v1, v[8:9]
	v_mov_b32_e32 v2, v16
	v_mov_b32_e32 v3, v17
	;; [unrolled: 1-line block ×16, first 2 shown]
.LBB6_46:
	s_or_b32 exec_lo, exec_lo, s0
	v_mov_b32_e32 v20, 0
	s_waitcnt lgkmcnt(0)
	s_barrier
	buffer_gl0_inv
	s_mov_b32 s0, exec_lo
	ds_read_b128 v[16:19], v20 offset:96
	ds_read_b64 v[21:22], v20 offset:112
	s_waitcnt lgkmcnt(1)
	v_fma_f64 v[16:17], v[10:11], v[16:17], 0
	v_fma_f64 v[16:17], v[12:13], v[18:19], v[16:17]
	s_waitcnt lgkmcnt(0)
	v_fma_f64 v[16:17], v[14:15], v[21:22], v[16:17]
	v_add_f64 v[8:9], v[8:9], -v[16:17]
	v_cmpx_lt_u32_e32 2, v0
	s_cbranch_execz .LBB6_48
; %bb.47:
	v_mov_b32_e32 v16, v2
	v_mov_b32_e32 v18, v4
	;; [unrolled: 1-line block ×13, first 2 shown]
	ds_write_b64 v1, v[6:7]
	v_mov_b32_e32 v2, v16
	v_mov_b32_e32 v3, v17
	;; [unrolled: 1-line block ×16, first 2 shown]
.LBB6_48:
	s_or_b32 exec_lo, exec_lo, s0
	s_waitcnt lgkmcnt(0)
	s_barrier
	buffer_gl0_inv
	ds_read2_b64 v[16:19], v20 offset0:11 offset1:12
	ds_read2_b64 v[20:23], v20 offset0:13 offset1:14
	s_mov_b32 s0, exec_lo
	s_waitcnt lgkmcnt(1)
	v_fma_f64 v[16:17], v[8:9], v[16:17], 0
	v_fma_f64 v[16:17], v[10:11], v[18:19], v[16:17]
	s_waitcnt lgkmcnt(0)
	v_fma_f64 v[16:17], v[12:13], v[20:21], v[16:17]
	v_fma_f64 v[16:17], v[14:15], v[22:23], v[16:17]
	v_add_f64 v[6:7], v[6:7], -v[16:17]
	v_cmpx_lt_u32_e32 1, v0
	s_cbranch_execz .LBB6_50
; %bb.49:
	v_mov_b32_e32 v18, 0
	v_mov_b32_e32 v16, v2
	;; [unrolled: 1-line block ×14, first 2 shown]
	ds_write_b64 v1, v[4:5]
	v_mov_b32_e32 v2, v16
	v_mov_b32_e32 v3, v17
	;; [unrolled: 1-line block ×16, first 2 shown]
.LBB6_50:
	s_or_b32 exec_lo, exec_lo, s0
	v_mov_b32_e32 v18, 0
	s_waitcnt lgkmcnt(0)
	s_barrier
	buffer_gl0_inv
	s_mov_b32 s0, exec_lo
	ds_read_b128 v[19:22], v18 offset:80
	ds_read_b128 v[23:26], v18 offset:96
	s_waitcnt lgkmcnt(1)
	v_fma_f64 v[16:17], v[6:7], v[19:20], 0
	ds_read_b64 v[19:20], v18 offset:112
	v_fma_f64 v[16:17], v[8:9], v[21:22], v[16:17]
	s_waitcnt lgkmcnt(1)
	v_fma_f64 v[16:17], v[10:11], v[23:24], v[16:17]
	v_fma_f64 v[16:17], v[12:13], v[25:26], v[16:17]
	s_waitcnt lgkmcnt(0)
	v_fma_f64 v[16:17], v[14:15], v[19:20], v[16:17]
	v_add_f64 v[4:5], v[4:5], -v[16:17]
	v_cmpx_ne_u32_e32 0, v0
	s_cbranch_execz .LBB6_52
; %bb.51:
	v_mov_b32_e32 v19, v18
	v_mov_b32_e32 v20, v4
	;; [unrolled: 1-line block ×13, first 2 shown]
	ds_write_b64 v1, v[2:3]
	v_mov_b32_e32 v2, v18
	v_mov_b32_e32 v3, v19
	;; [unrolled: 1-line block ×16, first 2 shown]
.LBB6_52:
	s_or_b32 exec_lo, exec_lo, s0
	s_waitcnt lgkmcnt(0)
	s_barrier
	buffer_gl0_inv
	ds_read2_b64 v[19:22], v18 offset0:9 offset1:10
	ds_read2_b64 v[23:26], v18 offset0:11 offset1:12
	s_and_b32 vcc_lo, exec_lo, s18
	s_waitcnt lgkmcnt(1)
	v_fma_f64 v[0:1], v[4:5], v[19:20], 0
	ds_read2_b64 v[16:19], v18 offset0:13 offset1:14
	v_fma_f64 v[0:1], v[6:7], v[21:22], v[0:1]
	s_waitcnt lgkmcnt(1)
	v_fma_f64 v[0:1], v[8:9], v[23:24], v[0:1]
	v_fma_f64 v[0:1], v[10:11], v[25:26], v[0:1]
	s_waitcnt lgkmcnt(0)
	v_fma_f64 v[0:1], v[12:13], v[16:17], v[0:1]
	v_fma_f64 v[0:1], v[14:15], v[18:19], v[0:1]
	v_add_f64 v[2:3], v[2:3], -v[0:1]
	s_cbranch_vccz .LBB6_65
; %bb.53:
	v_mov_b32_e32 v0, 0
	global_load_dword v1, v0, s[16:17] offset:20
	s_waitcnt vmcnt(0)
	v_readfirstlane_b32 s0, v1
	s_add_i32 s0, s0, -1
	s_cmp_lg_u32 s0, 5
	s_cbranch_scc0 .LBB6_55
; %bb.54:
	s_lshl_b32 m0, s0, 1
	v_movrels_b32_e32 v1, v2
	v_movrels_b32_e32 v30, v3
	v_mov_b32_e32 v29, v17
	v_mov_b32_e32 v28, v16
	v_mov_b32_e32 v27, v15
	v_mov_b32_e32 v26, v14
	v_mov_b32_e32 v25, v13
	v_mov_b32_e32 v24, v12
	v_mov_b32_e32 v23, v11
	v_mov_b32_e32 v22, v10
	v_mov_b32_e32 v21, v9
	v_mov_b32_e32 v20, v8
	v_mov_b32_e32 v19, v7
	v_mov_b32_e32 v18, v6
	v_mov_b32_e32 v17, v5
	v_mov_b32_e32 v16, v4
	v_mov_b32_e32 v15, v3
	v_mov_b32_e32 v14, v2
	v_mov_b32_e32 v24, v1
	v_mov_b32_e32 v25, v30
	v_movreld_b32_e32 v14, v12
	v_movreld_b32_e32 v15, v13
	v_mov_b32_e32 v2, v14
	v_mov_b32_e32 v3, v15
	;; [unrolled: 1-line block ×16, first 2 shown]
.LBB6_55:
	global_load_dword v0, v0, s[16:17] offset:16
	s_waitcnt vmcnt(0)
	v_readfirstlane_b32 s0, v0
	s_add_i32 s0, s0, -1
	s_cmp_eq_u32 s0, 4
	s_cbranch_scc1 .LBB6_57
; %bb.56:
	s_lshl_b32 m0, s0, 1
	v_movrels_b32_e32 v0, v2
	v_movrels_b32_e32 v1, v3
	v_mov_b32_e32 v27, v17
	v_mov_b32_e32 v26, v16
	;; [unrolled: 1-line block ×18, first 2 shown]
	v_movreld_b32_e32 v12, v10
	v_movreld_b32_e32 v13, v11
	v_mov_b32_e32 v2, v12
	v_mov_b32_e32 v3, v13
	;; [unrolled: 1-line block ×16, first 2 shown]
.LBB6_57:
	v_mov_b32_e32 v0, 0
	global_load_dword v1, v0, s[16:17] offset:12
	s_waitcnt vmcnt(0)
	v_readfirstlane_b32 s0, v1
	s_add_i32 s0, s0, -1
	s_cmp_eq_u32 s0, 3
	s_cbranch_scc1 .LBB6_59
; %bb.58:
	s_lshl_b32 m0, s0, 1
	v_movrels_b32_e32 v1, v2
	v_movrels_b32_e32 v26, v3
	v_mov_b32_e32 v25, v17
	v_mov_b32_e32 v24, v16
	;; [unrolled: 1-line block ×18, first 2 shown]
	v_movreld_b32_e32 v10, v8
	v_movreld_b32_e32 v11, v9
	v_mov_b32_e32 v2, v10
	v_mov_b32_e32 v3, v11
	;; [unrolled: 1-line block ×16, first 2 shown]
.LBB6_59:
	global_load_dword v0, v0, s[16:17] offset:8
	s_waitcnt vmcnt(0)
	v_readfirstlane_b32 s0, v0
	s_add_i32 s0, s0, -1
	s_cmp_eq_u32 s0, 2
	s_cbranch_scc1 .LBB6_61
; %bb.60:
	s_lshl_b32 m0, s0, 1
	v_movrels_b32_e32 v0, v2
	v_movrels_b32_e32 v1, v3
	v_mov_b32_e32 v23, v17
	v_mov_b32_e32 v22, v16
	;; [unrolled: 1-line block ×18, first 2 shown]
	v_movreld_b32_e32 v8, v6
	v_movreld_b32_e32 v9, v7
	v_mov_b32_e32 v2, v8
	v_mov_b32_e32 v3, v9
	;; [unrolled: 1-line block ×16, first 2 shown]
.LBB6_61:
	v_mov_b32_e32 v0, 0
	global_load_dword v1, v0, s[16:17] offset:4
	s_waitcnt vmcnt(0)
	v_readfirstlane_b32 s0, v1
	s_add_i32 s0, s0, -1
	s_cmp_eq_u32 s0, 1
	s_cbranch_scc1 .LBB6_63
; %bb.62:
	s_lshl_b32 m0, s0, 1
	v_movrels_b32_e32 v1, v2
	v_movrels_b32_e32 v22, v3
	v_mov_b32_e32 v21, v17
	v_mov_b32_e32 v20, v16
	;; [unrolled: 1-line block ×18, first 2 shown]
	v_movreld_b32_e32 v6, v4
	v_movreld_b32_e32 v7, v5
	v_mov_b32_e32 v2, v6
	v_mov_b32_e32 v3, v7
	;; [unrolled: 1-line block ×16, first 2 shown]
.LBB6_63:
	global_load_dword v0, v0, s[16:17]
	s_waitcnt vmcnt(0)
	v_readfirstlane_b32 s0, v0
	s_add_i32 s0, s0, -1
	s_cmp_eq_u32 s0, 0
	s_cbranch_scc1 .LBB6_65
; %bb.64:
	s_lshl_b32 m0, s0, 1
	v_movrels_b32_e32 v0, v2
	v_movrels_b32_e32 v1, v3
	v_mov_b32_e32 v19, v17
	v_mov_b32_e32 v18, v16
	;; [unrolled: 1-line block ×18, first 2 shown]
	v_movreld_b32_e32 v4, v2
	v_movreld_b32_e32 v5, v3
	v_mov_b32_e32 v2, v4
	v_mov_b32_e32 v3, v5
	;; [unrolled: 1-line block ×16, first 2 shown]
.LBB6_65:
	global_store_dwordx2 v[32:33], v[2:3], off
	global_store_dwordx2 v[34:35], v[4:5], off
	;; [unrolled: 1-line block ×7, first 2 shown]
	s_endpgm
	.section	.rodata,"a",@progbits
	.p2align	6, 0x0
	.amdhsa_kernel _ZN9rocsolver6v33100L18getri_kernel_smallILi7EdPdEEvT1_iilPiilS4_bb
		.amdhsa_group_segment_fixed_size 120
		.amdhsa_private_segment_fixed_size 0
		.amdhsa_kernarg_size 60
		.amdhsa_user_sgpr_count 6
		.amdhsa_user_sgpr_private_segment_buffer 1
		.amdhsa_user_sgpr_dispatch_ptr 0
		.amdhsa_user_sgpr_queue_ptr 0
		.amdhsa_user_sgpr_kernarg_segment_ptr 1
		.amdhsa_user_sgpr_dispatch_id 0
		.amdhsa_user_sgpr_flat_scratch_init 0
		.amdhsa_user_sgpr_private_segment_size 0
		.amdhsa_wavefront_size32 1
		.amdhsa_uses_dynamic_stack 0
		.amdhsa_system_sgpr_private_segment_wavefront_offset 0
		.amdhsa_system_sgpr_workgroup_id_x 1
		.amdhsa_system_sgpr_workgroup_id_y 0
		.amdhsa_system_sgpr_workgroup_id_z 0
		.amdhsa_system_sgpr_workgroup_info 0
		.amdhsa_system_vgpr_workitem_id 0
		.amdhsa_next_free_vgpr 46
		.amdhsa_next_free_sgpr 19
		.amdhsa_reserve_vcc 1
		.amdhsa_reserve_flat_scratch 0
		.amdhsa_float_round_mode_32 0
		.amdhsa_float_round_mode_16_64 0
		.amdhsa_float_denorm_mode_32 3
		.amdhsa_float_denorm_mode_16_64 3
		.amdhsa_dx10_clamp 1
		.amdhsa_ieee_mode 1
		.amdhsa_fp16_overflow 0
		.amdhsa_workgroup_processor_mode 1
		.amdhsa_memory_ordered 1
		.amdhsa_forward_progress 1
		.amdhsa_shared_vgpr_count 0
		.amdhsa_exception_fp_ieee_invalid_op 0
		.amdhsa_exception_fp_denorm_src 0
		.amdhsa_exception_fp_ieee_div_zero 0
		.amdhsa_exception_fp_ieee_overflow 0
		.amdhsa_exception_fp_ieee_underflow 0
		.amdhsa_exception_fp_ieee_inexact 0
		.amdhsa_exception_int_div_zero 0
	.end_amdhsa_kernel
	.section	.text._ZN9rocsolver6v33100L18getri_kernel_smallILi7EdPdEEvT1_iilPiilS4_bb,"axG",@progbits,_ZN9rocsolver6v33100L18getri_kernel_smallILi7EdPdEEvT1_iilPiilS4_bb,comdat
.Lfunc_end6:
	.size	_ZN9rocsolver6v33100L18getri_kernel_smallILi7EdPdEEvT1_iilPiilS4_bb, .Lfunc_end6-_ZN9rocsolver6v33100L18getri_kernel_smallILi7EdPdEEvT1_iilPiilS4_bb
                                        ; -- End function
	.set _ZN9rocsolver6v33100L18getri_kernel_smallILi7EdPdEEvT1_iilPiilS4_bb.num_vgpr, 46
	.set _ZN9rocsolver6v33100L18getri_kernel_smallILi7EdPdEEvT1_iilPiilS4_bb.num_agpr, 0
	.set _ZN9rocsolver6v33100L18getri_kernel_smallILi7EdPdEEvT1_iilPiilS4_bb.numbered_sgpr, 19
	.set _ZN9rocsolver6v33100L18getri_kernel_smallILi7EdPdEEvT1_iilPiilS4_bb.num_named_barrier, 0
	.set _ZN9rocsolver6v33100L18getri_kernel_smallILi7EdPdEEvT1_iilPiilS4_bb.private_seg_size, 0
	.set _ZN9rocsolver6v33100L18getri_kernel_smallILi7EdPdEEvT1_iilPiilS4_bb.uses_vcc, 1
	.set _ZN9rocsolver6v33100L18getri_kernel_smallILi7EdPdEEvT1_iilPiilS4_bb.uses_flat_scratch, 0
	.set _ZN9rocsolver6v33100L18getri_kernel_smallILi7EdPdEEvT1_iilPiilS4_bb.has_dyn_sized_stack, 0
	.set _ZN9rocsolver6v33100L18getri_kernel_smallILi7EdPdEEvT1_iilPiilS4_bb.has_recursion, 0
	.set _ZN9rocsolver6v33100L18getri_kernel_smallILi7EdPdEEvT1_iilPiilS4_bb.has_indirect_call, 0
	.section	.AMDGPU.csdata,"",@progbits
; Kernel info:
; codeLenInByte = 5236
; TotalNumSgprs: 21
; NumVgprs: 46
; ScratchSize: 0
; MemoryBound: 0
; FloatMode: 240
; IeeeMode: 1
; LDSByteSize: 120 bytes/workgroup (compile time only)
; SGPRBlocks: 0
; VGPRBlocks: 5
; NumSGPRsForWavesPerEU: 21
; NumVGPRsForWavesPerEU: 46
; Occupancy: 16
; WaveLimiterHint : 0
; COMPUTE_PGM_RSRC2:SCRATCH_EN: 0
; COMPUTE_PGM_RSRC2:USER_SGPR: 6
; COMPUTE_PGM_RSRC2:TRAP_HANDLER: 0
; COMPUTE_PGM_RSRC2:TGID_X_EN: 1
; COMPUTE_PGM_RSRC2:TGID_Y_EN: 0
; COMPUTE_PGM_RSRC2:TGID_Z_EN: 0
; COMPUTE_PGM_RSRC2:TIDIG_COMP_CNT: 0
	.section	.text._ZN9rocsolver6v33100L18getri_kernel_smallILi8EdPdEEvT1_iilPiilS4_bb,"axG",@progbits,_ZN9rocsolver6v33100L18getri_kernel_smallILi8EdPdEEvT1_iilPiilS4_bb,comdat
	.globl	_ZN9rocsolver6v33100L18getri_kernel_smallILi8EdPdEEvT1_iilPiilS4_bb ; -- Begin function _ZN9rocsolver6v33100L18getri_kernel_smallILi8EdPdEEvT1_iilPiilS4_bb
	.p2align	8
	.type	_ZN9rocsolver6v33100L18getri_kernel_smallILi8EdPdEEvT1_iilPiilS4_bb,@function
_ZN9rocsolver6v33100L18getri_kernel_smallILi8EdPdEEvT1_iilPiilS4_bb: ; @_ZN9rocsolver6v33100L18getri_kernel_smallILi8EdPdEEvT1_iilPiilS4_bb
; %bb.0:
	s_mov_b32 s0, exec_lo
	v_cmpx_gt_u32_e32 8, v0
	s_cbranch_execz .LBB7_16
; %bb.1:
	s_clause 0x2
	s_load_dword s0, s[4:5], 0x38
	s_load_dwordx4 s[12:15], s[4:5], 0x10
	s_load_dwordx4 s[8:11], s[4:5], 0x28
                                        ; implicit-def: $sgpr16_sgpr17
	s_waitcnt lgkmcnt(0)
	s_bitcmp1_b32 s0, 8
	s_cselect_b32 s18, -1, 0
	s_bfe_u32 s0, s0, 0x10008
	s_ashr_i32 s7, s6, 31
	s_cmp_eq_u32 s0, 0
	s_cbranch_scc1 .LBB7_3
; %bb.2:
	s_load_dword s0, s[4:5], 0x20
	s_mul_i32 s1, s8, s7
	s_mul_hi_u32 s2, s8, s6
	s_mul_i32 s3, s9, s6
	s_add_i32 s1, s2, s1
	s_mul_i32 s2, s8, s6
	s_add_i32 s3, s1, s3
	s_lshl_b64 s[2:3], s[2:3], 2
	s_waitcnt lgkmcnt(0)
	s_ashr_i32 s1, s0, 31
	s_add_u32 s2, s14, s2
	s_addc_u32 s3, s15, s3
	s_lshl_b64 s[0:1], s[0:1], 2
	s_add_u32 s16, s2, s0
	s_addc_u32 s17, s3, s1
.LBB7_3:
	s_clause 0x1
	s_load_dwordx4 s[0:3], s[4:5], 0x0
	s_load_dword s14, s[4:5], 0x38
	s_mul_i32 s4, s12, s7
	s_mul_hi_u32 s5, s12, s6
	s_mul_i32 s8, s13, s6
	s_add_i32 s5, s5, s4
	s_mul_i32 s4, s12, s6
	s_add_i32 s5, s5, s8
	v_lshlrev_b32_e32 v20, 3, v0
	s_lshl_b64 s[4:5], s[4:5], 3
	v_mov_b32_e32 v1, 0
	s_waitcnt lgkmcnt(0)
	v_add3_u32 v4, s3, s3, v0
	s_ashr_i32 s9, s2, 31
	s_mov_b32 s8, s2
	s_add_u32 s2, s0, s4
	s_addc_u32 s5, s1, s5
	v_add_nc_u32_e32 v6, s3, v4
	s_lshl_b64 s[0:1], s[8:9], 3
	v_ashrrev_i32_e32 v5, 31, v4
	s_add_u32 s0, s2, s0
	s_addc_u32 s1, s5, s1
	v_add_nc_u32_e32 v8, s3, v6
	v_add_co_u32 v32, s2, s0, v20
	s_mov_b32 s4, s3
	s_ashr_i32 s5, s3, 31
	v_lshlrev_b64 v[4:5], 3, v[4:5]
	v_ashrrev_i32_e32 v7, 31, v6
	v_add_co_ci_u32_e64 v33, null, s1, 0, s2
	s_lshl_b64 s[4:5], s[4:5], 3
	v_ashrrev_i32_e32 v9, 31, v8
	v_add_nc_u32_e32 v10, s3, v8
	v_add_co_u32 v34, vcc_lo, v32, s4
	v_lshlrev_b64 v[6:7], 3, v[6:7]
	v_add_co_ci_u32_e64 v35, null, s5, v33, vcc_lo
	v_add_co_u32 v36, vcc_lo, s0, v4
	v_add_co_ci_u32_e64 v37, null, s1, v5, vcc_lo
	v_lshlrev_b64 v[4:5], 3, v[8:9]
	v_ashrrev_i32_e32 v11, 31, v10
	v_add_nc_u32_e32 v8, s3, v10
	v_add_co_u32 v38, vcc_lo, s0, v6
	v_add_co_ci_u32_e64 v39, null, s1, v7, vcc_lo
	v_lshlrev_b64 v[6:7], 3, v[10:11]
	v_add_nc_u32_e32 v10, s3, v8
	v_ashrrev_i32_e32 v9, 31, v8
	v_add_co_u32 v40, vcc_lo, s0, v4
	v_add_co_ci_u32_e64 v41, null, s1, v5, vcc_lo
	v_ashrrev_i32_e32 v11, 31, v10
	v_lshlrev_b64 v[4:5], 3, v[8:9]
	v_add_co_u32 v42, vcc_lo, s0, v6
	v_add_co_ci_u32_e64 v43, null, s1, v7, vcc_lo
	v_lshlrev_b64 v[6:7], 3, v[10:11]
	v_add_co_u32 v46, vcc_lo, s0, v4
	v_add_co_ci_u32_e64 v47, null, s1, v5, vcc_lo
	global_load_dwordx2 v[2:3], v20, s[0:1]
	v_add_co_u32 v44, vcc_lo, s0, v6
	v_add_co_ci_u32_e64 v45, null, s1, v7, vcc_lo
	s_clause 0x6
	global_load_dwordx2 v[4:5], v[34:35], off
	global_load_dwordx2 v[6:7], v[36:37], off
	;; [unrolled: 1-line block ×7, first 2 shown]
	s_bitcmp0_b32 s14, 0
	s_mov_b32 s0, -1
	s_cbranch_scc1 .LBB7_14
; %bb.4:
	v_cmp_eq_u32_e64 s0, 0, v0
	s_and_saveexec_b32 s1, s0
; %bb.5:
	v_mov_b32_e32 v18, 0
	ds_write_b32 v18, v18 offset:128
; %bb.6:
	s_or_b32 exec_lo, exec_lo, s1
	v_cmp_eq_u32_e32 vcc_lo, 1, v0
	s_mov_b32 s2, exec_lo
	s_waitcnt vmcnt(0) lgkmcnt(0)
	s_barrier
	buffer_gl0_inv
	v_cndmask_b32_e32 v18, v3, v5, vcc_lo
	v_cndmask_b32_e32 v19, v2, v4, vcc_lo
	v_cmp_eq_u32_e32 vcc_lo, 2, v0
	v_cndmask_b32_e32 v18, v18, v7, vcc_lo
	v_cndmask_b32_e32 v19, v19, v6, vcc_lo
	v_cmp_eq_u32_e32 vcc_lo, 3, v0
	;; [unrolled: 3-line block ×6, first 2 shown]
	v_cndmask_b32_e32 v19, v18, v17, vcc_lo
	v_cndmask_b32_e32 v18, v21, v16, vcc_lo
	v_cmpx_eq_f64_e32 0, v[18:19]
	s_cbranch_execz .LBB7_10
; %bb.7:
	v_mov_b32_e32 v21, 0
	s_mov_b32 s3, 0
	ds_read_b32 v22, v21 offset:128
	s_waitcnt lgkmcnt(0)
	v_readfirstlane_b32 s1, v22
	v_add_nc_u32_e32 v22, 1, v0
	s_cmp_eq_u32 s1, 0
	v_cmp_gt_i32_e32 vcc_lo, s1, v22
	s_cselect_b32 s4, -1, 0
	s_or_b32 s4, s4, vcc_lo
	s_and_b32 exec_lo, exec_lo, s4
	s_cbranch_execz .LBB7_10
; %bb.8:
	v_mov_b32_e32 v23, s1
.LBB7_9:                                ; =>This Inner Loop Header: Depth=1
	ds_cmpst_rtn_b32 v23, v21, v23, v22 offset:128
	s_waitcnt lgkmcnt(0)
	v_cmp_ne_u32_e32 vcc_lo, 0, v23
	v_cmp_le_i32_e64 s1, v23, v22
	s_and_b32 s1, vcc_lo, s1
	s_and_b32 s1, exec_lo, s1
	s_or_b32 s3, s1, s3
	s_andn2_b32 exec_lo, exec_lo, s3
	s_cbranch_execnz .LBB7_9
.LBB7_10:
	s_or_b32 exec_lo, exec_lo, s2
	v_mov_b32_e32 v21, 0
	s_barrier
	buffer_gl0_inv
	ds_read_b32 v22, v21 offset:128
	s_and_saveexec_b32 s1, s0
	s_cbranch_execz .LBB7_12
; %bb.11:
	s_lshl_b64 s[2:3], s[6:7], 2
	s_add_u32 s2, s10, s2
	s_addc_u32 s3, s11, s3
	s_waitcnt lgkmcnt(0)
	global_store_dword v21, v22, s[2:3]
.LBB7_12:
	s_or_b32 exec_lo, exec_lo, s1
	s_waitcnt lgkmcnt(0)
	v_cmp_ne_u32_e32 vcc_lo, 0, v22
	s_cbranch_vccz .LBB7_17
; %bb.13:
	s_mov_b32 s0, 0
                                        ; implicit-def: $vgpr2_vgpr3_vgpr4_vgpr5_vgpr6_vgpr7_vgpr8_vgpr9_vgpr10_vgpr11_vgpr12_vgpr13_vgpr14_vgpr15_vgpr16_vgpr17
.LBB7_14:
	s_and_b32 vcc_lo, exec_lo, s0
	s_cbranch_vccz .LBB7_16
.LBB7_15:
	s_lshl_b64 s[0:1], s[6:7], 2
	v_mov_b32_e32 v1, 0
	s_add_u32 s0, s10, s0
	s_addc_u32 s1, s11, s1
	global_load_dword v1, v1, s[0:1]
	s_waitcnt vmcnt(0)
	v_cmp_ne_u32_e32 vcc_lo, 0, v1
	s_cbranch_vccz .LBB7_44
.LBB7_16:
	s_endpgm
.LBB7_17:
	v_div_scale_f64 v[21:22], null, v[18:19], v[18:19], 1.0
	v_div_scale_f64 v[27:28], vcc_lo, 1.0, v[18:19], 1.0
	v_cmp_eq_u32_e64 s1, 6, v0
	v_cmp_eq_u32_e64 s2, 5, v0
	;; [unrolled: 1-line block ×7, first 2 shown]
	v_rcp_f64_e32 v[23:24], v[21:22]
	v_fma_f64 v[25:26], -v[21:22], v[23:24], 1.0
	v_fma_f64 v[23:24], v[23:24], v[25:26], v[23:24]
	v_fma_f64 v[25:26], -v[21:22], v[23:24], 1.0
	v_fma_f64 v[23:24], v[23:24], v[25:26], v[23:24]
	v_mul_f64 v[25:26], v[27:28], v[23:24]
	v_fma_f64 v[21:22], -v[21:22], v[25:26], v[27:28]
	v_div_fmas_f64 v[21:22], v[21:22], v[23:24], v[25:26]
	v_cmp_eq_u32_e32 vcc_lo, 7, v0
	v_div_fixup_f64 v[18:19], v[21:22], v[18:19], 1.0
	v_add_nc_u32_e32 v22, 64, v20
	v_cndmask_b32_e32 v17, v17, v19, vcc_lo
	v_cndmask_b32_e32 v16, v16, v18, vcc_lo
	v_cndmask_b32_e64 v15, v15, v19, s1
	v_cndmask_b32_e64 v14, v14, v18, s1
	;; [unrolled: 1-line block ×10, first 2 shown]
	v_xor_b32_e32 v24, 0x80000000, v19
	v_mov_b32_e32 v23, v18
	v_cndmask_b32_e64 v7, v7, v19, s5
	v_cndmask_b32_e64 v6, v6, v18, s5
	;; [unrolled: 1-line block ×4, first 2 shown]
	ds_write2_b64 v20, v[23:24], v[4:5] offset1:8
	s_waitcnt lgkmcnt(0)
	s_waitcnt_vscnt null, 0x0
	s_barrier
	buffer_gl0_inv
	s_and_saveexec_b32 s1, s0
	s_cbranch_execz .LBB7_19
; %bb.18:
	ds_read_b64 v[4:5], v22
	v_mov_b32_e32 v20, 0
	ds_read_b64 v[20:21], v20 offset:8
	s_waitcnt lgkmcnt(1)
	v_fma_f64 v[4:5], v[18:19], v[4:5], 0
	s_waitcnt lgkmcnt(0)
	v_mul_f64 v[4:5], v[4:5], v[20:21]
.LBB7_19:
	s_or_b32 exec_lo, exec_lo, s1
	s_mov_b32 s2, exec_lo
	s_barrier
	buffer_gl0_inv
	ds_write_b64 v22, v[6:7]
	s_waitcnt lgkmcnt(0)
	s_barrier
	buffer_gl0_inv
	v_cmpx_gt_u32_e32 2, v0
	s_cbranch_execz .LBB7_23
; %bb.20:
	v_cmp_eq_u32_e32 vcc_lo, 1, v0
	v_cmp_eq_u32_e64 s1, 5, v0
	v_cndmask_b32_e32 v18, v3, v5, vcc_lo
	v_cndmask_b32_e32 v19, v2, v4, vcc_lo
	v_cmp_eq_u32_e32 vcc_lo, 2, v0
	v_cndmask_b32_e32 v7, v18, v7, vcc_lo
	v_cndmask_b32_e32 v6, v19, v6, vcc_lo
	v_cmp_eq_u32_e32 vcc_lo, 3, v0
	;; [unrolled: 3-line block ×3, first 2 shown]
	v_cndmask_b32_e32 v18, v7, v11, vcc_lo
	v_cndmask_b32_e32 v19, v6, v10, vcc_lo
	ds_read_b64 v[6:7], v22
	v_cmp_eq_u32_e32 vcc_lo, 6, v0
	v_cndmask_b32_e64 v18, v18, v13, s1
	v_cndmask_b32_e64 v19, v19, v12, s1
	v_cndmask_b32_e32 v18, v18, v15, vcc_lo
	v_cndmask_b32_e32 v20, v19, v14, vcc_lo
	v_cmp_eq_u32_e32 vcc_lo, 7, v0
	v_cndmask_b32_e32 v19, v18, v17, vcc_lo
	v_cndmask_b32_e32 v18, v20, v16, vcc_lo
	s_waitcnt lgkmcnt(0)
	v_fma_f64 v[6:7], v[18:19], v[6:7], 0
	s_and_saveexec_b32 s1, s0
	s_cbranch_execz .LBB7_22
; %bb.21:
	v_mov_b32_e32 v18, 0
	ds_read_b64 v[18:19], v18 offset:72
	s_waitcnt lgkmcnt(0)
	v_fma_f64 v[6:7], v[4:5], v[18:19], v[6:7]
.LBB7_22:
	s_or_b32 exec_lo, exec_lo, s1
	v_mov_b32_e32 v18, 0
	ds_read_b64 v[18:19], v18 offset:16
	s_waitcnt lgkmcnt(0)
	v_mul_f64 v[6:7], v[6:7], v[18:19]
.LBB7_23:
	s_or_b32 exec_lo, exec_lo, s2
	s_mov_b32 s1, exec_lo
	s_barrier
	buffer_gl0_inv
	ds_write_b64 v22, v[8:9]
	s_waitcnt lgkmcnt(0)
	s_barrier
	buffer_gl0_inv
	v_cmpx_gt_u32_e32 3, v0
	s_cbranch_execz .LBB7_27
; %bb.24:
	v_mov_b32_e32 v18, 0
	v_mov_b32_e32 v21, v1
	v_lshl_add_u32 v23, v0, 3, 64
	v_mov_b32_e32 v19, 0
	v_mov_b32_e32 v20, v0
	s_mov_b32 s2, 0
	s_inst_prefetch 0x1
	.p2align	6
.LBB7_25:                               ; =>This Inner Loop Header: Depth=1
	v_cmp_eq_u32_e32 vcc_lo, 1, v20
	v_cmp_eq_u32_e64 s0, 2, v20
	v_cndmask_b32_e32 v24, v3, v5, vcc_lo
	v_cndmask_b32_e32 v25, v2, v4, vcc_lo
	v_cmp_eq_u32_e32 vcc_lo, 3, v20
	v_cndmask_b32_e64 v24, v24, v7, s0
	v_cndmask_b32_e64 v25, v25, v6, s0
	v_cmp_eq_u32_e64 s0, 4, v20
	v_cndmask_b32_e32 v26, v24, v9, vcc_lo
	v_cndmask_b32_e32 v27, v25, v8, vcc_lo
	ds_read_b64 v[24:25], v23
	v_cmp_eq_u32_e32 vcc_lo, 5, v20
	v_add_nc_u32_e32 v23, 8, v23
	v_cndmask_b32_e64 v26, v26, v11, s0
	v_cndmask_b32_e64 v27, v27, v10, s0
	v_cmp_eq_u32_e64 s0, 6, v20
	v_cndmask_b32_e32 v26, v26, v13, vcc_lo
	v_cndmask_b32_e32 v27, v27, v12, vcc_lo
	v_cmp_eq_u32_e32 vcc_lo, 7, v20
	v_cndmask_b32_e64 v26, v26, v15, s0
	v_cndmask_b32_e64 v28, v27, v14, s0
	v_cndmask_b32_e32 v27, v26, v17, vcc_lo
	v_cndmask_b32_e32 v26, v28, v16, vcc_lo
	v_add_co_u32 v20, vcc_lo, v20, 1
	v_add_co_ci_u32_e64 v21, null, 0, v21, vcc_lo
	s_waitcnt lgkmcnt(0)
	v_fma_f64 v[18:19], v[26:27], v[24:25], v[18:19]
	v_add_nc_u32_e32 v24, -1, v20
	v_cmp_lt_u32_e32 vcc_lo, 1, v24
	s_or_b32 s2, vcc_lo, s2
	s_andn2_b32 exec_lo, exec_lo, s2
	s_cbranch_execnz .LBB7_25
; %bb.26:
	s_inst_prefetch 0x2
	s_or_b32 exec_lo, exec_lo, s2
	v_mov_b32_e32 v8, 0
	ds_read_b64 v[8:9], v8 offset:24
	s_waitcnt lgkmcnt(0)
	v_mul_f64 v[8:9], v[18:19], v[8:9]
.LBB7_27:
	s_or_b32 exec_lo, exec_lo, s1
	s_mov_b32 s1, exec_lo
	s_barrier
	buffer_gl0_inv
	ds_write_b64 v22, v[10:11]
	s_waitcnt lgkmcnt(0)
	s_barrier
	buffer_gl0_inv
	v_cmpx_gt_u32_e32 4, v0
	s_cbranch_execz .LBB7_31
; %bb.28:
	v_mov_b32_e32 v18, 0
	v_mov_b32_e32 v21, v1
	v_lshl_add_u32 v23, v0, 3, 64
	v_mov_b32_e32 v19, 0
	v_mov_b32_e32 v20, v0
	s_mov_b32 s2, 0
	s_inst_prefetch 0x1
	.p2align	6
.LBB7_29:                               ; =>This Inner Loop Header: Depth=1
	v_cmp_eq_u32_e32 vcc_lo, 1, v20
	v_cmp_eq_u32_e64 s0, 2, v20
	v_cndmask_b32_e32 v24, v3, v5, vcc_lo
	v_cndmask_b32_e32 v25, v2, v4, vcc_lo
	v_cmp_eq_u32_e32 vcc_lo, 3, v20
	v_cndmask_b32_e64 v24, v24, v7, s0
	v_cndmask_b32_e64 v25, v25, v6, s0
	v_cmp_eq_u32_e64 s0, 4, v20
	v_cndmask_b32_e32 v26, v24, v9, vcc_lo
	v_cndmask_b32_e32 v27, v25, v8, vcc_lo
	ds_read_b64 v[24:25], v23
	v_cmp_eq_u32_e32 vcc_lo, 5, v20
	v_add_nc_u32_e32 v23, 8, v23
	v_cndmask_b32_e64 v26, v26, v11, s0
	v_cndmask_b32_e64 v27, v27, v10, s0
	v_cmp_eq_u32_e64 s0, 6, v20
	v_cndmask_b32_e32 v26, v26, v13, vcc_lo
	v_cndmask_b32_e32 v27, v27, v12, vcc_lo
	v_cmp_eq_u32_e32 vcc_lo, 7, v20
	v_cndmask_b32_e64 v26, v26, v15, s0
	v_cndmask_b32_e64 v28, v27, v14, s0
	v_cndmask_b32_e32 v27, v26, v17, vcc_lo
	v_cndmask_b32_e32 v26, v28, v16, vcc_lo
	v_add_co_u32 v20, vcc_lo, v20, 1
	v_add_co_ci_u32_e64 v21, null, 0, v21, vcc_lo
	s_waitcnt lgkmcnt(0)
	v_fma_f64 v[18:19], v[26:27], v[24:25], v[18:19]
	v_add_nc_u32_e32 v24, -1, v20
	v_cmp_lt_u32_e32 vcc_lo, 2, v24
	s_or_b32 s2, vcc_lo, s2
	s_andn2_b32 exec_lo, exec_lo, s2
	s_cbranch_execnz .LBB7_29
; %bb.30:
	s_inst_prefetch 0x2
	s_or_b32 exec_lo, exec_lo, s2
	v_mov_b32_e32 v10, 0
	ds_read_b64 v[10:11], v10 offset:32
	s_waitcnt lgkmcnt(0)
	v_mul_f64 v[10:11], v[18:19], v[10:11]
.LBB7_31:
	s_or_b32 exec_lo, exec_lo, s1
	s_mov_b32 s1, exec_lo
	s_barrier
	buffer_gl0_inv
	ds_write_b64 v22, v[12:13]
	s_waitcnt lgkmcnt(0)
	s_barrier
	buffer_gl0_inv
	v_cmpx_gt_u32_e32 5, v0
	s_cbranch_execz .LBB7_35
; %bb.32:
	v_mov_b32_e32 v18, 0
	v_mov_b32_e32 v21, v1
	v_lshl_add_u32 v23, v0, 3, 64
	v_mov_b32_e32 v19, 0
	v_mov_b32_e32 v20, v0
	s_mov_b32 s2, 0
	s_inst_prefetch 0x1
	.p2align	6
.LBB7_33:                               ; =>This Inner Loop Header: Depth=1
	v_cmp_eq_u32_e32 vcc_lo, 1, v20
	v_cmp_eq_u32_e64 s0, 2, v20
	v_cndmask_b32_e32 v24, v3, v5, vcc_lo
	v_cndmask_b32_e32 v25, v2, v4, vcc_lo
	v_cmp_eq_u32_e32 vcc_lo, 3, v20
	v_cndmask_b32_e64 v24, v24, v7, s0
	v_cndmask_b32_e64 v25, v25, v6, s0
	v_cmp_eq_u32_e64 s0, 4, v20
	v_cndmask_b32_e32 v26, v24, v9, vcc_lo
	v_cndmask_b32_e32 v27, v25, v8, vcc_lo
	ds_read_b64 v[24:25], v23
	v_cmp_eq_u32_e32 vcc_lo, 5, v20
	v_add_nc_u32_e32 v23, 8, v23
	v_cndmask_b32_e64 v26, v26, v11, s0
	v_cndmask_b32_e64 v27, v27, v10, s0
	v_cmp_eq_u32_e64 s0, 6, v20
	v_cndmask_b32_e32 v26, v26, v13, vcc_lo
	v_cndmask_b32_e32 v27, v27, v12, vcc_lo
	v_cmp_eq_u32_e32 vcc_lo, 7, v20
	v_cndmask_b32_e64 v26, v26, v15, s0
	v_cndmask_b32_e64 v28, v27, v14, s0
	v_cndmask_b32_e32 v27, v26, v17, vcc_lo
	v_cndmask_b32_e32 v26, v28, v16, vcc_lo
	v_add_co_u32 v20, vcc_lo, v20, 1
	v_add_co_ci_u32_e64 v21, null, 0, v21, vcc_lo
	s_waitcnt lgkmcnt(0)
	v_fma_f64 v[18:19], v[26:27], v[24:25], v[18:19]
	v_add_nc_u32_e32 v24, -1, v20
	v_cmp_lt_u32_e32 vcc_lo, 3, v24
	s_or_b32 s2, vcc_lo, s2
	s_andn2_b32 exec_lo, exec_lo, s2
	s_cbranch_execnz .LBB7_33
; %bb.34:
	s_inst_prefetch 0x2
	s_or_b32 exec_lo, exec_lo, s2
	v_mov_b32_e32 v12, 0
	ds_read_b64 v[12:13], v12 offset:40
	s_waitcnt lgkmcnt(0)
	v_mul_f64 v[12:13], v[18:19], v[12:13]
.LBB7_35:
	s_or_b32 exec_lo, exec_lo, s1
	s_mov_b32 s1, exec_lo
	s_barrier
	buffer_gl0_inv
	ds_write_b64 v22, v[14:15]
	s_waitcnt lgkmcnt(0)
	s_barrier
	buffer_gl0_inv
	v_cmpx_gt_u32_e32 6, v0
	s_cbranch_execz .LBB7_39
; %bb.36:
	v_mov_b32_e32 v18, 0
	v_mov_b32_e32 v21, v1
	v_lshl_add_u32 v23, v0, 3, 64
	v_mov_b32_e32 v19, 0
	v_mov_b32_e32 v20, v0
	s_mov_b32 s2, 0
	s_inst_prefetch 0x1
	.p2align	6
.LBB7_37:                               ; =>This Inner Loop Header: Depth=1
	v_cmp_eq_u32_e32 vcc_lo, 1, v20
	v_cmp_eq_u32_e64 s0, 2, v20
	v_cndmask_b32_e32 v24, v3, v5, vcc_lo
	v_cndmask_b32_e32 v25, v2, v4, vcc_lo
	v_cmp_eq_u32_e32 vcc_lo, 3, v20
	v_cndmask_b32_e64 v24, v24, v7, s0
	v_cndmask_b32_e64 v25, v25, v6, s0
	v_cmp_eq_u32_e64 s0, 4, v20
	v_cndmask_b32_e32 v26, v24, v9, vcc_lo
	v_cndmask_b32_e32 v27, v25, v8, vcc_lo
	ds_read_b64 v[24:25], v23
	v_cmp_eq_u32_e32 vcc_lo, 5, v20
	v_add_nc_u32_e32 v23, 8, v23
	v_cndmask_b32_e64 v26, v26, v11, s0
	v_cndmask_b32_e64 v27, v27, v10, s0
	v_cmp_eq_u32_e64 s0, 6, v20
	v_cndmask_b32_e32 v26, v26, v13, vcc_lo
	v_cndmask_b32_e32 v27, v27, v12, vcc_lo
	v_cmp_eq_u32_e32 vcc_lo, 7, v20
	v_cndmask_b32_e64 v26, v26, v15, s0
	v_cndmask_b32_e64 v28, v27, v14, s0
	v_cndmask_b32_e32 v27, v26, v17, vcc_lo
	v_cndmask_b32_e32 v26, v28, v16, vcc_lo
	v_add_co_u32 v20, vcc_lo, v20, 1
	v_add_co_ci_u32_e64 v21, null, 0, v21, vcc_lo
	s_waitcnt lgkmcnt(0)
	v_fma_f64 v[18:19], v[26:27], v[24:25], v[18:19]
	v_add_nc_u32_e32 v24, -1, v20
	v_cmp_lt_u32_e32 vcc_lo, 4, v24
	s_or_b32 s2, vcc_lo, s2
	s_andn2_b32 exec_lo, exec_lo, s2
	s_cbranch_execnz .LBB7_37
; %bb.38:
	s_inst_prefetch 0x2
	s_or_b32 exec_lo, exec_lo, s2
	v_mov_b32_e32 v14, 0
	ds_read_b64 v[14:15], v14 offset:48
	s_waitcnt lgkmcnt(0)
	v_mul_f64 v[14:15], v[18:19], v[14:15]
.LBB7_39:
	s_or_b32 exec_lo, exec_lo, s1
	s_mov_b32 s1, exec_lo
	s_barrier
	buffer_gl0_inv
	ds_write_b64 v22, v[16:17]
	s_waitcnt lgkmcnt(0)
	s_barrier
	buffer_gl0_inv
	v_cmpx_ne_u32_e32 7, v0
	s_cbranch_execz .LBB7_43
; %bb.40:
	v_mov_b32_e32 v18, 0
	v_mov_b32_e32 v21, v1
	v_lshl_add_u32 v22, v0, 3, 64
	v_mov_b32_e32 v19, 0
	v_mov_b32_e32 v20, v0
	s_mov_b32 s2, 0
	s_inst_prefetch 0x1
	.p2align	6
.LBB7_41:                               ; =>This Inner Loop Header: Depth=1
	v_cmp_eq_u32_e32 vcc_lo, 1, v20
	v_cmp_eq_u32_e64 s0, 2, v20
	v_cndmask_b32_e32 v1, v3, v5, vcc_lo
	v_cndmask_b32_e32 v23, v2, v4, vcc_lo
	v_cmp_eq_u32_e32 vcc_lo, 3, v20
	v_cndmask_b32_e64 v1, v1, v7, s0
	v_cndmask_b32_e64 v23, v23, v6, s0
	v_cmp_eq_u32_e64 s0, 4, v20
	v_cndmask_b32_e32 v1, v1, v9, vcc_lo
	v_cndmask_b32_e32 v25, v23, v8, vcc_lo
	ds_read_b64 v[23:24], v22
	v_cmp_eq_u32_e32 vcc_lo, 5, v20
	v_add_nc_u32_e32 v22, 8, v22
	v_cndmask_b32_e64 v1, v1, v11, s0
	v_cndmask_b32_e64 v25, v25, v10, s0
	v_cmp_eq_u32_e64 s0, 6, v20
	v_cndmask_b32_e32 v1, v1, v13, vcc_lo
	v_cndmask_b32_e32 v25, v25, v12, vcc_lo
	v_cmp_eq_u32_e32 vcc_lo, 7, v20
	v_cndmask_b32_e64 v1, v1, v15, s0
	v_cndmask_b32_e64 v25, v25, v14, s0
	v_cndmask_b32_e32 v26, v1, v17, vcc_lo
	v_cndmask_b32_e32 v25, v25, v16, vcc_lo
	v_add_co_u32 v20, vcc_lo, v20, 1
	v_add_co_ci_u32_e64 v21, null, 0, v21, vcc_lo
	s_waitcnt lgkmcnt(0)
	v_fma_f64 v[18:19], v[25:26], v[23:24], v[18:19]
	v_add_nc_u32_e32 v1, -1, v20
	v_cmp_lt_u32_e32 vcc_lo, 5, v1
	s_or_b32 s2, vcc_lo, s2
	s_andn2_b32 exec_lo, exec_lo, s2
	s_cbranch_execnz .LBB7_41
; %bb.42:
	s_inst_prefetch 0x2
	s_or_b32 exec_lo, exec_lo, s2
	v_mov_b32_e32 v1, 0
	ds_read_b64 v[16:17], v1 offset:56
	s_waitcnt lgkmcnt(0)
	v_mul_f64 v[16:17], v[18:19], v[16:17]
.LBB7_43:
	s_or_b32 exec_lo, exec_lo, s1
	s_barrier
	buffer_gl0_inv
	s_cbranch_execnz .LBB7_15
	s_branch .LBB7_16
.LBB7_44:
	v_lshl_add_u32 v1, v0, 3, 64
	s_mov_b32 s0, exec_lo
	v_cmpx_eq_u32_e32 7, v0
	s_cbranch_execz .LBB7_46
; %bb.45:
	s_mov_b32 s1, 0
	v_mov_b32_e32 v31, v17
	v_mov_b32_e32 v30, v16
	;; [unrolled: 1-line block ×18, first 2 shown]
	ds_write_b64 v1, v[14:15]
	v_mov_b32_e32 v2, v16
	v_mov_b32_e32 v3, v17
	;; [unrolled: 1-line block ×16, first 2 shown]
.LBB7_46:
	s_or_b32 exec_lo, exec_lo, s0
	v_mov_b32_e32 v30, 0
	s_waitcnt lgkmcnt(0)
	s_waitcnt_vscnt null, 0x0
	s_barrier
	buffer_gl0_inv
	s_mov_b32 s0, exec_lo
	ds_read_b64 v[18:19], v30 offset:120
	s_waitcnt lgkmcnt(0)
	v_fma_f64 v[18:19], v[16:17], v[18:19], 0
	v_add_f64 v[14:15], v[14:15], -v[18:19]
	v_cmpx_lt_u32_e32 5, v0
	s_cbranch_execz .LBB7_48
; %bb.47:
	s_mov_b32 s1, 0
	v_mov_b32_e32 v29, v17
	v_mov_b32_e32 v28, v16
	;; [unrolled: 1-line block ×18, first 2 shown]
	ds_write_b64 v1, v[12:13]
	v_mov_b32_e32 v2, v14
	v_mov_b32_e32 v3, v15
	;; [unrolled: 1-line block ×16, first 2 shown]
.LBB7_48:
	s_or_b32 exec_lo, exec_lo, s0
	s_waitcnt lgkmcnt(0)
	s_barrier
	buffer_gl0_inv
	ds_read_b128 v[18:21], v30 offset:112
	s_mov_b32 s0, exec_lo
	s_waitcnt lgkmcnt(0)
	v_fma_f64 v[18:19], v[14:15], v[18:19], 0
	v_fma_f64 v[18:19], v[16:17], v[20:21], v[18:19]
	v_add_f64 v[12:13], v[12:13], -v[18:19]
	v_cmpx_lt_u32_e32 4, v0
	s_cbranch_execz .LBB7_50
; %bb.49:
	s_mov_b32 s1, 0
	v_mov_b32_e32 v27, v17
	v_mov_b32_e32 v26, v16
	;; [unrolled: 1-line block ×18, first 2 shown]
	ds_write_b64 v1, v[10:11]
	v_mov_b32_e32 v2, v12
	v_mov_b32_e32 v3, v13
	;; [unrolled: 1-line block ×16, first 2 shown]
.LBB7_50:
	s_or_b32 exec_lo, exec_lo, s0
	v_mov_b32_e32 v26, 0
	s_waitcnt lgkmcnt(0)
	s_barrier
	buffer_gl0_inv
	s_mov_b32 s0, exec_lo
	ds_read2_b64 v[18:21], v26 offset0:13 offset1:14
	ds_read_b64 v[22:23], v26 offset:120
	s_waitcnt lgkmcnt(1)
	v_fma_f64 v[18:19], v[12:13], v[18:19], 0
	v_fma_f64 v[18:19], v[14:15], v[20:21], v[18:19]
	s_waitcnt lgkmcnt(0)
	v_fma_f64 v[18:19], v[16:17], v[22:23], v[18:19]
	v_add_f64 v[10:11], v[10:11], -v[18:19]
	v_cmpx_lt_u32_e32 3, v0
	s_cbranch_execz .LBB7_52
; %bb.51:
	v_mov_b32_e32 v25, v17
	v_mov_b32_e32 v24, v16
	;; [unrolled: 1-line block ×16, first 2 shown]
	s_mov_b32 s1, 0
	ds_write_b64 v1, v[8:9]
	v_mov_b32_e32 v16, s1
	v_mov_b32_e32 v17, s1
	;; [unrolled: 1-line block ×18, first 2 shown]
.LBB7_52:
	s_or_b32 exec_lo, exec_lo, s0
	s_waitcnt lgkmcnt(0)
	s_barrier
	buffer_gl0_inv
	ds_read_b128 v[18:21], v26 offset:96
	ds_read_b128 v[22:25], v26 offset:112
	s_mov_b32 s0, exec_lo
	s_waitcnt lgkmcnt(1)
	v_fma_f64 v[18:19], v[10:11], v[18:19], 0
	v_fma_f64 v[18:19], v[12:13], v[20:21], v[18:19]
	s_waitcnt lgkmcnt(0)
	v_fma_f64 v[18:19], v[14:15], v[22:23], v[18:19]
	v_fma_f64 v[18:19], v[16:17], v[24:25], v[18:19]
	v_add_f64 v[8:9], v[8:9], -v[18:19]
	v_cmpx_lt_u32_e32 2, v0
	s_cbranch_execz .LBB7_54
; %bb.53:
	v_mov_b32_e32 v23, v17
	v_mov_b32_e32 v22, v16
	;; [unrolled: 1-line block ×16, first 2 shown]
	s_mov_b32 s1, 0
	ds_write_b64 v1, v[6:7]
	v_mov_b32_e32 v12, s1
	v_mov_b32_e32 v13, s1
	;; [unrolled: 1-line block ×18, first 2 shown]
.LBB7_54:
	s_or_b32 exec_lo, exec_lo, s0
	v_mov_b32_e32 v22, 0
	s_waitcnt lgkmcnt(0)
	s_barrier
	buffer_gl0_inv
	s_mov_b32 s0, exec_lo
	ds_read2_b64 v[18:21], v22 offset0:11 offset1:12
	ds_read2_b64 v[23:26], v22 offset0:13 offset1:14
	s_waitcnt lgkmcnt(1)
	v_fma_f64 v[18:19], v[8:9], v[18:19], 0
	v_fma_f64 v[18:19], v[10:11], v[20:21], v[18:19]
	ds_read_b64 v[20:21], v22 offset:120
	s_waitcnt lgkmcnt(1)
	v_fma_f64 v[18:19], v[12:13], v[23:24], v[18:19]
	v_fma_f64 v[18:19], v[14:15], v[25:26], v[18:19]
	s_waitcnt lgkmcnt(0)
	v_fma_f64 v[18:19], v[16:17], v[20:21], v[18:19]
	v_add_f64 v[6:7], v[6:7], -v[18:19]
	v_cmpx_lt_u32_e32 1, v0
	s_cbranch_execz .LBB7_56
; %bb.55:
	v_mov_b32_e32 v21, v17
	v_mov_b32_e32 v20, v16
	;; [unrolled: 1-line block ×16, first 2 shown]
	s_mov_b32 s1, 0
	ds_write_b64 v1, v[4:5]
	v_mov_b32_e32 v8, s1
	v_mov_b32_e32 v9, s1
	;; [unrolled: 1-line block ×18, first 2 shown]
.LBB7_56:
	s_or_b32 exec_lo, exec_lo, s0
	s_waitcnt lgkmcnt(0)
	s_barrier
	buffer_gl0_inv
	ds_read_b128 v[18:21], v22 offset:80
	ds_read_b128 v[23:26], v22 offset:96
	s_mov_b32 s1, 0
	s_mov_b32 s0, exec_lo
	s_waitcnt lgkmcnt(1)
	v_fma_f64 v[18:19], v[6:7], v[18:19], 0
	v_fma_f64 v[18:19], v[8:9], v[20:21], v[18:19]
	s_waitcnt lgkmcnt(0)
	v_fma_f64 v[18:19], v[10:11], v[23:24], v[18:19]
	v_fma_f64 v[23:24], v[12:13], v[25:26], v[18:19]
	ds_read_b128 v[18:21], v22 offset:112
	s_waitcnt lgkmcnt(0)
	v_fma_f64 v[18:19], v[14:15], v[18:19], v[23:24]
	v_fma_f64 v[18:19], v[16:17], v[20:21], v[18:19]
	v_add_f64 v[4:5], v[4:5], -v[18:19]
	v_cmpx_ne_u32_e32 0, v0
	s_cbranch_execz .LBB7_58
; %bb.57:
	v_mov_b32_e32 v19, v17
	v_mov_b32_e32 v18, v16
	;; [unrolled: 1-line block ×18, first 2 shown]
	ds_write_b64 v1, v[2:3]
	v_mov_b32_e32 v2, v4
	v_mov_b32_e32 v3, v5
	;; [unrolled: 1-line block ×16, first 2 shown]
.LBB7_58:
	s_or_b32 exec_lo, exec_lo, s0
	v_mov_b32_e32 v0, 0
	s_waitcnt lgkmcnt(0)
	s_barrier
	buffer_gl0_inv
	s_and_b32 vcc_lo, exec_lo, s18
	ds_read2_b64 v[18:21], v0 offset0:9 offset1:10
	ds_read2_b64 v[22:25], v0 offset0:11 offset1:12
	s_waitcnt lgkmcnt(1)
	v_fma_f64 v[18:19], v[4:5], v[18:19], 0
	v_fma_f64 v[18:19], v[6:7], v[20:21], v[18:19]
	s_waitcnt lgkmcnt(0)
	v_fma_f64 v[18:19], v[8:9], v[22:23], v[18:19]
	v_fma_f64 v[22:23], v[10:11], v[24:25], v[18:19]
	ds_read2_b64 v[18:21], v0 offset0:13 offset1:14
	ds_read_b64 v[24:25], v0 offset:120
	s_waitcnt lgkmcnt(1)
	v_fma_f64 v[18:19], v[12:13], v[18:19], v[22:23]
	v_fma_f64 v[18:19], v[14:15], v[20:21], v[18:19]
	s_waitcnt lgkmcnt(0)
	v_fma_f64 v[18:19], v[16:17], v[24:25], v[18:19]
	v_add_f64 v[2:3], v[2:3], -v[18:19]
	s_cbranch_vccz .LBB7_73
; %bb.59:
	global_load_dword v0, v0, s[16:17] offset:24
	s_waitcnt vmcnt(0)
	v_readfirstlane_b32 s0, v0
	s_add_i32 s0, s0, -1
	s_cmp_lg_u32 s0, 6
	s_cbranch_scc0 .LBB7_61
; %bb.60:
	s_lshl_b32 m0, s0, 1
	v_movrels_b32_e32 v0, v2
	v_movrels_b32_e32 v1, v3
	v_mov_b32_e32 v31, v17
	v_mov_b32_e32 v30, v16
	;; [unrolled: 1-line block ×18, first 2 shown]
	v_movreld_b32_e32 v16, v14
	v_movreld_b32_e32 v17, v15
	v_mov_b32_e32 v2, v16
	v_mov_b32_e32 v3, v17
	;; [unrolled: 1-line block ×16, first 2 shown]
.LBB7_61:
	v_mov_b32_e32 v0, 0
	global_load_dword v1, v0, s[16:17] offset:20
	s_waitcnt vmcnt(0)
	v_readfirstlane_b32 s0, v1
	s_add_i32 s0, s0, -1
	s_cmp_eq_u32 s0, 5
	s_cbranch_scc1 .LBB7_63
; %bb.62:
	s_lshl_b32 m0, s0, 1
	v_movrels_b32_e32 v1, v2
	v_movrels_b32_e32 v30, v3
	v_mov_b32_e32 v29, v17
	v_mov_b32_e32 v28, v16
	;; [unrolled: 1-line block ×18, first 2 shown]
	v_movreld_b32_e32 v14, v12
	v_movreld_b32_e32 v15, v13
	v_mov_b32_e32 v2, v14
	v_mov_b32_e32 v3, v15
	;; [unrolled: 1-line block ×16, first 2 shown]
.LBB7_63:
	global_load_dword v0, v0, s[16:17] offset:16
	s_waitcnt vmcnt(0)
	v_readfirstlane_b32 s0, v0
	s_add_i32 s0, s0, -1
	s_cmp_eq_u32 s0, 4
	s_cbranch_scc1 .LBB7_65
; %bb.64:
	s_lshl_b32 m0, s0, 1
	v_movrels_b32_e32 v0, v2
	v_movrels_b32_e32 v1, v3
	v_mov_b32_e32 v27, v17
	v_mov_b32_e32 v26, v16
	;; [unrolled: 1-line block ×18, first 2 shown]
	v_movreld_b32_e32 v12, v10
	v_movreld_b32_e32 v13, v11
	v_mov_b32_e32 v2, v12
	v_mov_b32_e32 v3, v13
	;; [unrolled: 1-line block ×16, first 2 shown]
.LBB7_65:
	v_mov_b32_e32 v0, 0
	global_load_dword v1, v0, s[16:17] offset:12
	s_waitcnt vmcnt(0)
	v_readfirstlane_b32 s0, v1
	s_add_i32 s0, s0, -1
	s_cmp_eq_u32 s0, 3
	s_cbranch_scc1 .LBB7_67
; %bb.66:
	s_lshl_b32 m0, s0, 1
	v_movrels_b32_e32 v1, v2
	v_movrels_b32_e32 v26, v3
	v_mov_b32_e32 v25, v17
	v_mov_b32_e32 v24, v16
	;; [unrolled: 1-line block ×18, first 2 shown]
	v_movreld_b32_e32 v10, v8
	v_movreld_b32_e32 v11, v9
	v_mov_b32_e32 v2, v10
	v_mov_b32_e32 v3, v11
	;; [unrolled: 1-line block ×16, first 2 shown]
.LBB7_67:
	global_load_dword v0, v0, s[16:17] offset:8
	s_waitcnt vmcnt(0)
	v_readfirstlane_b32 s0, v0
	s_add_i32 s0, s0, -1
	s_cmp_eq_u32 s0, 2
	s_cbranch_scc1 .LBB7_69
; %bb.68:
	s_lshl_b32 m0, s0, 1
	v_movrels_b32_e32 v0, v2
	v_movrels_b32_e32 v1, v3
	v_mov_b32_e32 v23, v17
	v_mov_b32_e32 v22, v16
	;; [unrolled: 1-line block ×18, first 2 shown]
	v_movreld_b32_e32 v8, v6
	v_movreld_b32_e32 v9, v7
	v_mov_b32_e32 v2, v8
	v_mov_b32_e32 v3, v9
	;; [unrolled: 1-line block ×16, first 2 shown]
.LBB7_69:
	v_mov_b32_e32 v0, 0
	global_load_dword v1, v0, s[16:17] offset:4
	s_waitcnt vmcnt(0)
	v_readfirstlane_b32 s0, v1
	s_add_i32 s0, s0, -1
	s_cmp_eq_u32 s0, 1
	s_cbranch_scc1 .LBB7_71
; %bb.70:
	s_lshl_b32 m0, s0, 1
	v_movrels_b32_e32 v1, v2
	v_movrels_b32_e32 v22, v3
	v_mov_b32_e32 v21, v17
	v_mov_b32_e32 v20, v16
	;; [unrolled: 1-line block ×18, first 2 shown]
	v_movreld_b32_e32 v6, v4
	v_movreld_b32_e32 v7, v5
	v_mov_b32_e32 v2, v6
	v_mov_b32_e32 v3, v7
	;; [unrolled: 1-line block ×16, first 2 shown]
.LBB7_71:
	global_load_dword v0, v0, s[16:17]
	s_waitcnt vmcnt(0)
	v_readfirstlane_b32 s0, v0
	s_add_i32 s0, s0, -1
	s_cmp_eq_u32 s0, 0
	s_cbranch_scc1 .LBB7_73
; %bb.72:
	s_lshl_b32 m0, s0, 1
	v_movrels_b32_e32 v0, v2
	v_movrels_b32_e32 v1, v3
	v_mov_b32_e32 v19, v17
	v_mov_b32_e32 v18, v16
	v_mov_b32_e32 v17, v15
	v_mov_b32_e32 v16, v14
	v_mov_b32_e32 v15, v13
	v_mov_b32_e32 v14, v12
	v_mov_b32_e32 v13, v11
	v_mov_b32_e32 v12, v10
	v_mov_b32_e32 v11, v9
	v_mov_b32_e32 v10, v8
	v_mov_b32_e32 v9, v7
	v_mov_b32_e32 v8, v6
	v_mov_b32_e32 v7, v5
	v_mov_b32_e32 v6, v4
	v_mov_b32_e32 v5, v3
	v_mov_b32_e32 v4, v2
	v_mov_b32_e32 v4, v0
	v_mov_b32_e32 v5, v1
	v_movreld_b32_e32 v4, v2
	v_movreld_b32_e32 v5, v3
	v_mov_b32_e32 v2, v4
	v_mov_b32_e32 v3, v5
	;; [unrolled: 1-line block ×16, first 2 shown]
.LBB7_73:
	global_store_dwordx2 v[32:33], v[2:3], off
	global_store_dwordx2 v[34:35], v[4:5], off
	;; [unrolled: 1-line block ×8, first 2 shown]
	s_endpgm
	.section	.rodata,"a",@progbits
	.p2align	6, 0x0
	.amdhsa_kernel _ZN9rocsolver6v33100L18getri_kernel_smallILi8EdPdEEvT1_iilPiilS4_bb
		.amdhsa_group_segment_fixed_size 136
		.amdhsa_private_segment_fixed_size 0
		.amdhsa_kernarg_size 60
		.amdhsa_user_sgpr_count 6
		.amdhsa_user_sgpr_private_segment_buffer 1
		.amdhsa_user_sgpr_dispatch_ptr 0
		.amdhsa_user_sgpr_queue_ptr 0
		.amdhsa_user_sgpr_kernarg_segment_ptr 1
		.amdhsa_user_sgpr_dispatch_id 0
		.amdhsa_user_sgpr_flat_scratch_init 0
		.amdhsa_user_sgpr_private_segment_size 0
		.amdhsa_wavefront_size32 1
		.amdhsa_uses_dynamic_stack 0
		.amdhsa_system_sgpr_private_segment_wavefront_offset 0
		.amdhsa_system_sgpr_workgroup_id_x 1
		.amdhsa_system_sgpr_workgroup_id_y 0
		.amdhsa_system_sgpr_workgroup_id_z 0
		.amdhsa_system_sgpr_workgroup_info 0
		.amdhsa_system_vgpr_workitem_id 0
		.amdhsa_next_free_vgpr 48
		.amdhsa_next_free_sgpr 19
		.amdhsa_reserve_vcc 1
		.amdhsa_reserve_flat_scratch 0
		.amdhsa_float_round_mode_32 0
		.amdhsa_float_round_mode_16_64 0
		.amdhsa_float_denorm_mode_32 3
		.amdhsa_float_denorm_mode_16_64 3
		.amdhsa_dx10_clamp 1
		.amdhsa_ieee_mode 1
		.amdhsa_fp16_overflow 0
		.amdhsa_workgroup_processor_mode 1
		.amdhsa_memory_ordered 1
		.amdhsa_forward_progress 1
		.amdhsa_shared_vgpr_count 0
		.amdhsa_exception_fp_ieee_invalid_op 0
		.amdhsa_exception_fp_denorm_src 0
		.amdhsa_exception_fp_ieee_div_zero 0
		.amdhsa_exception_fp_ieee_overflow 0
		.amdhsa_exception_fp_ieee_underflow 0
		.amdhsa_exception_fp_ieee_inexact 0
		.amdhsa_exception_int_div_zero 0
	.end_amdhsa_kernel
	.section	.text._ZN9rocsolver6v33100L18getri_kernel_smallILi8EdPdEEvT1_iilPiilS4_bb,"axG",@progbits,_ZN9rocsolver6v33100L18getri_kernel_smallILi8EdPdEEvT1_iilPiilS4_bb,comdat
.Lfunc_end7:
	.size	_ZN9rocsolver6v33100L18getri_kernel_smallILi8EdPdEEvT1_iilPiilS4_bb, .Lfunc_end7-_ZN9rocsolver6v33100L18getri_kernel_smallILi8EdPdEEvT1_iilPiilS4_bb
                                        ; -- End function
	.set _ZN9rocsolver6v33100L18getri_kernel_smallILi8EdPdEEvT1_iilPiilS4_bb.num_vgpr, 48
	.set _ZN9rocsolver6v33100L18getri_kernel_smallILi8EdPdEEvT1_iilPiilS4_bb.num_agpr, 0
	.set _ZN9rocsolver6v33100L18getri_kernel_smallILi8EdPdEEvT1_iilPiilS4_bb.numbered_sgpr, 19
	.set _ZN9rocsolver6v33100L18getri_kernel_smallILi8EdPdEEvT1_iilPiilS4_bb.num_named_barrier, 0
	.set _ZN9rocsolver6v33100L18getri_kernel_smallILi8EdPdEEvT1_iilPiilS4_bb.private_seg_size, 0
	.set _ZN9rocsolver6v33100L18getri_kernel_smallILi8EdPdEEvT1_iilPiilS4_bb.uses_vcc, 1
	.set _ZN9rocsolver6v33100L18getri_kernel_smallILi8EdPdEEvT1_iilPiilS4_bb.uses_flat_scratch, 0
	.set _ZN9rocsolver6v33100L18getri_kernel_smallILi8EdPdEEvT1_iilPiilS4_bb.has_dyn_sized_stack, 0
	.set _ZN9rocsolver6v33100L18getri_kernel_smallILi8EdPdEEvT1_iilPiilS4_bb.has_recursion, 0
	.set _ZN9rocsolver6v33100L18getri_kernel_smallILi8EdPdEEvT1_iilPiilS4_bb.has_indirect_call, 0
	.section	.AMDGPU.csdata,"",@progbits
; Kernel info:
; codeLenInByte = 6252
; TotalNumSgprs: 21
; NumVgprs: 48
; ScratchSize: 0
; MemoryBound: 0
; FloatMode: 240
; IeeeMode: 1
; LDSByteSize: 136 bytes/workgroup (compile time only)
; SGPRBlocks: 0
; VGPRBlocks: 5
; NumSGPRsForWavesPerEU: 21
; NumVGPRsForWavesPerEU: 48
; Occupancy: 16
; WaveLimiterHint : 0
; COMPUTE_PGM_RSRC2:SCRATCH_EN: 0
; COMPUTE_PGM_RSRC2:USER_SGPR: 6
; COMPUTE_PGM_RSRC2:TRAP_HANDLER: 0
; COMPUTE_PGM_RSRC2:TGID_X_EN: 1
; COMPUTE_PGM_RSRC2:TGID_Y_EN: 0
; COMPUTE_PGM_RSRC2:TGID_Z_EN: 0
; COMPUTE_PGM_RSRC2:TIDIG_COMP_CNT: 0
	.section	.text._ZN9rocsolver6v33100L18getri_kernel_smallILi9EdPdEEvT1_iilPiilS4_bb,"axG",@progbits,_ZN9rocsolver6v33100L18getri_kernel_smallILi9EdPdEEvT1_iilPiilS4_bb,comdat
	.globl	_ZN9rocsolver6v33100L18getri_kernel_smallILi9EdPdEEvT1_iilPiilS4_bb ; -- Begin function _ZN9rocsolver6v33100L18getri_kernel_smallILi9EdPdEEvT1_iilPiilS4_bb
	.p2align	8
	.type	_ZN9rocsolver6v33100L18getri_kernel_smallILi9EdPdEEvT1_iilPiilS4_bb,@function
_ZN9rocsolver6v33100L18getri_kernel_smallILi9EdPdEEvT1_iilPiilS4_bb: ; @_ZN9rocsolver6v33100L18getri_kernel_smallILi9EdPdEEvT1_iilPiilS4_bb
; %bb.0:
	s_mov_b32 s0, exec_lo
	v_cmpx_gt_u32_e32 9, v0
	s_cbranch_execz .LBB8_16
; %bb.1:
	s_clause 0x2
	s_load_dword s0, s[4:5], 0x38
	s_load_dwordx4 s[8:11], s[4:5], 0x10
	s_load_dwordx4 s[12:15], s[4:5], 0x28
                                        ; implicit-def: $sgpr16_sgpr17
	s_waitcnt lgkmcnt(0)
	s_bitcmp1_b32 s0, 8
	s_cselect_b32 s18, -1, 0
	s_bfe_u32 s0, s0, 0x10008
	s_ashr_i32 s7, s6, 31
	s_cmp_eq_u32 s0, 0
	s_cbranch_scc1 .LBB8_3
; %bb.2:
	s_load_dword s0, s[4:5], 0x20
	s_mul_i32 s1, s12, s7
	s_mul_hi_u32 s2, s12, s6
	s_mul_i32 s3, s13, s6
	s_add_i32 s1, s2, s1
	s_mul_i32 s2, s12, s6
	s_add_i32 s3, s1, s3
	s_lshl_b64 s[2:3], s[2:3], 2
	s_waitcnt lgkmcnt(0)
	s_ashr_i32 s1, s0, 31
	s_add_u32 s2, s10, s2
	s_addc_u32 s3, s11, s3
	s_lshl_b64 s[0:1], s[0:1], 2
	s_add_u32 s16, s2, s0
	s_addc_u32 s17, s3, s1
.LBB8_3:
	s_clause 0x1
	s_load_dwordx4 s[0:3], s[4:5], 0x0
	s_load_dword s10, s[4:5], 0x38
	s_mul_i32 s4, s8, s7
	s_mul_hi_u32 s5, s8, s6
	s_mul_i32 s9, s9, s6
	s_add_i32 s5, s5, s4
	s_mul_i32 s4, s8, s6
	s_add_i32 s5, s5, s9
	v_lshlrev_b32_e32 v22, 3, v0
	s_lshl_b64 s[4:5], s[4:5], 3
	v_mov_b32_e32 v1, 0
	s_waitcnt lgkmcnt(0)
	v_add3_u32 v4, s3, s3, v0
	s_ashr_i32 s9, s2, 31
	s_mov_b32 s8, s2
	s_add_u32 s2, s0, s4
	s_addc_u32 s5, s1, s5
	v_add_nc_u32_e32 v6, s3, v4
	s_lshl_b64 s[0:1], s[8:9], 3
	v_ashrrev_i32_e32 v5, 31, v4
	s_add_u32 s0, s2, s0
	s_addc_u32 s1, s5, s1
	v_add_nc_u32_e32 v8, s3, v6
	v_add_co_u32 v52, s2, s0, v22
	s_mov_b32 s4, s3
	s_ashr_i32 s5, s3, 31
	v_lshlrev_b64 v[4:5], 3, v[4:5]
	v_ashrrev_i32_e32 v7, 31, v6
	v_add_co_ci_u32_e64 v53, null, s1, 0, s2
	s_lshl_b64 s[4:5], s[4:5], 3
	v_ashrrev_i32_e32 v9, 31, v8
	v_add_nc_u32_e32 v10, s3, v8
	v_add_co_u32 v54, vcc_lo, v52, s4
	v_lshlrev_b64 v[6:7], 3, v[6:7]
	v_add_co_ci_u32_e64 v55, null, s5, v53, vcc_lo
	v_add_co_u32 v56, vcc_lo, s0, v4
	v_add_co_ci_u32_e64 v57, null, s1, v5, vcc_lo
	v_lshlrev_b64 v[4:5], 3, v[8:9]
	v_ashrrev_i32_e32 v11, 31, v10
	v_add_nc_u32_e32 v8, s3, v10
	v_add_co_u32 v58, vcc_lo, s0, v6
	v_add_co_ci_u32_e64 v59, null, s1, v7, vcc_lo
	v_lshlrev_b64 v[6:7], 3, v[10:11]
	v_ashrrev_i32_e32 v9, 31, v8
	v_add_nc_u32_e32 v10, s3, v8
	v_add_co_u32 v60, vcc_lo, s0, v4
	v_add_co_ci_u32_e64 v61, null, s1, v5, vcc_lo
	v_lshlrev_b64 v[4:5], 3, v[8:9]
	v_add_nc_u32_e32 v8, s3, v10
	v_ashrrev_i32_e32 v11, 31, v10
	v_add_co_u32 v62, vcc_lo, s0, v6
	v_add_co_ci_u32_e64 v63, null, s1, v7, vcc_lo
	v_ashrrev_i32_e32 v9, 31, v8
	v_lshlrev_b64 v[6:7], 3, v[10:11]
	v_add_co_u32 v64, vcc_lo, s0, v4
	v_add_co_ci_u32_e64 v65, null, s1, v5, vcc_lo
	v_lshlrev_b64 v[4:5], 3, v[8:9]
	v_add_co_u32 v68, vcc_lo, s0, v6
	v_add_co_ci_u32_e64 v69, null, s1, v7, vcc_lo
	global_load_dwordx2 v[2:3], v22, s[0:1]
	v_add_co_u32 v66, vcc_lo, s0, v4
	v_add_co_ci_u32_e64 v67, null, s1, v5, vcc_lo
	s_clause 0x7
	global_load_dwordx2 v[4:5], v[54:55], off
	global_load_dwordx2 v[6:7], v[56:57], off
	global_load_dwordx2 v[8:9], v[58:59], off
	global_load_dwordx2 v[10:11], v[60:61], off
	global_load_dwordx2 v[12:13], v[62:63], off
	global_load_dwordx2 v[14:15], v[64:65], off
	global_load_dwordx2 v[16:17], v[68:69], off
	global_load_dwordx2 v[18:19], v[66:67], off
	s_bitcmp0_b32 s10, 0
	s_mov_b32 s0, -1
	s_cbranch_scc1 .LBB8_14
; %bb.4:
	v_cmp_eq_u32_e64 s0, 0, v0
	s_and_saveexec_b32 s1, s0
; %bb.5:
	v_mov_b32_e32 v20, 0
	ds_write_b32 v20, v20 offset:72
; %bb.6:
	s_or_b32 exec_lo, exec_lo, s1
	v_cmp_eq_u32_e32 vcc_lo, 1, v0
	s_mov_b32 s2, exec_lo
	s_waitcnt vmcnt(0) lgkmcnt(0)
	s_barrier
	buffer_gl0_inv
	v_cndmask_b32_e32 v20, v3, v5, vcc_lo
	v_cndmask_b32_e32 v21, v2, v4, vcc_lo
	v_cmp_eq_u32_e32 vcc_lo, 2, v0
	v_cndmask_b32_e32 v20, v20, v7, vcc_lo
	v_cndmask_b32_e32 v21, v21, v6, vcc_lo
	v_cmp_eq_u32_e32 vcc_lo, 3, v0
	;; [unrolled: 3-line block ×7, first 2 shown]
	v_cndmask_b32_e32 v21, v20, v19, vcc_lo
	v_cndmask_b32_e32 v20, v23, v18, vcc_lo
	v_cmpx_eq_f64_e32 0, v[20:21]
	s_cbranch_execz .LBB8_10
; %bb.7:
	v_mov_b32_e32 v23, 0
	s_mov_b32 s3, 0
	ds_read_b32 v24, v23 offset:72
	s_waitcnt lgkmcnt(0)
	v_readfirstlane_b32 s1, v24
	v_add_nc_u32_e32 v24, 1, v0
	s_cmp_eq_u32 s1, 0
	v_cmp_gt_i32_e32 vcc_lo, s1, v24
	s_cselect_b32 s4, -1, 0
	s_or_b32 s4, s4, vcc_lo
	s_and_b32 exec_lo, exec_lo, s4
	s_cbranch_execz .LBB8_10
; %bb.8:
	v_mov_b32_e32 v25, s1
.LBB8_9:                                ; =>This Inner Loop Header: Depth=1
	ds_cmpst_rtn_b32 v25, v23, v25, v24 offset:72
	s_waitcnt lgkmcnt(0)
	v_cmp_ne_u32_e32 vcc_lo, 0, v25
	v_cmp_le_i32_e64 s1, v25, v24
	s_and_b32 s1, vcc_lo, s1
	s_and_b32 s1, exec_lo, s1
	s_or_b32 s3, s1, s3
	s_andn2_b32 exec_lo, exec_lo, s3
	s_cbranch_execnz .LBB8_9
.LBB8_10:
	s_or_b32 exec_lo, exec_lo, s2
	v_mov_b32_e32 v23, 0
	s_barrier
	buffer_gl0_inv
	ds_read_b32 v24, v23 offset:72
	s_and_saveexec_b32 s1, s0
	s_cbranch_execz .LBB8_12
; %bb.11:
	s_lshl_b64 s[2:3], s[6:7], 2
	s_add_u32 s2, s14, s2
	s_addc_u32 s3, s15, s3
	s_waitcnt lgkmcnt(0)
	global_store_dword v23, v24, s[2:3]
.LBB8_12:
	s_or_b32 exec_lo, exec_lo, s1
	s_waitcnt lgkmcnt(0)
	v_cmp_ne_u32_e32 vcc_lo, 0, v24
	s_cbranch_vccz .LBB8_17
; %bb.13:
	s_mov_b32 s0, 0
                                        ; implicit-def: $vgpr2_vgpr3_vgpr4_vgpr5_vgpr6_vgpr7_vgpr8_vgpr9_vgpr10_vgpr11_vgpr12_vgpr13_vgpr14_vgpr15_vgpr16_vgpr17_vgpr18_vgpr19_vgpr20_vgpr21_vgpr22_vgpr23_vgpr24_vgpr25_vgpr26_vgpr27_vgpr28_vgpr29_vgpr30_vgpr31_vgpr32_vgpr33
.LBB8_14:
	s_and_b32 vcc_lo, exec_lo, s0
	s_cbranch_vccz .LBB8_16
.LBB8_15:
	s_lshl_b64 s[0:1], s[6:7], 2
	v_mov_b32_e32 v1, 0
	s_add_u32 s0, s14, s0
	s_addc_u32 s1, s15, s1
	global_load_dword v1, v1, s[0:1]
	s_waitcnt vmcnt(0)
	v_cmp_ne_u32_e32 vcc_lo, 0, v1
	s_cbranch_vccz .LBB8_60
.LBB8_16:
	s_endpgm
.LBB8_17:
	v_div_scale_f64 v[23:24], null, v[20:21], v[20:21], 1.0
	v_div_scale_f64 v[29:30], vcc_lo, 1.0, v[20:21], 1.0
	v_cmp_eq_u32_e64 s1, 7, v0
	v_cmp_eq_u32_e64 s2, 6, v0
	;; [unrolled: 1-line block ×8, first 2 shown]
	v_rcp_f64_e32 v[25:26], v[23:24]
	v_fma_f64 v[27:28], -v[23:24], v[25:26], 1.0
	v_fma_f64 v[25:26], v[25:26], v[27:28], v[25:26]
	v_fma_f64 v[27:28], -v[23:24], v[25:26], 1.0
	v_fma_f64 v[25:26], v[25:26], v[27:28], v[25:26]
	v_mul_f64 v[27:28], v[29:30], v[25:26]
	v_fma_f64 v[23:24], -v[23:24], v[27:28], v[29:30]
	v_div_fmas_f64 v[23:24], v[23:24], v[25:26], v[27:28]
	v_cmp_eq_u32_e32 vcc_lo, 8, v0
	v_div_fixup_f64 v[20:21], v[23:24], v[20:21], 1.0
	v_add_nc_u32_e32 v24, 0x50, v22
	v_cndmask_b32_e32 v19, v19, v21, vcc_lo
	v_cndmask_b32_e32 v18, v18, v20, vcc_lo
	v_cndmask_b32_e64 v17, v17, v21, s1
	v_cndmask_b32_e64 v16, v16, v20, s1
	;; [unrolled: 1-line block ×12, first 2 shown]
	v_xor_b32_e32 v26, 0x80000000, v21
	v_mov_b32_e32 v25, v20
	v_cndmask_b32_e64 v7, v7, v21, s8
	v_cndmask_b32_e64 v6, v6, v20, s8
	;; [unrolled: 1-line block ×4, first 2 shown]
	ds_write2_b64 v22, v[25:26], v[4:5] offset1:10
	s_waitcnt lgkmcnt(0)
	s_waitcnt_vscnt null, 0x0
	s_barrier
	buffer_gl0_inv
	s_and_saveexec_b32 s1, s0
	s_cbranch_execz .LBB8_19
; %bb.18:
	ds_read_b64 v[4:5], v24
	v_mov_b32_e32 v22, 0
	ds_read_b64 v[22:23], v22 offset:8
	s_waitcnt lgkmcnt(1)
	v_fma_f64 v[4:5], v[20:21], v[4:5], 0
	s_waitcnt lgkmcnt(0)
	v_mul_f64 v[4:5], v[4:5], v[22:23]
.LBB8_19:
	s_or_b32 exec_lo, exec_lo, s1
	s_mov_b32 s2, exec_lo
	s_barrier
	buffer_gl0_inv
	ds_write_b64 v24, v[6:7]
	s_waitcnt lgkmcnt(0)
	s_barrier
	buffer_gl0_inv
	v_cmpx_gt_u32_e32 2, v0
	s_cbranch_execz .LBB8_23
; %bb.20:
	v_cmp_eq_u32_e32 vcc_lo, 1, v0
	v_cmp_eq_u32_e64 s1, 6, v0
	v_cndmask_b32_e32 v20, v3, v5, vcc_lo
	v_cndmask_b32_e32 v21, v2, v4, vcc_lo
	v_cmp_eq_u32_e32 vcc_lo, 2, v0
	v_cndmask_b32_e32 v7, v20, v7, vcc_lo
	v_cndmask_b32_e32 v6, v21, v6, vcc_lo
	v_cmp_eq_u32_e32 vcc_lo, 3, v0
	;; [unrolled: 3-line block ×4, first 2 shown]
	v_cndmask_b32_e32 v20, v7, v13, vcc_lo
	v_cndmask_b32_e32 v21, v6, v12, vcc_lo
	ds_read_b64 v[6:7], v24
	v_cmp_eq_u32_e32 vcc_lo, 7, v0
	v_cndmask_b32_e64 v20, v20, v15, s1
	v_cndmask_b32_e64 v21, v21, v14, s1
	v_cndmask_b32_e32 v20, v20, v17, vcc_lo
	v_cndmask_b32_e32 v22, v21, v16, vcc_lo
	v_cmp_eq_u32_e32 vcc_lo, 8, v0
	v_cndmask_b32_e32 v21, v20, v19, vcc_lo
	v_cndmask_b32_e32 v20, v22, v18, vcc_lo
	s_waitcnt lgkmcnt(0)
	v_fma_f64 v[6:7], v[20:21], v[6:7], 0
	s_and_saveexec_b32 s1, s0
	s_cbranch_execz .LBB8_22
; %bb.21:
	v_mov_b32_e32 v20, 0
	ds_read_b64 v[20:21], v20 offset:88
	s_waitcnt lgkmcnt(0)
	v_fma_f64 v[6:7], v[4:5], v[20:21], v[6:7]
.LBB8_22:
	s_or_b32 exec_lo, exec_lo, s1
	v_mov_b32_e32 v20, 0
	ds_read_b64 v[20:21], v20 offset:16
	s_waitcnt lgkmcnt(0)
	v_mul_f64 v[6:7], v[6:7], v[20:21]
.LBB8_23:
	s_or_b32 exec_lo, exec_lo, s2
	v_cmp_gt_u32_e32 vcc_lo, 3, v0
	s_barrier
	buffer_gl0_inv
	ds_write_b64 v24, v[8:9]
	s_waitcnt lgkmcnt(0)
	s_barrier
	buffer_gl0_inv
	s_and_saveexec_b32 s3, vcc_lo
	s_cbranch_execz .LBB8_27
; %bb.24:
	v_mov_b32_e32 v20, 0
	v_mov_b32_e32 v23, v1
	v_lshl_add_u32 v25, v0, 3, 0x50
	v_mov_b32_e32 v21, 0
	v_mov_b32_e32 v22, v0
	s_mov_b32 s4, 0
.LBB8_25:                               ; =>This Inner Loop Header: Depth=1
	v_cmp_eq_u32_e64 s1, 1, v22
	v_cmp_eq_u32_e64 s2, 2, v22
	v_cndmask_b32_e64 v26, v3, v5, s1
	v_cndmask_b32_e64 v27, v2, v4, s1
	v_cmp_eq_u32_e64 s1, 3, v22
	v_cndmask_b32_e64 v26, v26, v7, s2
	v_cndmask_b32_e64 v27, v27, v6, s2
	;; [unrolled: 3-line block ×4, first 2 shown]
	ds_read_b64 v[26:27], v25
	v_cmp_eq_u32_e64 s2, 6, v22
	v_add_nc_u32_e32 v25, 8, v25
	v_cndmask_b32_e64 v28, v28, v13, s1
	v_cndmask_b32_e64 v29, v29, v12, s1
	v_cmp_eq_u32_e64 s1, 7, v22
	v_cndmask_b32_e64 v28, v28, v15, s2
	v_cndmask_b32_e64 v29, v29, v14, s2
	v_cmp_eq_u32_e64 s2, 8, v22
	v_cndmask_b32_e64 v28, v28, v17, s1
	v_cndmask_b32_e64 v30, v29, v16, s1
	v_add_co_u32 v22, s1, v22, 1
	v_add_co_ci_u32_e64 v23, null, 0, v23, s1
	v_cndmask_b32_e64 v29, v28, v19, s2
	v_cndmask_b32_e64 v28, v30, v18, s2
	s_waitcnt lgkmcnt(0)
	v_fma_f64 v[20:21], v[28:29], v[26:27], v[20:21]
	v_add_nc_u32_e32 v26, -1, v22
	v_cmp_lt_u32_e64 s1, 1, v26
	s_or_b32 s4, s1, s4
	s_andn2_b32 exec_lo, exec_lo, s4
	s_cbranch_execnz .LBB8_25
; %bb.26:
	s_or_b32 exec_lo, exec_lo, s4
	v_mov_b32_e32 v8, 0
	ds_read_b64 v[8:9], v8 offset:24
	s_waitcnt lgkmcnt(0)
	v_mul_f64 v[8:9], v[20:21], v[8:9]
.LBB8_27:
	s_or_b32 exec_lo, exec_lo, s3
	s_mov_b32 s3, exec_lo
	s_barrier
	buffer_gl0_inv
	ds_write_b64 v24, v[10:11]
	s_waitcnt lgkmcnt(0)
	s_barrier
	buffer_gl0_inv
	v_cmpx_gt_u32_e32 4, v0
	s_cbranch_execz .LBB8_31
; %bb.28:
	v_mov_b32_e32 v20, 0
	v_mov_b32_e32 v23, v1
	v_lshl_add_u32 v25, v0, 3, 0x50
	v_mov_b32_e32 v21, 0
	v_mov_b32_e32 v22, v0
	s_mov_b32 s4, 0
.LBB8_29:                               ; =>This Inner Loop Header: Depth=1
	v_cmp_eq_u32_e64 s1, 1, v22
	v_cmp_eq_u32_e64 s2, 2, v22
	v_cndmask_b32_e64 v26, v3, v5, s1
	v_cndmask_b32_e64 v27, v2, v4, s1
	v_cmp_eq_u32_e64 s1, 3, v22
	v_cndmask_b32_e64 v26, v26, v7, s2
	v_cndmask_b32_e64 v27, v27, v6, s2
	;; [unrolled: 3-line block ×4, first 2 shown]
	ds_read_b64 v[26:27], v25
	v_cmp_eq_u32_e64 s2, 6, v22
	v_add_nc_u32_e32 v25, 8, v25
	v_cndmask_b32_e64 v28, v28, v13, s1
	v_cndmask_b32_e64 v29, v29, v12, s1
	v_cmp_eq_u32_e64 s1, 7, v22
	v_cndmask_b32_e64 v28, v28, v15, s2
	v_cndmask_b32_e64 v29, v29, v14, s2
	v_cmp_eq_u32_e64 s2, 8, v22
	v_cndmask_b32_e64 v28, v28, v17, s1
	v_cndmask_b32_e64 v30, v29, v16, s1
	v_add_co_u32 v22, s1, v22, 1
	v_add_co_ci_u32_e64 v23, null, 0, v23, s1
	v_cndmask_b32_e64 v29, v28, v19, s2
	v_cndmask_b32_e64 v28, v30, v18, s2
	s_waitcnt lgkmcnt(0)
	v_fma_f64 v[20:21], v[28:29], v[26:27], v[20:21]
	v_add_nc_u32_e32 v26, -1, v22
	v_cmp_lt_u32_e64 s1, 2, v26
	s_or_b32 s4, s1, s4
	s_andn2_b32 exec_lo, exec_lo, s4
	s_cbranch_execnz .LBB8_29
; %bb.30:
	s_or_b32 exec_lo, exec_lo, s4
	v_mov_b32_e32 v10, 0
	ds_read_b64 v[10:11], v10 offset:32
	s_waitcnt lgkmcnt(0)
	v_mul_f64 v[10:11], v[20:21], v[10:11]
.LBB8_31:
	s_or_b32 exec_lo, exec_lo, s3
	v_cmp_gt_u32_e64 s1, 5, v0
	s_barrier
	buffer_gl0_inv
	ds_write_b64 v24, v[12:13]
	s_waitcnt lgkmcnt(0)
	s_barrier
	buffer_gl0_inv
	s_and_saveexec_b32 s4, s1
	s_cbranch_execz .LBB8_35
; %bb.32:
	v_mov_b32_e32 v20, 0
	v_mov_b32_e32 v23, v1
	v_lshl_add_u32 v25, v0, 3, 0x50
	v_mov_b32_e32 v21, 0
	v_mov_b32_e32 v22, v0
	s_mov_b32 s5, 0
.LBB8_33:                               ; =>This Inner Loop Header: Depth=1
	v_cmp_eq_u32_e64 s2, 1, v22
	v_cmp_eq_u32_e64 s3, 2, v22
	v_cndmask_b32_e64 v26, v3, v5, s2
	v_cndmask_b32_e64 v27, v2, v4, s2
	v_cmp_eq_u32_e64 s2, 3, v22
	v_cndmask_b32_e64 v26, v26, v7, s3
	v_cndmask_b32_e64 v27, v27, v6, s3
	;; [unrolled: 3-line block ×4, first 2 shown]
	ds_read_b64 v[26:27], v25
	v_cmp_eq_u32_e64 s3, 6, v22
	v_add_nc_u32_e32 v25, 8, v25
	v_cndmask_b32_e64 v28, v28, v13, s2
	v_cndmask_b32_e64 v29, v29, v12, s2
	v_cmp_eq_u32_e64 s2, 7, v22
	v_cndmask_b32_e64 v28, v28, v15, s3
	v_cndmask_b32_e64 v29, v29, v14, s3
	v_cmp_eq_u32_e64 s3, 8, v22
	v_cndmask_b32_e64 v28, v28, v17, s2
	v_cndmask_b32_e64 v30, v29, v16, s2
	v_add_co_u32 v22, s2, v22, 1
	v_add_co_ci_u32_e64 v23, null, 0, v23, s2
	v_cndmask_b32_e64 v29, v28, v19, s3
	v_cndmask_b32_e64 v28, v30, v18, s3
	s_waitcnt lgkmcnt(0)
	v_fma_f64 v[20:21], v[28:29], v[26:27], v[20:21]
	v_add_nc_u32_e32 v26, -1, v22
	v_cmp_lt_u32_e64 s2, 3, v26
	s_or_b32 s5, s2, s5
	s_andn2_b32 exec_lo, exec_lo, s5
	s_cbranch_execnz .LBB8_33
; %bb.34:
	s_or_b32 exec_lo, exec_lo, s5
	v_mov_b32_e32 v12, 0
	ds_read_b64 v[12:13], v12 offset:40
	s_waitcnt lgkmcnt(0)
	v_mul_f64 v[12:13], v[20:21], v[12:13]
.LBB8_35:
	s_or_b32 exec_lo, exec_lo, s4
	s_mov_b32 s4, exec_lo
	s_barrier
	buffer_gl0_inv
	ds_write_b64 v24, v[14:15]
	s_waitcnt lgkmcnt(0)
	s_barrier
	buffer_gl0_inv
	v_cmpx_gt_u32_e32 6, v0
	s_cbranch_execz .LBB8_39
; %bb.36:
	v_mov_b32_e32 v20, 0
	v_mov_b32_e32 v23, v1
	v_lshl_add_u32 v25, v0, 3, 0x50
	v_mov_b32_e32 v21, 0
	v_mov_b32_e32 v22, v0
	s_mov_b32 s5, 0
.LBB8_37:                               ; =>This Inner Loop Header: Depth=1
	v_cmp_eq_u32_e64 s2, 1, v22
	v_cmp_eq_u32_e64 s3, 2, v22
	v_cndmask_b32_e64 v26, v3, v5, s2
	v_cndmask_b32_e64 v27, v2, v4, s2
	v_cmp_eq_u32_e64 s2, 3, v22
	v_cndmask_b32_e64 v26, v26, v7, s3
	v_cndmask_b32_e64 v27, v27, v6, s3
	;; [unrolled: 3-line block ×4, first 2 shown]
	ds_read_b64 v[26:27], v25
	v_cmp_eq_u32_e64 s3, 6, v22
	v_add_nc_u32_e32 v25, 8, v25
	v_cndmask_b32_e64 v28, v28, v13, s2
	v_cndmask_b32_e64 v29, v29, v12, s2
	v_cmp_eq_u32_e64 s2, 7, v22
	v_cndmask_b32_e64 v28, v28, v15, s3
	v_cndmask_b32_e64 v29, v29, v14, s3
	v_cmp_eq_u32_e64 s3, 8, v22
	v_cndmask_b32_e64 v28, v28, v17, s2
	v_cndmask_b32_e64 v30, v29, v16, s2
	v_add_co_u32 v22, s2, v22, 1
	v_add_co_ci_u32_e64 v23, null, 0, v23, s2
	v_cndmask_b32_e64 v29, v28, v19, s3
	v_cndmask_b32_e64 v28, v30, v18, s3
	s_waitcnt lgkmcnt(0)
	v_fma_f64 v[20:21], v[28:29], v[26:27], v[20:21]
	v_add_nc_u32_e32 v26, -1, v22
	v_cmp_lt_u32_e64 s2, 4, v26
	s_or_b32 s5, s2, s5
	s_andn2_b32 exec_lo, exec_lo, s5
	s_cbranch_execnz .LBB8_37
; %bb.38:
	s_or_b32 exec_lo, exec_lo, s5
	v_mov_b32_e32 v14, 0
	ds_read_b64 v[14:15], v14 offset:48
	s_waitcnt lgkmcnt(0)
	v_mul_f64 v[14:15], v[20:21], v[14:15]
.LBB8_39:
	s_or_b32 exec_lo, exec_lo, s4
	v_cmp_gt_u32_e64 s2, 7, v0
	s_barrier
	buffer_gl0_inv
	ds_write_b64 v24, v[16:17]
	s_waitcnt lgkmcnt(0)
	s_barrier
	buffer_gl0_inv
	s_and_saveexec_b32 s5, s2
	s_cbranch_execz .LBB8_43
; %bb.40:
	v_mov_b32_e32 v20, 0
	v_mov_b32_e32 v23, v1
	v_lshl_add_u32 v25, v0, 3, 0x50
	v_mov_b32_e32 v21, 0
	v_mov_b32_e32 v22, v0
	s_mov_b32 s8, 0
.LBB8_41:                               ; =>This Inner Loop Header: Depth=1
	v_cmp_eq_u32_e64 s3, 1, v22
	v_cmp_eq_u32_e64 s4, 2, v22
	v_cndmask_b32_e64 v1, v3, v5, s3
	v_cndmask_b32_e64 v26, v2, v4, s3
	v_cmp_eq_u32_e64 s3, 3, v22
	v_cndmask_b32_e64 v1, v1, v7, s4
	v_cndmask_b32_e64 v26, v26, v6, s4
	;; [unrolled: 3-line block ×4, first 2 shown]
	ds_read_b64 v[26:27], v25
	v_cmp_eq_u32_e64 s4, 6, v22
	v_add_nc_u32_e32 v25, 8, v25
	v_cndmask_b32_e64 v1, v1, v13, s3
	v_cndmask_b32_e64 v28, v28, v12, s3
	v_cmp_eq_u32_e64 s3, 7, v22
	v_cndmask_b32_e64 v1, v1, v15, s4
	v_cndmask_b32_e64 v28, v28, v14, s4
	v_cmp_eq_u32_e64 s4, 8, v22
	v_cndmask_b32_e64 v1, v1, v17, s3
	v_cndmask_b32_e64 v28, v28, v16, s3
	v_add_co_u32 v22, s3, v22, 1
	v_add_co_ci_u32_e64 v23, null, 0, v23, s3
	v_cndmask_b32_e64 v29, v1, v19, s4
	v_cndmask_b32_e64 v28, v28, v18, s4
	v_add_nc_u32_e32 v1, -1, v22
	s_waitcnt lgkmcnt(0)
	v_fma_f64 v[20:21], v[28:29], v[26:27], v[20:21]
	v_cmp_lt_u32_e64 s3, 5, v1
	s_or_b32 s8, s3, s8
	s_andn2_b32 exec_lo, exec_lo, s8
	s_cbranch_execnz .LBB8_41
; %bb.42:
	s_or_b32 exec_lo, exec_lo, s8
	v_mov_b32_e32 v1, 0
	ds_read_b64 v[16:17], v1 offset:56
	s_waitcnt lgkmcnt(0)
	v_mul_f64 v[16:17], v[20:21], v[16:17]
.LBB8_43:
	s_or_b32 exec_lo, exec_lo, s5
	s_mov_b32 s5, exec_lo
	s_barrier
	buffer_gl0_inv
	ds_write_b64 v24, v[18:19]
	s_waitcnt lgkmcnt(0)
	s_barrier
	buffer_gl0_inv
	v_cmpx_ne_u32_e32 8, v0
	s_cbranch_execz .LBB8_59
; %bb.44:
	v_cmp_eq_u32_e64 s3, 1, v0
	v_cmp_eq_u32_e64 s4, 6, v0
	v_cndmask_b32_e64 v1, v3, v5, s3
	v_cndmask_b32_e64 v20, v2, v4, s3
	v_cmp_eq_u32_e64 s3, 2, v0
	v_cndmask_b32_e64 v1, v1, v7, s3
	v_cndmask_b32_e64 v20, v20, v6, s3
	;; [unrolled: 3-line block ×5, first 2 shown]
	ds_read_b64 v[20:21], v24
	v_cmp_eq_u32_e64 s3, 7, v0
	v_cndmask_b32_e64 v1, v1, v15, s4
	v_cndmask_b32_e64 v22, v22, v14, s4
	;; [unrolled: 1-line block ×4, first 2 shown]
	v_cmp_eq_u32_e64 s3, 8, v0
	v_cndmask_b32_e64 v23, v1, v19, s3
	v_cndmask_b32_e64 v22, v22, v18, s3
	s_waitcnt lgkmcnt(0)
	v_fma_f64 v[20:21], v[22:23], v[20:21], 0
	s_and_saveexec_b32 s4, s2
	s_cbranch_execz .LBB8_58
; %bb.45:
	v_add_nc_u32_e32 v1, 1, v0
	s_mov_b32 s8, exec_lo
	v_cmp_eq_u32_e64 s2, 1, v1
	v_cmp_eq_u32_e64 s3, 6, v1
	v_cndmask_b32_e64 v22, v3, v5, s2
	v_cndmask_b32_e64 v23, v2, v4, s2
	v_cmp_eq_u32_e64 s2, 2, v1
	v_cndmask_b32_e64 v22, v22, v7, s2
	v_cndmask_b32_e64 v23, v23, v6, s2
	;; [unrolled: 3-line block ×5, first 2 shown]
	ds_read_b64 v[22:23], v24 offset:8
	v_cmp_eq_u32_e64 s2, 7, v1
	v_cndmask_b32_e64 v25, v25, v15, s3
	v_cndmask_b32_e64 v26, v26, v14, s3
	;; [unrolled: 1-line block ×4, first 2 shown]
	v_cmp_eq_u32_e64 s2, 8, v1
	v_cndmask_b32_e64 v26, v25, v19, s2
	v_cndmask_b32_e64 v25, v27, v18, s2
	s_waitcnt lgkmcnt(0)
	v_fma_f64 v[20:21], v[25:26], v[22:23], v[20:21]
	v_cmpx_ne_u32_e32 6, v0
	s_cbranch_execz .LBB8_57
; %bb.46:
	v_add_nc_u32_e32 v1, 2, v0
	v_cmp_eq_u32_e64 s2, 1, v1
	v_cmp_eq_u32_e64 s3, 6, v1
	v_cndmask_b32_e64 v22, v3, v5, s2
	v_cndmask_b32_e64 v23, v2, v4, s2
	v_cmp_eq_u32_e64 s2, 2, v1
	v_cndmask_b32_e64 v22, v22, v7, s2
	v_cndmask_b32_e64 v23, v23, v6, s2
	;; [unrolled: 3-line block ×5, first 2 shown]
	ds_read_b64 v[22:23], v24 offset:16
	v_cmp_eq_u32_e64 s2, 7, v1
	v_cndmask_b32_e64 v25, v25, v15, s3
	v_cndmask_b32_e64 v26, v26, v14, s3
	;; [unrolled: 1-line block ×4, first 2 shown]
	v_cmp_eq_u32_e64 s2, 8, v1
	v_cndmask_b32_e64 v26, v25, v19, s2
	v_cndmask_b32_e64 v25, v27, v18, s2
	s_waitcnt lgkmcnt(0)
	v_fma_f64 v[20:21], v[25:26], v[22:23], v[20:21]
	s_and_saveexec_b32 s3, s1
	s_cbranch_execz .LBB8_56
; %bb.47:
	v_add_nc_u32_e32 v1, 3, v0
	s_mov_b32 s9, exec_lo
	v_cmp_eq_u32_e64 s1, 1, v1
	v_cmp_eq_u32_e64 s2, 6, v1
	v_cndmask_b32_e64 v22, v3, v5, s1
	v_cndmask_b32_e64 v23, v2, v4, s1
	v_cmp_eq_u32_e64 s1, 2, v1
	v_cndmask_b32_e64 v22, v22, v7, s1
	v_cndmask_b32_e64 v23, v23, v6, s1
	;; [unrolled: 3-line block ×5, first 2 shown]
	ds_read_b64 v[22:23], v24 offset:24
	v_cmp_eq_u32_e64 s1, 7, v1
	v_cndmask_b32_e64 v25, v25, v15, s2
	v_cndmask_b32_e64 v26, v26, v14, s2
	;; [unrolled: 1-line block ×4, first 2 shown]
	v_cmp_eq_u32_e64 s1, 8, v1
	v_cndmask_b32_e64 v26, v25, v19, s1
	v_cndmask_b32_e64 v25, v27, v18, s1
	s_waitcnt lgkmcnt(0)
	v_fma_f64 v[20:21], v[25:26], v[22:23], v[20:21]
	v_cmpx_ne_u32_e32 4, v0
	s_cbranch_execz .LBB8_55
; %bb.48:
	v_add_nc_u32_e32 v1, 4, v0
	v_cmp_eq_u32_e64 s1, 1, v1
	v_cmp_eq_u32_e64 s2, 6, v1
	v_cndmask_b32_e64 v22, v3, v5, s1
	v_cndmask_b32_e64 v23, v2, v4, s1
	v_cmp_eq_u32_e64 s1, 2, v1
	v_cndmask_b32_e64 v22, v22, v7, s1
	v_cndmask_b32_e64 v23, v23, v6, s1
	v_cmp_eq_u32_e64 s1, 3, v1
	v_cndmask_b32_e64 v22, v22, v9, s1
	v_cndmask_b32_e64 v23, v23, v8, s1
	v_cmp_eq_u32_e64 s1, 4, v1
	v_cndmask_b32_e64 v22, v22, v11, s1
	v_cndmask_b32_e64 v23, v23, v10, s1
	v_cmp_eq_u32_e64 s1, 5, v1
	v_cndmask_b32_e64 v25, v22, v13, s1
	v_cndmask_b32_e64 v26, v23, v12, s1
	ds_read_b64 v[22:23], v24 offset:32
	v_cmp_eq_u32_e64 s1, 7, v1
	v_cndmask_b32_e64 v25, v25, v15, s2
	v_cndmask_b32_e64 v26, v26, v14, s2
	;; [unrolled: 1-line block ×4, first 2 shown]
	v_cmp_eq_u32_e64 s1, 8, v1
	v_cndmask_b32_e64 v26, v25, v19, s1
	v_cndmask_b32_e64 v25, v27, v18, s1
	s_waitcnt lgkmcnt(0)
	v_fma_f64 v[20:21], v[25:26], v[22:23], v[20:21]
	s_and_saveexec_b32 s2, vcc_lo
	s_cbranch_execz .LBB8_54
; %bb.49:
	v_add_nc_u32_e32 v1, 5, v0
	s_mov_b32 s10, exec_lo
	v_cmp_eq_u32_e32 vcc_lo, 1, v1
	v_cmp_eq_u32_e64 s1, 6, v1
	v_cndmask_b32_e32 v22, v3, v5, vcc_lo
	v_cndmask_b32_e32 v23, v2, v4, vcc_lo
	v_cmp_eq_u32_e32 vcc_lo, 2, v1
	v_cndmask_b32_e32 v22, v22, v7, vcc_lo
	v_cndmask_b32_e32 v23, v23, v6, vcc_lo
	v_cmp_eq_u32_e32 vcc_lo, 3, v1
	;; [unrolled: 3-line block ×4, first 2 shown]
	v_cndmask_b32_e32 v25, v22, v13, vcc_lo
	v_cndmask_b32_e32 v26, v23, v12, vcc_lo
	ds_read_b64 v[22:23], v24 offset:40
	v_cmp_eq_u32_e32 vcc_lo, 7, v1
	v_cndmask_b32_e64 v25, v25, v15, s1
	v_cndmask_b32_e64 v26, v26, v14, s1
	v_cndmask_b32_e32 v25, v25, v17, vcc_lo
	v_cndmask_b32_e32 v27, v26, v16, vcc_lo
	v_cmp_eq_u32_e32 vcc_lo, 8, v1
	v_cndmask_b32_e32 v26, v25, v19, vcc_lo
	v_cndmask_b32_e32 v25, v27, v18, vcc_lo
	s_waitcnt lgkmcnt(0)
	v_fma_f64 v[20:21], v[25:26], v[22:23], v[20:21]
	v_cmpx_ne_u32_e32 2, v0
	s_cbranch_execz .LBB8_53
; %bb.50:
	v_add_nc_u32_e32 v1, 6, v0
	v_cmp_eq_u32_e32 vcc_lo, 1, v1
	v_cmp_eq_u32_e64 s1, 6, v1
	v_cndmask_b32_e32 v22, v3, v5, vcc_lo
	v_cndmask_b32_e32 v23, v2, v4, vcc_lo
	v_cmp_eq_u32_e32 vcc_lo, 2, v1
	v_cndmask_b32_e32 v22, v22, v7, vcc_lo
	v_cndmask_b32_e32 v23, v23, v6, vcc_lo
	v_cmp_eq_u32_e32 vcc_lo, 3, v1
	;; [unrolled: 3-line block ×4, first 2 shown]
	v_cndmask_b32_e32 v25, v22, v13, vcc_lo
	v_cndmask_b32_e32 v26, v23, v12, vcc_lo
	ds_read_b64 v[22:23], v24 offset:48
	v_cmp_eq_u32_e32 vcc_lo, 7, v1
	v_cndmask_b32_e64 v25, v25, v15, s1
	v_cndmask_b32_e64 v26, v26, v14, s1
	v_cndmask_b32_e32 v25, v25, v17, vcc_lo
	v_cndmask_b32_e32 v26, v26, v16, vcc_lo
	v_cmp_eq_u32_e32 vcc_lo, 8, v1
	v_cndmask_b32_e32 v19, v25, v19, vcc_lo
	v_cndmask_b32_e32 v18, v26, v18, vcc_lo
	s_waitcnt lgkmcnt(0)
	v_fma_f64 v[20:21], v[18:19], v[22:23], v[20:21]
	s_and_saveexec_b32 s1, s0
	s_cbranch_execz .LBB8_52
; %bb.51:
	ds_read_b64 v[18:19], v24 offset:56
	s_waitcnt lgkmcnt(0)
	v_fma_f64 v[20:21], v[16:17], v[18:19], v[20:21]
.LBB8_52:
	s_or_b32 exec_lo, exec_lo, s1
.LBB8_53:
	s_or_b32 exec_lo, exec_lo, s10
.LBB8_54:
	s_or_b32 exec_lo, exec_lo, s2
.LBB8_55:
	s_or_b32 exec_lo, exec_lo, s9
.LBB8_56:
	s_or_b32 exec_lo, exec_lo, s3
.LBB8_57:
	s_or_b32 exec_lo, exec_lo, s8
.LBB8_58:
	s_or_b32 exec_lo, exec_lo, s4
	v_mov_b32_e32 v1, 0
	ds_read_b64 v[18:19], v1 offset:64
	s_waitcnt lgkmcnt(0)
	v_mul_f64 v[18:19], v[20:21], v[18:19]
.LBB8_59:
	s_or_b32 exec_lo, exec_lo, s5
	s_barrier
	buffer_gl0_inv
	s_cbranch_execnz .LBB8_15
	s_branch .LBB8_16
.LBB8_60:
	v_lshl_add_u32 v1, v0, 3, 0x50
	s_mov_b32 s0, exec_lo
	v_cmpx_eq_u32_e32 8, v0
	s_cbranch_execz .LBB8_62
; %bb.61:
	v_mov_b32_e32 v34, 0
	v_mov_b32_e32 v20, v2
	;; [unrolled: 1-line block ×18, first 2 shown]
	ds_write_b64 v1, v[16:17]
	v_mov_b32_e32 v2, v20
	v_mov_b32_e32 v3, v21
	v_mov_b32_e32 v4, v22
	v_mov_b32_e32 v5, v23
	v_mov_b32_e32 v6, v24
	v_mov_b32_e32 v7, v25
	v_mov_b32_e32 v8, v26
	v_mov_b32_e32 v9, v27
	v_mov_b32_e32 v10, v28
	v_mov_b32_e32 v11, v29
	v_mov_b32_e32 v12, v30
	v_mov_b32_e32 v13, v31
	v_mov_b32_e32 v14, v32
	v_mov_b32_e32 v15, v33
	v_mov_b32_e32 v16, v34
	v_mov_b32_e32 v17, v35
	v_mov_b32_e32 v18, v36
	v_mov_b32_e32 v19, v37
	v_mov_b32_e32 v20, v38
	v_mov_b32_e32 v21, v39
	v_mov_b32_e32 v22, v40
	v_mov_b32_e32 v23, v41
	v_mov_b32_e32 v24, v42
	v_mov_b32_e32 v25, v43
	v_mov_b32_e32 v26, v44
	v_mov_b32_e32 v27, v45
	v_mov_b32_e32 v28, v46
	v_mov_b32_e32 v29, v47
	v_mov_b32_e32 v30, v48
	v_mov_b32_e32 v31, v49
	v_mov_b32_e32 v32, v50
	v_mov_b32_e32 v33, v51
.LBB8_62:
	s_or_b32 exec_lo, exec_lo, s0
	v_mov_b32_e32 v34, 0
	s_waitcnt lgkmcnt(0)
	s_waitcnt_vscnt null, 0x0
	s_barrier
	buffer_gl0_inv
	s_mov_b32 s0, exec_lo
	ds_read_b64 v[20:21], v34 offset:144
	s_waitcnt lgkmcnt(0)
	v_fma_f64 v[20:21], v[18:19], v[20:21], 0
	v_add_f64 v[16:17], v[16:17], -v[20:21]
	v_cmpx_lt_u32_e32 6, v0
	s_cbranch_execz .LBB8_64
; %bb.63:
	v_mov_b32_e32 v22, v2
	v_mov_b32_e32 v35, v34
	;; [unrolled: 1-line block ×17, first 2 shown]
	ds_write_b64 v1, v[14:15]
	v_mov_b32_e32 v2, v22
	v_mov_b32_e32 v3, v23
	;; [unrolled: 1-line block ×32, first 2 shown]
.LBB8_64:
	s_or_b32 exec_lo, exec_lo, s0
	s_waitcnt lgkmcnt(0)
	s_barrier
	buffer_gl0_inv
	ds_read2_b64 v[20:23], v34 offset0:17 offset1:18
	s_mov_b32 s0, exec_lo
	s_waitcnt lgkmcnt(0)
	v_fma_f64 v[20:21], v[16:17], v[20:21], 0
	v_fma_f64 v[20:21], v[18:19], v[22:23], v[20:21]
	v_add_f64 v[14:15], v[14:15], -v[20:21]
	v_cmpx_lt_u32_e32 5, v0
	s_cbranch_execz .LBB8_66
; %bb.65:
	v_mov_b32_e32 v30, 0
	v_mov_b32_e32 v20, v2
	;; [unrolled: 1-line block ×18, first 2 shown]
	ds_write_b64 v1, v[12:13]
	v_mov_b32_e32 v2, v20
	v_mov_b32_e32 v3, v21
	;; [unrolled: 1-line block ×32, first 2 shown]
.LBB8_66:
	s_or_b32 exec_lo, exec_lo, s0
	v_mov_b32_e32 v34, 0
	s_waitcnt lgkmcnt(0)
	s_barrier
	buffer_gl0_inv
	s_mov_b32 s0, exec_lo
	ds_read_b128 v[20:23], v34 offset:128
	ds_read_b64 v[24:25], v34 offset:144
	s_waitcnt lgkmcnt(1)
	v_fma_f64 v[20:21], v[14:15], v[20:21], 0
	v_fma_f64 v[20:21], v[16:17], v[22:23], v[20:21]
	s_waitcnt lgkmcnt(0)
	v_fma_f64 v[20:21], v[18:19], v[24:25], v[20:21]
	v_add_f64 v[12:13], v[12:13], -v[20:21]
	v_cmpx_lt_u32_e32 4, v0
	s_cbranch_execz .LBB8_68
; %bb.67:
	v_mov_b32_e32 v26, v2
	v_mov_b32_e32 v35, v34
	;; [unrolled: 1-line block ×17, first 2 shown]
	ds_write_b64 v1, v[10:11]
	v_mov_b32_e32 v2, v26
	v_mov_b32_e32 v3, v27
	;; [unrolled: 1-line block ×32, first 2 shown]
.LBB8_68:
	s_or_b32 exec_lo, exec_lo, s0
	s_waitcnt lgkmcnt(0)
	s_barrier
	buffer_gl0_inv
	ds_read2_b64 v[20:23], v34 offset0:15 offset1:16
	ds_read2_b64 v[24:27], v34 offset0:17 offset1:18
	s_mov_b32 s0, exec_lo
	s_waitcnt lgkmcnt(1)
	v_fma_f64 v[20:21], v[12:13], v[20:21], 0
	v_fma_f64 v[20:21], v[14:15], v[22:23], v[20:21]
	s_waitcnt lgkmcnt(0)
	v_fma_f64 v[20:21], v[16:17], v[24:25], v[20:21]
	v_fma_f64 v[20:21], v[18:19], v[26:27], v[20:21]
	v_add_f64 v[10:11], v[10:11], -v[20:21]
	v_cmpx_lt_u32_e32 3, v0
	s_cbranch_execz .LBB8_70
; %bb.69:
	v_mov_b32_e32 v26, 0
	v_mov_b32_e32 v20, v2
	;; [unrolled: 1-line block ×18, first 2 shown]
	ds_write_b64 v1, v[8:9]
	v_mov_b32_e32 v2, v20
	v_mov_b32_e32 v3, v21
	;; [unrolled: 1-line block ×32, first 2 shown]
.LBB8_70:
	s_or_b32 exec_lo, exec_lo, s0
	v_mov_b32_e32 v34, 0
	s_waitcnt lgkmcnt(0)
	s_barrier
	buffer_gl0_inv
	s_mov_b32 s0, exec_lo
	ds_read_b128 v[20:23], v34 offset:112
	ds_read_b128 v[24:27], v34 offset:128
	s_waitcnt lgkmcnt(1)
	v_fma_f64 v[20:21], v[10:11], v[20:21], 0
	v_fma_f64 v[20:21], v[12:13], v[22:23], v[20:21]
	ds_read_b64 v[22:23], v34 offset:144
	s_waitcnt lgkmcnt(1)
	v_fma_f64 v[20:21], v[14:15], v[24:25], v[20:21]
	v_fma_f64 v[20:21], v[16:17], v[26:27], v[20:21]
	s_waitcnt lgkmcnt(0)
	v_fma_f64 v[20:21], v[18:19], v[22:23], v[20:21]
	v_add_f64 v[8:9], v[8:9], -v[20:21]
	v_cmpx_lt_u32_e32 2, v0
	s_cbranch_execz .LBB8_72
; %bb.71:
	v_mov_b32_e32 v30, v2
	v_mov_b32_e32 v35, v34
	;; [unrolled: 1-line block ×17, first 2 shown]
	ds_write_b64 v1, v[6:7]
	v_mov_b32_e32 v2, v30
	v_mov_b32_e32 v3, v31
	;; [unrolled: 1-line block ×32, first 2 shown]
.LBB8_72:
	s_or_b32 exec_lo, exec_lo, s0
	s_waitcnt lgkmcnt(0)
	s_barrier
	buffer_gl0_inv
	ds_read2_b64 v[20:23], v34 offset0:13 offset1:14
	ds_read2_b64 v[24:27], v34 offset0:15 offset1:16
	s_mov_b32 s0, exec_lo
	s_waitcnt lgkmcnt(1)
	v_fma_f64 v[20:21], v[8:9], v[20:21], 0
	v_fma_f64 v[20:21], v[10:11], v[22:23], v[20:21]
	s_waitcnt lgkmcnt(0)
	v_fma_f64 v[20:21], v[12:13], v[24:25], v[20:21]
	v_fma_f64 v[24:25], v[14:15], v[26:27], v[20:21]
	ds_read2_b64 v[20:23], v34 offset0:17 offset1:18
	s_waitcnt lgkmcnt(0)
	v_fma_f64 v[20:21], v[16:17], v[20:21], v[24:25]
	v_fma_f64 v[20:21], v[18:19], v[22:23], v[20:21]
	v_add_f64 v[6:7], v[6:7], -v[20:21]
	v_cmpx_lt_u32_e32 1, v0
	s_cbranch_execz .LBB8_74
; %bb.73:
	v_mov_b32_e32 v22, 0
	v_mov_b32_e32 v20, v2
	;; [unrolled: 1-line block ×18, first 2 shown]
	ds_write_b64 v1, v[4:5]
	v_mov_b32_e32 v2, v20
	v_mov_b32_e32 v3, v21
	;; [unrolled: 1-line block ×32, first 2 shown]
.LBB8_74:
	s_or_b32 exec_lo, exec_lo, s0
	v_mov_b32_e32 v34, 0
	s_waitcnt lgkmcnt(0)
	s_barrier
	buffer_gl0_inv
	s_mov_b32 s0, exec_lo
	ds_read_b128 v[20:23], v34 offset:96
	ds_read_b128 v[24:27], v34 offset:112
	s_waitcnt lgkmcnt(1)
	v_fma_f64 v[20:21], v[6:7], v[20:21], 0
	v_fma_f64 v[20:21], v[8:9], v[22:23], v[20:21]
	s_waitcnt lgkmcnt(0)
	v_fma_f64 v[20:21], v[10:11], v[24:25], v[20:21]
	v_fma_f64 v[24:25], v[12:13], v[26:27], v[20:21]
	ds_read_b128 v[20:23], v34 offset:128
	ds_read_b64 v[26:27], v34 offset:144
	s_waitcnt lgkmcnt(1)
	v_fma_f64 v[20:21], v[14:15], v[20:21], v[24:25]
	v_fma_f64 v[20:21], v[16:17], v[22:23], v[20:21]
	s_waitcnt lgkmcnt(0)
	v_fma_f64 v[20:21], v[18:19], v[26:27], v[20:21]
	v_add_f64 v[4:5], v[4:5], -v[20:21]
	v_cmpx_ne_u32_e32 0, v0
	s_cbranch_execz .LBB8_76
; %bb.75:
	v_mov_b32_e32 v35, v34
	v_mov_b32_e32 v36, v4
	;; [unrolled: 1-line block ×17, first 2 shown]
	ds_write_b64 v1, v[2:3]
	v_mov_b32_e32 v2, v34
	v_mov_b32_e32 v3, v35
	v_mov_b32_e32 v4, v36
	v_mov_b32_e32 v5, v37
	v_mov_b32_e32 v6, v38
	v_mov_b32_e32 v7, v39
	v_mov_b32_e32 v8, v40
	v_mov_b32_e32 v9, v41
	v_mov_b32_e32 v10, v42
	v_mov_b32_e32 v11, v43
	v_mov_b32_e32 v12, v44
	v_mov_b32_e32 v13, v45
	v_mov_b32_e32 v14, v46
	v_mov_b32_e32 v15, v47
	v_mov_b32_e32 v16, v48
	v_mov_b32_e32 v17, v49
	v_mov_b32_e32 v18, v50
	v_mov_b32_e32 v19, v51
	v_mov_b32_e32 v20, v52
	v_mov_b32_e32 v21, v53
	v_mov_b32_e32 v22, v54
	v_mov_b32_e32 v23, v55
	v_mov_b32_e32 v24, v56
	v_mov_b32_e32 v25, v57
	v_mov_b32_e32 v26, v58
	v_mov_b32_e32 v27, v59
	v_mov_b32_e32 v28, v60
	v_mov_b32_e32 v29, v61
	v_mov_b32_e32 v30, v62
	v_mov_b32_e32 v31, v63
	v_mov_b32_e32 v32, v64
	v_mov_b32_e32 v33, v65
.LBB8_76:
	s_or_b32 exec_lo, exec_lo, s0
	s_waitcnt lgkmcnt(0)
	s_barrier
	buffer_gl0_inv
	ds_read2_b64 v[20:23], v34 offset0:11 offset1:12
	ds_read2_b64 v[24:27], v34 offset0:13 offset1:14
	s_and_b32 vcc_lo, exec_lo, s18
	s_waitcnt lgkmcnt(1)
	v_fma_f64 v[0:1], v[4:5], v[20:21], 0
	v_fma_f64 v[0:1], v[6:7], v[22:23], v[0:1]
	s_waitcnt lgkmcnt(0)
	v_fma_f64 v[0:1], v[8:9], v[24:25], v[0:1]
	v_fma_f64 v[0:1], v[10:11], v[26:27], v[0:1]
	ds_read2_b64 v[20:23], v34 offset0:15 offset1:16
	ds_read2_b64 v[24:27], v34 offset0:17 offset1:18
	s_waitcnt lgkmcnt(1)
	v_fma_f64 v[0:1], v[12:13], v[20:21], v[0:1]
	v_fma_f64 v[0:1], v[14:15], v[22:23], v[0:1]
	s_waitcnt lgkmcnt(0)
	v_fma_f64 v[0:1], v[16:17], v[24:25], v[0:1]
	v_fma_f64 v[0:1], v[18:19], v[26:27], v[0:1]
	v_add_f64 v[2:3], v[2:3], -v[0:1]
	s_cbranch_vccz .LBB8_93
; %bb.77:
	v_mov_b32_e32 v0, 0
	global_load_dword v1, v0, s[16:17] offset:28
	s_waitcnt vmcnt(0)
	v_readfirstlane_b32 s0, v1
	s_add_i32 s0, s0, -1
	s_cmp_lg_u32 s0, 7
	s_cbranch_scc0 .LBB8_79
; %bb.78:
	s_lshl_b32 m0, s0, 1
	v_movrels_b32_e32 v1, v2
	v_movrels_b32_e32 v50, v3
	v_mov_b32_e32 v49, v33
	v_mov_b32_e32 v48, v32
	;; [unrolled: 1-line block ×34, first 2 shown]
	v_movreld_b32_e32 v18, v16
	v_movreld_b32_e32 v19, v17
	v_mov_b32_e32 v2, v18
	v_mov_b32_e32 v3, v19
	;; [unrolled: 1-line block ×32, first 2 shown]
.LBB8_79:
	global_load_dword v0, v0, s[16:17] offset:24
	s_waitcnt vmcnt(0)
	v_readfirstlane_b32 s0, v0
	s_add_i32 s0, s0, -1
	s_cmp_eq_u32 s0, 6
	s_cbranch_scc1 .LBB8_81
; %bb.80:
	s_lshl_b32 m0, s0, 1
	v_movrels_b32_e32 v0, v2
	v_movrels_b32_e32 v1, v3
	v_mov_b32_e32 v47, v33
	v_mov_b32_e32 v46, v32
	;; [unrolled: 1-line block ×34, first 2 shown]
	v_movreld_b32_e32 v16, v14
	v_movreld_b32_e32 v17, v15
	v_mov_b32_e32 v2, v16
	v_mov_b32_e32 v3, v17
	;; [unrolled: 1-line block ×32, first 2 shown]
.LBB8_81:
	v_mov_b32_e32 v0, 0
	global_load_dword v1, v0, s[16:17] offset:20
	s_waitcnt vmcnt(0)
	v_readfirstlane_b32 s0, v1
	s_add_i32 s0, s0, -1
	s_cmp_eq_u32 s0, 5
	s_cbranch_scc1 .LBB8_83
; %bb.82:
	s_lshl_b32 m0, s0, 1
	v_movrels_b32_e32 v1, v2
	v_movrels_b32_e32 v46, v3
	v_mov_b32_e32 v45, v33
	v_mov_b32_e32 v44, v32
	;; [unrolled: 1-line block ×34, first 2 shown]
	v_movreld_b32_e32 v14, v12
	v_movreld_b32_e32 v15, v13
	v_mov_b32_e32 v2, v14
	v_mov_b32_e32 v3, v15
	;; [unrolled: 1-line block ×32, first 2 shown]
.LBB8_83:
	global_load_dword v0, v0, s[16:17] offset:16
	s_waitcnt vmcnt(0)
	v_readfirstlane_b32 s0, v0
	s_add_i32 s0, s0, -1
	s_cmp_eq_u32 s0, 4
	s_cbranch_scc1 .LBB8_85
; %bb.84:
	s_lshl_b32 m0, s0, 1
	v_movrels_b32_e32 v0, v2
	v_movrels_b32_e32 v1, v3
	v_mov_b32_e32 v43, v33
	v_mov_b32_e32 v42, v32
	;; [unrolled: 1-line block ×34, first 2 shown]
	v_movreld_b32_e32 v12, v10
	v_movreld_b32_e32 v13, v11
	v_mov_b32_e32 v2, v12
	v_mov_b32_e32 v3, v13
	v_mov_b32_e32 v4, v14
	v_mov_b32_e32 v5, v15
	v_mov_b32_e32 v6, v16
	v_mov_b32_e32 v7, v17
	v_mov_b32_e32 v8, v18
	v_mov_b32_e32 v9, v19
	v_mov_b32_e32 v10, v20
	v_mov_b32_e32 v11, v21
	v_mov_b32_e32 v12, v22
	v_mov_b32_e32 v13, v23
	v_mov_b32_e32 v14, v24
	v_mov_b32_e32 v15, v25
	v_mov_b32_e32 v16, v26
	v_mov_b32_e32 v17, v27
	v_mov_b32_e32 v18, v28
	v_mov_b32_e32 v19, v29
	v_mov_b32_e32 v20, v30
	v_mov_b32_e32 v21, v31
	v_mov_b32_e32 v22, v32
	v_mov_b32_e32 v23, v33
	v_mov_b32_e32 v24, v34
	v_mov_b32_e32 v25, v35
	v_mov_b32_e32 v26, v36
	v_mov_b32_e32 v27, v37
	v_mov_b32_e32 v28, v38
	v_mov_b32_e32 v29, v39
	v_mov_b32_e32 v30, v40
	v_mov_b32_e32 v31, v41
	v_mov_b32_e32 v32, v42
	v_mov_b32_e32 v33, v43
.LBB8_85:
	v_mov_b32_e32 v0, 0
	global_load_dword v1, v0, s[16:17] offset:12
	s_waitcnt vmcnt(0)
	v_readfirstlane_b32 s0, v1
	s_add_i32 s0, s0, -1
	s_cmp_eq_u32 s0, 3
	s_cbranch_scc1 .LBB8_87
; %bb.86:
	s_lshl_b32 m0, s0, 1
	v_movrels_b32_e32 v1, v2
	v_movrels_b32_e32 v42, v3
	v_mov_b32_e32 v41, v33
	v_mov_b32_e32 v40, v32
	;; [unrolled: 1-line block ×34, first 2 shown]
	v_movreld_b32_e32 v10, v8
	v_movreld_b32_e32 v11, v9
	v_mov_b32_e32 v2, v10
	v_mov_b32_e32 v3, v11
	;; [unrolled: 1-line block ×32, first 2 shown]
.LBB8_87:
	global_load_dword v0, v0, s[16:17] offset:8
	s_waitcnt vmcnt(0)
	v_readfirstlane_b32 s0, v0
	s_add_i32 s0, s0, -1
	s_cmp_eq_u32 s0, 2
	s_cbranch_scc1 .LBB8_89
; %bb.88:
	s_lshl_b32 m0, s0, 1
	v_movrels_b32_e32 v0, v2
	v_movrels_b32_e32 v1, v3
	v_mov_b32_e32 v39, v33
	v_mov_b32_e32 v38, v32
	v_mov_b32_e32 v37, v31
	v_mov_b32_e32 v36, v30
	v_mov_b32_e32 v35, v29
	v_mov_b32_e32 v34, v28
	v_mov_b32_e32 v33, v27
	v_mov_b32_e32 v32, v26
	v_mov_b32_e32 v31, v25
	v_mov_b32_e32 v30, v24
	v_mov_b32_e32 v29, v23
	v_mov_b32_e32 v28, v22
	v_mov_b32_e32 v27, v21
	v_mov_b32_e32 v26, v20
	v_mov_b32_e32 v25, v19
	v_mov_b32_e32 v24, v18
	v_mov_b32_e32 v23, v17
	v_mov_b32_e32 v22, v16
	v_mov_b32_e32 v21, v15
	v_mov_b32_e32 v20, v14
	v_mov_b32_e32 v19, v13
	v_mov_b32_e32 v18, v12
	v_mov_b32_e32 v17, v11
	v_mov_b32_e32 v16, v10
	v_mov_b32_e32 v15, v9
	v_mov_b32_e32 v14, v8
	v_mov_b32_e32 v13, v7
	v_mov_b32_e32 v12, v6
	v_mov_b32_e32 v11, v5
	v_mov_b32_e32 v10, v4
	v_mov_b32_e32 v9, v3
	v_mov_b32_e32 v8, v2
	v_mov_b32_e32 v12, v0
	v_mov_b32_e32 v13, v1
	v_movreld_b32_e32 v8, v6
	v_movreld_b32_e32 v9, v7
	v_mov_b32_e32 v2, v8
	v_mov_b32_e32 v3, v9
	;; [unrolled: 1-line block ×32, first 2 shown]
.LBB8_89:
	v_mov_b32_e32 v0, 0
	global_load_dword v1, v0, s[16:17] offset:4
	s_waitcnt vmcnt(0)
	v_readfirstlane_b32 s0, v1
	s_add_i32 s0, s0, -1
	s_cmp_eq_u32 s0, 1
	s_cbranch_scc1 .LBB8_91
; %bb.90:
	s_lshl_b32 m0, s0, 1
	v_movrels_b32_e32 v1, v2
	v_movrels_b32_e32 v38, v3
	v_mov_b32_e32 v37, v33
	v_mov_b32_e32 v36, v32
	v_mov_b32_e32 v35, v31
	v_mov_b32_e32 v34, v30
	v_mov_b32_e32 v33, v29
	v_mov_b32_e32 v32, v28
	v_mov_b32_e32 v31, v27
	v_mov_b32_e32 v30, v26
	v_mov_b32_e32 v29, v25
	v_mov_b32_e32 v28, v24
	v_mov_b32_e32 v27, v23
	v_mov_b32_e32 v26, v22
	v_mov_b32_e32 v25, v21
	v_mov_b32_e32 v24, v20
	v_mov_b32_e32 v23, v19
	v_mov_b32_e32 v22, v18
	v_mov_b32_e32 v21, v17
	v_mov_b32_e32 v20, v16
	v_mov_b32_e32 v19, v15
	v_mov_b32_e32 v18, v14
	v_mov_b32_e32 v17, v13
	v_mov_b32_e32 v16, v12
	v_mov_b32_e32 v15, v11
	v_mov_b32_e32 v14, v10
	v_mov_b32_e32 v13, v9
	v_mov_b32_e32 v12, v8
	v_mov_b32_e32 v11, v7
	v_mov_b32_e32 v10, v6
	v_mov_b32_e32 v9, v5
	v_mov_b32_e32 v8, v4
	v_mov_b32_e32 v7, v3
	v_mov_b32_e32 v6, v2
	v_mov_b32_e32 v8, v1
	v_mov_b32_e32 v9, v38
	v_movreld_b32_e32 v6, v4
	v_movreld_b32_e32 v7, v5
	v_mov_b32_e32 v2, v6
	v_mov_b32_e32 v3, v7
	v_mov_b32_e32 v4, v8
	v_mov_b32_e32 v5, v9
	v_mov_b32_e32 v6, v10
	v_mov_b32_e32 v7, v11
	v_mov_b32_e32 v8, v12
	v_mov_b32_e32 v9, v13
	v_mov_b32_e32 v10, v14
	v_mov_b32_e32 v11, v15
	v_mov_b32_e32 v12, v16
	v_mov_b32_e32 v13, v17
	v_mov_b32_e32 v14, v18
	v_mov_b32_e32 v15, v19
	v_mov_b32_e32 v16, v20
	v_mov_b32_e32 v17, v21
	v_mov_b32_e32 v18, v22
	v_mov_b32_e32 v19, v23
	v_mov_b32_e32 v20, v24
	v_mov_b32_e32 v21, v25
	v_mov_b32_e32 v22, v26
	v_mov_b32_e32 v23, v27
	v_mov_b32_e32 v24, v28
	v_mov_b32_e32 v25, v29
	v_mov_b32_e32 v26, v30
	v_mov_b32_e32 v27, v31
	v_mov_b32_e32 v28, v32
	v_mov_b32_e32 v29, v33
	v_mov_b32_e32 v30, v34
	v_mov_b32_e32 v31, v35
	v_mov_b32_e32 v32, v36
	v_mov_b32_e32 v33, v37
.LBB8_91:
	global_load_dword v0, v0, s[16:17]
	s_waitcnt vmcnt(0)
	v_readfirstlane_b32 s0, v0
	s_add_i32 s0, s0, -1
	s_cmp_eq_u32 s0, 0
	s_cbranch_scc1 .LBB8_93
; %bb.92:
	s_lshl_b32 m0, s0, 1
	v_movrels_b32_e32 v0, v2
	v_movrels_b32_e32 v1, v3
	v_mov_b32_e32 v35, v33
	v_mov_b32_e32 v34, v32
	;; [unrolled: 1-line block ×34, first 2 shown]
	v_movreld_b32_e32 v4, v2
	v_movreld_b32_e32 v5, v3
	v_mov_b32_e32 v2, v4
	v_mov_b32_e32 v3, v5
	;; [unrolled: 1-line block ×32, first 2 shown]
.LBB8_93:
	global_store_dwordx2 v[52:53], v[2:3], off
	global_store_dwordx2 v[54:55], v[4:5], off
	;; [unrolled: 1-line block ×9, first 2 shown]
	s_endpgm
	.section	.rodata,"a",@progbits
	.p2align	6, 0x0
	.amdhsa_kernel _ZN9rocsolver6v33100L18getri_kernel_smallILi9EdPdEEvT1_iilPiilS4_bb
		.amdhsa_group_segment_fixed_size 152
		.amdhsa_private_segment_fixed_size 0
		.amdhsa_kernarg_size 60
		.amdhsa_user_sgpr_count 6
		.amdhsa_user_sgpr_private_segment_buffer 1
		.amdhsa_user_sgpr_dispatch_ptr 0
		.amdhsa_user_sgpr_queue_ptr 0
		.amdhsa_user_sgpr_kernarg_segment_ptr 1
		.amdhsa_user_sgpr_dispatch_id 0
		.amdhsa_user_sgpr_flat_scratch_init 0
		.amdhsa_user_sgpr_private_segment_size 0
		.amdhsa_wavefront_size32 1
		.amdhsa_uses_dynamic_stack 0
		.amdhsa_system_sgpr_private_segment_wavefront_offset 0
		.amdhsa_system_sgpr_workgroup_id_x 1
		.amdhsa_system_sgpr_workgroup_id_y 0
		.amdhsa_system_sgpr_workgroup_id_z 0
		.amdhsa_system_sgpr_workgroup_info 0
		.amdhsa_system_vgpr_workitem_id 0
		.amdhsa_next_free_vgpr 70
		.amdhsa_next_free_sgpr 19
		.amdhsa_reserve_vcc 1
		.amdhsa_reserve_flat_scratch 0
		.amdhsa_float_round_mode_32 0
		.amdhsa_float_round_mode_16_64 0
		.amdhsa_float_denorm_mode_32 3
		.amdhsa_float_denorm_mode_16_64 3
		.amdhsa_dx10_clamp 1
		.amdhsa_ieee_mode 1
		.amdhsa_fp16_overflow 0
		.amdhsa_workgroup_processor_mode 1
		.amdhsa_memory_ordered 1
		.amdhsa_forward_progress 1
		.amdhsa_shared_vgpr_count 0
		.amdhsa_exception_fp_ieee_invalid_op 0
		.amdhsa_exception_fp_denorm_src 0
		.amdhsa_exception_fp_ieee_div_zero 0
		.amdhsa_exception_fp_ieee_overflow 0
		.amdhsa_exception_fp_ieee_underflow 0
		.amdhsa_exception_fp_ieee_inexact 0
		.amdhsa_exception_int_div_zero 0
	.end_amdhsa_kernel
	.section	.text._ZN9rocsolver6v33100L18getri_kernel_smallILi9EdPdEEvT1_iilPiilS4_bb,"axG",@progbits,_ZN9rocsolver6v33100L18getri_kernel_smallILi9EdPdEEvT1_iilPiilS4_bb,comdat
.Lfunc_end8:
	.size	_ZN9rocsolver6v33100L18getri_kernel_smallILi9EdPdEEvT1_iilPiilS4_bb, .Lfunc_end8-_ZN9rocsolver6v33100L18getri_kernel_smallILi9EdPdEEvT1_iilPiilS4_bb
                                        ; -- End function
	.set _ZN9rocsolver6v33100L18getri_kernel_smallILi9EdPdEEvT1_iilPiilS4_bb.num_vgpr, 70
	.set _ZN9rocsolver6v33100L18getri_kernel_smallILi9EdPdEEvT1_iilPiilS4_bb.num_agpr, 0
	.set _ZN9rocsolver6v33100L18getri_kernel_smallILi9EdPdEEvT1_iilPiilS4_bb.numbered_sgpr, 19
	.set _ZN9rocsolver6v33100L18getri_kernel_smallILi9EdPdEEvT1_iilPiilS4_bb.num_named_barrier, 0
	.set _ZN9rocsolver6v33100L18getri_kernel_smallILi9EdPdEEvT1_iilPiilS4_bb.private_seg_size, 0
	.set _ZN9rocsolver6v33100L18getri_kernel_smallILi9EdPdEEvT1_iilPiilS4_bb.uses_vcc, 1
	.set _ZN9rocsolver6v33100L18getri_kernel_smallILi9EdPdEEvT1_iilPiilS4_bb.uses_flat_scratch, 0
	.set _ZN9rocsolver6v33100L18getri_kernel_smallILi9EdPdEEvT1_iilPiilS4_bb.has_dyn_sized_stack, 0
	.set _ZN9rocsolver6v33100L18getri_kernel_smallILi9EdPdEEvT1_iilPiilS4_bb.has_recursion, 0
	.set _ZN9rocsolver6v33100L18getri_kernel_smallILi9EdPdEEvT1_iilPiilS4_bb.has_indirect_call, 0
	.section	.AMDGPU.csdata,"",@progbits
; Kernel info:
; codeLenInByte = 10120
; TotalNumSgprs: 21
; NumVgprs: 70
; ScratchSize: 0
; MemoryBound: 0
; FloatMode: 240
; IeeeMode: 1
; LDSByteSize: 152 bytes/workgroup (compile time only)
; SGPRBlocks: 0
; VGPRBlocks: 8
; NumSGPRsForWavesPerEU: 21
; NumVGPRsForWavesPerEU: 70
; Occupancy: 12
; WaveLimiterHint : 0
; COMPUTE_PGM_RSRC2:SCRATCH_EN: 0
; COMPUTE_PGM_RSRC2:USER_SGPR: 6
; COMPUTE_PGM_RSRC2:TRAP_HANDLER: 0
; COMPUTE_PGM_RSRC2:TGID_X_EN: 1
; COMPUTE_PGM_RSRC2:TGID_Y_EN: 0
; COMPUTE_PGM_RSRC2:TGID_Z_EN: 0
; COMPUTE_PGM_RSRC2:TIDIG_COMP_CNT: 0
	.section	.text._ZN9rocsolver6v33100L18getri_kernel_smallILi10EdPdEEvT1_iilPiilS4_bb,"axG",@progbits,_ZN9rocsolver6v33100L18getri_kernel_smallILi10EdPdEEvT1_iilPiilS4_bb,comdat
	.globl	_ZN9rocsolver6v33100L18getri_kernel_smallILi10EdPdEEvT1_iilPiilS4_bb ; -- Begin function _ZN9rocsolver6v33100L18getri_kernel_smallILi10EdPdEEvT1_iilPiilS4_bb
	.p2align	8
	.type	_ZN9rocsolver6v33100L18getri_kernel_smallILi10EdPdEEvT1_iilPiilS4_bb,@function
_ZN9rocsolver6v33100L18getri_kernel_smallILi10EdPdEEvT1_iilPiilS4_bb: ; @_ZN9rocsolver6v33100L18getri_kernel_smallILi10EdPdEEvT1_iilPiilS4_bb
; %bb.0:
	s_mov_b32 s0, exec_lo
	v_cmpx_gt_u32_e32 10, v0
	s_cbranch_execz .LBB9_16
; %bb.1:
	s_clause 0x2
	s_load_dword s0, s[4:5], 0x38
	s_load_dwordx4 s[8:11], s[4:5], 0x10
	s_load_dwordx4 s[12:15], s[4:5], 0x28
                                        ; implicit-def: $sgpr16_sgpr17
	s_waitcnt lgkmcnt(0)
	s_bitcmp1_b32 s0, 8
	s_cselect_b32 s18, -1, 0
	s_bfe_u32 s0, s0, 0x10008
	s_ashr_i32 s7, s6, 31
	s_cmp_eq_u32 s0, 0
	s_cbranch_scc1 .LBB9_3
; %bb.2:
	s_load_dword s0, s[4:5], 0x20
	s_mul_i32 s1, s12, s7
	s_mul_hi_u32 s2, s12, s6
	s_mul_i32 s3, s13, s6
	s_add_i32 s1, s2, s1
	s_mul_i32 s2, s12, s6
	s_add_i32 s3, s1, s3
	s_lshl_b64 s[2:3], s[2:3], 2
	s_waitcnt lgkmcnt(0)
	s_ashr_i32 s1, s0, 31
	s_add_u32 s2, s10, s2
	s_addc_u32 s3, s11, s3
	s_lshl_b64 s[0:1], s[0:1], 2
	s_add_u32 s16, s2, s0
	s_addc_u32 s17, s3, s1
.LBB9_3:
	s_clause 0x1
	s_load_dwordx4 s[0:3], s[4:5], 0x0
	s_load_dword s10, s[4:5], 0x38
	s_mul_i32 s4, s8, s7
	s_mul_hi_u32 s5, s8, s6
	s_mul_i32 s9, s9, s6
	s_add_i32 s5, s5, s4
	s_mul_i32 s4, s8, s6
	s_add_i32 s5, s5, s9
	v_lshlrev_b32_e32 v24, 3, v0
	s_lshl_b64 s[4:5], s[4:5], 3
	v_mov_b32_e32 v1, 0
	s_waitcnt lgkmcnt(0)
	v_add3_u32 v4, s3, s3, v0
	s_ashr_i32 s9, s2, 31
	s_mov_b32 s8, s2
	s_add_u32 s2, s0, s4
	s_addc_u32 s5, s1, s5
	v_add_nc_u32_e32 v6, s3, v4
	s_lshl_b64 s[0:1], s[8:9], 3
	v_ashrrev_i32_e32 v5, 31, v4
	s_add_u32 s0, s2, s0
	s_addc_u32 s1, s5, s1
	v_add_nc_u32_e32 v8, s3, v6
	v_add_co_u32 v52, s2, s0, v24
	s_mov_b32 s4, s3
	s_ashr_i32 s5, s3, 31
	v_lshlrev_b64 v[4:5], 3, v[4:5]
	v_add_co_ci_u32_e64 v53, null, s1, 0, s2
	s_lshl_b64 s[4:5], s[4:5], 3
	v_ashrrev_i32_e32 v9, 31, v8
	v_add_co_u32 v54, vcc_lo, v52, s4
	v_add_co_ci_u32_e64 v55, null, s5, v53, vcc_lo
	v_add_co_u32 v56, vcc_lo, s0, v4
	v_add_co_ci_u32_e64 v57, null, s1, v5, vcc_lo
	v_lshlrev_b64 v[4:5], 3, v[8:9]
	v_add_nc_u32_e32 v8, s3, v8
	v_ashrrev_i32_e32 v7, 31, v6
	global_load_dwordx2 v[2:3], v24, s[0:1]
	s_bitcmp0_b32 s10, 0
	v_add_nc_u32_e32 v12, s3, v8
	v_ashrrev_i32_e32 v9, 31, v8
	v_lshlrev_b64 v[6:7], 3, v[6:7]
	v_add_nc_u32_e32 v16, s3, v12
	v_lshlrev_b64 v[14:15], 3, v[8:9]
	v_ashrrev_i32_e32 v13, 31, v12
	v_add_co_u32 v58, vcc_lo, s0, v6
	v_ashrrev_i32_e32 v17, 31, v16
	v_add_nc_u32_e32 v18, s3, v16
	v_add_co_ci_u32_e64 v59, null, s1, v7, vcc_lo
	v_add_co_u32 v60, vcc_lo, s0, v4
	v_add_co_ci_u32_e64 v61, null, s1, v5, vcc_lo
	v_add_co_u32 v62, vcc_lo, s0, v14
	v_lshlrev_b64 v[12:13], 3, v[12:13]
	v_add_co_ci_u32_e64 v63, null, s1, v15, vcc_lo
	v_lshlrev_b64 v[14:15], 3, v[16:17]
	v_add_nc_u32_e32 v16, s3, v18
	v_ashrrev_i32_e32 v19, 31, v18
	v_add_co_u32 v64, vcc_lo, s0, v12
	v_add_co_ci_u32_e64 v65, null, s1, v13, vcc_lo
	v_ashrrev_i32_e32 v17, 31, v16
	v_lshlrev_b64 v[12:13], 3, v[18:19]
	v_add_co_u32 v66, vcc_lo, s0, v14
	v_add_co_ci_u32_e64 v67, null, s1, v15, vcc_lo
	v_lshlrev_b64 v[14:15], 3, v[16:17]
	v_add_co_u32 v70, vcc_lo, s0, v12
	v_add_co_ci_u32_e64 v71, null, s1, v13, vcc_lo
	s_clause 0x3
	global_load_dwordx2 v[4:5], v[54:55], off
	global_load_dwordx2 v[6:7], v[56:57], off
	;; [unrolled: 1-line block ×4, first 2 shown]
	v_add_co_u32 v68, vcc_lo, s0, v14
	v_add_co_ci_u32_e64 v69, null, s1, v15, vcc_lo
	s_clause 0x4
	global_load_dwordx2 v[12:13], v[62:63], off
	global_load_dwordx2 v[14:15], v[64:65], off
	;; [unrolled: 1-line block ×5, first 2 shown]
	s_mov_b32 s0, -1
	s_cbranch_scc1 .LBB9_14
; %bb.4:
	v_cmp_eq_u32_e64 s0, 0, v0
	s_and_saveexec_b32 s1, s0
; %bb.5:
	v_mov_b32_e32 v22, 0
	ds_write_b32 v22, v22 offset:160
; %bb.6:
	s_or_b32 exec_lo, exec_lo, s1
	v_cmp_eq_u32_e32 vcc_lo, 1, v0
	s_mov_b32 s2, exec_lo
	s_waitcnt vmcnt(0) lgkmcnt(0)
	s_barrier
	buffer_gl0_inv
	v_cndmask_b32_e32 v22, v3, v5, vcc_lo
	v_cndmask_b32_e32 v23, v2, v4, vcc_lo
	v_cmp_eq_u32_e32 vcc_lo, 2, v0
	v_cndmask_b32_e32 v22, v22, v7, vcc_lo
	v_cndmask_b32_e32 v23, v23, v6, vcc_lo
	v_cmp_eq_u32_e32 vcc_lo, 3, v0
	;; [unrolled: 3-line block ×8, first 2 shown]
	v_cndmask_b32_e32 v23, v22, v21, vcc_lo
	v_cndmask_b32_e32 v22, v25, v20, vcc_lo
	v_cmpx_eq_f64_e32 0, v[22:23]
	s_cbranch_execz .LBB9_10
; %bb.7:
	v_mov_b32_e32 v25, 0
	s_mov_b32 s3, 0
	ds_read_b32 v26, v25 offset:160
	s_waitcnt lgkmcnt(0)
	v_readfirstlane_b32 s1, v26
	v_add_nc_u32_e32 v26, 1, v0
	s_cmp_eq_u32 s1, 0
	v_cmp_gt_i32_e32 vcc_lo, s1, v26
	s_cselect_b32 s4, -1, 0
	s_or_b32 s4, s4, vcc_lo
	s_and_b32 exec_lo, exec_lo, s4
	s_cbranch_execz .LBB9_10
; %bb.8:
	v_mov_b32_e32 v27, s1
.LBB9_9:                                ; =>This Inner Loop Header: Depth=1
	ds_cmpst_rtn_b32 v27, v25, v27, v26 offset:160
	s_waitcnt lgkmcnt(0)
	v_cmp_ne_u32_e32 vcc_lo, 0, v27
	v_cmp_le_i32_e64 s1, v27, v26
	s_and_b32 s1, vcc_lo, s1
	s_and_b32 s1, exec_lo, s1
	s_or_b32 s3, s1, s3
	s_andn2_b32 exec_lo, exec_lo, s3
	s_cbranch_execnz .LBB9_9
.LBB9_10:
	s_or_b32 exec_lo, exec_lo, s2
	v_mov_b32_e32 v25, 0
	s_barrier
	buffer_gl0_inv
	ds_read_b32 v26, v25 offset:160
	s_and_saveexec_b32 s1, s0
	s_cbranch_execz .LBB9_12
; %bb.11:
	s_lshl_b64 s[2:3], s[6:7], 2
	s_add_u32 s2, s14, s2
	s_addc_u32 s3, s15, s3
	s_waitcnt lgkmcnt(0)
	global_store_dword v25, v26, s[2:3]
.LBB9_12:
	s_or_b32 exec_lo, exec_lo, s1
	s_waitcnt lgkmcnt(0)
	v_cmp_ne_u32_e32 vcc_lo, 0, v26
	s_cbranch_vccz .LBB9_17
; %bb.13:
	s_mov_b32 s0, 0
                                        ; implicit-def: $vgpr2_vgpr3_vgpr4_vgpr5_vgpr6_vgpr7_vgpr8_vgpr9_vgpr10_vgpr11_vgpr12_vgpr13_vgpr14_vgpr15_vgpr16_vgpr17_vgpr18_vgpr19_vgpr20_vgpr21_vgpr22_vgpr23_vgpr24_vgpr25_vgpr26_vgpr27_vgpr28_vgpr29_vgpr30_vgpr31_vgpr32_vgpr33
.LBB9_14:
	s_and_b32 vcc_lo, exec_lo, s0
	s_cbranch_vccz .LBB9_16
.LBB9_15:
	s_lshl_b64 s[0:1], s[6:7], 2
	v_mov_b32_e32 v1, 0
	s_add_u32 s0, s14, s0
	s_addc_u32 s1, s15, s1
	global_load_dword v1, v1, s[0:1]
	s_waitcnt vmcnt(0)
	v_cmp_ne_u32_e32 vcc_lo, 0, v1
	s_cbranch_vccz .LBB9_64
.LBB9_16:
	s_endpgm
.LBB9_17:
	v_div_scale_f64 v[25:26], null, v[22:23], v[22:23], 1.0
	v_div_scale_f64 v[31:32], vcc_lo, 1.0, v[22:23], 1.0
	v_cmp_eq_u32_e64 s1, 8, v0
	v_cmp_eq_u32_e64 s2, 7, v0
	;; [unrolled: 1-line block ×9, first 2 shown]
	v_rcp_f64_e32 v[27:28], v[25:26]
	v_fma_f64 v[29:30], -v[25:26], v[27:28], 1.0
	v_fma_f64 v[27:28], v[27:28], v[29:30], v[27:28]
	v_fma_f64 v[29:30], -v[25:26], v[27:28], 1.0
	v_fma_f64 v[27:28], v[27:28], v[29:30], v[27:28]
	v_mul_f64 v[29:30], v[31:32], v[27:28]
	v_fma_f64 v[25:26], -v[25:26], v[29:30], v[31:32]
	v_div_fmas_f64 v[25:26], v[25:26], v[27:28], v[29:30]
	v_cmp_eq_u32_e32 vcc_lo, 9, v0
	v_div_fixup_f64 v[22:23], v[25:26], v[22:23], 1.0
	v_add_nc_u32_e32 v26, 0x50, v24
	v_cndmask_b32_e32 v21, v21, v23, vcc_lo
	v_cndmask_b32_e32 v20, v20, v22, vcc_lo
	v_cndmask_b32_e64 v19, v19, v23, s1
	v_cndmask_b32_e64 v18, v18, v22, s1
	;; [unrolled: 1-line block ×14, first 2 shown]
	v_xor_b32_e32 v28, 0x80000000, v23
	v_mov_b32_e32 v27, v22
	v_cndmask_b32_e64 v7, v7, v23, s9
	v_cndmask_b32_e64 v6, v6, v22, s9
	v_cndmask_b32_e64 v3, v3, v23, s11
	v_cndmask_b32_e64 v2, v2, v22, s11
	ds_write2_b64 v24, v[27:28], v[4:5] offset1:10
	s_waitcnt lgkmcnt(0)
	s_waitcnt_vscnt null, 0x0
	s_barrier
	buffer_gl0_inv
	s_and_saveexec_b32 s1, s0
	s_cbranch_execz .LBB9_19
; %bb.18:
	ds_read_b64 v[4:5], v26
	v_mov_b32_e32 v24, 0
	ds_read_b64 v[24:25], v24 offset:8
	s_waitcnt lgkmcnt(1)
	v_fma_f64 v[4:5], v[22:23], v[4:5], 0
	s_waitcnt lgkmcnt(0)
	v_mul_f64 v[4:5], v[4:5], v[24:25]
.LBB9_19:
	s_or_b32 exec_lo, exec_lo, s1
	v_cmp_gt_u32_e32 vcc_lo, 2, v0
	s_barrier
	buffer_gl0_inv
	ds_write_b64 v26, v[6:7]
	s_waitcnt lgkmcnt(0)
	s_barrier
	buffer_gl0_inv
	s_and_saveexec_b32 s3, vcc_lo
	s_cbranch_execz .LBB9_23
; %bb.20:
	v_cmp_eq_u32_e64 s1, 1, v0
	v_cmp_eq_u32_e64 s2, 7, v0
	v_cndmask_b32_e64 v22, v3, v5, s1
	v_cndmask_b32_e64 v23, v2, v4, s1
	v_cmp_eq_u32_e64 s1, 2, v0
	v_cndmask_b32_e64 v7, v22, v7, s1
	v_cndmask_b32_e64 v6, v23, v6, s1
	;; [unrolled: 3-line block ×6, first 2 shown]
	ds_read_b64 v[6:7], v26
	v_cmp_eq_u32_e64 s1, 8, v0
	v_cndmask_b32_e64 v22, v22, v17, s2
	v_cndmask_b32_e64 v23, v23, v16, s2
	;; [unrolled: 1-line block ×4, first 2 shown]
	v_cmp_eq_u32_e64 s1, 9, v0
	v_cndmask_b32_e64 v23, v22, v21, s1
	v_cndmask_b32_e64 v22, v24, v20, s1
	s_waitcnt lgkmcnt(0)
	v_fma_f64 v[6:7], v[22:23], v[6:7], 0
	s_and_saveexec_b32 s1, s0
	s_cbranch_execz .LBB9_22
; %bb.21:
	v_mov_b32_e32 v22, 0
	ds_read_b64 v[22:23], v22 offset:88
	s_waitcnt lgkmcnt(0)
	v_fma_f64 v[6:7], v[4:5], v[22:23], v[6:7]
.LBB9_22:
	s_or_b32 exec_lo, exec_lo, s1
	v_mov_b32_e32 v22, 0
	ds_read_b64 v[22:23], v22 offset:16
	s_waitcnt lgkmcnt(0)
	v_mul_f64 v[6:7], v[6:7], v[22:23]
.LBB9_23:
	s_or_b32 exec_lo, exec_lo, s3
	s_mov_b32 s3, exec_lo
	s_barrier
	buffer_gl0_inv
	ds_write_b64 v26, v[8:9]
	s_waitcnt lgkmcnt(0)
	s_barrier
	buffer_gl0_inv
	v_cmpx_gt_u32_e32 3, v0
	s_cbranch_execz .LBB9_27
; %bb.24:
	v_mov_b32_e32 v22, 0
	v_mov_b32_e32 v25, v1
	v_lshl_add_u32 v27, v0, 3, 0x50
	v_mov_b32_e32 v23, 0
	v_mov_b32_e32 v24, v0
	s_mov_b32 s4, 0
.LBB9_25:                               ; =>This Inner Loop Header: Depth=1
	v_cmp_eq_u32_e64 s1, 1, v24
	v_cmp_eq_u32_e64 s2, 2, v24
	v_cndmask_b32_e64 v28, v3, v5, s1
	v_cndmask_b32_e64 v29, v2, v4, s1
	v_cmp_eq_u32_e64 s1, 3, v24
	v_cndmask_b32_e64 v28, v28, v7, s2
	v_cndmask_b32_e64 v29, v29, v6, s2
	v_cmp_eq_u32_e64 s2, 4, v24
	v_cndmask_b32_e64 v28, v28, v9, s1
	v_cndmask_b32_e64 v29, v29, v8, s1
	v_cmp_eq_u32_e64 s1, 5, v24
	v_cndmask_b32_e64 v28, v28, v11, s2
	v_cndmask_b32_e64 v29, v29, v10, s2
	v_cmp_eq_u32_e64 s2, 6, v24
	v_cndmask_b32_e64 v30, v28, v13, s1
	v_cndmask_b32_e64 v31, v29, v12, s1
	ds_read_b64 v[28:29], v27
	v_cmp_eq_u32_e64 s1, 7, v24
	v_add_nc_u32_e32 v27, 8, v27
	v_cndmask_b32_e64 v30, v30, v15, s2
	v_cndmask_b32_e64 v31, v31, v14, s2
	v_cmp_eq_u32_e64 s2, 8, v24
	v_cndmask_b32_e64 v30, v30, v17, s1
	v_cndmask_b32_e64 v31, v31, v16, s1
	v_cmp_eq_u32_e64 s1, 9, v24
	v_cndmask_b32_e64 v30, v30, v19, s2
	v_cndmask_b32_e64 v32, v31, v18, s2
	;; [unrolled: 1-line block ×4, first 2 shown]
	v_add_co_u32 v24, s1, v24, 1
	v_add_co_ci_u32_e64 v25, null, 0, v25, s1
	s_waitcnt lgkmcnt(0)
	v_fma_f64 v[22:23], v[30:31], v[28:29], v[22:23]
	v_add_nc_u32_e32 v28, -1, v24
	v_cmp_lt_u32_e64 s1, 1, v28
	s_or_b32 s4, s1, s4
	s_andn2_b32 exec_lo, exec_lo, s4
	s_cbranch_execnz .LBB9_25
; %bb.26:
	s_or_b32 exec_lo, exec_lo, s4
	v_mov_b32_e32 v8, 0
	ds_read_b64 v[8:9], v8 offset:24
	s_waitcnt lgkmcnt(0)
	v_mul_f64 v[8:9], v[22:23], v[8:9]
.LBB9_27:
	s_or_b32 exec_lo, exec_lo, s3
	v_cmp_gt_u32_e64 s1, 4, v0
	s_barrier
	buffer_gl0_inv
	ds_write_b64 v26, v[10:11]
	s_waitcnt lgkmcnt(0)
	s_barrier
	buffer_gl0_inv
	s_and_saveexec_b32 s4, s1
	s_cbranch_execz .LBB9_31
; %bb.28:
	v_mov_b32_e32 v22, 0
	v_mov_b32_e32 v25, v1
	v_lshl_add_u32 v27, v0, 3, 0x50
	v_mov_b32_e32 v23, 0
	v_mov_b32_e32 v24, v0
	s_mov_b32 s5, 0
.LBB9_29:                               ; =>This Inner Loop Header: Depth=1
	v_cmp_eq_u32_e64 s2, 1, v24
	v_cmp_eq_u32_e64 s3, 2, v24
	v_cndmask_b32_e64 v28, v3, v5, s2
	v_cndmask_b32_e64 v29, v2, v4, s2
	v_cmp_eq_u32_e64 s2, 3, v24
	v_cndmask_b32_e64 v28, v28, v7, s3
	v_cndmask_b32_e64 v29, v29, v6, s3
	;; [unrolled: 3-line block ×5, first 2 shown]
	ds_read_b64 v[28:29], v27
	v_cmp_eq_u32_e64 s2, 7, v24
	v_add_nc_u32_e32 v27, 8, v27
	v_cndmask_b32_e64 v30, v30, v15, s3
	v_cndmask_b32_e64 v31, v31, v14, s3
	v_cmp_eq_u32_e64 s3, 8, v24
	v_cndmask_b32_e64 v30, v30, v17, s2
	v_cndmask_b32_e64 v31, v31, v16, s2
	v_cmp_eq_u32_e64 s2, 9, v24
	v_cndmask_b32_e64 v30, v30, v19, s3
	v_cndmask_b32_e64 v32, v31, v18, s3
	;; [unrolled: 1-line block ×4, first 2 shown]
	v_add_co_u32 v24, s2, v24, 1
	v_add_co_ci_u32_e64 v25, null, 0, v25, s2
	s_waitcnt lgkmcnt(0)
	v_fma_f64 v[22:23], v[30:31], v[28:29], v[22:23]
	v_add_nc_u32_e32 v28, -1, v24
	v_cmp_lt_u32_e64 s2, 2, v28
	s_or_b32 s5, s2, s5
	s_andn2_b32 exec_lo, exec_lo, s5
	s_cbranch_execnz .LBB9_29
; %bb.30:
	s_or_b32 exec_lo, exec_lo, s5
	v_mov_b32_e32 v10, 0
	ds_read_b64 v[10:11], v10 offset:32
	s_waitcnt lgkmcnt(0)
	v_mul_f64 v[10:11], v[22:23], v[10:11]
.LBB9_31:
	s_or_b32 exec_lo, exec_lo, s4
	s_mov_b32 s4, exec_lo
	s_barrier
	buffer_gl0_inv
	ds_write_b64 v26, v[12:13]
	s_waitcnt lgkmcnt(0)
	s_barrier
	buffer_gl0_inv
	v_cmpx_gt_u32_e32 5, v0
	s_cbranch_execz .LBB9_35
; %bb.32:
	v_mov_b32_e32 v22, 0
	v_mov_b32_e32 v25, v1
	v_lshl_add_u32 v27, v0, 3, 0x50
	v_mov_b32_e32 v23, 0
	v_mov_b32_e32 v24, v0
	s_mov_b32 s5, 0
.LBB9_33:                               ; =>This Inner Loop Header: Depth=1
	v_cmp_eq_u32_e64 s2, 1, v24
	v_cmp_eq_u32_e64 s3, 2, v24
	v_cndmask_b32_e64 v28, v3, v5, s2
	v_cndmask_b32_e64 v29, v2, v4, s2
	v_cmp_eq_u32_e64 s2, 3, v24
	v_cndmask_b32_e64 v28, v28, v7, s3
	v_cndmask_b32_e64 v29, v29, v6, s3
	v_cmp_eq_u32_e64 s3, 4, v24
	v_cndmask_b32_e64 v28, v28, v9, s2
	v_cndmask_b32_e64 v29, v29, v8, s2
	v_cmp_eq_u32_e64 s2, 5, v24
	v_cndmask_b32_e64 v28, v28, v11, s3
	v_cndmask_b32_e64 v29, v29, v10, s3
	v_cmp_eq_u32_e64 s3, 6, v24
	v_cndmask_b32_e64 v30, v28, v13, s2
	v_cndmask_b32_e64 v31, v29, v12, s2
	ds_read_b64 v[28:29], v27
	v_cmp_eq_u32_e64 s2, 7, v24
	v_add_nc_u32_e32 v27, 8, v27
	v_cndmask_b32_e64 v30, v30, v15, s3
	v_cndmask_b32_e64 v31, v31, v14, s3
	v_cmp_eq_u32_e64 s3, 8, v24
	v_cndmask_b32_e64 v30, v30, v17, s2
	v_cndmask_b32_e64 v31, v31, v16, s2
	v_cmp_eq_u32_e64 s2, 9, v24
	v_cndmask_b32_e64 v30, v30, v19, s3
	v_cndmask_b32_e64 v32, v31, v18, s3
	;; [unrolled: 1-line block ×4, first 2 shown]
	v_add_co_u32 v24, s2, v24, 1
	v_add_co_ci_u32_e64 v25, null, 0, v25, s2
	s_waitcnt lgkmcnt(0)
	v_fma_f64 v[22:23], v[30:31], v[28:29], v[22:23]
	v_add_nc_u32_e32 v28, -1, v24
	v_cmp_lt_u32_e64 s2, 3, v28
	s_or_b32 s5, s2, s5
	s_andn2_b32 exec_lo, exec_lo, s5
	s_cbranch_execnz .LBB9_33
; %bb.34:
	s_or_b32 exec_lo, exec_lo, s5
	v_mov_b32_e32 v12, 0
	ds_read_b64 v[12:13], v12 offset:40
	s_waitcnt lgkmcnt(0)
	v_mul_f64 v[12:13], v[22:23], v[12:13]
.LBB9_35:
	s_or_b32 exec_lo, exec_lo, s4
	v_cmp_gt_u32_e64 s2, 6, v0
	s_barrier
	buffer_gl0_inv
	ds_write_b64 v26, v[14:15]
	s_waitcnt lgkmcnt(0)
	s_barrier
	buffer_gl0_inv
	s_and_saveexec_b32 s5, s2
	s_cbranch_execz .LBB9_39
; %bb.36:
	v_mov_b32_e32 v22, 0
	v_mov_b32_e32 v25, v1
	v_lshl_add_u32 v27, v0, 3, 0x50
	v_mov_b32_e32 v23, 0
	v_mov_b32_e32 v24, v0
	s_mov_b32 s8, 0
.LBB9_37:                               ; =>This Inner Loop Header: Depth=1
	v_cmp_eq_u32_e64 s3, 1, v24
	v_cmp_eq_u32_e64 s4, 2, v24
	v_cndmask_b32_e64 v28, v3, v5, s3
	v_cndmask_b32_e64 v29, v2, v4, s3
	v_cmp_eq_u32_e64 s3, 3, v24
	v_cndmask_b32_e64 v28, v28, v7, s4
	v_cndmask_b32_e64 v29, v29, v6, s4
	;; [unrolled: 3-line block ×5, first 2 shown]
	ds_read_b64 v[28:29], v27
	v_cmp_eq_u32_e64 s3, 7, v24
	v_add_nc_u32_e32 v27, 8, v27
	v_cndmask_b32_e64 v30, v30, v15, s4
	v_cndmask_b32_e64 v31, v31, v14, s4
	v_cmp_eq_u32_e64 s4, 8, v24
	v_cndmask_b32_e64 v30, v30, v17, s3
	v_cndmask_b32_e64 v31, v31, v16, s3
	v_cmp_eq_u32_e64 s3, 9, v24
	v_cndmask_b32_e64 v30, v30, v19, s4
	v_cndmask_b32_e64 v32, v31, v18, s4
	;; [unrolled: 1-line block ×4, first 2 shown]
	v_add_co_u32 v24, s3, v24, 1
	v_add_co_ci_u32_e64 v25, null, 0, v25, s3
	s_waitcnt lgkmcnt(0)
	v_fma_f64 v[22:23], v[30:31], v[28:29], v[22:23]
	v_add_nc_u32_e32 v28, -1, v24
	v_cmp_lt_u32_e64 s3, 4, v28
	s_or_b32 s8, s3, s8
	s_andn2_b32 exec_lo, exec_lo, s8
	s_cbranch_execnz .LBB9_37
; %bb.38:
	s_or_b32 exec_lo, exec_lo, s8
	v_mov_b32_e32 v14, 0
	ds_read_b64 v[14:15], v14 offset:48
	s_waitcnt lgkmcnt(0)
	v_mul_f64 v[14:15], v[22:23], v[14:15]
.LBB9_39:
	s_or_b32 exec_lo, exec_lo, s5
	s_mov_b32 s5, exec_lo
	s_barrier
	buffer_gl0_inv
	ds_write_b64 v26, v[16:17]
	s_waitcnt lgkmcnt(0)
	s_barrier
	buffer_gl0_inv
	v_cmpx_gt_u32_e32 7, v0
	s_cbranch_execz .LBB9_43
; %bb.40:
	v_mov_b32_e32 v22, 0
	v_mov_b32_e32 v25, v1
	v_lshl_add_u32 v27, v0, 3, 0x50
	v_mov_b32_e32 v23, 0
	v_mov_b32_e32 v24, v0
	s_mov_b32 s8, 0
.LBB9_41:                               ; =>This Inner Loop Header: Depth=1
	v_cmp_eq_u32_e64 s3, 1, v24
	v_cmp_eq_u32_e64 s4, 2, v24
	v_cndmask_b32_e64 v28, v3, v5, s3
	v_cndmask_b32_e64 v29, v2, v4, s3
	v_cmp_eq_u32_e64 s3, 3, v24
	v_cndmask_b32_e64 v28, v28, v7, s4
	v_cndmask_b32_e64 v29, v29, v6, s4
	;; [unrolled: 3-line block ×5, first 2 shown]
	ds_read_b64 v[28:29], v27
	v_cmp_eq_u32_e64 s3, 7, v24
	v_add_nc_u32_e32 v27, 8, v27
	v_cndmask_b32_e64 v30, v30, v15, s4
	v_cndmask_b32_e64 v31, v31, v14, s4
	v_cmp_eq_u32_e64 s4, 8, v24
	v_cndmask_b32_e64 v30, v30, v17, s3
	v_cndmask_b32_e64 v31, v31, v16, s3
	v_cmp_eq_u32_e64 s3, 9, v24
	v_cndmask_b32_e64 v30, v30, v19, s4
	v_cndmask_b32_e64 v32, v31, v18, s4
	;; [unrolled: 1-line block ×4, first 2 shown]
	v_add_co_u32 v24, s3, v24, 1
	v_add_co_ci_u32_e64 v25, null, 0, v25, s3
	s_waitcnt lgkmcnt(0)
	v_fma_f64 v[22:23], v[30:31], v[28:29], v[22:23]
	v_add_nc_u32_e32 v28, -1, v24
	v_cmp_lt_u32_e64 s3, 5, v28
	s_or_b32 s8, s3, s8
	s_andn2_b32 exec_lo, exec_lo, s8
	s_cbranch_execnz .LBB9_41
; %bb.42:
	s_or_b32 exec_lo, exec_lo, s8
	v_mov_b32_e32 v16, 0
	ds_read_b64 v[16:17], v16 offset:56
	s_waitcnt lgkmcnt(0)
	v_mul_f64 v[16:17], v[22:23], v[16:17]
.LBB9_43:
	s_or_b32 exec_lo, exec_lo, s5
	s_mov_b32 s5, exec_lo
	s_barrier
	buffer_gl0_inv
	ds_write_b64 v26, v[18:19]
	s_waitcnt lgkmcnt(0)
	s_barrier
	buffer_gl0_inv
	v_cmpx_gt_u32_e32 8, v0
	s_cbranch_execz .LBB9_59
; %bb.44:
	v_cmp_eq_u32_e64 s3, 1, v0
	v_cmp_eq_u32_e64 s4, 7, v0
	s_mov_b32 s8, exec_lo
	v_cndmask_b32_e64 v22, v3, v5, s3
	v_cndmask_b32_e64 v23, v2, v4, s3
	v_cmp_eq_u32_e64 s3, 2, v0
	v_cndmask_b32_e64 v22, v22, v7, s3
	v_cndmask_b32_e64 v23, v23, v6, s3
	v_cmp_eq_u32_e64 s3, 3, v0
	v_cndmask_b32_e64 v22, v22, v9, s3
	v_cndmask_b32_e64 v23, v23, v8, s3
	v_cmp_eq_u32_e64 s3, 4, v0
	v_cndmask_b32_e64 v22, v22, v11, s3
	v_cndmask_b32_e64 v23, v23, v10, s3
	v_cmp_eq_u32_e64 s3, 5, v0
	v_cndmask_b32_e64 v22, v22, v13, s3
	v_cndmask_b32_e64 v23, v23, v12, s3
	v_cmp_eq_u32_e64 s3, 6, v0
	v_cndmask_b32_e64 v24, v22, v15, s3
	v_cndmask_b32_e64 v25, v23, v14, s3
	ds_read_b64 v[22:23], v26
	v_cmp_eq_u32_e64 s3, 8, v0
	v_cndmask_b32_e64 v24, v24, v17, s4
	v_cndmask_b32_e64 v25, v25, v16, s4
	;; [unrolled: 1-line block ×4, first 2 shown]
	v_cmp_eq_u32_e64 s3, 9, v0
	v_cndmask_b32_e64 v25, v24, v21, s3
	v_cndmask_b32_e64 v24, v27, v20, s3
	s_waitcnt lgkmcnt(0)
	v_fma_f64 v[22:23], v[24:25], v[22:23], 0
	v_cmpx_ne_u32_e32 7, v0
	s_cbranch_execz .LBB9_58
; %bb.45:
	v_add_nc_u32_e32 v27, 1, v0
	v_cmp_eq_u32_e64 s3, 1, v27
	v_cmp_eq_u32_e64 s4, 7, v27
	v_cndmask_b32_e64 v24, v3, v5, s3
	v_cndmask_b32_e64 v25, v2, v4, s3
	v_cmp_eq_u32_e64 s3, 2, v27
	v_cndmask_b32_e64 v24, v24, v7, s3
	v_cndmask_b32_e64 v25, v25, v6, s3
	;; [unrolled: 3-line block ×6, first 2 shown]
	ds_read_b64 v[24:25], v26 offset:8
	v_cmp_eq_u32_e64 s3, 8, v27
	v_cndmask_b32_e64 v28, v28, v17, s4
	v_cndmask_b32_e64 v29, v29, v16, s4
	v_cndmask_b32_e64 v28, v28, v19, s3
	v_cndmask_b32_e64 v29, v29, v18, s3
	v_cmp_eq_u32_e64 s3, 9, v27
	v_cndmask_b32_e64 v28, v28, v21, s3
	v_cndmask_b32_e64 v27, v29, v20, s3
	s_waitcnt lgkmcnt(0)
	v_fma_f64 v[22:23], v[27:28], v[24:25], v[22:23]
	s_and_saveexec_b32 s4, s2
	s_cbranch_execz .LBB9_57
; %bb.46:
	v_add_nc_u32_e32 v27, 2, v0
	s_mov_b32 s9, exec_lo
	v_cmp_eq_u32_e64 s2, 1, v27
	v_cmp_eq_u32_e64 s3, 7, v27
	v_cndmask_b32_e64 v24, v3, v5, s2
	v_cndmask_b32_e64 v25, v2, v4, s2
	v_cmp_eq_u32_e64 s2, 2, v27
	v_cndmask_b32_e64 v24, v24, v7, s2
	v_cndmask_b32_e64 v25, v25, v6, s2
	;; [unrolled: 3-line block ×6, first 2 shown]
	ds_read_b64 v[24:25], v26 offset:16
	v_cmp_eq_u32_e64 s2, 8, v27
	v_cndmask_b32_e64 v28, v28, v17, s3
	v_cndmask_b32_e64 v29, v29, v16, s3
	;; [unrolled: 1-line block ×4, first 2 shown]
	v_cmp_eq_u32_e64 s2, 9, v27
	v_cndmask_b32_e64 v28, v28, v21, s2
	v_cndmask_b32_e64 v27, v29, v20, s2
	s_waitcnt lgkmcnt(0)
	v_fma_f64 v[22:23], v[27:28], v[24:25], v[22:23]
	v_cmpx_ne_u32_e32 5, v0
	s_cbranch_execz .LBB9_56
; %bb.47:
	v_add_nc_u32_e32 v27, 3, v0
	v_cmp_eq_u32_e64 s2, 1, v27
	v_cmp_eq_u32_e64 s3, 7, v27
	v_cndmask_b32_e64 v24, v3, v5, s2
	v_cndmask_b32_e64 v25, v2, v4, s2
	v_cmp_eq_u32_e64 s2, 2, v27
	v_cndmask_b32_e64 v24, v24, v7, s2
	v_cndmask_b32_e64 v25, v25, v6, s2
	;; [unrolled: 3-line block ×6, first 2 shown]
	ds_read_b64 v[24:25], v26 offset:24
	v_cmp_eq_u32_e64 s2, 8, v27
	v_cndmask_b32_e64 v28, v28, v17, s3
	v_cndmask_b32_e64 v29, v29, v16, s3
	;; [unrolled: 1-line block ×4, first 2 shown]
	v_cmp_eq_u32_e64 s2, 9, v27
	v_cndmask_b32_e64 v28, v28, v21, s2
	v_cndmask_b32_e64 v27, v29, v20, s2
	s_waitcnt lgkmcnt(0)
	v_fma_f64 v[22:23], v[27:28], v[24:25], v[22:23]
	s_and_saveexec_b32 s3, s1
	s_cbranch_execz .LBB9_55
; %bb.48:
	v_or_b32_e32 v27, 4, v0
	s_mov_b32 s10, exec_lo
	v_cmp_eq_u32_e64 s1, 1, v27
	v_cmp_eq_u32_e64 s2, 7, v27
	v_cndmask_b32_e64 v24, v3, v5, s1
	v_cndmask_b32_e64 v25, v2, v4, s1
	v_cmp_eq_u32_e64 s1, 2, v27
	v_cndmask_b32_e64 v24, v24, v7, s1
	v_cndmask_b32_e64 v25, v25, v6, s1
	v_cmp_eq_u32_e64 s1, 3, v27
	v_cndmask_b32_e64 v24, v24, v9, s1
	v_cndmask_b32_e64 v25, v25, v8, s1
	v_cmp_eq_u32_e64 s1, 4, v27
	v_cndmask_b32_e64 v24, v24, v11, s1
	v_cndmask_b32_e64 v25, v25, v10, s1
	v_cmp_eq_u32_e64 s1, 5, v27
	v_cndmask_b32_e64 v24, v24, v13, s1
	v_cndmask_b32_e64 v25, v25, v12, s1
	v_cmp_eq_u32_e64 s1, 6, v27
	v_cndmask_b32_e64 v28, v24, v15, s1
	v_cndmask_b32_e64 v29, v25, v14, s1
	ds_read_b64 v[24:25], v26 offset:32
	v_cmp_eq_u32_e64 s1, 8, v27
	v_cndmask_b32_e64 v28, v28, v17, s2
	v_cndmask_b32_e64 v29, v29, v16, s2
	;; [unrolled: 1-line block ×4, first 2 shown]
	v_cmp_eq_u32_e64 s1, 9, v27
	v_cndmask_b32_e64 v28, v28, v21, s1
	v_cndmask_b32_e64 v27, v29, v20, s1
	s_waitcnt lgkmcnt(0)
	v_fma_f64 v[22:23], v[27:28], v[24:25], v[22:23]
	v_cmpx_ne_u32_e32 3, v0
	s_cbranch_execz .LBB9_54
; %bb.49:
	v_add_nc_u32_e32 v27, 5, v0
	v_cmp_eq_u32_e64 s1, 1, v27
	v_cmp_eq_u32_e64 s2, 7, v27
	v_cndmask_b32_e64 v24, v3, v5, s1
	v_cndmask_b32_e64 v25, v2, v4, s1
	v_cmp_eq_u32_e64 s1, 2, v27
	v_cndmask_b32_e64 v24, v24, v7, s1
	v_cndmask_b32_e64 v25, v25, v6, s1
	;; [unrolled: 3-line block ×6, first 2 shown]
	ds_read_b64 v[24:25], v26 offset:40
	v_cmp_eq_u32_e64 s1, 8, v27
	v_cndmask_b32_e64 v28, v28, v17, s2
	v_cndmask_b32_e64 v29, v29, v16, s2
	;; [unrolled: 1-line block ×4, first 2 shown]
	v_cmp_eq_u32_e64 s1, 9, v27
	v_cndmask_b32_e64 v28, v28, v21, s1
	v_cndmask_b32_e64 v27, v29, v20, s1
	s_waitcnt lgkmcnt(0)
	v_fma_f64 v[22:23], v[27:28], v[24:25], v[22:23]
	s_and_saveexec_b32 s2, vcc_lo
	s_cbranch_execz .LBB9_53
; %bb.50:
	v_or_b32_e32 v27, 6, v0
	v_cmp_eq_u32_e32 vcc_lo, 1, v27
	v_cmp_eq_u32_e64 s1, 7, v27
	v_cndmask_b32_e32 v24, v3, v5, vcc_lo
	v_cndmask_b32_e32 v25, v2, v4, vcc_lo
	v_cmp_eq_u32_e32 vcc_lo, 2, v27
	v_cndmask_b32_e32 v24, v24, v7, vcc_lo
	v_cndmask_b32_e32 v25, v25, v6, vcc_lo
	v_cmp_eq_u32_e32 vcc_lo, 3, v27
	;; [unrolled: 3-line block ×5, first 2 shown]
	v_cndmask_b32_e32 v28, v24, v15, vcc_lo
	v_cndmask_b32_e32 v29, v25, v14, vcc_lo
	ds_read_b64 v[24:25], v26 offset:48
	v_cmp_eq_u32_e32 vcc_lo, 8, v27
	v_cndmask_b32_e64 v28, v28, v17, s1
	v_cndmask_b32_e64 v29, v29, v16, s1
	v_cndmask_b32_e32 v19, v28, v19, vcc_lo
	v_cndmask_b32_e32 v18, v29, v18, vcc_lo
	v_cmp_eq_u32_e32 vcc_lo, 9, v27
	v_cndmask_b32_e32 v19, v19, v21, vcc_lo
	v_cndmask_b32_e32 v18, v18, v20, vcc_lo
	s_waitcnt lgkmcnt(0)
	v_fma_f64 v[22:23], v[18:19], v[24:25], v[22:23]
	s_and_saveexec_b32 s1, s0
	s_cbranch_execz .LBB9_52
; %bb.51:
	ds_read_b64 v[18:19], v26 offset:56
	s_waitcnt lgkmcnt(0)
	v_fma_f64 v[22:23], v[16:17], v[18:19], v[22:23]
.LBB9_52:
	s_or_b32 exec_lo, exec_lo, s1
.LBB9_53:
	s_or_b32 exec_lo, exec_lo, s2
.LBB9_54:
	s_or_b32 exec_lo, exec_lo, s10
.LBB9_55:
	s_or_b32 exec_lo, exec_lo, s3
.LBB9_56:
	s_or_b32 exec_lo, exec_lo, s9
.LBB9_57:
	s_or_b32 exec_lo, exec_lo, s4
.LBB9_58:
	s_or_b32 exec_lo, exec_lo, s8
	v_mov_b32_e32 v18, 0
	ds_read_b64 v[18:19], v18 offset:64
	s_waitcnt lgkmcnt(0)
	v_mul_f64 v[18:19], v[22:23], v[18:19]
.LBB9_59:
	s_or_b32 exec_lo, exec_lo, s5
	s_mov_b32 s1, exec_lo
	s_barrier
	buffer_gl0_inv
	ds_write_b64 v26, v[20:21]
	s_waitcnt lgkmcnt(0)
	s_barrier
	buffer_gl0_inv
	v_cmpx_ne_u32_e32 9, v0
	s_cbranch_execz .LBB9_63
; %bb.60:
	v_mov_b32_e32 v22, 0
	v_mov_b32_e32 v25, v1
	v_lshl_add_u32 v26, v0, 3, 0x50
	v_mov_b32_e32 v23, 0
	v_mov_b32_e32 v24, v0
	s_mov_b32 s2, 0
.LBB9_61:                               ; =>This Inner Loop Header: Depth=1
	v_cmp_eq_u32_e32 vcc_lo, 1, v24
	v_cmp_eq_u32_e64 s0, 2, v24
	v_cndmask_b32_e32 v1, v3, v5, vcc_lo
	v_cndmask_b32_e32 v27, v2, v4, vcc_lo
	v_cmp_eq_u32_e32 vcc_lo, 3, v24
	v_cndmask_b32_e64 v1, v1, v7, s0
	v_cndmask_b32_e64 v27, v27, v6, s0
	v_cmp_eq_u32_e64 s0, 4, v24
	v_cndmask_b32_e32 v1, v1, v9, vcc_lo
	v_cndmask_b32_e32 v27, v27, v8, vcc_lo
	v_cmp_eq_u32_e32 vcc_lo, 5, v24
	v_cndmask_b32_e64 v1, v1, v11, s0
	v_cndmask_b32_e64 v27, v27, v10, s0
	v_cmp_eq_u32_e64 s0, 6, v24
	v_cndmask_b32_e32 v1, v1, v13, vcc_lo
	v_cndmask_b32_e32 v29, v27, v12, vcc_lo
	ds_read_b64 v[27:28], v26
	v_cmp_eq_u32_e32 vcc_lo, 7, v24
	v_add_nc_u32_e32 v26, 8, v26
	v_cndmask_b32_e64 v1, v1, v15, s0
	v_cndmask_b32_e64 v29, v29, v14, s0
	v_cmp_eq_u32_e64 s0, 8, v24
	v_cndmask_b32_e32 v1, v1, v17, vcc_lo
	v_cndmask_b32_e32 v29, v29, v16, vcc_lo
	v_cmp_eq_u32_e32 vcc_lo, 9, v24
	v_cndmask_b32_e64 v1, v1, v19, s0
	v_cndmask_b32_e64 v29, v29, v18, s0
	v_cndmask_b32_e32 v30, v1, v21, vcc_lo
	v_cndmask_b32_e32 v29, v29, v20, vcc_lo
	v_add_co_u32 v24, vcc_lo, v24, 1
	v_add_co_ci_u32_e64 v25, null, 0, v25, vcc_lo
	s_waitcnt lgkmcnt(0)
	v_fma_f64 v[22:23], v[29:30], v[27:28], v[22:23]
	v_add_nc_u32_e32 v1, -1, v24
	v_cmp_lt_u32_e32 vcc_lo, 7, v1
	s_or_b32 s2, vcc_lo, s2
	s_andn2_b32 exec_lo, exec_lo, s2
	s_cbranch_execnz .LBB9_61
; %bb.62:
	s_or_b32 exec_lo, exec_lo, s2
	v_mov_b32_e32 v1, 0
	ds_read_b64 v[20:21], v1 offset:72
	s_waitcnt lgkmcnt(0)
	v_mul_f64 v[20:21], v[22:23], v[20:21]
.LBB9_63:
	s_or_b32 exec_lo, exec_lo, s1
	s_barrier
	buffer_gl0_inv
	s_cbranch_execnz .LBB9_15
	s_branch .LBB9_16
.LBB9_64:
	v_lshl_add_u32 v1, v0, 3, 0x50
	s_mov_b32 s0, exec_lo
	v_cmpx_eq_u32_e32 9, v0
	s_cbranch_execz .LBB9_66
; %bb.65:
	v_mov_b32_e32 v38, 0
	v_mov_b32_e32 v22, v2
	;; [unrolled: 1-line block ×20, first 2 shown]
	ds_write_b64 v1, v[18:19]
	v_mov_b32_e32 v2, v22
	v_mov_b32_e32 v3, v23
	;; [unrolled: 1-line block ×32, first 2 shown]
.LBB9_66:
	s_or_b32 exec_lo, exec_lo, s0
	v_mov_b32_e32 v36, 0
	s_waitcnt lgkmcnt(0)
	s_waitcnt_vscnt null, 0x0
	s_barrier
	buffer_gl0_inv
	s_mov_b32 s0, exec_lo
	ds_read_b64 v[22:23], v36 offset:152
	s_waitcnt lgkmcnt(0)
	v_fma_f64 v[22:23], v[20:21], v[22:23], 0
	v_add_f64 v[18:19], v[18:19], -v[22:23]
	v_cmpx_lt_u32_e32 7, v0
	s_cbranch_execz .LBB9_68
; %bb.67:
	v_mov_b32_e32 v22, v2
	v_mov_b32_e32 v34, v14
	;; [unrolled: 1-line block ×19, first 2 shown]
	ds_write_b64 v1, v[16:17]
	v_mov_b32_e32 v2, v22
	v_mov_b32_e32 v3, v23
	;; [unrolled: 1-line block ×32, first 2 shown]
.LBB9_68:
	s_or_b32 exec_lo, exec_lo, s0
	s_waitcnt lgkmcnt(0)
	s_barrier
	buffer_gl0_inv
	ds_read_b128 v[22:25], v36 offset:144
	s_mov_b32 s0, exec_lo
	s_waitcnt lgkmcnt(0)
	v_fma_f64 v[22:23], v[18:19], v[22:23], 0
	v_fma_f64 v[22:23], v[20:21], v[24:25], v[22:23]
	v_add_f64 v[16:17], v[16:17], -v[22:23]
	v_cmpx_lt_u32_e32 6, v0
	s_cbranch_execz .LBB9_70
; %bb.69:
	v_mov_b32_e32 v34, 0
	v_mov_b32_e32 v22, v2
	;; [unrolled: 1-line block ×20, first 2 shown]
	ds_write_b64 v1, v[14:15]
	v_mov_b32_e32 v2, v22
	v_mov_b32_e32 v3, v23
	;; [unrolled: 1-line block ×32, first 2 shown]
.LBB9_70:
	s_or_b32 exec_lo, exec_lo, s0
	v_mov_b32_e32 v34, 0
	s_waitcnt lgkmcnt(0)
	s_barrier
	buffer_gl0_inv
	s_mov_b32 s0, exec_lo
	ds_read2_b64 v[22:25], v34 offset0:17 offset1:18
	ds_read_b64 v[26:27], v34 offset:152
	s_waitcnt lgkmcnt(1)
	v_fma_f64 v[22:23], v[16:17], v[22:23], 0
	v_fma_f64 v[22:23], v[18:19], v[24:25], v[22:23]
	s_waitcnt lgkmcnt(0)
	v_fma_f64 v[22:23], v[20:21], v[26:27], v[22:23]
	v_add_f64 v[14:15], v[14:15], -v[22:23]
	v_cmpx_lt_u32_e32 5, v0
	s_cbranch_execz .LBB9_72
; %bb.71:
	v_mov_b32_e32 v24, v2
	v_mov_b32_e32 v35, v34
	;; [unrolled: 1-line block ×19, first 2 shown]
	ds_write_b64 v1, v[12:13]
	v_mov_b32_e32 v2, v24
	v_mov_b32_e32 v3, v25
	;; [unrolled: 1-line block ×32, first 2 shown]
.LBB9_72:
	s_or_b32 exec_lo, exec_lo, s0
	s_waitcnt lgkmcnt(0)
	s_barrier
	buffer_gl0_inv
	ds_read_b128 v[22:25], v34 offset:128
	ds_read_b128 v[26:29], v34 offset:144
	s_mov_b32 s0, exec_lo
	s_waitcnt lgkmcnt(1)
	v_fma_f64 v[22:23], v[14:15], v[22:23], 0
	v_fma_f64 v[22:23], v[16:17], v[24:25], v[22:23]
	s_waitcnt lgkmcnt(0)
	v_fma_f64 v[22:23], v[18:19], v[26:27], v[22:23]
	v_fma_f64 v[22:23], v[20:21], v[28:29], v[22:23]
	v_add_f64 v[12:13], v[12:13], -v[22:23]
	v_cmpx_lt_u32_e32 4, v0
	s_cbranch_execz .LBB9_74
; %bb.73:
	v_mov_b32_e32 v30, 0
	v_mov_b32_e32 v22, v2
	;; [unrolled: 1-line block ×20, first 2 shown]
	ds_write_b64 v1, v[10:11]
	v_mov_b32_e32 v2, v22
	v_mov_b32_e32 v3, v23
	;; [unrolled: 1-line block ×32, first 2 shown]
.LBB9_74:
	s_or_b32 exec_lo, exec_lo, s0
	v_mov_b32_e32 v34, 0
	s_waitcnt lgkmcnt(0)
	s_barrier
	buffer_gl0_inv
	s_mov_b32 s0, exec_lo
	ds_read2_b64 v[22:25], v34 offset0:15 offset1:16
	ds_read2_b64 v[26:29], v34 offset0:17 offset1:18
	s_waitcnt lgkmcnt(1)
	v_fma_f64 v[22:23], v[12:13], v[22:23], 0
	v_fma_f64 v[22:23], v[14:15], v[24:25], v[22:23]
	ds_read_b64 v[24:25], v34 offset:152
	s_waitcnt lgkmcnt(1)
	v_fma_f64 v[22:23], v[16:17], v[26:27], v[22:23]
	v_fma_f64 v[22:23], v[18:19], v[28:29], v[22:23]
	s_waitcnt lgkmcnt(0)
	v_fma_f64 v[22:23], v[20:21], v[24:25], v[22:23]
	v_add_f64 v[10:11], v[10:11], -v[22:23]
	v_cmpx_lt_u32_e32 3, v0
	s_cbranch_execz .LBB9_76
; %bb.75:
	v_mov_b32_e32 v28, v2
	v_mov_b32_e32 v35, v34
	;; [unrolled: 1-line block ×19, first 2 shown]
	ds_write_b64 v1, v[8:9]
	v_mov_b32_e32 v2, v28
	v_mov_b32_e32 v3, v29
	;; [unrolled: 1-line block ×32, first 2 shown]
.LBB9_76:
	s_or_b32 exec_lo, exec_lo, s0
	s_waitcnt lgkmcnt(0)
	s_barrier
	buffer_gl0_inv
	ds_read_b128 v[22:25], v34 offset:112
	ds_read_b128 v[26:29], v34 offset:128
	s_mov_b32 s0, exec_lo
	s_waitcnt lgkmcnt(1)
	v_fma_f64 v[22:23], v[10:11], v[22:23], 0
	v_fma_f64 v[22:23], v[12:13], v[24:25], v[22:23]
	s_waitcnt lgkmcnt(0)
	v_fma_f64 v[22:23], v[14:15], v[26:27], v[22:23]
	v_fma_f64 v[26:27], v[16:17], v[28:29], v[22:23]
	ds_read_b128 v[22:25], v34 offset:144
	s_waitcnt lgkmcnt(0)
	v_fma_f64 v[22:23], v[18:19], v[22:23], v[26:27]
	v_fma_f64 v[22:23], v[20:21], v[24:25], v[22:23]
	v_add_f64 v[8:9], v[8:9], -v[22:23]
	v_cmpx_lt_u32_e32 2, v0
	s_cbranch_execz .LBB9_78
; %bb.77:
	v_mov_b32_e32 v26, 0
	v_mov_b32_e32 v22, v2
	;; [unrolled: 1-line block ×20, first 2 shown]
	ds_write_b64 v1, v[6:7]
	v_mov_b32_e32 v2, v22
	v_mov_b32_e32 v3, v23
	;; [unrolled: 1-line block ×32, first 2 shown]
.LBB9_78:
	s_or_b32 exec_lo, exec_lo, s0
	v_mov_b32_e32 v34, 0
	s_waitcnt lgkmcnt(0)
	s_barrier
	buffer_gl0_inv
	s_mov_b32 s0, exec_lo
	ds_read2_b64 v[22:25], v34 offset0:13 offset1:14
	ds_read2_b64 v[26:29], v34 offset0:15 offset1:16
	s_waitcnt lgkmcnt(1)
	v_fma_f64 v[22:23], v[8:9], v[22:23], 0
	v_fma_f64 v[22:23], v[10:11], v[24:25], v[22:23]
	s_waitcnt lgkmcnt(0)
	v_fma_f64 v[22:23], v[12:13], v[26:27], v[22:23]
	v_fma_f64 v[26:27], v[14:15], v[28:29], v[22:23]
	ds_read2_b64 v[22:25], v34 offset0:17 offset1:18
	ds_read_b64 v[28:29], v34 offset:152
	s_waitcnt lgkmcnt(1)
	v_fma_f64 v[22:23], v[16:17], v[22:23], v[26:27]
	v_fma_f64 v[22:23], v[18:19], v[24:25], v[22:23]
	s_waitcnt lgkmcnt(0)
	v_fma_f64 v[22:23], v[20:21], v[28:29], v[22:23]
	v_add_f64 v[6:7], v[6:7], -v[22:23]
	v_cmpx_lt_u32_e32 1, v0
	s_cbranch_execz .LBB9_80
; %bb.79:
	v_mov_b32_e32 v32, v2
	v_mov_b32_e32 v35, v34
	v_mov_b32_e32 v36, v6
	v_mov_b32_e32 v37, v7
	v_mov_b32_e32 v38, v8
	v_mov_b32_e32 v39, v9
	v_mov_b32_e32 v40, v10
	v_mov_b32_e32 v41, v11
	v_mov_b32_e32 v42, v12
	v_mov_b32_e32 v43, v13
	v_mov_b32_e32 v44, v14
	v_mov_b32_e32 v45, v15
	v_mov_b32_e32 v46, v16
	v_mov_b32_e32 v47, v17
	v_mov_b32_e32 v48, v18
	v_mov_b32_e32 v49, v19
	v_mov_b32_e32 v50, v20
	v_mov_b32_e32 v51, v21
	v_mov_b32_e32 v33, v3
	ds_write_b64 v1, v[4:5]
	v_mov_b32_e32 v2, v32
	v_mov_b32_e32 v3, v33
	;; [unrolled: 1-line block ×32, first 2 shown]
.LBB9_80:
	s_or_b32 exec_lo, exec_lo, s0
	s_waitcnt lgkmcnt(0)
	s_barrier
	buffer_gl0_inv
	ds_read_b128 v[22:25], v34 offset:96
	ds_read_b128 v[26:29], v34 offset:112
	s_mov_b32 s0, exec_lo
	s_waitcnt lgkmcnt(1)
	v_fma_f64 v[22:23], v[6:7], v[22:23], 0
	v_fma_f64 v[22:23], v[8:9], v[24:25], v[22:23]
	s_waitcnt lgkmcnt(0)
	v_fma_f64 v[22:23], v[10:11], v[26:27], v[22:23]
	v_fma_f64 v[30:31], v[12:13], v[28:29], v[22:23]
	ds_read_b128 v[22:25], v34 offset:128
	ds_read_b128 v[26:29], v34 offset:144
	s_waitcnt lgkmcnt(1)
	v_fma_f64 v[22:23], v[14:15], v[22:23], v[30:31]
	v_fma_f64 v[22:23], v[16:17], v[24:25], v[22:23]
	s_waitcnt lgkmcnt(0)
	v_fma_f64 v[22:23], v[18:19], v[26:27], v[22:23]
	v_fma_f64 v[22:23], v[20:21], v[28:29], v[22:23]
	v_add_f64 v[4:5], v[4:5], -v[22:23]
	v_cmpx_ne_u32_e32 0, v0
	s_cbranch_execz .LBB9_82
; %bb.81:
	v_mov_b32_e32 v22, 0
	v_mov_b32_e32 v34, v14
	;; [unrolled: 1-line block ×20, first 2 shown]
	ds_write_b64 v1, v[2:3]
	v_mov_b32_e32 v2, v22
	v_mov_b32_e32 v3, v23
	;; [unrolled: 1-line block ×32, first 2 shown]
.LBB9_82:
	s_or_b32 exec_lo, exec_lo, s0
	v_mov_b32_e32 v0, 0
	s_waitcnt lgkmcnt(0)
	s_barrier
	buffer_gl0_inv
	s_and_b32 vcc_lo, exec_lo, s18
	ds_read2_b64 v[22:25], v0 offset0:11 offset1:12
	ds_read2_b64 v[26:29], v0 offset0:13 offset1:14
	s_waitcnt lgkmcnt(1)
	v_fma_f64 v[22:23], v[4:5], v[22:23], 0
	v_fma_f64 v[22:23], v[6:7], v[24:25], v[22:23]
	s_waitcnt lgkmcnt(0)
	v_fma_f64 v[22:23], v[8:9], v[26:27], v[22:23]
	v_fma_f64 v[30:31], v[10:11], v[28:29], v[22:23]
	ds_read2_b64 v[22:25], v0 offset0:15 offset1:16
	ds_read2_b64 v[26:29], v0 offset0:17 offset1:18
	s_waitcnt lgkmcnt(1)
	v_fma_f64 v[22:23], v[12:13], v[22:23], v[30:31]
	v_fma_f64 v[22:23], v[14:15], v[24:25], v[22:23]
	ds_read_b64 v[24:25], v0 offset:152
	s_waitcnt lgkmcnt(1)
	v_fma_f64 v[22:23], v[16:17], v[26:27], v[22:23]
	v_fma_f64 v[22:23], v[18:19], v[28:29], v[22:23]
	s_waitcnt lgkmcnt(0)
	v_fma_f64 v[22:23], v[20:21], v[24:25], v[22:23]
	v_add_f64 v[2:3], v[2:3], -v[22:23]
	s_cbranch_vccz .LBB9_101
; %bb.83:
	global_load_dword v0, v0, s[16:17] offset:32
	s_waitcnt vmcnt(0)
	v_readfirstlane_b32 s0, v0
	s_add_i32 s0, s0, -1
	s_cmp_lg_u32 s0, 8
	s_cbranch_scc0 .LBB9_85
; %bb.84:
	s_lshl_b32 m0, s0, 1
	v_movrels_b32_e32 v0, v2
	v_movrels_b32_e32 v1, v3
	v_mov_b32_e32 v51, v33
	v_mov_b32_e32 v50, v32
	;; [unrolled: 1-line block ×34, first 2 shown]
	v_movreld_b32_e32 v20, v18
	v_movreld_b32_e32 v21, v19
	v_mov_b32_e32 v2, v20
	v_mov_b32_e32 v3, v21
	;; [unrolled: 1-line block ×32, first 2 shown]
.LBB9_85:
	v_mov_b32_e32 v0, 0
	global_load_dword v1, v0, s[16:17] offset:28
	s_waitcnt vmcnt(0)
	v_readfirstlane_b32 s0, v1
	s_add_i32 s0, s0, -1
	s_cmp_eq_u32 s0, 7
	s_cbranch_scc1 .LBB9_87
; %bb.86:
	s_lshl_b32 m0, s0, 1
	v_movrels_b32_e32 v1, v2
	v_movrels_b32_e32 v50, v3
	v_mov_b32_e32 v49, v33
	v_mov_b32_e32 v48, v32
	;; [unrolled: 1-line block ×34, first 2 shown]
	v_movreld_b32_e32 v18, v16
	v_movreld_b32_e32 v19, v17
	v_mov_b32_e32 v2, v18
	v_mov_b32_e32 v3, v19
	;; [unrolled: 1-line block ×32, first 2 shown]
.LBB9_87:
	global_load_dword v0, v0, s[16:17] offset:24
	s_waitcnt vmcnt(0)
	v_readfirstlane_b32 s0, v0
	s_add_i32 s0, s0, -1
	s_cmp_eq_u32 s0, 6
	s_cbranch_scc1 .LBB9_89
; %bb.88:
	s_lshl_b32 m0, s0, 1
	v_movrels_b32_e32 v0, v2
	v_movrels_b32_e32 v1, v3
	v_mov_b32_e32 v47, v33
	v_mov_b32_e32 v46, v32
	;; [unrolled: 1-line block ×34, first 2 shown]
	v_movreld_b32_e32 v16, v14
	v_movreld_b32_e32 v17, v15
	v_mov_b32_e32 v2, v16
	v_mov_b32_e32 v3, v17
	;; [unrolled: 1-line block ×32, first 2 shown]
.LBB9_89:
	v_mov_b32_e32 v0, 0
	global_load_dword v1, v0, s[16:17] offset:20
	s_waitcnt vmcnt(0)
	v_readfirstlane_b32 s0, v1
	s_add_i32 s0, s0, -1
	s_cmp_eq_u32 s0, 5
	s_cbranch_scc1 .LBB9_91
; %bb.90:
	s_lshl_b32 m0, s0, 1
	v_movrels_b32_e32 v1, v2
	v_movrels_b32_e32 v46, v3
	v_mov_b32_e32 v45, v33
	v_mov_b32_e32 v44, v32
	v_mov_b32_e32 v43, v31
	v_mov_b32_e32 v42, v30
	v_mov_b32_e32 v41, v29
	v_mov_b32_e32 v40, v28
	v_mov_b32_e32 v39, v27
	v_mov_b32_e32 v38, v26
	v_mov_b32_e32 v37, v25
	v_mov_b32_e32 v36, v24
	v_mov_b32_e32 v35, v23
	v_mov_b32_e32 v34, v22
	v_mov_b32_e32 v33, v21
	v_mov_b32_e32 v32, v20
	v_mov_b32_e32 v31, v19
	v_mov_b32_e32 v30, v18
	v_mov_b32_e32 v29, v17
	v_mov_b32_e32 v28, v16
	v_mov_b32_e32 v27, v15
	v_mov_b32_e32 v26, v14
	v_mov_b32_e32 v25, v13
	v_mov_b32_e32 v24, v12
	v_mov_b32_e32 v23, v11
	v_mov_b32_e32 v22, v10
	v_mov_b32_e32 v21, v9
	v_mov_b32_e32 v20, v8
	v_mov_b32_e32 v19, v7
	v_mov_b32_e32 v18, v6
	v_mov_b32_e32 v17, v5
	v_mov_b32_e32 v16, v4
	v_mov_b32_e32 v15, v3
	v_mov_b32_e32 v14, v2
	v_mov_b32_e32 v24, v1
	v_mov_b32_e32 v25, v46
	v_movreld_b32_e32 v14, v12
	v_movreld_b32_e32 v15, v13
	v_mov_b32_e32 v2, v14
	v_mov_b32_e32 v3, v15
	;; [unrolled: 1-line block ×32, first 2 shown]
.LBB9_91:
	global_load_dword v0, v0, s[16:17] offset:16
	s_waitcnt vmcnt(0)
	v_readfirstlane_b32 s0, v0
	s_add_i32 s0, s0, -1
	s_cmp_eq_u32 s0, 4
	s_cbranch_scc1 .LBB9_93
; %bb.92:
	s_lshl_b32 m0, s0, 1
	v_movrels_b32_e32 v0, v2
	v_movrels_b32_e32 v1, v3
	v_mov_b32_e32 v43, v33
	v_mov_b32_e32 v42, v32
	;; [unrolled: 1-line block ×34, first 2 shown]
	v_movreld_b32_e32 v12, v10
	v_movreld_b32_e32 v13, v11
	v_mov_b32_e32 v2, v12
	v_mov_b32_e32 v3, v13
	;; [unrolled: 1-line block ×32, first 2 shown]
.LBB9_93:
	v_mov_b32_e32 v0, 0
	global_load_dword v1, v0, s[16:17] offset:12
	s_waitcnt vmcnt(0)
	v_readfirstlane_b32 s0, v1
	s_add_i32 s0, s0, -1
	s_cmp_eq_u32 s0, 3
	s_cbranch_scc1 .LBB9_95
; %bb.94:
	s_lshl_b32 m0, s0, 1
	v_movrels_b32_e32 v1, v2
	v_movrels_b32_e32 v42, v3
	v_mov_b32_e32 v41, v33
	v_mov_b32_e32 v40, v32
	;; [unrolled: 1-line block ×34, first 2 shown]
	v_movreld_b32_e32 v10, v8
	v_movreld_b32_e32 v11, v9
	v_mov_b32_e32 v2, v10
	v_mov_b32_e32 v3, v11
	;; [unrolled: 1-line block ×32, first 2 shown]
.LBB9_95:
	global_load_dword v0, v0, s[16:17] offset:8
	s_waitcnt vmcnt(0)
	v_readfirstlane_b32 s0, v0
	s_add_i32 s0, s0, -1
	s_cmp_eq_u32 s0, 2
	s_cbranch_scc1 .LBB9_97
; %bb.96:
	s_lshl_b32 m0, s0, 1
	v_movrels_b32_e32 v0, v2
	v_movrels_b32_e32 v1, v3
	v_mov_b32_e32 v39, v33
	v_mov_b32_e32 v38, v32
	;; [unrolled: 1-line block ×34, first 2 shown]
	v_movreld_b32_e32 v8, v6
	v_movreld_b32_e32 v9, v7
	v_mov_b32_e32 v2, v8
	v_mov_b32_e32 v3, v9
	;; [unrolled: 1-line block ×32, first 2 shown]
.LBB9_97:
	v_mov_b32_e32 v0, 0
	global_load_dword v1, v0, s[16:17] offset:4
	s_waitcnt vmcnt(0)
	v_readfirstlane_b32 s0, v1
	s_add_i32 s0, s0, -1
	s_cmp_eq_u32 s0, 1
	s_cbranch_scc1 .LBB9_99
; %bb.98:
	s_lshl_b32 m0, s0, 1
	v_movrels_b32_e32 v1, v2
	v_movrels_b32_e32 v38, v3
	v_mov_b32_e32 v37, v33
	v_mov_b32_e32 v36, v32
	;; [unrolled: 1-line block ×34, first 2 shown]
	v_movreld_b32_e32 v6, v4
	v_movreld_b32_e32 v7, v5
	v_mov_b32_e32 v2, v6
	v_mov_b32_e32 v3, v7
	;; [unrolled: 1-line block ×32, first 2 shown]
.LBB9_99:
	global_load_dword v0, v0, s[16:17]
	s_waitcnt vmcnt(0)
	v_readfirstlane_b32 s0, v0
	s_add_i32 s0, s0, -1
	s_cmp_eq_u32 s0, 0
	s_cbranch_scc1 .LBB9_101
; %bb.100:
	s_lshl_b32 m0, s0, 1
	v_movrels_b32_e32 v0, v2
	v_movrels_b32_e32 v1, v3
	v_mov_b32_e32 v35, v33
	v_mov_b32_e32 v34, v32
	;; [unrolled: 1-line block ×34, first 2 shown]
	v_movreld_b32_e32 v4, v2
	v_movreld_b32_e32 v5, v3
	v_mov_b32_e32 v2, v4
	v_mov_b32_e32 v3, v5
	;; [unrolled: 1-line block ×32, first 2 shown]
.LBB9_101:
	global_store_dwordx2 v[52:53], v[2:3], off
	global_store_dwordx2 v[54:55], v[4:5], off
	;; [unrolled: 1-line block ×10, first 2 shown]
	s_endpgm
	.section	.rodata,"a",@progbits
	.p2align	6, 0x0
	.amdhsa_kernel _ZN9rocsolver6v33100L18getri_kernel_smallILi10EdPdEEvT1_iilPiilS4_bb
		.amdhsa_group_segment_fixed_size 168
		.amdhsa_private_segment_fixed_size 0
		.amdhsa_kernarg_size 60
		.amdhsa_user_sgpr_count 6
		.amdhsa_user_sgpr_private_segment_buffer 1
		.amdhsa_user_sgpr_dispatch_ptr 0
		.amdhsa_user_sgpr_queue_ptr 0
		.amdhsa_user_sgpr_kernarg_segment_ptr 1
		.amdhsa_user_sgpr_dispatch_id 0
		.amdhsa_user_sgpr_flat_scratch_init 0
		.amdhsa_user_sgpr_private_segment_size 0
		.amdhsa_wavefront_size32 1
		.amdhsa_uses_dynamic_stack 0
		.amdhsa_system_sgpr_private_segment_wavefront_offset 0
		.amdhsa_system_sgpr_workgroup_id_x 1
		.amdhsa_system_sgpr_workgroup_id_y 0
		.amdhsa_system_sgpr_workgroup_id_z 0
		.amdhsa_system_sgpr_workgroup_info 0
		.amdhsa_system_vgpr_workitem_id 0
		.amdhsa_next_free_vgpr 72
		.amdhsa_next_free_sgpr 19
		.amdhsa_reserve_vcc 1
		.amdhsa_reserve_flat_scratch 0
		.amdhsa_float_round_mode_32 0
		.amdhsa_float_round_mode_16_64 0
		.amdhsa_float_denorm_mode_32 3
		.amdhsa_float_denorm_mode_16_64 3
		.amdhsa_dx10_clamp 1
		.amdhsa_ieee_mode 1
		.amdhsa_fp16_overflow 0
		.amdhsa_workgroup_processor_mode 1
		.amdhsa_memory_ordered 1
		.amdhsa_forward_progress 1
		.amdhsa_shared_vgpr_count 0
		.amdhsa_exception_fp_ieee_invalid_op 0
		.amdhsa_exception_fp_denorm_src 0
		.amdhsa_exception_fp_ieee_div_zero 0
		.amdhsa_exception_fp_ieee_overflow 0
		.amdhsa_exception_fp_ieee_underflow 0
		.amdhsa_exception_fp_ieee_inexact 0
		.amdhsa_exception_int_div_zero 0
	.end_amdhsa_kernel
	.section	.text._ZN9rocsolver6v33100L18getri_kernel_smallILi10EdPdEEvT1_iilPiilS4_bb,"axG",@progbits,_ZN9rocsolver6v33100L18getri_kernel_smallILi10EdPdEEvT1_iilPiilS4_bb,comdat
.Lfunc_end9:
	.size	_ZN9rocsolver6v33100L18getri_kernel_smallILi10EdPdEEvT1_iilPiilS4_bb, .Lfunc_end9-_ZN9rocsolver6v33100L18getri_kernel_smallILi10EdPdEEvT1_iilPiilS4_bb
                                        ; -- End function
	.set _ZN9rocsolver6v33100L18getri_kernel_smallILi10EdPdEEvT1_iilPiilS4_bb.num_vgpr, 72
	.set _ZN9rocsolver6v33100L18getri_kernel_smallILi10EdPdEEvT1_iilPiilS4_bb.num_agpr, 0
	.set _ZN9rocsolver6v33100L18getri_kernel_smallILi10EdPdEEvT1_iilPiilS4_bb.numbered_sgpr, 19
	.set _ZN9rocsolver6v33100L18getri_kernel_smallILi10EdPdEEvT1_iilPiilS4_bb.num_named_barrier, 0
	.set _ZN9rocsolver6v33100L18getri_kernel_smallILi10EdPdEEvT1_iilPiilS4_bb.private_seg_size, 0
	.set _ZN9rocsolver6v33100L18getri_kernel_smallILi10EdPdEEvT1_iilPiilS4_bb.uses_vcc, 1
	.set _ZN9rocsolver6v33100L18getri_kernel_smallILi10EdPdEEvT1_iilPiilS4_bb.uses_flat_scratch, 0
	.set _ZN9rocsolver6v33100L18getri_kernel_smallILi10EdPdEEvT1_iilPiilS4_bb.has_dyn_sized_stack, 0
	.set _ZN9rocsolver6v33100L18getri_kernel_smallILi10EdPdEEvT1_iilPiilS4_bb.has_recursion, 0
	.set _ZN9rocsolver6v33100L18getri_kernel_smallILi10EdPdEEvT1_iilPiilS4_bb.has_indirect_call, 0
	.section	.AMDGPU.csdata,"",@progbits
; Kernel info:
; codeLenInByte = 11772
; TotalNumSgprs: 21
; NumVgprs: 72
; ScratchSize: 0
; MemoryBound: 0
; FloatMode: 240
; IeeeMode: 1
; LDSByteSize: 168 bytes/workgroup (compile time only)
; SGPRBlocks: 0
; VGPRBlocks: 8
; NumSGPRsForWavesPerEU: 21
; NumVGPRsForWavesPerEU: 72
; Occupancy: 12
; WaveLimiterHint : 0
; COMPUTE_PGM_RSRC2:SCRATCH_EN: 0
; COMPUTE_PGM_RSRC2:USER_SGPR: 6
; COMPUTE_PGM_RSRC2:TRAP_HANDLER: 0
; COMPUTE_PGM_RSRC2:TGID_X_EN: 1
; COMPUTE_PGM_RSRC2:TGID_Y_EN: 0
; COMPUTE_PGM_RSRC2:TGID_Z_EN: 0
; COMPUTE_PGM_RSRC2:TIDIG_COMP_CNT: 0
	.section	.text._ZN9rocsolver6v33100L18getri_kernel_smallILi11EdPdEEvT1_iilPiilS4_bb,"axG",@progbits,_ZN9rocsolver6v33100L18getri_kernel_smallILi11EdPdEEvT1_iilPiilS4_bb,comdat
	.globl	_ZN9rocsolver6v33100L18getri_kernel_smallILi11EdPdEEvT1_iilPiilS4_bb ; -- Begin function _ZN9rocsolver6v33100L18getri_kernel_smallILi11EdPdEEvT1_iilPiilS4_bb
	.p2align	8
	.type	_ZN9rocsolver6v33100L18getri_kernel_smallILi11EdPdEEvT1_iilPiilS4_bb,@function
_ZN9rocsolver6v33100L18getri_kernel_smallILi11EdPdEEvT1_iilPiilS4_bb: ; @_ZN9rocsolver6v33100L18getri_kernel_smallILi11EdPdEEvT1_iilPiilS4_bb
; %bb.0:
	s_mov_b32 s0, exec_lo
	v_cmpx_gt_u32_e32 11, v0
	s_cbranch_execz .LBB10_16
; %bb.1:
	s_clause 0x2
	s_load_dword s0, s[4:5], 0x38
	s_load_dwordx4 s[8:11], s[4:5], 0x10
	s_load_dwordx4 s[12:15], s[4:5], 0x28
                                        ; implicit-def: $sgpr16_sgpr17
	s_waitcnt lgkmcnt(0)
	s_bitcmp1_b32 s0, 8
	s_cselect_b32 s18, -1, 0
	s_bfe_u32 s0, s0, 0x10008
	s_ashr_i32 s7, s6, 31
	s_cmp_eq_u32 s0, 0
	s_cbranch_scc1 .LBB10_3
; %bb.2:
	s_load_dword s0, s[4:5], 0x20
	s_mul_i32 s1, s12, s7
	s_mul_hi_u32 s2, s12, s6
	s_mul_i32 s3, s13, s6
	s_add_i32 s1, s2, s1
	s_mul_i32 s2, s12, s6
	s_add_i32 s3, s1, s3
	s_lshl_b64 s[2:3], s[2:3], 2
	s_waitcnt lgkmcnt(0)
	s_ashr_i32 s1, s0, 31
	s_add_u32 s2, s10, s2
	s_addc_u32 s3, s11, s3
	s_lshl_b64 s[0:1], s[0:1], 2
	s_add_u32 s16, s2, s0
	s_addc_u32 s17, s3, s1
.LBB10_3:
	s_clause 0x1
	s_load_dwordx4 s[0:3], s[4:5], 0x0
	s_load_dword s10, s[4:5], 0x38
	s_mul_i32 s4, s8, s7
	s_mul_hi_u32 s5, s8, s6
	s_mul_i32 s9, s9, s6
	s_add_i32 s5, s5, s4
	s_mul_i32 s4, s8, s6
	s_add_i32 s5, s5, s9
	v_lshlrev_b32_e32 v26, 3, v0
	s_lshl_b64 s[4:5], s[4:5], 3
	v_mov_b32_e32 v1, 0
	s_waitcnt lgkmcnt(0)
	v_add3_u32 v4, s3, s3, v0
	s_ashr_i32 s9, s2, 31
	s_mov_b32 s8, s2
	s_add_u32 s2, s0, s4
	s_addc_u32 s5, s1, s5
	v_add_nc_u32_e32 v6, s3, v4
	s_lshl_b64 s[0:1], s[8:9], 3
	v_ashrrev_i32_e32 v5, 31, v4
	s_add_u32 s0, s2, s0
	s_addc_u32 s1, s5, s1
	v_add_nc_u32_e32 v8, s3, v6
	v_add_co_u32 v56, s2, s0, v26
	s_mov_b32 s4, s3
	s_ashr_i32 s5, s3, 31
	v_lshlrev_b64 v[4:5], 3, v[4:5]
	v_add_co_ci_u32_e64 v57, null, s1, 0, s2
	s_lshl_b64 s[4:5], s[4:5], 3
	v_ashrrev_i32_e32 v9, 31, v8
	v_add_co_u32 v58, vcc_lo, v56, s4
	v_add_co_ci_u32_e64 v59, null, s5, v57, vcc_lo
	v_add_co_u32 v60, vcc_lo, s0, v4
	v_add_co_ci_u32_e64 v61, null, s1, v5, vcc_lo
	v_lshlrev_b64 v[4:5], 3, v[8:9]
	v_add_nc_u32_e32 v8, s3, v8
	v_ashrrev_i32_e32 v7, 31, v6
	global_load_dwordx2 v[2:3], v26, s[0:1]
	s_bitcmp0_b32 s10, 0
	v_add_nc_u32_e32 v12, s3, v8
	v_ashrrev_i32_e32 v9, 31, v8
	v_lshlrev_b64 v[6:7], 3, v[6:7]
	v_add_nc_u32_e32 v16, s3, v12
	v_lshlrev_b64 v[14:15], 3, v[8:9]
	v_ashrrev_i32_e32 v13, 31, v12
	v_add_co_u32 v62, vcc_lo, s0, v6
	v_ashrrev_i32_e32 v17, 31, v16
	v_add_nc_u32_e32 v18, s3, v16
	v_add_co_ci_u32_e64 v63, null, s1, v7, vcc_lo
	v_add_co_u32 v64, vcc_lo, s0, v4
	v_lshlrev_b64 v[12:13], 3, v[12:13]
	v_add_co_ci_u32_e64 v65, null, s1, v5, vcc_lo
	v_add_co_u32 v66, vcc_lo, s0, v14
	v_add_co_ci_u32_e64 v67, null, s1, v15, vcc_lo
	v_lshlrev_b64 v[14:15], 3, v[16:17]
	v_ashrrev_i32_e32 v19, 31, v18
	v_add_nc_u32_e32 v16, s3, v18
	v_add_co_u32 v68, vcc_lo, s0, v12
	v_add_co_ci_u32_e64 v69, null, s1, v13, vcc_lo
	v_lshlrev_b64 v[12:13], 3, v[18:19]
	v_add_nc_u32_e32 v18, s3, v16
	v_ashrrev_i32_e32 v17, 31, v16
	v_add_co_u32 v70, vcc_lo, s0, v14
	v_add_co_ci_u32_e64 v71, null, s1, v15, vcc_lo
	v_ashrrev_i32_e32 v19, 31, v18
	v_lshlrev_b64 v[14:15], 3, v[16:17]
	v_add_co_u32 v72, vcc_lo, s0, v12
	v_add_co_ci_u32_e64 v73, null, s1, v13, vcc_lo
	v_lshlrev_b64 v[12:13], 3, v[18:19]
	v_add_co_u32 v76, vcc_lo, s0, v14
	v_add_co_ci_u32_e64 v77, null, s1, v15, vcc_lo
	s_clause 0x3
	global_load_dwordx2 v[4:5], v[58:59], off
	global_load_dwordx2 v[6:7], v[60:61], off
	;; [unrolled: 1-line block ×4, first 2 shown]
	v_add_co_u32 v74, vcc_lo, s0, v12
	v_add_co_ci_u32_e64 v75, null, s1, v13, vcc_lo
	s_clause 0x5
	global_load_dwordx2 v[12:13], v[66:67], off
	global_load_dwordx2 v[14:15], v[68:69], off
	global_load_dwordx2 v[16:17], v[70:71], off
	global_load_dwordx2 v[18:19], v[72:73], off
	global_load_dwordx2 v[20:21], v[76:77], off
	global_load_dwordx2 v[22:23], v[74:75], off
	s_mov_b32 s0, -1
	s_cbranch_scc1 .LBB10_14
; %bb.4:
	v_cmp_eq_u32_e64 s0, 0, v0
	s_and_saveexec_b32 s1, s0
; %bb.5:
	v_mov_b32_e32 v24, 0
	ds_write_b32 v24, v24 offset:88
; %bb.6:
	s_or_b32 exec_lo, exec_lo, s1
	v_cmp_eq_u32_e32 vcc_lo, 1, v0
	s_mov_b32 s2, exec_lo
	s_waitcnt vmcnt(0) lgkmcnt(0)
	s_barrier
	buffer_gl0_inv
	v_cndmask_b32_e32 v24, v3, v5, vcc_lo
	v_cndmask_b32_e32 v25, v2, v4, vcc_lo
	v_cmp_eq_u32_e32 vcc_lo, 2, v0
	v_cndmask_b32_e32 v24, v24, v7, vcc_lo
	v_cndmask_b32_e32 v25, v25, v6, vcc_lo
	v_cmp_eq_u32_e32 vcc_lo, 3, v0
	v_cndmask_b32_e32 v24, v24, v9, vcc_lo
	v_cndmask_b32_e32 v25, v25, v8, vcc_lo
	v_cmp_eq_u32_e32 vcc_lo, 4, v0
	v_cndmask_b32_e32 v24, v24, v11, vcc_lo
	v_cndmask_b32_e32 v25, v25, v10, vcc_lo
	v_cmp_eq_u32_e32 vcc_lo, 5, v0
	v_cndmask_b32_e32 v24, v24, v13, vcc_lo
	v_cndmask_b32_e32 v25, v25, v12, vcc_lo
	v_cmp_eq_u32_e32 vcc_lo, 6, v0
	v_cndmask_b32_e32 v24, v24, v15, vcc_lo
	v_cndmask_b32_e32 v25, v25, v14, vcc_lo
	v_cmp_eq_u32_e32 vcc_lo, 7, v0
	v_cndmask_b32_e32 v24, v24, v17, vcc_lo
	v_cndmask_b32_e32 v25, v25, v16, vcc_lo
	v_cmp_eq_u32_e32 vcc_lo, 8, v0
	v_cndmask_b32_e32 v24, v24, v19, vcc_lo
	v_cndmask_b32_e32 v25, v25, v18, vcc_lo
	v_cmp_eq_u32_e32 vcc_lo, 9, v0
	v_cndmask_b32_e32 v24, v24, v21, vcc_lo
	v_cndmask_b32_e32 v27, v25, v20, vcc_lo
	v_cmp_eq_u32_e32 vcc_lo, 10, v0
	v_cndmask_b32_e32 v25, v24, v23, vcc_lo
	v_cndmask_b32_e32 v24, v27, v22, vcc_lo
	v_cmpx_eq_f64_e32 0, v[24:25]
	s_cbranch_execz .LBB10_10
; %bb.7:
	v_mov_b32_e32 v27, 0
	s_mov_b32 s3, 0
	ds_read_b32 v28, v27 offset:88
	s_waitcnt lgkmcnt(0)
	v_readfirstlane_b32 s1, v28
	v_add_nc_u32_e32 v28, 1, v0
	s_cmp_eq_u32 s1, 0
	v_cmp_gt_i32_e32 vcc_lo, s1, v28
	s_cselect_b32 s4, -1, 0
	s_or_b32 s4, s4, vcc_lo
	s_and_b32 exec_lo, exec_lo, s4
	s_cbranch_execz .LBB10_10
; %bb.8:
	v_mov_b32_e32 v29, s1
.LBB10_9:                               ; =>This Inner Loop Header: Depth=1
	ds_cmpst_rtn_b32 v29, v27, v29, v28 offset:88
	s_waitcnt lgkmcnt(0)
	v_cmp_ne_u32_e32 vcc_lo, 0, v29
	v_cmp_le_i32_e64 s1, v29, v28
	s_and_b32 s1, vcc_lo, s1
	s_and_b32 s1, exec_lo, s1
	s_or_b32 s3, s1, s3
	s_andn2_b32 exec_lo, exec_lo, s3
	s_cbranch_execnz .LBB10_9
.LBB10_10:
	s_or_b32 exec_lo, exec_lo, s2
	v_mov_b32_e32 v27, 0
	s_barrier
	buffer_gl0_inv
	ds_read_b32 v28, v27 offset:88
	s_and_saveexec_b32 s1, s0
	s_cbranch_execz .LBB10_12
; %bb.11:
	s_lshl_b64 s[2:3], s[6:7], 2
	s_add_u32 s2, s14, s2
	s_addc_u32 s3, s15, s3
	s_waitcnt lgkmcnt(0)
	global_store_dword v27, v28, s[2:3]
.LBB10_12:
	s_or_b32 exec_lo, exec_lo, s1
	s_waitcnt lgkmcnt(0)
	v_cmp_ne_u32_e32 vcc_lo, 0, v28
	s_cbranch_vccz .LBB10_17
; %bb.13:
	s_mov_b32 s0, 0
                                        ; implicit-def: $vgpr2_vgpr3_vgpr4_vgpr5_vgpr6_vgpr7_vgpr8_vgpr9_vgpr10_vgpr11_vgpr12_vgpr13_vgpr14_vgpr15_vgpr16_vgpr17_vgpr18_vgpr19_vgpr20_vgpr21_vgpr22_vgpr23_vgpr24_vgpr25_vgpr26_vgpr27_vgpr28_vgpr29_vgpr30_vgpr31_vgpr32_vgpr33
.LBB10_14:
	s_and_b32 vcc_lo, exec_lo, s0
	s_cbranch_vccz .LBB10_16
.LBB10_15:
	s_lshl_b64 s[0:1], s[6:7], 2
	v_mov_b32_e32 v1, 0
	s_add_u32 s0, s14, s0
	s_addc_u32 s1, s15, s1
	global_load_dword v1, v1, s[0:1]
	s_waitcnt vmcnt(0)
	v_cmp_ne_u32_e32 vcc_lo, 0, v1
	s_cbranch_vccz .LBB10_68
.LBB10_16:
	s_endpgm
.LBB10_17:
	v_div_scale_f64 v[27:28], null, v[24:25], v[24:25], 1.0
	v_div_scale_f64 v[33:34], vcc_lo, 1.0, v[24:25], 1.0
	v_cmp_eq_u32_e64 s1, 9, v0
	v_cmp_eq_u32_e64 s2, 8, v0
	;; [unrolled: 1-line block ×10, first 2 shown]
	v_rcp_f64_e32 v[29:30], v[27:28]
	v_fma_f64 v[31:32], -v[27:28], v[29:30], 1.0
	v_fma_f64 v[29:30], v[29:30], v[31:32], v[29:30]
	v_fma_f64 v[31:32], -v[27:28], v[29:30], 1.0
	v_fma_f64 v[29:30], v[29:30], v[31:32], v[29:30]
	v_mul_f64 v[31:32], v[33:34], v[29:30]
	v_fma_f64 v[27:28], -v[27:28], v[31:32], v[33:34]
	v_div_fmas_f64 v[27:28], v[27:28], v[29:30], v[31:32]
	v_cmp_eq_u32_e32 vcc_lo, 10, v0
	v_div_fixup_f64 v[24:25], v[27:28], v[24:25], 1.0
	v_add_nc_u32_e32 v28, 0x60, v26
	v_cndmask_b32_e32 v23, v23, v25, vcc_lo
	v_cndmask_b32_e32 v22, v22, v24, vcc_lo
	v_cndmask_b32_e64 v21, v21, v25, s1
	v_cndmask_b32_e64 v20, v20, v24, s1
	;; [unrolled: 1-line block ×16, first 2 shown]
	v_xor_b32_e32 v30, 0x80000000, v25
	v_mov_b32_e32 v29, v24
	v_cndmask_b32_e64 v7, v7, v25, s10
	v_cndmask_b32_e64 v6, v6, v24, s10
	;; [unrolled: 1-line block ×4, first 2 shown]
	ds_write2_b64 v26, v[29:30], v[4:5] offset1:12
	s_waitcnt lgkmcnt(0)
	s_waitcnt_vscnt null, 0x0
	s_barrier
	buffer_gl0_inv
	s_and_saveexec_b32 s1, s0
	s_cbranch_execz .LBB10_19
; %bb.18:
	ds_read_b64 v[4:5], v28
	v_mov_b32_e32 v26, 0
	ds_read_b64 v[26:27], v26 offset:8
	s_waitcnt lgkmcnt(1)
	v_fma_f64 v[4:5], v[24:25], v[4:5], 0
	s_waitcnt lgkmcnt(0)
	v_mul_f64 v[4:5], v[4:5], v[26:27]
.LBB10_19:
	s_or_b32 exec_lo, exec_lo, s1
	v_cmp_gt_u32_e32 vcc_lo, 2, v0
	s_barrier
	buffer_gl0_inv
	ds_write_b64 v28, v[6:7]
	s_waitcnt lgkmcnt(0)
	s_barrier
	buffer_gl0_inv
	s_and_saveexec_b32 s3, vcc_lo
	s_cbranch_execz .LBB10_23
; %bb.20:
	v_cmp_eq_u32_e64 s1, 1, v0
	v_cmp_eq_u32_e64 s2, 8, v0
	v_cndmask_b32_e64 v24, v3, v5, s1
	v_cndmask_b32_e64 v25, v2, v4, s1
	v_cmp_eq_u32_e64 s1, 2, v0
	v_cndmask_b32_e64 v7, v24, v7, s1
	v_cndmask_b32_e64 v6, v25, v6, s1
	;; [unrolled: 3-line block ×7, first 2 shown]
	ds_read_b64 v[6:7], v28
	v_cmp_eq_u32_e64 s1, 9, v0
	v_cndmask_b32_e64 v24, v24, v19, s2
	v_cndmask_b32_e64 v25, v25, v18, s2
	v_cndmask_b32_e64 v24, v24, v21, s1
	v_cndmask_b32_e64 v26, v25, v20, s1
	v_cmp_eq_u32_e64 s1, 10, v0
	v_cndmask_b32_e64 v25, v24, v23, s1
	v_cndmask_b32_e64 v24, v26, v22, s1
	s_waitcnt lgkmcnt(0)
	v_fma_f64 v[6:7], v[24:25], v[6:7], 0
	s_and_saveexec_b32 s1, s0
	s_cbranch_execz .LBB10_22
; %bb.21:
	v_mov_b32_e32 v24, 0
	ds_read_b64 v[24:25], v24 offset:104
	s_waitcnt lgkmcnt(0)
	v_fma_f64 v[6:7], v[4:5], v[24:25], v[6:7]
.LBB10_22:
	s_or_b32 exec_lo, exec_lo, s1
	v_mov_b32_e32 v24, 0
	ds_read_b64 v[24:25], v24 offset:16
	s_waitcnt lgkmcnt(0)
	v_mul_f64 v[6:7], v[6:7], v[24:25]
.LBB10_23:
	s_or_b32 exec_lo, exec_lo, s3
	s_mov_b32 s3, exec_lo
	s_barrier
	buffer_gl0_inv
	ds_write_b64 v28, v[8:9]
	s_waitcnt lgkmcnt(0)
	s_barrier
	buffer_gl0_inv
	v_cmpx_gt_u32_e32 3, v0
	s_cbranch_execz .LBB10_27
; %bb.24:
	v_mov_b32_e32 v24, 0
	v_mov_b32_e32 v27, v1
	v_lshl_add_u32 v29, v0, 3, 0x60
	v_mov_b32_e32 v25, 0
	v_mov_b32_e32 v26, v0
	s_mov_b32 s4, 0
.LBB10_25:                              ; =>This Inner Loop Header: Depth=1
	v_cmp_eq_u32_e64 s1, 1, v26
	v_cmp_eq_u32_e64 s2, 2, v26
	v_cndmask_b32_e64 v30, v3, v5, s1
	v_cndmask_b32_e64 v31, v2, v4, s1
	v_cmp_eq_u32_e64 s1, 3, v26
	v_cndmask_b32_e64 v30, v30, v7, s2
	v_cndmask_b32_e64 v31, v31, v6, s2
	;; [unrolled: 3-line block ×6, first 2 shown]
	ds_read_b64 v[30:31], v29
	v_cmp_eq_u32_e64 s2, 8, v26
	v_add_nc_u32_e32 v29, 8, v29
	v_cndmask_b32_e64 v32, v32, v17, s1
	v_cndmask_b32_e64 v33, v33, v16, s1
	v_cmp_eq_u32_e64 s1, 9, v26
	v_cndmask_b32_e64 v32, v32, v19, s2
	v_cndmask_b32_e64 v33, v33, v18, s2
	v_cmp_eq_u32_e64 s2, 10, v26
	v_cndmask_b32_e64 v32, v32, v21, s1
	v_cndmask_b32_e64 v34, v33, v20, s1
	v_add_co_u32 v26, s1, v26, 1
	v_add_co_ci_u32_e64 v27, null, 0, v27, s1
	v_cndmask_b32_e64 v33, v32, v23, s2
	v_cndmask_b32_e64 v32, v34, v22, s2
	s_waitcnt lgkmcnt(0)
	v_fma_f64 v[24:25], v[32:33], v[30:31], v[24:25]
	v_add_nc_u32_e32 v30, -1, v26
	v_cmp_lt_u32_e64 s1, 1, v30
	s_or_b32 s4, s1, s4
	s_andn2_b32 exec_lo, exec_lo, s4
	s_cbranch_execnz .LBB10_25
; %bb.26:
	s_or_b32 exec_lo, exec_lo, s4
	v_mov_b32_e32 v8, 0
	ds_read_b64 v[8:9], v8 offset:24
	s_waitcnt lgkmcnt(0)
	v_mul_f64 v[8:9], v[24:25], v[8:9]
.LBB10_27:
	s_or_b32 exec_lo, exec_lo, s3
	v_cmp_gt_u32_e64 s1, 4, v0
	s_barrier
	buffer_gl0_inv
	ds_write_b64 v28, v[10:11]
	s_waitcnt lgkmcnt(0)
	s_barrier
	buffer_gl0_inv
	s_and_saveexec_b32 s4, s1
	s_cbranch_execz .LBB10_31
; %bb.28:
	v_mov_b32_e32 v24, 0
	v_mov_b32_e32 v27, v1
	v_lshl_add_u32 v29, v0, 3, 0x60
	v_mov_b32_e32 v25, 0
	v_mov_b32_e32 v26, v0
	s_mov_b32 s5, 0
.LBB10_29:                              ; =>This Inner Loop Header: Depth=1
	v_cmp_eq_u32_e64 s2, 1, v26
	v_cmp_eq_u32_e64 s3, 2, v26
	v_cndmask_b32_e64 v30, v3, v5, s2
	v_cndmask_b32_e64 v31, v2, v4, s2
	v_cmp_eq_u32_e64 s2, 3, v26
	v_cndmask_b32_e64 v30, v30, v7, s3
	v_cndmask_b32_e64 v31, v31, v6, s3
	;; [unrolled: 3-line block ×6, first 2 shown]
	ds_read_b64 v[30:31], v29
	v_cmp_eq_u32_e64 s3, 8, v26
	v_add_nc_u32_e32 v29, 8, v29
	v_cndmask_b32_e64 v32, v32, v17, s2
	v_cndmask_b32_e64 v33, v33, v16, s2
	v_cmp_eq_u32_e64 s2, 9, v26
	v_cndmask_b32_e64 v32, v32, v19, s3
	v_cndmask_b32_e64 v33, v33, v18, s3
	v_cmp_eq_u32_e64 s3, 10, v26
	v_cndmask_b32_e64 v32, v32, v21, s2
	v_cndmask_b32_e64 v34, v33, v20, s2
	v_add_co_u32 v26, s2, v26, 1
	v_add_co_ci_u32_e64 v27, null, 0, v27, s2
	v_cndmask_b32_e64 v33, v32, v23, s3
	v_cndmask_b32_e64 v32, v34, v22, s3
	s_waitcnt lgkmcnt(0)
	v_fma_f64 v[24:25], v[32:33], v[30:31], v[24:25]
	v_add_nc_u32_e32 v30, -1, v26
	v_cmp_lt_u32_e64 s2, 2, v30
	s_or_b32 s5, s2, s5
	s_andn2_b32 exec_lo, exec_lo, s5
	s_cbranch_execnz .LBB10_29
; %bb.30:
	s_or_b32 exec_lo, exec_lo, s5
	v_mov_b32_e32 v10, 0
	ds_read_b64 v[10:11], v10 offset:32
	s_waitcnt lgkmcnt(0)
	v_mul_f64 v[10:11], v[24:25], v[10:11]
.LBB10_31:
	s_or_b32 exec_lo, exec_lo, s4
	s_mov_b32 s4, exec_lo
	s_barrier
	buffer_gl0_inv
	ds_write_b64 v28, v[12:13]
	s_waitcnt lgkmcnt(0)
	s_barrier
	buffer_gl0_inv
	v_cmpx_gt_u32_e32 5, v0
	s_cbranch_execz .LBB10_35
; %bb.32:
	v_mov_b32_e32 v24, 0
	v_mov_b32_e32 v27, v1
	v_lshl_add_u32 v29, v0, 3, 0x60
	v_mov_b32_e32 v25, 0
	v_mov_b32_e32 v26, v0
	s_mov_b32 s5, 0
.LBB10_33:                              ; =>This Inner Loop Header: Depth=1
	v_cmp_eq_u32_e64 s2, 1, v26
	v_cmp_eq_u32_e64 s3, 2, v26
	v_cndmask_b32_e64 v30, v3, v5, s2
	v_cndmask_b32_e64 v31, v2, v4, s2
	v_cmp_eq_u32_e64 s2, 3, v26
	v_cndmask_b32_e64 v30, v30, v7, s3
	v_cndmask_b32_e64 v31, v31, v6, s3
	;; [unrolled: 3-line block ×6, first 2 shown]
	ds_read_b64 v[30:31], v29
	v_cmp_eq_u32_e64 s3, 8, v26
	v_add_nc_u32_e32 v29, 8, v29
	v_cndmask_b32_e64 v32, v32, v17, s2
	v_cndmask_b32_e64 v33, v33, v16, s2
	v_cmp_eq_u32_e64 s2, 9, v26
	v_cndmask_b32_e64 v32, v32, v19, s3
	v_cndmask_b32_e64 v33, v33, v18, s3
	v_cmp_eq_u32_e64 s3, 10, v26
	v_cndmask_b32_e64 v32, v32, v21, s2
	v_cndmask_b32_e64 v34, v33, v20, s2
	v_add_co_u32 v26, s2, v26, 1
	v_add_co_ci_u32_e64 v27, null, 0, v27, s2
	v_cndmask_b32_e64 v33, v32, v23, s3
	v_cndmask_b32_e64 v32, v34, v22, s3
	s_waitcnt lgkmcnt(0)
	v_fma_f64 v[24:25], v[32:33], v[30:31], v[24:25]
	v_add_nc_u32_e32 v30, -1, v26
	v_cmp_lt_u32_e64 s2, 3, v30
	s_or_b32 s5, s2, s5
	s_andn2_b32 exec_lo, exec_lo, s5
	s_cbranch_execnz .LBB10_33
; %bb.34:
	s_or_b32 exec_lo, exec_lo, s5
	v_mov_b32_e32 v12, 0
	ds_read_b64 v[12:13], v12 offset:40
	s_waitcnt lgkmcnt(0)
	v_mul_f64 v[12:13], v[24:25], v[12:13]
.LBB10_35:
	s_or_b32 exec_lo, exec_lo, s4
	v_cmp_gt_u32_e64 s2, 6, v0
	s_barrier
	buffer_gl0_inv
	ds_write_b64 v28, v[14:15]
	s_waitcnt lgkmcnt(0)
	s_barrier
	buffer_gl0_inv
	s_and_saveexec_b32 s5, s2
	s_cbranch_execz .LBB10_39
; %bb.36:
	v_mov_b32_e32 v24, 0
	v_mov_b32_e32 v27, v1
	v_lshl_add_u32 v29, v0, 3, 0x60
	v_mov_b32_e32 v25, 0
	v_mov_b32_e32 v26, v0
	s_mov_b32 s8, 0
.LBB10_37:                              ; =>This Inner Loop Header: Depth=1
	v_cmp_eq_u32_e64 s3, 1, v26
	v_cmp_eq_u32_e64 s4, 2, v26
	v_cndmask_b32_e64 v30, v3, v5, s3
	v_cndmask_b32_e64 v31, v2, v4, s3
	v_cmp_eq_u32_e64 s3, 3, v26
	v_cndmask_b32_e64 v30, v30, v7, s4
	v_cndmask_b32_e64 v31, v31, v6, s4
	;; [unrolled: 3-line block ×6, first 2 shown]
	ds_read_b64 v[30:31], v29
	v_cmp_eq_u32_e64 s4, 8, v26
	v_add_nc_u32_e32 v29, 8, v29
	v_cndmask_b32_e64 v32, v32, v17, s3
	v_cndmask_b32_e64 v33, v33, v16, s3
	v_cmp_eq_u32_e64 s3, 9, v26
	v_cndmask_b32_e64 v32, v32, v19, s4
	v_cndmask_b32_e64 v33, v33, v18, s4
	v_cmp_eq_u32_e64 s4, 10, v26
	v_cndmask_b32_e64 v32, v32, v21, s3
	v_cndmask_b32_e64 v34, v33, v20, s3
	v_add_co_u32 v26, s3, v26, 1
	v_add_co_ci_u32_e64 v27, null, 0, v27, s3
	v_cndmask_b32_e64 v33, v32, v23, s4
	v_cndmask_b32_e64 v32, v34, v22, s4
	s_waitcnt lgkmcnt(0)
	v_fma_f64 v[24:25], v[32:33], v[30:31], v[24:25]
	v_add_nc_u32_e32 v30, -1, v26
	v_cmp_lt_u32_e64 s3, 4, v30
	s_or_b32 s8, s3, s8
	s_andn2_b32 exec_lo, exec_lo, s8
	s_cbranch_execnz .LBB10_37
; %bb.38:
	s_or_b32 exec_lo, exec_lo, s8
	v_mov_b32_e32 v14, 0
	ds_read_b64 v[14:15], v14 offset:48
	s_waitcnt lgkmcnt(0)
	v_mul_f64 v[14:15], v[24:25], v[14:15]
.LBB10_39:
	s_or_b32 exec_lo, exec_lo, s5
	s_mov_b32 s5, exec_lo
	s_barrier
	buffer_gl0_inv
	ds_write_b64 v28, v[16:17]
	s_waitcnt lgkmcnt(0)
	s_barrier
	buffer_gl0_inv
	v_cmpx_gt_u32_e32 7, v0
	s_cbranch_execz .LBB10_43
; %bb.40:
	v_mov_b32_e32 v24, 0
	v_mov_b32_e32 v27, v1
	v_lshl_add_u32 v29, v0, 3, 0x60
	v_mov_b32_e32 v25, 0
	v_mov_b32_e32 v26, v0
	s_mov_b32 s8, 0
.LBB10_41:                              ; =>This Inner Loop Header: Depth=1
	v_cmp_eq_u32_e64 s3, 1, v26
	v_cmp_eq_u32_e64 s4, 2, v26
	v_cndmask_b32_e64 v30, v3, v5, s3
	v_cndmask_b32_e64 v31, v2, v4, s3
	v_cmp_eq_u32_e64 s3, 3, v26
	v_cndmask_b32_e64 v30, v30, v7, s4
	v_cndmask_b32_e64 v31, v31, v6, s4
	v_cmp_eq_u32_e64 s4, 4, v26
	v_cndmask_b32_e64 v30, v30, v9, s3
	v_cndmask_b32_e64 v31, v31, v8, s3
	v_cmp_eq_u32_e64 s3, 5, v26
	v_cndmask_b32_e64 v30, v30, v11, s4
	v_cndmask_b32_e64 v31, v31, v10, s4
	v_cmp_eq_u32_e64 s4, 6, v26
	v_cndmask_b32_e64 v30, v30, v13, s3
	v_cndmask_b32_e64 v31, v31, v12, s3
	v_cmp_eq_u32_e64 s3, 7, v26
	v_cndmask_b32_e64 v32, v30, v15, s4
	v_cndmask_b32_e64 v33, v31, v14, s4
	ds_read_b64 v[30:31], v29
	v_cmp_eq_u32_e64 s4, 8, v26
	v_add_nc_u32_e32 v29, 8, v29
	v_cndmask_b32_e64 v32, v32, v17, s3
	v_cndmask_b32_e64 v33, v33, v16, s3
	v_cmp_eq_u32_e64 s3, 9, v26
	v_cndmask_b32_e64 v32, v32, v19, s4
	v_cndmask_b32_e64 v33, v33, v18, s4
	v_cmp_eq_u32_e64 s4, 10, v26
	v_cndmask_b32_e64 v32, v32, v21, s3
	v_cndmask_b32_e64 v34, v33, v20, s3
	v_add_co_u32 v26, s3, v26, 1
	v_add_co_ci_u32_e64 v27, null, 0, v27, s3
	v_cndmask_b32_e64 v33, v32, v23, s4
	v_cndmask_b32_e64 v32, v34, v22, s4
	s_waitcnt lgkmcnt(0)
	v_fma_f64 v[24:25], v[32:33], v[30:31], v[24:25]
	v_add_nc_u32_e32 v30, -1, v26
	v_cmp_lt_u32_e64 s3, 5, v30
	s_or_b32 s8, s3, s8
	s_andn2_b32 exec_lo, exec_lo, s8
	s_cbranch_execnz .LBB10_41
; %bb.42:
	s_or_b32 exec_lo, exec_lo, s8
	v_mov_b32_e32 v16, 0
	ds_read_b64 v[16:17], v16 offset:56
	s_waitcnt lgkmcnt(0)
	v_mul_f64 v[16:17], v[24:25], v[16:17]
.LBB10_43:
	s_or_b32 exec_lo, exec_lo, s5
	s_mov_b32 s5, exec_lo
	s_barrier
	buffer_gl0_inv
	ds_write_b64 v28, v[18:19]
	s_waitcnt lgkmcnt(0)
	s_barrier
	buffer_gl0_inv
	v_cmpx_gt_u32_e32 8, v0
	s_cbranch_execz .LBB10_59
; %bb.44:
	v_cmp_eq_u32_e64 s3, 1, v0
	v_cmp_eq_u32_e64 s4, 8, v0
	s_mov_b32 s8, exec_lo
	v_cndmask_b32_e64 v24, v3, v5, s3
	v_cndmask_b32_e64 v25, v2, v4, s3
	v_cmp_eq_u32_e64 s3, 2, v0
	v_cndmask_b32_e64 v24, v24, v7, s3
	v_cndmask_b32_e64 v25, v25, v6, s3
	v_cmp_eq_u32_e64 s3, 3, v0
	;; [unrolled: 3-line block ×6, first 2 shown]
	v_cndmask_b32_e64 v26, v24, v17, s3
	v_cndmask_b32_e64 v27, v25, v16, s3
	ds_read_b64 v[24:25], v28
	v_cmp_eq_u32_e64 s3, 9, v0
	v_cndmask_b32_e64 v26, v26, v19, s4
	v_cndmask_b32_e64 v27, v27, v18, s4
	;; [unrolled: 1-line block ×4, first 2 shown]
	v_cmp_eq_u32_e64 s3, 10, v0
	v_cndmask_b32_e64 v27, v26, v23, s3
	v_cndmask_b32_e64 v26, v29, v22, s3
	s_waitcnt lgkmcnt(0)
	v_fma_f64 v[24:25], v[26:27], v[24:25], 0
	v_cmpx_ne_u32_e32 7, v0
	s_cbranch_execz .LBB10_58
; %bb.45:
	v_add_nc_u32_e32 v29, 1, v0
	v_cmp_eq_u32_e64 s3, 1, v29
	v_cmp_eq_u32_e64 s4, 8, v29
	v_cndmask_b32_e64 v26, v3, v5, s3
	v_cndmask_b32_e64 v27, v2, v4, s3
	v_cmp_eq_u32_e64 s3, 2, v29
	v_cndmask_b32_e64 v26, v26, v7, s3
	v_cndmask_b32_e64 v27, v27, v6, s3
	;; [unrolled: 3-line block ×7, first 2 shown]
	ds_read_b64 v[26:27], v28 offset:8
	v_cmp_eq_u32_e64 s3, 9, v29
	v_cndmask_b32_e64 v30, v30, v19, s4
	v_cndmask_b32_e64 v31, v31, v18, s4
	;; [unrolled: 1-line block ×4, first 2 shown]
	v_cmp_eq_u32_e64 s3, 10, v29
	v_cndmask_b32_e64 v30, v30, v23, s3
	v_cndmask_b32_e64 v29, v31, v22, s3
	s_waitcnt lgkmcnt(0)
	v_fma_f64 v[24:25], v[29:30], v[26:27], v[24:25]
	s_and_saveexec_b32 s4, s2
	s_cbranch_execz .LBB10_57
; %bb.46:
	v_add_nc_u32_e32 v29, 2, v0
	s_mov_b32 s9, exec_lo
	v_cmp_eq_u32_e64 s2, 1, v29
	v_cmp_eq_u32_e64 s3, 8, v29
	v_cndmask_b32_e64 v26, v3, v5, s2
	v_cndmask_b32_e64 v27, v2, v4, s2
	v_cmp_eq_u32_e64 s2, 2, v29
	v_cndmask_b32_e64 v26, v26, v7, s2
	v_cndmask_b32_e64 v27, v27, v6, s2
	;; [unrolled: 3-line block ×7, first 2 shown]
	ds_read_b64 v[26:27], v28 offset:16
	v_cmp_eq_u32_e64 s2, 9, v29
	v_cndmask_b32_e64 v30, v30, v19, s3
	v_cndmask_b32_e64 v31, v31, v18, s3
	;; [unrolled: 1-line block ×4, first 2 shown]
	v_cmp_eq_u32_e64 s2, 10, v29
	v_cndmask_b32_e64 v30, v30, v23, s2
	v_cndmask_b32_e64 v29, v31, v22, s2
	s_waitcnt lgkmcnt(0)
	v_fma_f64 v[24:25], v[29:30], v[26:27], v[24:25]
	v_cmpx_ne_u32_e32 5, v0
	s_cbranch_execz .LBB10_56
; %bb.47:
	v_add_nc_u32_e32 v29, 3, v0
	v_cmp_eq_u32_e64 s2, 1, v29
	v_cmp_eq_u32_e64 s3, 8, v29
	v_cndmask_b32_e64 v26, v3, v5, s2
	v_cndmask_b32_e64 v27, v2, v4, s2
	v_cmp_eq_u32_e64 s2, 2, v29
	v_cndmask_b32_e64 v26, v26, v7, s2
	v_cndmask_b32_e64 v27, v27, v6, s2
	;; [unrolled: 3-line block ×7, first 2 shown]
	ds_read_b64 v[26:27], v28 offset:24
	v_cmp_eq_u32_e64 s2, 9, v29
	v_cndmask_b32_e64 v30, v30, v19, s3
	v_cndmask_b32_e64 v31, v31, v18, s3
	;; [unrolled: 1-line block ×4, first 2 shown]
	v_cmp_eq_u32_e64 s2, 10, v29
	v_cndmask_b32_e64 v30, v30, v23, s2
	v_cndmask_b32_e64 v29, v31, v22, s2
	s_waitcnt lgkmcnt(0)
	v_fma_f64 v[24:25], v[29:30], v[26:27], v[24:25]
	s_and_saveexec_b32 s3, s1
	s_cbranch_execz .LBB10_55
; %bb.48:
	v_or_b32_e32 v29, 4, v0
	s_mov_b32 s10, exec_lo
	v_cmp_eq_u32_e64 s1, 1, v29
	v_cmp_eq_u32_e64 s2, 8, v29
	v_cndmask_b32_e64 v26, v3, v5, s1
	v_cndmask_b32_e64 v27, v2, v4, s1
	v_cmp_eq_u32_e64 s1, 2, v29
	v_cndmask_b32_e64 v26, v26, v7, s1
	v_cndmask_b32_e64 v27, v27, v6, s1
	;; [unrolled: 3-line block ×7, first 2 shown]
	ds_read_b64 v[26:27], v28 offset:32
	v_cmp_eq_u32_e64 s1, 9, v29
	v_cndmask_b32_e64 v30, v30, v19, s2
	v_cndmask_b32_e64 v31, v31, v18, s2
	;; [unrolled: 1-line block ×4, first 2 shown]
	v_cmp_eq_u32_e64 s1, 10, v29
	v_cndmask_b32_e64 v30, v30, v23, s1
	v_cndmask_b32_e64 v29, v31, v22, s1
	s_waitcnt lgkmcnt(0)
	v_fma_f64 v[24:25], v[29:30], v[26:27], v[24:25]
	v_cmpx_ne_u32_e32 3, v0
	s_cbranch_execz .LBB10_54
; %bb.49:
	v_add_nc_u32_e32 v29, 5, v0
	v_cmp_eq_u32_e64 s1, 1, v29
	v_cmp_eq_u32_e64 s2, 8, v29
	v_cndmask_b32_e64 v26, v3, v5, s1
	v_cndmask_b32_e64 v27, v2, v4, s1
	v_cmp_eq_u32_e64 s1, 2, v29
	v_cndmask_b32_e64 v26, v26, v7, s1
	v_cndmask_b32_e64 v27, v27, v6, s1
	;; [unrolled: 3-line block ×7, first 2 shown]
	ds_read_b64 v[26:27], v28 offset:40
	v_cmp_eq_u32_e64 s1, 9, v29
	v_cndmask_b32_e64 v30, v30, v19, s2
	v_cndmask_b32_e64 v31, v31, v18, s2
	;; [unrolled: 1-line block ×4, first 2 shown]
	v_cmp_eq_u32_e64 s1, 10, v29
	v_cndmask_b32_e64 v30, v30, v23, s1
	v_cndmask_b32_e64 v29, v31, v22, s1
	s_waitcnt lgkmcnt(0)
	v_fma_f64 v[24:25], v[29:30], v[26:27], v[24:25]
	s_and_saveexec_b32 s2, vcc_lo
	s_cbranch_execz .LBB10_53
; %bb.50:
	v_or_b32_e32 v29, 6, v0
	v_cmp_eq_u32_e32 vcc_lo, 1, v29
	v_cmp_eq_u32_e64 s1, 8, v29
	v_cndmask_b32_e32 v26, v3, v5, vcc_lo
	v_cndmask_b32_e32 v27, v2, v4, vcc_lo
	v_cmp_eq_u32_e32 vcc_lo, 2, v29
	v_cndmask_b32_e32 v26, v26, v7, vcc_lo
	v_cndmask_b32_e32 v27, v27, v6, vcc_lo
	v_cmp_eq_u32_e32 vcc_lo, 3, v29
	;; [unrolled: 3-line block ×6, first 2 shown]
	v_cndmask_b32_e32 v30, v26, v17, vcc_lo
	v_cndmask_b32_e32 v31, v27, v16, vcc_lo
	ds_read_b64 v[26:27], v28 offset:48
	v_cmp_eq_u32_e32 vcc_lo, 9, v29
	v_cndmask_b32_e64 v19, v30, v19, s1
	v_cndmask_b32_e64 v18, v31, v18, s1
	v_cndmask_b32_e32 v19, v19, v21, vcc_lo
	v_cndmask_b32_e32 v18, v18, v20, vcc_lo
	v_cmp_eq_u32_e32 vcc_lo, 10, v29
	v_cndmask_b32_e32 v19, v19, v23, vcc_lo
	v_cndmask_b32_e32 v18, v18, v22, vcc_lo
	s_waitcnt lgkmcnt(0)
	v_fma_f64 v[24:25], v[18:19], v[26:27], v[24:25]
	s_and_saveexec_b32 s1, s0
	s_cbranch_execz .LBB10_52
; %bb.51:
	ds_read_b64 v[18:19], v28 offset:56
	s_waitcnt lgkmcnt(0)
	v_fma_f64 v[24:25], v[16:17], v[18:19], v[24:25]
.LBB10_52:
	s_or_b32 exec_lo, exec_lo, s1
.LBB10_53:
	s_or_b32 exec_lo, exec_lo, s2
.LBB10_54:
	s_or_b32 exec_lo, exec_lo, s10
.LBB10_55:
	s_or_b32 exec_lo, exec_lo, s3
.LBB10_56:
	s_or_b32 exec_lo, exec_lo, s9
.LBB10_57:
	s_or_b32 exec_lo, exec_lo, s4
.LBB10_58:
	s_or_b32 exec_lo, exec_lo, s8
	v_mov_b32_e32 v18, 0
	ds_read_b64 v[18:19], v18 offset:64
	s_waitcnt lgkmcnt(0)
	v_mul_f64 v[18:19], v[24:25], v[18:19]
.LBB10_59:
	s_or_b32 exec_lo, exec_lo, s5
	s_mov_b32 s1, exec_lo
	s_barrier
	buffer_gl0_inv
	ds_write_b64 v28, v[20:21]
	s_waitcnt lgkmcnt(0)
	s_barrier
	buffer_gl0_inv
	v_cmpx_gt_u32_e32 9, v0
	s_cbranch_execz .LBB10_63
; %bb.60:
	v_mov_b32_e32 v24, 0
	v_mov_b32_e32 v27, v1
	v_lshl_add_u32 v29, v0, 3, 0x60
	v_mov_b32_e32 v25, 0
	v_mov_b32_e32 v26, v0
	s_mov_b32 s2, 0
.LBB10_61:                              ; =>This Inner Loop Header: Depth=1
	v_cmp_eq_u32_e32 vcc_lo, 1, v26
	v_cmp_eq_u32_e64 s0, 2, v26
	v_cndmask_b32_e32 v30, v3, v5, vcc_lo
	v_cndmask_b32_e32 v31, v2, v4, vcc_lo
	v_cmp_eq_u32_e32 vcc_lo, 3, v26
	v_cndmask_b32_e64 v30, v30, v7, s0
	v_cndmask_b32_e64 v31, v31, v6, s0
	v_cmp_eq_u32_e64 s0, 4, v26
	v_cndmask_b32_e32 v30, v30, v9, vcc_lo
	v_cndmask_b32_e32 v31, v31, v8, vcc_lo
	v_cmp_eq_u32_e32 vcc_lo, 5, v26
	v_cndmask_b32_e64 v30, v30, v11, s0
	v_cndmask_b32_e64 v31, v31, v10, s0
	;; [unrolled: 6-line block ×3, first 2 shown]
	ds_read_b64 v[30:31], v29
	v_cmp_eq_u32_e64 s0, 8, v26
	v_add_nc_u32_e32 v29, 8, v29
	v_cndmask_b32_e32 v32, v32, v17, vcc_lo
	v_cndmask_b32_e32 v33, v33, v16, vcc_lo
	v_cmp_eq_u32_e32 vcc_lo, 9, v26
	v_cndmask_b32_e64 v32, v32, v19, s0
	v_cndmask_b32_e64 v33, v33, v18, s0
	v_cmp_eq_u32_e64 s0, 10, v26
	v_cndmask_b32_e32 v32, v32, v21, vcc_lo
	v_cndmask_b32_e32 v34, v33, v20, vcc_lo
	v_add_co_u32 v26, vcc_lo, v26, 1
	v_add_co_ci_u32_e64 v27, null, 0, v27, vcc_lo
	v_cndmask_b32_e64 v33, v32, v23, s0
	v_cndmask_b32_e64 v32, v34, v22, s0
	s_waitcnt lgkmcnt(0)
	v_fma_f64 v[24:25], v[32:33], v[30:31], v[24:25]
	v_add_nc_u32_e32 v30, -1, v26
	v_cmp_lt_u32_e32 vcc_lo, 7, v30
	s_or_b32 s2, vcc_lo, s2
	s_andn2_b32 exec_lo, exec_lo, s2
	s_cbranch_execnz .LBB10_61
; %bb.62:
	s_or_b32 exec_lo, exec_lo, s2
	v_mov_b32_e32 v20, 0
	ds_read_b64 v[20:21], v20 offset:72
	s_waitcnt lgkmcnt(0)
	v_mul_f64 v[20:21], v[24:25], v[20:21]
.LBB10_63:
	s_or_b32 exec_lo, exec_lo, s1
	s_mov_b32 s1, exec_lo
	s_barrier
	buffer_gl0_inv
	ds_write_b64 v28, v[22:23]
	s_waitcnt lgkmcnt(0)
	s_barrier
	buffer_gl0_inv
	v_cmpx_ne_u32_e32 10, v0
	s_cbranch_execz .LBB10_67
; %bb.64:
	v_mov_b32_e32 v24, 0
	v_mov_b32_e32 v27, v1
	v_lshl_add_u32 v28, v0, 3, 0x60
	v_mov_b32_e32 v25, 0
	v_mov_b32_e32 v26, v0
	s_mov_b32 s2, 0
.LBB10_65:                              ; =>This Inner Loop Header: Depth=1
	v_cmp_eq_u32_e32 vcc_lo, 1, v26
	v_cmp_eq_u32_e64 s0, 2, v26
	v_cndmask_b32_e32 v1, v3, v5, vcc_lo
	v_cndmask_b32_e32 v29, v2, v4, vcc_lo
	v_cmp_eq_u32_e32 vcc_lo, 3, v26
	v_cndmask_b32_e64 v1, v1, v7, s0
	v_cndmask_b32_e64 v29, v29, v6, s0
	v_cmp_eq_u32_e64 s0, 4, v26
	v_cndmask_b32_e32 v1, v1, v9, vcc_lo
	v_cndmask_b32_e32 v29, v29, v8, vcc_lo
	v_cmp_eq_u32_e32 vcc_lo, 5, v26
	v_cndmask_b32_e64 v1, v1, v11, s0
	v_cndmask_b32_e64 v29, v29, v10, s0
	v_cmp_eq_u32_e64 s0, 6, v26
	v_cndmask_b32_e32 v1, v1, v13, vcc_lo
	v_cndmask_b32_e32 v29, v29, v12, vcc_lo
	v_cmp_eq_u32_e32 vcc_lo, 7, v26
	v_cndmask_b32_e64 v1, v1, v15, s0
	v_cndmask_b32_e64 v31, v29, v14, s0
	ds_read_b64 v[29:30], v28
	v_cmp_eq_u32_e64 s0, 8, v26
	v_add_nc_u32_e32 v28, 8, v28
	v_cndmask_b32_e32 v1, v1, v17, vcc_lo
	v_cndmask_b32_e32 v31, v31, v16, vcc_lo
	v_cmp_eq_u32_e32 vcc_lo, 9, v26
	v_cndmask_b32_e64 v1, v1, v19, s0
	v_cndmask_b32_e64 v31, v31, v18, s0
	v_cmp_eq_u32_e64 s0, 10, v26
	v_cndmask_b32_e32 v1, v1, v21, vcc_lo
	v_cndmask_b32_e32 v31, v31, v20, vcc_lo
	v_add_co_u32 v26, vcc_lo, v26, 1
	v_add_co_ci_u32_e64 v27, null, 0, v27, vcc_lo
	v_cndmask_b32_e64 v32, v1, v23, s0
	v_cndmask_b32_e64 v31, v31, v22, s0
	v_add_nc_u32_e32 v1, -1, v26
	s_waitcnt lgkmcnt(0)
	v_fma_f64 v[24:25], v[31:32], v[29:30], v[24:25]
	v_cmp_lt_u32_e32 vcc_lo, 8, v1
	s_or_b32 s2, vcc_lo, s2
	s_andn2_b32 exec_lo, exec_lo, s2
	s_cbranch_execnz .LBB10_65
; %bb.66:
	s_or_b32 exec_lo, exec_lo, s2
	v_mov_b32_e32 v1, 0
	ds_read_b64 v[22:23], v1 offset:80
	s_waitcnt lgkmcnt(0)
	v_mul_f64 v[22:23], v[24:25], v[22:23]
.LBB10_67:
	s_or_b32 exec_lo, exec_lo, s1
	s_barrier
	buffer_gl0_inv
	s_cbranch_execnz .LBB10_15
	s_branch .LBB10_16
.LBB10_68:
	v_lshl_add_u32 v1, v0, 3, 0x60
	s_mov_b32 s0, exec_lo
	v_cmpx_eq_u32_e32 10, v0
	s_cbranch_execz .LBB10_70
; %bb.69:
	v_mov_b32_e32 v42, 0
	v_mov_b32_e32 v24, v2
	;; [unrolled: 1-line block ×22, first 2 shown]
	ds_write_b64 v1, v[20:21]
	v_mov_b32_e32 v2, v24
	v_mov_b32_e32 v3, v25
	;; [unrolled: 1-line block ×32, first 2 shown]
.LBB10_70:
	s_or_b32 exec_lo, exec_lo, s0
	v_mov_b32_e32 v40, 0
	s_waitcnt lgkmcnt(0)
	s_waitcnt_vscnt null, 0x0
	s_barrier
	buffer_gl0_inv
	s_mov_b32 s0, exec_lo
	ds_read_b64 v[24:25], v40 offset:176
	s_waitcnt lgkmcnt(0)
	v_fma_f64 v[24:25], v[22:23], v[24:25], 0
	v_add_f64 v[20:21], v[20:21], -v[24:25]
	v_cmpx_lt_u32_e32 8, v0
	s_cbranch_execz .LBB10_72
; %bb.71:
	v_mov_b32_e32 v24, v2
	v_mov_b32_e32 v34, v12
	;; [unrolled: 1-line block ×21, first 2 shown]
	ds_write_b64 v1, v[18:19]
	v_mov_b32_e32 v2, v24
	v_mov_b32_e32 v3, v25
	;; [unrolled: 1-line block ×32, first 2 shown]
.LBB10_72:
	s_or_b32 exec_lo, exec_lo, s0
	s_waitcnt lgkmcnt(0)
	s_barrier
	buffer_gl0_inv
	ds_read2_b64 v[24:27], v40 offset0:21 offset1:22
	s_mov_b32 s0, exec_lo
	s_waitcnt lgkmcnt(0)
	v_fma_f64 v[24:25], v[20:21], v[24:25], 0
	v_fma_f64 v[24:25], v[22:23], v[26:27], v[24:25]
	v_add_f64 v[18:19], v[18:19], -v[24:25]
	v_cmpx_lt_u32_e32 7, v0
	s_cbranch_execz .LBB10_74
; %bb.73:
	v_mov_b32_e32 v38, 0
	v_mov_b32_e32 v24, v2
	v_mov_b32_e32 v34, v12
	v_mov_b32_e32 v35, v13
	v_mov_b32_e32 v36, v14
	v_mov_b32_e32 v37, v15
	v_mov_b32_e32 v39, v38
	v_mov_b32_e32 v40, v18
	v_mov_b32_e32 v41, v19
	v_mov_b32_e32 v42, v20
	v_mov_b32_e32 v43, v21
	v_mov_b32_e32 v44, v22
	v_mov_b32_e32 v45, v23
	v_mov_b32_e32 v25, v3
	v_mov_b32_e32 v26, v4
	v_mov_b32_e32 v27, v5
	v_mov_b32_e32 v28, v6
	v_mov_b32_e32 v29, v7
	v_mov_b32_e32 v30, v8
	v_mov_b32_e32 v31, v9
	v_mov_b32_e32 v32, v10
	v_mov_b32_e32 v33, v11
	ds_write_b64 v1, v[16:17]
	v_mov_b32_e32 v2, v24
	v_mov_b32_e32 v3, v25
	;; [unrolled: 1-line block ×32, first 2 shown]
.LBB10_74:
	s_or_b32 exec_lo, exec_lo, s0
	v_mov_b32_e32 v36, 0
	s_waitcnt lgkmcnt(0)
	s_barrier
	buffer_gl0_inv
	s_mov_b32 s0, exec_lo
	ds_read_b128 v[24:27], v36 offset:160
	ds_read_b64 v[28:29], v36 offset:176
	s_waitcnt lgkmcnt(1)
	v_fma_f64 v[24:25], v[18:19], v[24:25], 0
	v_fma_f64 v[24:25], v[20:21], v[26:27], v[24:25]
	s_waitcnt lgkmcnt(0)
	v_fma_f64 v[24:25], v[22:23], v[28:29], v[24:25]
	v_add_f64 v[16:17], v[16:17], -v[24:25]
	v_cmpx_lt_u32_e32 6, v0
	s_cbranch_execz .LBB10_76
; %bb.75:
	v_mov_b32_e32 v24, v2
	v_mov_b32_e32 v34, v12
	;; [unrolled: 1-line block ×21, first 2 shown]
	ds_write_b64 v1, v[14:15]
	v_mov_b32_e32 v2, v24
	v_mov_b32_e32 v3, v25
	;; [unrolled: 1-line block ×32, first 2 shown]
.LBB10_76:
	s_or_b32 exec_lo, exec_lo, s0
	s_waitcnt lgkmcnt(0)
	s_barrier
	buffer_gl0_inv
	ds_read2_b64 v[24:27], v36 offset0:19 offset1:20
	ds_read2_b64 v[28:31], v36 offset0:21 offset1:22
	s_mov_b32 s0, exec_lo
	s_waitcnt lgkmcnt(1)
	v_fma_f64 v[24:25], v[16:17], v[24:25], 0
	v_fma_f64 v[24:25], v[18:19], v[26:27], v[24:25]
	s_waitcnt lgkmcnt(0)
	v_fma_f64 v[24:25], v[20:21], v[28:29], v[24:25]
	v_fma_f64 v[24:25], v[22:23], v[30:31], v[24:25]
	v_add_f64 v[14:15], v[14:15], -v[24:25]
	v_cmpx_lt_u32_e32 5, v0
	s_cbranch_execz .LBB10_78
; %bb.77:
	v_mov_b32_e32 v34, 0
	v_mov_b32_e32 v24, v2
	;; [unrolled: 1-line block ×22, first 2 shown]
	ds_write_b64 v1, v[12:13]
	v_mov_b32_e32 v2, v24
	v_mov_b32_e32 v3, v25
	v_mov_b32_e32 v4, v26
	v_mov_b32_e32 v5, v27
	v_mov_b32_e32 v6, v28
	v_mov_b32_e32 v7, v29
	v_mov_b32_e32 v8, v30
	v_mov_b32_e32 v9, v31
	v_mov_b32_e32 v10, v32
	v_mov_b32_e32 v11, v33
	v_mov_b32_e32 v12, v34
	v_mov_b32_e32 v13, v35
	v_mov_b32_e32 v14, v36
	v_mov_b32_e32 v15, v37
	v_mov_b32_e32 v16, v38
	v_mov_b32_e32 v17, v39
	v_mov_b32_e32 v18, v40
	v_mov_b32_e32 v19, v41
	v_mov_b32_e32 v20, v42
	v_mov_b32_e32 v21, v43
	v_mov_b32_e32 v22, v44
	v_mov_b32_e32 v23, v45
	v_mov_b32_e32 v24, v46
	v_mov_b32_e32 v25, v47
	v_mov_b32_e32 v26, v48
	v_mov_b32_e32 v27, v49
	v_mov_b32_e32 v28, v50
	v_mov_b32_e32 v29, v51
	v_mov_b32_e32 v30, v52
	v_mov_b32_e32 v31, v53
	v_mov_b32_e32 v32, v54
	v_mov_b32_e32 v33, v55
.LBB10_78:
	s_or_b32 exec_lo, exec_lo, s0
	v_mov_b32_e32 v34, 0
	s_waitcnt lgkmcnt(0)
	s_barrier
	buffer_gl0_inv
	s_mov_b32 s0, exec_lo
	ds_read_b128 v[24:27], v34 offset:144
	ds_read_b128 v[28:31], v34 offset:160
	s_waitcnt lgkmcnt(1)
	v_fma_f64 v[24:25], v[14:15], v[24:25], 0
	v_fma_f64 v[24:25], v[16:17], v[26:27], v[24:25]
	ds_read_b64 v[26:27], v34 offset:176
	s_waitcnt lgkmcnt(1)
	v_fma_f64 v[24:25], v[18:19], v[28:29], v[24:25]
	v_fma_f64 v[24:25], v[20:21], v[30:31], v[24:25]
	s_waitcnt lgkmcnt(0)
	v_fma_f64 v[24:25], v[22:23], v[26:27], v[24:25]
	v_add_f64 v[12:13], v[12:13], -v[24:25]
	v_cmpx_lt_u32_e32 4, v0
	s_cbranch_execz .LBB10_80
; %bb.79:
	v_mov_b32_e32 v26, v2
	v_mov_b32_e32 v35, v34
	;; [unrolled: 1-line block ×21, first 2 shown]
	ds_write_b64 v1, v[10:11]
	v_mov_b32_e32 v2, v26
	v_mov_b32_e32 v3, v27
	;; [unrolled: 1-line block ×32, first 2 shown]
.LBB10_80:
	s_or_b32 exec_lo, exec_lo, s0
	s_waitcnt lgkmcnt(0)
	s_barrier
	buffer_gl0_inv
	ds_read2_b64 v[24:27], v34 offset0:17 offset1:18
	ds_read2_b64 v[28:31], v34 offset0:19 offset1:20
	s_mov_b32 s0, exec_lo
	s_waitcnt lgkmcnt(1)
	v_fma_f64 v[24:25], v[12:13], v[24:25], 0
	v_fma_f64 v[24:25], v[14:15], v[26:27], v[24:25]
	s_waitcnt lgkmcnt(0)
	v_fma_f64 v[24:25], v[16:17], v[28:29], v[24:25]
	v_fma_f64 v[28:29], v[18:19], v[30:31], v[24:25]
	ds_read2_b64 v[24:27], v34 offset0:21 offset1:22
	s_waitcnt lgkmcnt(0)
	v_fma_f64 v[24:25], v[20:21], v[24:25], v[28:29]
	v_fma_f64 v[24:25], v[22:23], v[26:27], v[24:25]
	v_add_f64 v[10:11], v[10:11], -v[24:25]
	v_cmpx_lt_u32_e32 3, v0
	s_cbranch_execz .LBB10_82
; %bb.81:
	v_mov_b32_e32 v30, 0
	v_mov_b32_e32 v24, v2
	;; [unrolled: 1-line block ×22, first 2 shown]
	ds_write_b64 v1, v[8:9]
	v_mov_b32_e32 v2, v24
	v_mov_b32_e32 v3, v25
	;; [unrolled: 1-line block ×32, first 2 shown]
.LBB10_82:
	s_or_b32 exec_lo, exec_lo, s0
	v_mov_b32_e32 v34, 0
	s_waitcnt lgkmcnt(0)
	s_barrier
	buffer_gl0_inv
	s_mov_b32 s0, exec_lo
	ds_read_b128 v[24:27], v34 offset:128
	ds_read_b128 v[28:31], v34 offset:144
	s_waitcnt lgkmcnt(1)
	v_fma_f64 v[24:25], v[10:11], v[24:25], 0
	v_fma_f64 v[24:25], v[12:13], v[26:27], v[24:25]
	s_waitcnt lgkmcnt(0)
	v_fma_f64 v[24:25], v[14:15], v[28:29], v[24:25]
	v_fma_f64 v[28:29], v[16:17], v[30:31], v[24:25]
	ds_read_b128 v[24:27], v34 offset:160
	ds_read_b64 v[30:31], v34 offset:176
	s_waitcnt lgkmcnt(1)
	v_fma_f64 v[24:25], v[18:19], v[24:25], v[28:29]
	v_fma_f64 v[24:25], v[20:21], v[26:27], v[24:25]
	s_waitcnt lgkmcnt(0)
	v_fma_f64 v[24:25], v[22:23], v[30:31], v[24:25]
	v_add_f64 v[8:9], v[8:9], -v[24:25]
	v_cmpx_lt_u32_e32 2, v0
	s_cbranch_execz .LBB10_84
; %bb.83:
	v_mov_b32_e32 v30, v2
	v_mov_b32_e32 v35, v34
	;; [unrolled: 1-line block ×21, first 2 shown]
	ds_write_b64 v1, v[6:7]
	v_mov_b32_e32 v2, v30
	v_mov_b32_e32 v3, v31
	;; [unrolled: 1-line block ×32, first 2 shown]
.LBB10_84:
	s_or_b32 exec_lo, exec_lo, s0
	s_waitcnt lgkmcnt(0)
	s_barrier
	buffer_gl0_inv
	ds_read2_b64 v[24:27], v34 offset0:15 offset1:16
	ds_read2_b64 v[28:31], v34 offset0:17 offset1:18
	s_mov_b32 s0, exec_lo
	s_waitcnt lgkmcnt(1)
	v_fma_f64 v[24:25], v[8:9], v[24:25], 0
	v_fma_f64 v[24:25], v[10:11], v[26:27], v[24:25]
	s_waitcnt lgkmcnt(0)
	v_fma_f64 v[24:25], v[12:13], v[28:29], v[24:25]
	v_fma_f64 v[32:33], v[14:15], v[30:31], v[24:25]
	ds_read2_b64 v[24:27], v34 offset0:19 offset1:20
	ds_read2_b64 v[28:31], v34 offset0:21 offset1:22
	s_waitcnt lgkmcnt(1)
	v_fma_f64 v[24:25], v[16:17], v[24:25], v[32:33]
	v_fma_f64 v[24:25], v[18:19], v[26:27], v[24:25]
	s_waitcnt lgkmcnt(0)
	v_fma_f64 v[24:25], v[20:21], v[28:29], v[24:25]
	v_fma_f64 v[24:25], v[22:23], v[30:31], v[24:25]
	v_add_f64 v[6:7], v[6:7], -v[24:25]
	v_cmpx_lt_u32_e32 1, v0
	s_cbranch_execz .LBB10_86
; %bb.85:
	v_mov_b32_e32 v26, 0
	v_mov_b32_e32 v24, v2
	v_mov_b32_e32 v34, v12
	v_mov_b32_e32 v35, v13
	v_mov_b32_e32 v36, v14
	v_mov_b32_e32 v37, v15
	v_mov_b32_e32 v38, v16
	v_mov_b32_e32 v39, v17
	v_mov_b32_e32 v40, v18
	v_mov_b32_e32 v41, v19
	v_mov_b32_e32 v42, v20
	v_mov_b32_e32 v43, v21
	v_mov_b32_e32 v44, v22
	v_mov_b32_e32 v45, v23
	v_mov_b32_e32 v25, v3
	v_mov_b32_e32 v28, v6
	v_mov_b32_e32 v29, v7
	v_mov_b32_e32 v27, v26
	v_mov_b32_e32 v30, v8
	v_mov_b32_e32 v31, v9
	v_mov_b32_e32 v32, v10
	v_mov_b32_e32 v33, v11
	ds_write_b64 v1, v[4:5]
	v_mov_b32_e32 v2, v24
	v_mov_b32_e32 v3, v25
	;; [unrolled: 1-line block ×32, first 2 shown]
.LBB10_86:
	s_or_b32 exec_lo, exec_lo, s0
	v_mov_b32_e32 v34, 0
	s_waitcnt lgkmcnt(0)
	s_barrier
	buffer_gl0_inv
	s_mov_b32 s0, exec_lo
	ds_read_b128 v[24:27], v34 offset:112
	ds_read_b128 v[28:31], v34 offset:128
	s_waitcnt lgkmcnt(1)
	v_fma_f64 v[24:25], v[6:7], v[24:25], 0
	v_fma_f64 v[24:25], v[8:9], v[26:27], v[24:25]
	s_waitcnt lgkmcnt(0)
	v_fma_f64 v[24:25], v[10:11], v[28:29], v[24:25]
	v_fma_f64 v[32:33], v[12:13], v[30:31], v[24:25]
	ds_read_b128 v[24:27], v34 offset:144
	ds_read_b128 v[28:31], v34 offset:160
	s_waitcnt lgkmcnt(1)
	v_fma_f64 v[24:25], v[14:15], v[24:25], v[32:33]
	v_fma_f64 v[24:25], v[16:17], v[26:27], v[24:25]
	ds_read_b64 v[26:27], v34 offset:176
	s_waitcnt lgkmcnt(1)
	v_fma_f64 v[24:25], v[18:19], v[28:29], v[24:25]
	v_fma_f64 v[24:25], v[20:21], v[30:31], v[24:25]
	s_waitcnt lgkmcnt(0)
	v_fma_f64 v[24:25], v[22:23], v[26:27], v[24:25]
	v_add_f64 v[4:5], v[4:5], -v[24:25]
	v_cmpx_ne_u32_e32 0, v0
	s_cbranch_execz .LBB10_88
; %bb.87:
	v_mov_b32_e32 v35, v34
	v_mov_b32_e32 v36, v4
	;; [unrolled: 1-line block ×21, first 2 shown]
	ds_write_b64 v1, v[2:3]
	v_mov_b32_e32 v2, v34
	v_mov_b32_e32 v3, v35
	;; [unrolled: 1-line block ×32, first 2 shown]
.LBB10_88:
	s_or_b32 exec_lo, exec_lo, s0
	s_waitcnt lgkmcnt(0)
	s_barrier
	buffer_gl0_inv
	ds_read2_b64 v[24:27], v34 offset0:13 offset1:14
	ds_read2_b64 v[28:31], v34 offset0:15 offset1:16
	s_and_b32 vcc_lo, exec_lo, s18
	s_waitcnt lgkmcnt(1)
	v_fma_f64 v[0:1], v[4:5], v[24:25], 0
	v_fma_f64 v[0:1], v[6:7], v[26:27], v[0:1]
	s_waitcnt lgkmcnt(0)
	v_fma_f64 v[0:1], v[8:9], v[28:29], v[0:1]
	v_fma_f64 v[0:1], v[10:11], v[30:31], v[0:1]
	ds_read2_b64 v[24:27], v34 offset0:17 offset1:18
	ds_read2_b64 v[28:31], v34 offset0:19 offset1:20
	s_waitcnt lgkmcnt(1)
	v_fma_f64 v[0:1], v[12:13], v[24:25], v[0:1]
	v_fma_f64 v[0:1], v[14:15], v[26:27], v[0:1]
	ds_read2_b64 v[24:27], v34 offset0:21 offset1:22
	s_waitcnt lgkmcnt(1)
	v_fma_f64 v[0:1], v[16:17], v[28:29], v[0:1]
	v_fma_f64 v[0:1], v[18:19], v[30:31], v[0:1]
	s_waitcnt lgkmcnt(0)
	v_fma_f64 v[0:1], v[20:21], v[24:25], v[0:1]
	v_fma_f64 v[0:1], v[22:23], v[26:27], v[0:1]
	v_add_f64 v[2:3], v[2:3], -v[0:1]
	s_cbranch_vccz .LBB10_109
; %bb.89:
	v_mov_b32_e32 v0, 0
	global_load_dword v1, v0, s[16:17] offset:36
	s_waitcnt vmcnt(0)
	v_readfirstlane_b32 s0, v1
	s_add_i32 s0, s0, -1
	s_cmp_lg_u32 s0, 9
	s_cbranch_scc0 .LBB10_91
; %bb.90:
	s_lshl_b32 m0, s0, 1
	v_movrels_b32_e32 v1, v2
	v_movrels_b32_e32 v54, v3
	v_mov_b32_e32 v53, v33
	v_mov_b32_e32 v52, v32
	;; [unrolled: 1-line block ×34, first 2 shown]
	v_movreld_b32_e32 v22, v20
	v_movreld_b32_e32 v23, v21
	v_mov_b32_e32 v2, v22
	v_mov_b32_e32 v3, v23
	;; [unrolled: 1-line block ×32, first 2 shown]
.LBB10_91:
	global_load_dword v0, v0, s[16:17] offset:32
	s_waitcnt vmcnt(0)
	v_readfirstlane_b32 s0, v0
	s_add_i32 s0, s0, -1
	s_cmp_eq_u32 s0, 8
	s_cbranch_scc1 .LBB10_93
; %bb.92:
	s_lshl_b32 m0, s0, 1
	v_movrels_b32_e32 v0, v2
	v_movrels_b32_e32 v1, v3
	v_mov_b32_e32 v51, v33
	v_mov_b32_e32 v50, v32
	;; [unrolled: 1-line block ×34, first 2 shown]
	v_movreld_b32_e32 v20, v18
	v_movreld_b32_e32 v21, v19
	v_mov_b32_e32 v2, v20
	v_mov_b32_e32 v3, v21
	;; [unrolled: 1-line block ×32, first 2 shown]
.LBB10_93:
	v_mov_b32_e32 v0, 0
	global_load_dword v1, v0, s[16:17] offset:28
	s_waitcnt vmcnt(0)
	v_readfirstlane_b32 s0, v1
	s_add_i32 s0, s0, -1
	s_cmp_eq_u32 s0, 7
	s_cbranch_scc1 .LBB10_95
; %bb.94:
	s_lshl_b32 m0, s0, 1
	v_movrels_b32_e32 v1, v2
	v_movrels_b32_e32 v50, v3
	v_mov_b32_e32 v49, v33
	v_mov_b32_e32 v48, v32
	;; [unrolled: 1-line block ×34, first 2 shown]
	v_movreld_b32_e32 v18, v16
	v_movreld_b32_e32 v19, v17
	v_mov_b32_e32 v2, v18
	v_mov_b32_e32 v3, v19
	;; [unrolled: 1-line block ×32, first 2 shown]
.LBB10_95:
	global_load_dword v0, v0, s[16:17] offset:24
	s_waitcnt vmcnt(0)
	v_readfirstlane_b32 s0, v0
	s_add_i32 s0, s0, -1
	s_cmp_eq_u32 s0, 6
	s_cbranch_scc1 .LBB10_97
; %bb.96:
	s_lshl_b32 m0, s0, 1
	v_movrels_b32_e32 v0, v2
	v_movrels_b32_e32 v1, v3
	v_mov_b32_e32 v47, v33
	v_mov_b32_e32 v46, v32
	;; [unrolled: 1-line block ×34, first 2 shown]
	v_movreld_b32_e32 v16, v14
	v_movreld_b32_e32 v17, v15
	v_mov_b32_e32 v2, v16
	v_mov_b32_e32 v3, v17
	;; [unrolled: 1-line block ×32, first 2 shown]
.LBB10_97:
	v_mov_b32_e32 v0, 0
	global_load_dword v1, v0, s[16:17] offset:20
	s_waitcnt vmcnt(0)
	v_readfirstlane_b32 s0, v1
	s_add_i32 s0, s0, -1
	s_cmp_eq_u32 s0, 5
	s_cbranch_scc1 .LBB10_99
; %bb.98:
	s_lshl_b32 m0, s0, 1
	v_movrels_b32_e32 v1, v2
	v_movrels_b32_e32 v46, v3
	v_mov_b32_e32 v45, v33
	v_mov_b32_e32 v44, v32
	;; [unrolled: 1-line block ×34, first 2 shown]
	v_movreld_b32_e32 v14, v12
	v_movreld_b32_e32 v15, v13
	v_mov_b32_e32 v2, v14
	v_mov_b32_e32 v3, v15
	v_mov_b32_e32 v4, v16
	v_mov_b32_e32 v5, v17
	v_mov_b32_e32 v6, v18
	v_mov_b32_e32 v7, v19
	v_mov_b32_e32 v8, v20
	v_mov_b32_e32 v9, v21
	v_mov_b32_e32 v10, v22
	v_mov_b32_e32 v11, v23
	v_mov_b32_e32 v12, v24
	v_mov_b32_e32 v13, v25
	v_mov_b32_e32 v14, v26
	v_mov_b32_e32 v15, v27
	v_mov_b32_e32 v16, v28
	v_mov_b32_e32 v17, v29
	v_mov_b32_e32 v18, v30
	v_mov_b32_e32 v19, v31
	v_mov_b32_e32 v20, v32
	v_mov_b32_e32 v21, v33
	v_mov_b32_e32 v22, v34
	v_mov_b32_e32 v23, v35
	v_mov_b32_e32 v24, v36
	v_mov_b32_e32 v25, v37
	v_mov_b32_e32 v26, v38
	v_mov_b32_e32 v27, v39
	v_mov_b32_e32 v28, v40
	v_mov_b32_e32 v29, v41
	v_mov_b32_e32 v30, v42
	v_mov_b32_e32 v31, v43
	v_mov_b32_e32 v32, v44
	v_mov_b32_e32 v33, v45
.LBB10_99:
	global_load_dword v0, v0, s[16:17] offset:16
	s_waitcnt vmcnt(0)
	v_readfirstlane_b32 s0, v0
	s_add_i32 s0, s0, -1
	s_cmp_eq_u32 s0, 4
	s_cbranch_scc1 .LBB10_101
; %bb.100:
	s_lshl_b32 m0, s0, 1
	v_movrels_b32_e32 v0, v2
	v_movrels_b32_e32 v1, v3
	v_mov_b32_e32 v43, v33
	v_mov_b32_e32 v42, v32
	v_mov_b32_e32 v41, v31
	v_mov_b32_e32 v40, v30
	v_mov_b32_e32 v39, v29
	v_mov_b32_e32 v38, v28
	v_mov_b32_e32 v37, v27
	v_mov_b32_e32 v36, v26
	v_mov_b32_e32 v35, v25
	v_mov_b32_e32 v34, v24
	v_mov_b32_e32 v33, v23
	v_mov_b32_e32 v32, v22
	v_mov_b32_e32 v31, v21
	v_mov_b32_e32 v30, v20
	v_mov_b32_e32 v29, v19
	v_mov_b32_e32 v28, v18
	v_mov_b32_e32 v27, v17
	v_mov_b32_e32 v26, v16
	v_mov_b32_e32 v25, v15
	v_mov_b32_e32 v24, v14
	v_mov_b32_e32 v23, v13
	v_mov_b32_e32 v22, v12
	v_mov_b32_e32 v21, v11
	v_mov_b32_e32 v20, v10
	v_mov_b32_e32 v19, v9
	v_mov_b32_e32 v18, v8
	v_mov_b32_e32 v17, v7
	v_mov_b32_e32 v16, v6
	v_mov_b32_e32 v15, v5
	v_mov_b32_e32 v14, v4
	v_mov_b32_e32 v13, v3
	v_mov_b32_e32 v12, v2
	v_mov_b32_e32 v20, v0
	v_mov_b32_e32 v21, v1
	v_movreld_b32_e32 v12, v10
	v_movreld_b32_e32 v13, v11
	v_mov_b32_e32 v2, v12
	v_mov_b32_e32 v3, v13
	v_mov_b32_e32 v4, v14
	v_mov_b32_e32 v5, v15
	v_mov_b32_e32 v6, v16
	v_mov_b32_e32 v7, v17
	v_mov_b32_e32 v8, v18
	v_mov_b32_e32 v9, v19
	v_mov_b32_e32 v10, v20
	v_mov_b32_e32 v11, v21
	v_mov_b32_e32 v12, v22
	v_mov_b32_e32 v13, v23
	v_mov_b32_e32 v14, v24
	v_mov_b32_e32 v15, v25
	v_mov_b32_e32 v16, v26
	v_mov_b32_e32 v17, v27
	v_mov_b32_e32 v18, v28
	v_mov_b32_e32 v19, v29
	v_mov_b32_e32 v20, v30
	v_mov_b32_e32 v21, v31
	v_mov_b32_e32 v22, v32
	v_mov_b32_e32 v23, v33
	v_mov_b32_e32 v24, v34
	v_mov_b32_e32 v25, v35
	v_mov_b32_e32 v26, v36
	v_mov_b32_e32 v27, v37
	v_mov_b32_e32 v28, v38
	v_mov_b32_e32 v29, v39
	v_mov_b32_e32 v30, v40
	v_mov_b32_e32 v31, v41
	v_mov_b32_e32 v32, v42
	v_mov_b32_e32 v33, v43
.LBB10_101:
	v_mov_b32_e32 v0, 0
	global_load_dword v1, v0, s[16:17] offset:12
	s_waitcnt vmcnt(0)
	v_readfirstlane_b32 s0, v1
	s_add_i32 s0, s0, -1
	s_cmp_eq_u32 s0, 3
	s_cbranch_scc1 .LBB10_103
; %bb.102:
	s_lshl_b32 m0, s0, 1
	v_movrels_b32_e32 v1, v2
	v_movrels_b32_e32 v42, v3
	v_mov_b32_e32 v41, v33
	v_mov_b32_e32 v40, v32
	;; [unrolled: 1-line block ×34, first 2 shown]
	v_movreld_b32_e32 v10, v8
	v_movreld_b32_e32 v11, v9
	v_mov_b32_e32 v2, v10
	v_mov_b32_e32 v3, v11
	;; [unrolled: 1-line block ×32, first 2 shown]
.LBB10_103:
	global_load_dword v0, v0, s[16:17] offset:8
	s_waitcnt vmcnt(0)
	v_readfirstlane_b32 s0, v0
	s_add_i32 s0, s0, -1
	s_cmp_eq_u32 s0, 2
	s_cbranch_scc1 .LBB10_105
; %bb.104:
	s_lshl_b32 m0, s0, 1
	v_movrels_b32_e32 v0, v2
	v_movrels_b32_e32 v1, v3
	v_mov_b32_e32 v39, v33
	v_mov_b32_e32 v38, v32
	;; [unrolled: 1-line block ×34, first 2 shown]
	v_movreld_b32_e32 v8, v6
	v_movreld_b32_e32 v9, v7
	v_mov_b32_e32 v2, v8
	v_mov_b32_e32 v3, v9
	;; [unrolled: 1-line block ×32, first 2 shown]
.LBB10_105:
	v_mov_b32_e32 v0, 0
	global_load_dword v1, v0, s[16:17] offset:4
	s_waitcnt vmcnt(0)
	v_readfirstlane_b32 s0, v1
	s_add_i32 s0, s0, -1
	s_cmp_eq_u32 s0, 1
	s_cbranch_scc1 .LBB10_107
; %bb.106:
	s_lshl_b32 m0, s0, 1
	v_movrels_b32_e32 v1, v2
	v_movrels_b32_e32 v38, v3
	v_mov_b32_e32 v37, v33
	v_mov_b32_e32 v36, v32
	;; [unrolled: 1-line block ×34, first 2 shown]
	v_movreld_b32_e32 v6, v4
	v_movreld_b32_e32 v7, v5
	v_mov_b32_e32 v2, v6
	v_mov_b32_e32 v3, v7
	;; [unrolled: 1-line block ×32, first 2 shown]
.LBB10_107:
	global_load_dword v0, v0, s[16:17]
	s_waitcnt vmcnt(0)
	v_readfirstlane_b32 s0, v0
	s_add_i32 s0, s0, -1
	s_cmp_eq_u32 s0, 0
	s_cbranch_scc1 .LBB10_109
; %bb.108:
	s_lshl_b32 m0, s0, 1
	v_movrels_b32_e32 v0, v2
	v_movrels_b32_e32 v1, v3
	v_mov_b32_e32 v35, v33
	v_mov_b32_e32 v34, v32
	;; [unrolled: 1-line block ×34, first 2 shown]
	v_movreld_b32_e32 v4, v2
	v_movreld_b32_e32 v5, v3
	v_mov_b32_e32 v2, v4
	v_mov_b32_e32 v3, v5
	;; [unrolled: 1-line block ×32, first 2 shown]
.LBB10_109:
	global_store_dwordx2 v[56:57], v[2:3], off
	global_store_dwordx2 v[58:59], v[4:5], off
	;; [unrolled: 1-line block ×11, first 2 shown]
	s_endpgm
	.section	.rodata,"a",@progbits
	.p2align	6, 0x0
	.amdhsa_kernel _ZN9rocsolver6v33100L18getri_kernel_smallILi11EdPdEEvT1_iilPiilS4_bb
		.amdhsa_group_segment_fixed_size 184
		.amdhsa_private_segment_fixed_size 0
		.amdhsa_kernarg_size 60
		.amdhsa_user_sgpr_count 6
		.amdhsa_user_sgpr_private_segment_buffer 1
		.amdhsa_user_sgpr_dispatch_ptr 0
		.amdhsa_user_sgpr_queue_ptr 0
		.amdhsa_user_sgpr_kernarg_segment_ptr 1
		.amdhsa_user_sgpr_dispatch_id 0
		.amdhsa_user_sgpr_flat_scratch_init 0
		.amdhsa_user_sgpr_private_segment_size 0
		.amdhsa_wavefront_size32 1
		.amdhsa_uses_dynamic_stack 0
		.amdhsa_system_sgpr_private_segment_wavefront_offset 0
		.amdhsa_system_sgpr_workgroup_id_x 1
		.amdhsa_system_sgpr_workgroup_id_y 0
		.amdhsa_system_sgpr_workgroup_id_z 0
		.amdhsa_system_sgpr_workgroup_info 0
		.amdhsa_system_vgpr_workitem_id 0
		.amdhsa_next_free_vgpr 78
		.amdhsa_next_free_sgpr 19
		.amdhsa_reserve_vcc 1
		.amdhsa_reserve_flat_scratch 0
		.amdhsa_float_round_mode_32 0
		.amdhsa_float_round_mode_16_64 0
		.amdhsa_float_denorm_mode_32 3
		.amdhsa_float_denorm_mode_16_64 3
		.amdhsa_dx10_clamp 1
		.amdhsa_ieee_mode 1
		.amdhsa_fp16_overflow 0
		.amdhsa_workgroup_processor_mode 1
		.amdhsa_memory_ordered 1
		.amdhsa_forward_progress 1
		.amdhsa_shared_vgpr_count 0
		.amdhsa_exception_fp_ieee_invalid_op 0
		.amdhsa_exception_fp_denorm_src 0
		.amdhsa_exception_fp_ieee_div_zero 0
		.amdhsa_exception_fp_ieee_overflow 0
		.amdhsa_exception_fp_ieee_underflow 0
		.amdhsa_exception_fp_ieee_inexact 0
		.amdhsa_exception_int_div_zero 0
	.end_amdhsa_kernel
	.section	.text._ZN9rocsolver6v33100L18getri_kernel_smallILi11EdPdEEvT1_iilPiilS4_bb,"axG",@progbits,_ZN9rocsolver6v33100L18getri_kernel_smallILi11EdPdEEvT1_iilPiilS4_bb,comdat
.Lfunc_end10:
	.size	_ZN9rocsolver6v33100L18getri_kernel_smallILi11EdPdEEvT1_iilPiilS4_bb, .Lfunc_end10-_ZN9rocsolver6v33100L18getri_kernel_smallILi11EdPdEEvT1_iilPiilS4_bb
                                        ; -- End function
	.set _ZN9rocsolver6v33100L18getri_kernel_smallILi11EdPdEEvT1_iilPiilS4_bb.num_vgpr, 78
	.set _ZN9rocsolver6v33100L18getri_kernel_smallILi11EdPdEEvT1_iilPiilS4_bb.num_agpr, 0
	.set _ZN9rocsolver6v33100L18getri_kernel_smallILi11EdPdEEvT1_iilPiilS4_bb.numbered_sgpr, 19
	.set _ZN9rocsolver6v33100L18getri_kernel_smallILi11EdPdEEvT1_iilPiilS4_bb.num_named_barrier, 0
	.set _ZN9rocsolver6v33100L18getri_kernel_smallILi11EdPdEEvT1_iilPiilS4_bb.private_seg_size, 0
	.set _ZN9rocsolver6v33100L18getri_kernel_smallILi11EdPdEEvT1_iilPiilS4_bb.uses_vcc, 1
	.set _ZN9rocsolver6v33100L18getri_kernel_smallILi11EdPdEEvT1_iilPiilS4_bb.uses_flat_scratch, 0
	.set _ZN9rocsolver6v33100L18getri_kernel_smallILi11EdPdEEvT1_iilPiilS4_bb.has_dyn_sized_stack, 0
	.set _ZN9rocsolver6v33100L18getri_kernel_smallILi11EdPdEEvT1_iilPiilS4_bb.has_recursion, 0
	.set _ZN9rocsolver6v33100L18getri_kernel_smallILi11EdPdEEvT1_iilPiilS4_bb.has_indirect_call, 0
	.section	.AMDGPU.csdata,"",@progbits
; Kernel info:
; codeLenInByte = 13320
; TotalNumSgprs: 21
; NumVgprs: 78
; ScratchSize: 0
; MemoryBound: 0
; FloatMode: 240
; IeeeMode: 1
; LDSByteSize: 184 bytes/workgroup (compile time only)
; SGPRBlocks: 0
; VGPRBlocks: 9
; NumSGPRsForWavesPerEU: 21
; NumVGPRsForWavesPerEU: 78
; Occupancy: 12
; WaveLimiterHint : 0
; COMPUTE_PGM_RSRC2:SCRATCH_EN: 0
; COMPUTE_PGM_RSRC2:USER_SGPR: 6
; COMPUTE_PGM_RSRC2:TRAP_HANDLER: 0
; COMPUTE_PGM_RSRC2:TGID_X_EN: 1
; COMPUTE_PGM_RSRC2:TGID_Y_EN: 0
; COMPUTE_PGM_RSRC2:TGID_Z_EN: 0
; COMPUTE_PGM_RSRC2:TIDIG_COMP_CNT: 0
	.section	.text._ZN9rocsolver6v33100L18getri_kernel_smallILi12EdPdEEvT1_iilPiilS4_bb,"axG",@progbits,_ZN9rocsolver6v33100L18getri_kernel_smallILi12EdPdEEvT1_iilPiilS4_bb,comdat
	.globl	_ZN9rocsolver6v33100L18getri_kernel_smallILi12EdPdEEvT1_iilPiilS4_bb ; -- Begin function _ZN9rocsolver6v33100L18getri_kernel_smallILi12EdPdEEvT1_iilPiilS4_bb
	.p2align	8
	.type	_ZN9rocsolver6v33100L18getri_kernel_smallILi12EdPdEEvT1_iilPiilS4_bb,@function
_ZN9rocsolver6v33100L18getri_kernel_smallILi12EdPdEEvT1_iilPiilS4_bb: ; @_ZN9rocsolver6v33100L18getri_kernel_smallILi12EdPdEEvT1_iilPiilS4_bb
; %bb.0:
	s_mov_b32 s0, exec_lo
	v_cmpx_gt_u32_e32 12, v0
	s_cbranch_execz .LBB11_16
; %bb.1:
	s_clause 0x2
	s_load_dword s0, s[4:5], 0x38
	s_load_dwordx4 s[8:11], s[4:5], 0x10
	s_load_dwordx4 s[12:15], s[4:5], 0x28
                                        ; implicit-def: $sgpr16_sgpr17
	s_waitcnt lgkmcnt(0)
	s_bitcmp1_b32 s0, 8
	s_cselect_b32 s18, -1, 0
	s_bfe_u32 s0, s0, 0x10008
	s_ashr_i32 s7, s6, 31
	s_cmp_eq_u32 s0, 0
	s_cbranch_scc1 .LBB11_3
; %bb.2:
	s_load_dword s0, s[4:5], 0x20
	s_mul_i32 s1, s12, s7
	s_mul_hi_u32 s2, s12, s6
	s_mul_i32 s3, s13, s6
	s_add_i32 s1, s2, s1
	s_mul_i32 s2, s12, s6
	s_add_i32 s3, s1, s3
	s_lshl_b64 s[2:3], s[2:3], 2
	s_waitcnt lgkmcnt(0)
	s_ashr_i32 s1, s0, 31
	s_add_u32 s2, s10, s2
	s_addc_u32 s3, s11, s3
	s_lshl_b64 s[0:1], s[0:1], 2
	s_add_u32 s16, s2, s0
	s_addc_u32 s17, s3, s1
.LBB11_3:
	s_clause 0x1
	s_load_dwordx4 s[0:3], s[4:5], 0x0
	s_load_dword s4, s[4:5], 0x38
	s_mul_i32 s5, s8, s7
	s_mul_hi_u32 s10, s8, s6
	s_mul_i32 s9, s9, s6
	s_add_i32 s5, s10, s5
	s_mul_i32 s8, s8, s6
	s_add_i32 s9, s5, s9
	v_lshlrev_b32_e32 v28, 3, v0
	s_lshl_b64 s[8:9], s[8:9], 3
	s_waitcnt lgkmcnt(0)
	v_add3_u32 v1, s3, s3, v0
	s_ashr_i32 s11, s2, 31
	s_mov_b32 s10, s2
	s_add_u32 s2, s0, s8
	s_addc_u32 s5, s1, s9
	v_add_nc_u32_e32 v3, s3, v1
	s_lshl_b64 s[0:1], s[10:11], 3
	v_ashrrev_i32_e32 v2, 31, v1
	s_add_u32 s0, s2, s0
	s_addc_u32 s1, s5, s1
	v_add_nc_u32_e32 v5, s3, v3
	v_add_co_u32 v56, s2, s0, v28
	s_mov_b32 s8, s3
	s_ashr_i32 s9, s3, 31
	v_lshlrev_b64 v[1:2], 3, v[1:2]
	v_ashrrev_i32_e32 v4, 31, v3
	v_add_co_ci_u32_e64 v57, null, s1, 0, s2
	s_lshl_b64 s[8:9], s[8:9], 3
	v_ashrrev_i32_e32 v6, 31, v5
	v_add_nc_u32_e32 v7, s3, v5
	v_add_co_u32 v60, vcc_lo, v56, s8
	v_lshlrev_b64 v[3:4], 3, v[3:4]
	v_add_co_ci_u32_e64 v61, null, s9, v57, vcc_lo
	v_add_co_u32 v58, vcc_lo, s0, v1
	v_add_co_ci_u32_e64 v59, null, s1, v2, vcc_lo
	v_lshlrev_b64 v[1:2], 3, v[5:6]
	v_ashrrev_i32_e32 v8, 31, v7
	v_add_nc_u32_e32 v5, s3, v7
	v_add_co_u32 v62, vcc_lo, s0, v3
	v_add_co_ci_u32_e64 v63, null, s1, v4, vcc_lo
	v_lshlrev_b64 v[3:4], 3, v[7:8]
	v_ashrrev_i32_e32 v6, 31, v5
	v_add_nc_u32_e32 v7, s3, v5
	;; [unrolled: 5-line block ×5, first 2 shown]
	v_add_co_u32 v68, vcc_lo, s0, v3
	v_add_co_ci_u32_e64 v69, null, s1, v4, vcc_lo
	v_lshlrev_b64 v[3:4], 3, v[7:8]
	v_add_nc_u32_e32 v7, s3, v5
	v_ashrrev_i32_e32 v6, 31, v5
	v_add_co_u32 v72, vcc_lo, s0, v1
	v_add_co_ci_u32_e64 v73, null, s1, v2, vcc_lo
	v_ashrrev_i32_e32 v8, 31, v7
	v_lshlrev_b64 v[1:2], 3, v[5:6]
	v_add_co_u32 v74, vcc_lo, s0, v3
	v_add_co_ci_u32_e64 v75, null, s1, v4, vcc_lo
	v_lshlrev_b64 v[3:4], 3, v[7:8]
	v_add_co_u32 v76, vcc_lo, s0, v1
	v_add_co_ci_u32_e64 v77, null, s1, v2, vcc_lo
	v_mov_b32_e32 v1, 0
	v_add_co_u32 v78, vcc_lo, s0, v3
	v_add_co_ci_u32_e64 v79, null, s1, v4, vcc_lo
	s_clause 0xb
	global_load_dwordx2 v[2:3], v28, s[0:1]
	global_load_dwordx2 v[4:5], v[60:61], off
	global_load_dwordx2 v[6:7], v[58:59], off
	;; [unrolled: 1-line block ×11, first 2 shown]
	s_bitcmp0_b32 s4, 0
	s_mov_b32 s0, -1
	s_cbranch_scc1 .LBB11_14
; %bb.4:
	v_cmp_eq_u32_e64 s0, 0, v0
	s_and_saveexec_b32 s1, s0
; %bb.5:
	v_mov_b32_e32 v26, 0
	ds_write_b32 v26, v26 offset:192
; %bb.6:
	s_or_b32 exec_lo, exec_lo, s1
	v_cmp_eq_u32_e32 vcc_lo, 1, v0
	s_mov_b32 s2, exec_lo
	s_waitcnt vmcnt(0) lgkmcnt(0)
	s_barrier
	buffer_gl0_inv
	v_cndmask_b32_e32 v26, v3, v5, vcc_lo
	v_cndmask_b32_e32 v27, v2, v4, vcc_lo
	v_cmp_eq_u32_e32 vcc_lo, 2, v0
	v_cndmask_b32_e32 v26, v26, v7, vcc_lo
	v_cndmask_b32_e32 v27, v27, v6, vcc_lo
	v_cmp_eq_u32_e32 vcc_lo, 3, v0
	;; [unrolled: 3-line block ×10, first 2 shown]
	v_cndmask_b32_e32 v27, v26, v25, vcc_lo
	v_cndmask_b32_e32 v26, v29, v24, vcc_lo
	v_cmpx_eq_f64_e32 0, v[26:27]
	s_cbranch_execz .LBB11_10
; %bb.7:
	v_mov_b32_e32 v29, 0
	s_mov_b32 s3, 0
	ds_read_b32 v30, v29 offset:192
	s_waitcnt lgkmcnt(0)
	v_readfirstlane_b32 s1, v30
	v_add_nc_u32_e32 v30, 1, v0
	s_cmp_eq_u32 s1, 0
	v_cmp_gt_i32_e32 vcc_lo, s1, v30
	s_cselect_b32 s4, -1, 0
	s_or_b32 s4, s4, vcc_lo
	s_and_b32 exec_lo, exec_lo, s4
	s_cbranch_execz .LBB11_10
; %bb.8:
	v_mov_b32_e32 v31, s1
.LBB11_9:                               ; =>This Inner Loop Header: Depth=1
	ds_cmpst_rtn_b32 v31, v29, v31, v30 offset:192
	s_waitcnt lgkmcnt(0)
	v_cmp_ne_u32_e32 vcc_lo, 0, v31
	v_cmp_le_i32_e64 s1, v31, v30
	s_and_b32 s1, vcc_lo, s1
	s_and_b32 s1, exec_lo, s1
	s_or_b32 s3, s1, s3
	s_andn2_b32 exec_lo, exec_lo, s3
	s_cbranch_execnz .LBB11_9
.LBB11_10:
	s_or_b32 exec_lo, exec_lo, s2
	v_mov_b32_e32 v29, 0
	s_barrier
	buffer_gl0_inv
	ds_read_b32 v30, v29 offset:192
	s_and_saveexec_b32 s1, s0
	s_cbranch_execz .LBB11_12
; %bb.11:
	s_lshl_b64 s[2:3], s[6:7], 2
	s_add_u32 s2, s14, s2
	s_addc_u32 s3, s15, s3
	s_waitcnt lgkmcnt(0)
	global_store_dword v29, v30, s[2:3]
.LBB11_12:
	s_or_b32 exec_lo, exec_lo, s1
	s_waitcnt lgkmcnt(0)
	v_cmp_ne_u32_e32 vcc_lo, 0, v30
	s_cbranch_vccz .LBB11_17
; %bb.13:
	s_mov_b32 s0, 0
                                        ; implicit-def: $vgpr2_vgpr3_vgpr4_vgpr5_vgpr6_vgpr7_vgpr8_vgpr9_vgpr10_vgpr11_vgpr12_vgpr13_vgpr14_vgpr15_vgpr16_vgpr17_vgpr18_vgpr19_vgpr20_vgpr21_vgpr22_vgpr23_vgpr24_vgpr25_vgpr26_vgpr27_vgpr28_vgpr29_vgpr30_vgpr31_vgpr32_vgpr33
.LBB11_14:
	s_and_b32 vcc_lo, exec_lo, s0
	s_cbranch_vccz .LBB11_16
.LBB11_15:
	s_lshl_b64 s[0:1], s[6:7], 2
	v_mov_b32_e32 v1, 0
	s_add_u32 s0, s14, s0
	s_addc_u32 s1, s15, s1
	global_load_dword v1, v1, s[0:1]
	s_waitcnt vmcnt(0)
	v_cmp_ne_u32_e32 vcc_lo, 0, v1
	s_cbranch_vccz .LBB11_72
.LBB11_16:
	s_endpgm
.LBB11_17:
	v_div_scale_f64 v[29:30], null, v[26:27], v[26:27], 1.0
	v_div_scale_f64 v[35:36], vcc_lo, 1.0, v[26:27], 1.0
	v_cmp_eq_u32_e64 s1, 10, v0
	v_cmp_eq_u32_e64 s2, 9, v0
	;; [unrolled: 1-line block ×11, first 2 shown]
	v_rcp_f64_e32 v[31:32], v[29:30]
	v_fma_f64 v[33:34], -v[29:30], v[31:32], 1.0
	v_fma_f64 v[31:32], v[31:32], v[33:34], v[31:32]
	v_fma_f64 v[33:34], -v[29:30], v[31:32], 1.0
	v_fma_f64 v[31:32], v[31:32], v[33:34], v[31:32]
	v_mul_f64 v[33:34], v[35:36], v[31:32]
	v_fma_f64 v[29:30], -v[29:30], v[33:34], v[35:36]
	v_div_fmas_f64 v[29:30], v[29:30], v[31:32], v[33:34]
	v_cmp_eq_u32_e32 vcc_lo, 11, v0
	v_div_fixup_f64 v[26:27], v[29:30], v[26:27], 1.0
	v_add_nc_u32_e32 v30, 0x60, v28
	v_cndmask_b32_e32 v25, v25, v27, vcc_lo
	v_cndmask_b32_e32 v24, v24, v26, vcc_lo
	v_cndmask_b32_e64 v23, v23, v27, s1
	v_cndmask_b32_e64 v22, v22, v26, s1
	;; [unrolled: 1-line block ×18, first 2 shown]
	v_xor_b32_e32 v32, 0x80000000, v27
	v_mov_b32_e32 v31, v26
	v_cndmask_b32_e64 v7, v7, v27, s11
	v_cndmask_b32_e64 v6, v6, v26, s11
	;; [unrolled: 1-line block ×4, first 2 shown]
	ds_write2_b64 v28, v[31:32], v[4:5] offset1:12
	s_waitcnt lgkmcnt(0)
	s_waitcnt_vscnt null, 0x0
	s_barrier
	buffer_gl0_inv
	s_and_saveexec_b32 s1, s0
	s_cbranch_execz .LBB11_19
; %bb.18:
	ds_read_b64 v[4:5], v30
	v_mov_b32_e32 v28, 0
	ds_read_b64 v[28:29], v28 offset:8
	s_waitcnt lgkmcnt(1)
	v_fma_f64 v[4:5], v[26:27], v[4:5], 0
	s_waitcnt lgkmcnt(0)
	v_mul_f64 v[4:5], v[4:5], v[28:29]
.LBB11_19:
	s_or_b32 exec_lo, exec_lo, s1
	v_cmp_gt_u32_e32 vcc_lo, 2, v0
	s_barrier
	buffer_gl0_inv
	ds_write_b64 v30, v[6:7]
	s_waitcnt lgkmcnt(0)
	s_barrier
	buffer_gl0_inv
	s_and_saveexec_b32 s3, vcc_lo
	s_cbranch_execz .LBB11_23
; %bb.20:
	v_cmp_eq_u32_e64 s1, 1, v0
	v_cmp_eq_u32_e64 s2, 9, v0
	v_cndmask_b32_e64 v26, v3, v5, s1
	v_cndmask_b32_e64 v27, v2, v4, s1
	v_cmp_eq_u32_e64 s1, 2, v0
	v_cndmask_b32_e64 v7, v26, v7, s1
	v_cndmask_b32_e64 v6, v27, v6, s1
	;; [unrolled: 3-line block ×8, first 2 shown]
	ds_read_b64 v[6:7], v30
	v_cmp_eq_u32_e64 s1, 10, v0
	v_cndmask_b32_e64 v26, v26, v21, s2
	v_cndmask_b32_e64 v27, v27, v20, s2
	;; [unrolled: 1-line block ×4, first 2 shown]
	v_cmp_eq_u32_e64 s1, 11, v0
	v_cndmask_b32_e64 v27, v26, v25, s1
	v_cndmask_b32_e64 v26, v28, v24, s1
	s_waitcnt lgkmcnt(0)
	v_fma_f64 v[6:7], v[26:27], v[6:7], 0
	s_and_saveexec_b32 s1, s0
	s_cbranch_execz .LBB11_22
; %bb.21:
	v_mov_b32_e32 v26, 0
	ds_read_b64 v[26:27], v26 offset:104
	s_waitcnt lgkmcnt(0)
	v_fma_f64 v[6:7], v[4:5], v[26:27], v[6:7]
.LBB11_22:
	s_or_b32 exec_lo, exec_lo, s1
	v_mov_b32_e32 v26, 0
	ds_read_b64 v[26:27], v26 offset:16
	s_waitcnt lgkmcnt(0)
	v_mul_f64 v[6:7], v[6:7], v[26:27]
.LBB11_23:
	s_or_b32 exec_lo, exec_lo, s3
	s_mov_b32 s3, exec_lo
	s_barrier
	buffer_gl0_inv
	ds_write_b64 v30, v[8:9]
	s_waitcnt lgkmcnt(0)
	s_barrier
	buffer_gl0_inv
	v_cmpx_gt_u32_e32 3, v0
	s_cbranch_execz .LBB11_27
; %bb.24:
	v_mov_b32_e32 v26, 0
	v_mov_b32_e32 v29, v1
	v_lshl_add_u32 v31, v0, 3, 0x60
	v_mov_b32_e32 v27, 0
	v_mov_b32_e32 v28, v0
	s_mov_b32 s4, 0
.LBB11_25:                              ; =>This Inner Loop Header: Depth=1
	v_cmp_eq_u32_e64 s1, 1, v28
	v_cmp_eq_u32_e64 s2, 2, v28
	v_cndmask_b32_e64 v32, v3, v5, s1
	v_cndmask_b32_e64 v33, v2, v4, s1
	v_cmp_eq_u32_e64 s1, 3, v28
	v_cndmask_b32_e64 v32, v32, v7, s2
	v_cndmask_b32_e64 v33, v33, v6, s2
	;; [unrolled: 3-line block ×7, first 2 shown]
	ds_read_b64 v[32:33], v31
	v_cmp_eq_u32_e64 s1, 9, v28
	v_add_nc_u32_e32 v31, 8, v31
	v_cndmask_b32_e64 v34, v34, v19, s2
	v_cndmask_b32_e64 v35, v35, v18, s2
	v_cmp_eq_u32_e64 s2, 10, v28
	v_cndmask_b32_e64 v34, v34, v21, s1
	v_cndmask_b32_e64 v35, v35, v20, s1
	v_cmp_eq_u32_e64 s1, 11, v28
	v_cndmask_b32_e64 v34, v34, v23, s2
	v_cndmask_b32_e64 v36, v35, v22, s2
	;; [unrolled: 1-line block ×4, first 2 shown]
	v_add_co_u32 v28, s1, v28, 1
	v_add_co_ci_u32_e64 v29, null, 0, v29, s1
	s_waitcnt lgkmcnt(0)
	v_fma_f64 v[26:27], v[34:35], v[32:33], v[26:27]
	v_add_nc_u32_e32 v32, -1, v28
	v_cmp_lt_u32_e64 s1, 1, v32
	s_or_b32 s4, s1, s4
	s_andn2_b32 exec_lo, exec_lo, s4
	s_cbranch_execnz .LBB11_25
; %bb.26:
	s_or_b32 exec_lo, exec_lo, s4
	v_mov_b32_e32 v8, 0
	ds_read_b64 v[8:9], v8 offset:24
	s_waitcnt lgkmcnt(0)
	v_mul_f64 v[8:9], v[26:27], v[8:9]
.LBB11_27:
	s_or_b32 exec_lo, exec_lo, s3
	v_cmp_gt_u32_e64 s1, 4, v0
	s_barrier
	buffer_gl0_inv
	ds_write_b64 v30, v[10:11]
	s_waitcnt lgkmcnt(0)
	s_barrier
	buffer_gl0_inv
	s_and_saveexec_b32 s4, s1
	s_cbranch_execz .LBB11_31
; %bb.28:
	v_mov_b32_e32 v26, 0
	v_mov_b32_e32 v29, v1
	v_lshl_add_u32 v31, v0, 3, 0x60
	v_mov_b32_e32 v27, 0
	v_mov_b32_e32 v28, v0
	s_mov_b32 s5, 0
.LBB11_29:                              ; =>This Inner Loop Header: Depth=1
	v_cmp_eq_u32_e64 s2, 1, v28
	v_cmp_eq_u32_e64 s3, 2, v28
	v_cndmask_b32_e64 v32, v3, v5, s2
	v_cndmask_b32_e64 v33, v2, v4, s2
	v_cmp_eq_u32_e64 s2, 3, v28
	v_cndmask_b32_e64 v32, v32, v7, s3
	v_cndmask_b32_e64 v33, v33, v6, s3
	;; [unrolled: 3-line block ×7, first 2 shown]
	ds_read_b64 v[32:33], v31
	v_cmp_eq_u32_e64 s2, 9, v28
	v_add_nc_u32_e32 v31, 8, v31
	v_cndmask_b32_e64 v34, v34, v19, s3
	v_cndmask_b32_e64 v35, v35, v18, s3
	v_cmp_eq_u32_e64 s3, 10, v28
	v_cndmask_b32_e64 v34, v34, v21, s2
	v_cndmask_b32_e64 v35, v35, v20, s2
	v_cmp_eq_u32_e64 s2, 11, v28
	v_cndmask_b32_e64 v34, v34, v23, s3
	v_cndmask_b32_e64 v36, v35, v22, s3
	;; [unrolled: 1-line block ×4, first 2 shown]
	v_add_co_u32 v28, s2, v28, 1
	v_add_co_ci_u32_e64 v29, null, 0, v29, s2
	s_waitcnt lgkmcnt(0)
	v_fma_f64 v[26:27], v[34:35], v[32:33], v[26:27]
	v_add_nc_u32_e32 v32, -1, v28
	v_cmp_lt_u32_e64 s2, 2, v32
	s_or_b32 s5, s2, s5
	s_andn2_b32 exec_lo, exec_lo, s5
	s_cbranch_execnz .LBB11_29
; %bb.30:
	s_or_b32 exec_lo, exec_lo, s5
	v_mov_b32_e32 v10, 0
	ds_read_b64 v[10:11], v10 offset:32
	s_waitcnt lgkmcnt(0)
	v_mul_f64 v[10:11], v[26:27], v[10:11]
.LBB11_31:
	s_or_b32 exec_lo, exec_lo, s4
	s_mov_b32 s4, exec_lo
	s_barrier
	buffer_gl0_inv
	ds_write_b64 v30, v[12:13]
	s_waitcnt lgkmcnt(0)
	s_barrier
	buffer_gl0_inv
	v_cmpx_gt_u32_e32 5, v0
	s_cbranch_execz .LBB11_35
; %bb.32:
	v_mov_b32_e32 v26, 0
	v_mov_b32_e32 v29, v1
	v_lshl_add_u32 v31, v0, 3, 0x60
	v_mov_b32_e32 v27, 0
	v_mov_b32_e32 v28, v0
	s_mov_b32 s5, 0
.LBB11_33:                              ; =>This Inner Loop Header: Depth=1
	v_cmp_eq_u32_e64 s2, 1, v28
	v_cmp_eq_u32_e64 s3, 2, v28
	v_cndmask_b32_e64 v32, v3, v5, s2
	v_cndmask_b32_e64 v33, v2, v4, s2
	v_cmp_eq_u32_e64 s2, 3, v28
	v_cndmask_b32_e64 v32, v32, v7, s3
	v_cndmask_b32_e64 v33, v33, v6, s3
	;; [unrolled: 3-line block ×7, first 2 shown]
	ds_read_b64 v[32:33], v31
	v_cmp_eq_u32_e64 s2, 9, v28
	v_add_nc_u32_e32 v31, 8, v31
	v_cndmask_b32_e64 v34, v34, v19, s3
	v_cndmask_b32_e64 v35, v35, v18, s3
	v_cmp_eq_u32_e64 s3, 10, v28
	v_cndmask_b32_e64 v34, v34, v21, s2
	v_cndmask_b32_e64 v35, v35, v20, s2
	v_cmp_eq_u32_e64 s2, 11, v28
	v_cndmask_b32_e64 v34, v34, v23, s3
	v_cndmask_b32_e64 v36, v35, v22, s3
	;; [unrolled: 1-line block ×4, first 2 shown]
	v_add_co_u32 v28, s2, v28, 1
	v_add_co_ci_u32_e64 v29, null, 0, v29, s2
	s_waitcnt lgkmcnt(0)
	v_fma_f64 v[26:27], v[34:35], v[32:33], v[26:27]
	v_add_nc_u32_e32 v32, -1, v28
	v_cmp_lt_u32_e64 s2, 3, v32
	s_or_b32 s5, s2, s5
	s_andn2_b32 exec_lo, exec_lo, s5
	s_cbranch_execnz .LBB11_33
; %bb.34:
	s_or_b32 exec_lo, exec_lo, s5
	v_mov_b32_e32 v12, 0
	ds_read_b64 v[12:13], v12 offset:40
	s_waitcnt lgkmcnt(0)
	v_mul_f64 v[12:13], v[26:27], v[12:13]
.LBB11_35:
	s_or_b32 exec_lo, exec_lo, s4
	v_cmp_gt_u32_e64 s2, 6, v0
	s_barrier
	buffer_gl0_inv
	ds_write_b64 v30, v[14:15]
	s_waitcnt lgkmcnt(0)
	s_barrier
	buffer_gl0_inv
	s_and_saveexec_b32 s5, s2
	s_cbranch_execz .LBB11_39
; %bb.36:
	v_mov_b32_e32 v26, 0
	v_mov_b32_e32 v29, v1
	v_lshl_add_u32 v31, v0, 3, 0x60
	v_mov_b32_e32 v27, 0
	v_mov_b32_e32 v28, v0
	s_mov_b32 s8, 0
.LBB11_37:                              ; =>This Inner Loop Header: Depth=1
	v_cmp_eq_u32_e64 s3, 1, v28
	v_cmp_eq_u32_e64 s4, 2, v28
	v_cndmask_b32_e64 v32, v3, v5, s3
	v_cndmask_b32_e64 v33, v2, v4, s3
	v_cmp_eq_u32_e64 s3, 3, v28
	v_cndmask_b32_e64 v32, v32, v7, s4
	v_cndmask_b32_e64 v33, v33, v6, s4
	;; [unrolled: 3-line block ×7, first 2 shown]
	ds_read_b64 v[32:33], v31
	v_cmp_eq_u32_e64 s3, 9, v28
	v_add_nc_u32_e32 v31, 8, v31
	v_cndmask_b32_e64 v34, v34, v19, s4
	v_cndmask_b32_e64 v35, v35, v18, s4
	v_cmp_eq_u32_e64 s4, 10, v28
	v_cndmask_b32_e64 v34, v34, v21, s3
	v_cndmask_b32_e64 v35, v35, v20, s3
	v_cmp_eq_u32_e64 s3, 11, v28
	v_cndmask_b32_e64 v34, v34, v23, s4
	v_cndmask_b32_e64 v36, v35, v22, s4
	;; [unrolled: 1-line block ×4, first 2 shown]
	v_add_co_u32 v28, s3, v28, 1
	v_add_co_ci_u32_e64 v29, null, 0, v29, s3
	s_waitcnt lgkmcnt(0)
	v_fma_f64 v[26:27], v[34:35], v[32:33], v[26:27]
	v_add_nc_u32_e32 v32, -1, v28
	v_cmp_lt_u32_e64 s3, 4, v32
	s_or_b32 s8, s3, s8
	s_andn2_b32 exec_lo, exec_lo, s8
	s_cbranch_execnz .LBB11_37
; %bb.38:
	s_or_b32 exec_lo, exec_lo, s8
	v_mov_b32_e32 v14, 0
	ds_read_b64 v[14:15], v14 offset:48
	s_waitcnt lgkmcnt(0)
	v_mul_f64 v[14:15], v[26:27], v[14:15]
.LBB11_39:
	s_or_b32 exec_lo, exec_lo, s5
	s_mov_b32 s5, exec_lo
	s_barrier
	buffer_gl0_inv
	ds_write_b64 v30, v[16:17]
	s_waitcnt lgkmcnt(0)
	s_barrier
	buffer_gl0_inv
	v_cmpx_gt_u32_e32 7, v0
	s_cbranch_execz .LBB11_43
; %bb.40:
	v_mov_b32_e32 v26, 0
	v_mov_b32_e32 v29, v1
	v_lshl_add_u32 v31, v0, 3, 0x60
	v_mov_b32_e32 v27, 0
	v_mov_b32_e32 v28, v0
	s_mov_b32 s8, 0
.LBB11_41:                              ; =>This Inner Loop Header: Depth=1
	v_cmp_eq_u32_e64 s3, 1, v28
	v_cmp_eq_u32_e64 s4, 2, v28
	v_cndmask_b32_e64 v32, v3, v5, s3
	v_cndmask_b32_e64 v33, v2, v4, s3
	v_cmp_eq_u32_e64 s3, 3, v28
	v_cndmask_b32_e64 v32, v32, v7, s4
	v_cndmask_b32_e64 v33, v33, v6, s4
	;; [unrolled: 3-line block ×7, first 2 shown]
	ds_read_b64 v[32:33], v31
	v_cmp_eq_u32_e64 s3, 9, v28
	v_add_nc_u32_e32 v31, 8, v31
	v_cndmask_b32_e64 v34, v34, v19, s4
	v_cndmask_b32_e64 v35, v35, v18, s4
	v_cmp_eq_u32_e64 s4, 10, v28
	v_cndmask_b32_e64 v34, v34, v21, s3
	v_cndmask_b32_e64 v35, v35, v20, s3
	v_cmp_eq_u32_e64 s3, 11, v28
	v_cndmask_b32_e64 v34, v34, v23, s4
	v_cndmask_b32_e64 v36, v35, v22, s4
	;; [unrolled: 1-line block ×4, first 2 shown]
	v_add_co_u32 v28, s3, v28, 1
	v_add_co_ci_u32_e64 v29, null, 0, v29, s3
	s_waitcnt lgkmcnt(0)
	v_fma_f64 v[26:27], v[34:35], v[32:33], v[26:27]
	v_add_nc_u32_e32 v32, -1, v28
	v_cmp_lt_u32_e64 s3, 5, v32
	s_or_b32 s8, s3, s8
	s_andn2_b32 exec_lo, exec_lo, s8
	s_cbranch_execnz .LBB11_41
; %bb.42:
	s_or_b32 exec_lo, exec_lo, s8
	v_mov_b32_e32 v16, 0
	ds_read_b64 v[16:17], v16 offset:56
	s_waitcnt lgkmcnt(0)
	v_mul_f64 v[16:17], v[26:27], v[16:17]
.LBB11_43:
	s_or_b32 exec_lo, exec_lo, s5
	s_mov_b32 s5, exec_lo
	s_barrier
	buffer_gl0_inv
	ds_write_b64 v30, v[18:19]
	s_waitcnt lgkmcnt(0)
	s_barrier
	buffer_gl0_inv
	v_cmpx_gt_u32_e32 8, v0
	s_cbranch_execz .LBB11_59
; %bb.44:
	v_cmp_eq_u32_e64 s3, 1, v0
	v_cmp_eq_u32_e64 s4, 9, v0
	s_mov_b32 s8, exec_lo
	v_cndmask_b32_e64 v26, v3, v5, s3
	v_cndmask_b32_e64 v27, v2, v4, s3
	v_cmp_eq_u32_e64 s3, 2, v0
	v_cndmask_b32_e64 v26, v26, v7, s3
	v_cndmask_b32_e64 v27, v27, v6, s3
	v_cmp_eq_u32_e64 s3, 3, v0
	;; [unrolled: 3-line block ×7, first 2 shown]
	v_cndmask_b32_e64 v28, v26, v19, s3
	v_cndmask_b32_e64 v29, v27, v18, s3
	ds_read_b64 v[26:27], v30
	v_cmp_eq_u32_e64 s3, 10, v0
	v_cndmask_b32_e64 v28, v28, v21, s4
	v_cndmask_b32_e64 v29, v29, v20, s4
	;; [unrolled: 1-line block ×4, first 2 shown]
	v_cmp_eq_u32_e64 s3, 11, v0
	v_cndmask_b32_e64 v29, v28, v25, s3
	v_cndmask_b32_e64 v28, v31, v24, s3
	s_waitcnt lgkmcnt(0)
	v_fma_f64 v[26:27], v[28:29], v[26:27], 0
	v_cmpx_ne_u32_e32 7, v0
	s_cbranch_execz .LBB11_58
; %bb.45:
	v_add_nc_u32_e32 v31, 1, v0
	v_cmp_eq_u32_e64 s3, 1, v31
	v_cmp_eq_u32_e64 s4, 9, v31
	v_cndmask_b32_e64 v28, v3, v5, s3
	v_cndmask_b32_e64 v29, v2, v4, s3
	v_cmp_eq_u32_e64 s3, 2, v31
	v_cndmask_b32_e64 v28, v28, v7, s3
	v_cndmask_b32_e64 v29, v29, v6, s3
	;; [unrolled: 3-line block ×8, first 2 shown]
	ds_read_b64 v[28:29], v30 offset:8
	v_cmp_eq_u32_e64 s3, 10, v31
	v_cndmask_b32_e64 v32, v32, v21, s4
	v_cndmask_b32_e64 v33, v33, v20, s4
	;; [unrolled: 1-line block ×4, first 2 shown]
	v_cmp_eq_u32_e64 s3, 11, v31
	v_cndmask_b32_e64 v32, v32, v25, s3
	v_cndmask_b32_e64 v31, v33, v24, s3
	s_waitcnt lgkmcnt(0)
	v_fma_f64 v[26:27], v[31:32], v[28:29], v[26:27]
	s_and_saveexec_b32 s4, s2
	s_cbranch_execz .LBB11_57
; %bb.46:
	v_add_nc_u32_e32 v31, 2, v0
	s_mov_b32 s9, exec_lo
	v_cmp_eq_u32_e64 s2, 1, v31
	v_cmp_eq_u32_e64 s3, 9, v31
	v_cndmask_b32_e64 v28, v3, v5, s2
	v_cndmask_b32_e64 v29, v2, v4, s2
	v_cmp_eq_u32_e64 s2, 2, v31
	v_cndmask_b32_e64 v28, v28, v7, s2
	v_cndmask_b32_e64 v29, v29, v6, s2
	;; [unrolled: 3-line block ×8, first 2 shown]
	ds_read_b64 v[28:29], v30 offset:16
	v_cmp_eq_u32_e64 s2, 10, v31
	v_cndmask_b32_e64 v32, v32, v21, s3
	v_cndmask_b32_e64 v33, v33, v20, s3
	;; [unrolled: 1-line block ×4, first 2 shown]
	v_cmp_eq_u32_e64 s2, 11, v31
	v_cndmask_b32_e64 v32, v32, v25, s2
	v_cndmask_b32_e64 v31, v33, v24, s2
	s_waitcnt lgkmcnt(0)
	v_fma_f64 v[26:27], v[31:32], v[28:29], v[26:27]
	v_cmpx_ne_u32_e32 5, v0
	s_cbranch_execz .LBB11_56
; %bb.47:
	v_add_nc_u32_e32 v31, 3, v0
	v_cmp_eq_u32_e64 s2, 1, v31
	v_cmp_eq_u32_e64 s3, 9, v31
	v_cndmask_b32_e64 v28, v3, v5, s2
	v_cndmask_b32_e64 v29, v2, v4, s2
	v_cmp_eq_u32_e64 s2, 2, v31
	v_cndmask_b32_e64 v28, v28, v7, s2
	v_cndmask_b32_e64 v29, v29, v6, s2
	;; [unrolled: 3-line block ×8, first 2 shown]
	ds_read_b64 v[28:29], v30 offset:24
	v_cmp_eq_u32_e64 s2, 10, v31
	v_cndmask_b32_e64 v32, v32, v21, s3
	v_cndmask_b32_e64 v33, v33, v20, s3
	;; [unrolled: 1-line block ×4, first 2 shown]
	v_cmp_eq_u32_e64 s2, 11, v31
	v_cndmask_b32_e64 v32, v32, v25, s2
	v_cndmask_b32_e64 v31, v33, v24, s2
	s_waitcnt lgkmcnt(0)
	v_fma_f64 v[26:27], v[31:32], v[28:29], v[26:27]
	s_and_saveexec_b32 s3, s1
	s_cbranch_execz .LBB11_55
; %bb.48:
	v_or_b32_e32 v31, 4, v0
	s_mov_b32 s10, exec_lo
	v_cmp_eq_u32_e64 s1, 1, v31
	v_cmp_eq_u32_e64 s2, 9, v31
	v_cndmask_b32_e64 v28, v3, v5, s1
	v_cndmask_b32_e64 v29, v2, v4, s1
	v_cmp_eq_u32_e64 s1, 2, v31
	v_cndmask_b32_e64 v28, v28, v7, s1
	v_cndmask_b32_e64 v29, v29, v6, s1
	;; [unrolled: 3-line block ×8, first 2 shown]
	ds_read_b64 v[28:29], v30 offset:32
	v_cmp_eq_u32_e64 s1, 10, v31
	v_cndmask_b32_e64 v32, v32, v21, s2
	v_cndmask_b32_e64 v33, v33, v20, s2
	;; [unrolled: 1-line block ×4, first 2 shown]
	v_cmp_eq_u32_e64 s1, 11, v31
	v_cndmask_b32_e64 v32, v32, v25, s1
	v_cndmask_b32_e64 v31, v33, v24, s1
	s_waitcnt lgkmcnt(0)
	v_fma_f64 v[26:27], v[31:32], v[28:29], v[26:27]
	v_cmpx_ne_u32_e32 3, v0
	s_cbranch_execz .LBB11_54
; %bb.49:
	v_add_nc_u32_e32 v31, 5, v0
	v_cmp_eq_u32_e64 s1, 1, v31
	v_cmp_eq_u32_e64 s2, 9, v31
	v_cndmask_b32_e64 v28, v3, v5, s1
	v_cndmask_b32_e64 v29, v2, v4, s1
	v_cmp_eq_u32_e64 s1, 2, v31
	v_cndmask_b32_e64 v28, v28, v7, s1
	v_cndmask_b32_e64 v29, v29, v6, s1
	;; [unrolled: 3-line block ×8, first 2 shown]
	ds_read_b64 v[28:29], v30 offset:40
	v_cmp_eq_u32_e64 s1, 10, v31
	v_cndmask_b32_e64 v32, v32, v21, s2
	v_cndmask_b32_e64 v33, v33, v20, s2
	;; [unrolled: 1-line block ×4, first 2 shown]
	v_cmp_eq_u32_e64 s1, 11, v31
	v_cndmask_b32_e64 v32, v32, v25, s1
	v_cndmask_b32_e64 v31, v33, v24, s1
	s_waitcnt lgkmcnt(0)
	v_fma_f64 v[26:27], v[31:32], v[28:29], v[26:27]
	s_and_saveexec_b32 s2, vcc_lo
	s_cbranch_execz .LBB11_53
; %bb.50:
	v_or_b32_e32 v28, 6, v0
	v_cmp_eq_u32_e32 vcc_lo, 1, v28
	v_cmp_eq_u32_e64 s1, 9, v28
	v_cndmask_b32_e32 v29, v3, v5, vcc_lo
	v_cndmask_b32_e32 v31, v2, v4, vcc_lo
	v_cmp_eq_u32_e32 vcc_lo, 2, v28
	v_cndmask_b32_e32 v29, v29, v7, vcc_lo
	v_cndmask_b32_e32 v31, v31, v6, vcc_lo
	v_cmp_eq_u32_e32 vcc_lo, 3, v28
	;; [unrolled: 3-line block ×7, first 2 shown]
	v_cndmask_b32_e32 v29, v29, v19, vcc_lo
	v_cndmask_b32_e32 v31, v31, v18, vcc_lo
	ds_read_b64 v[18:19], v30 offset:48
	v_cmp_eq_u32_e32 vcc_lo, 10, v28
	v_cndmask_b32_e64 v29, v29, v21, s1
	v_cndmask_b32_e64 v31, v31, v20, s1
	v_cndmask_b32_e32 v29, v29, v23, vcc_lo
	v_cndmask_b32_e32 v31, v31, v22, vcc_lo
	v_cmp_eq_u32_e32 vcc_lo, 11, v28
	v_cndmask_b32_e32 v29, v29, v25, vcc_lo
	v_cndmask_b32_e32 v28, v31, v24, vcc_lo
	s_waitcnt lgkmcnt(0)
	v_fma_f64 v[26:27], v[28:29], v[18:19], v[26:27]
	s_and_saveexec_b32 s1, s0
	s_cbranch_execz .LBB11_52
; %bb.51:
	ds_read_b64 v[18:19], v30 offset:56
	s_waitcnt lgkmcnt(0)
	v_fma_f64 v[26:27], v[16:17], v[18:19], v[26:27]
.LBB11_52:
	s_or_b32 exec_lo, exec_lo, s1
.LBB11_53:
	s_or_b32 exec_lo, exec_lo, s2
.LBB11_54:
	s_or_b32 exec_lo, exec_lo, s10
.LBB11_55:
	s_or_b32 exec_lo, exec_lo, s3
.LBB11_56:
	s_or_b32 exec_lo, exec_lo, s9
.LBB11_57:
	s_or_b32 exec_lo, exec_lo, s4
.LBB11_58:
	s_or_b32 exec_lo, exec_lo, s8
	v_mov_b32_e32 v18, 0
	ds_read_b64 v[18:19], v18 offset:64
	s_waitcnt lgkmcnt(0)
	v_mul_f64 v[18:19], v[26:27], v[18:19]
.LBB11_59:
	s_or_b32 exec_lo, exec_lo, s5
	s_mov_b32 s1, exec_lo
	s_barrier
	buffer_gl0_inv
	ds_write_b64 v30, v[20:21]
	s_waitcnt lgkmcnt(0)
	s_barrier
	buffer_gl0_inv
	v_cmpx_gt_u32_e32 9, v0
	s_cbranch_execz .LBB11_63
; %bb.60:
	v_mov_b32_e32 v26, 0
	v_mov_b32_e32 v29, v1
	v_lshl_add_u32 v31, v0, 3, 0x60
	v_mov_b32_e32 v27, 0
	v_mov_b32_e32 v28, v0
	s_mov_b32 s2, 0
.LBB11_61:                              ; =>This Inner Loop Header: Depth=1
	v_cmp_eq_u32_e32 vcc_lo, 1, v28
	v_cmp_eq_u32_e64 s0, 2, v28
	v_cndmask_b32_e32 v32, v3, v5, vcc_lo
	v_cndmask_b32_e32 v33, v2, v4, vcc_lo
	v_cmp_eq_u32_e32 vcc_lo, 3, v28
	v_cndmask_b32_e64 v32, v32, v7, s0
	v_cndmask_b32_e64 v33, v33, v6, s0
	v_cmp_eq_u32_e64 s0, 4, v28
	v_cndmask_b32_e32 v32, v32, v9, vcc_lo
	v_cndmask_b32_e32 v33, v33, v8, vcc_lo
	v_cmp_eq_u32_e32 vcc_lo, 5, v28
	v_cndmask_b32_e64 v32, v32, v11, s0
	v_cndmask_b32_e64 v33, v33, v10, s0
	;; [unrolled: 6-line block ×3, first 2 shown]
	v_cmp_eq_u32_e64 s0, 8, v28
	v_cndmask_b32_e32 v34, v32, v17, vcc_lo
	v_cndmask_b32_e32 v35, v33, v16, vcc_lo
	ds_read_b64 v[32:33], v31
	v_cmp_eq_u32_e32 vcc_lo, 9, v28
	v_add_nc_u32_e32 v31, 8, v31
	v_cndmask_b32_e64 v34, v34, v19, s0
	v_cndmask_b32_e64 v35, v35, v18, s0
	v_cmp_eq_u32_e64 s0, 10, v28
	v_cndmask_b32_e32 v34, v34, v21, vcc_lo
	v_cndmask_b32_e32 v35, v35, v20, vcc_lo
	v_cmp_eq_u32_e32 vcc_lo, 11, v28
	v_cndmask_b32_e64 v34, v34, v23, s0
	v_cndmask_b32_e64 v36, v35, v22, s0
	v_cndmask_b32_e32 v35, v34, v25, vcc_lo
	v_cndmask_b32_e32 v34, v36, v24, vcc_lo
	v_add_co_u32 v28, vcc_lo, v28, 1
	v_add_co_ci_u32_e64 v29, null, 0, v29, vcc_lo
	s_waitcnt lgkmcnt(0)
	v_fma_f64 v[26:27], v[34:35], v[32:33], v[26:27]
	v_add_nc_u32_e32 v32, -1, v28
	v_cmp_lt_u32_e32 vcc_lo, 7, v32
	s_or_b32 s2, vcc_lo, s2
	s_andn2_b32 exec_lo, exec_lo, s2
	s_cbranch_execnz .LBB11_61
; %bb.62:
	s_or_b32 exec_lo, exec_lo, s2
	v_mov_b32_e32 v20, 0
	ds_read_b64 v[20:21], v20 offset:72
	s_waitcnt lgkmcnt(0)
	v_mul_f64 v[20:21], v[26:27], v[20:21]
.LBB11_63:
	s_or_b32 exec_lo, exec_lo, s1
	s_mov_b32 s1, exec_lo
	s_barrier
	buffer_gl0_inv
	ds_write_b64 v30, v[22:23]
	s_waitcnt lgkmcnt(0)
	s_barrier
	buffer_gl0_inv
	v_cmpx_gt_u32_e32 10, v0
	s_cbranch_execz .LBB11_67
; %bb.64:
	v_mov_b32_e32 v26, 0
	v_mov_b32_e32 v29, v1
	v_lshl_add_u32 v31, v0, 3, 0x60
	v_mov_b32_e32 v27, 0
	v_mov_b32_e32 v28, v0
	s_mov_b32 s2, 0
.LBB11_65:                              ; =>This Inner Loop Header: Depth=1
	v_cmp_eq_u32_e32 vcc_lo, 1, v28
	v_cmp_eq_u32_e64 s0, 2, v28
	v_cndmask_b32_e32 v32, v3, v5, vcc_lo
	v_cndmask_b32_e32 v33, v2, v4, vcc_lo
	v_cmp_eq_u32_e32 vcc_lo, 3, v28
	v_cndmask_b32_e64 v32, v32, v7, s0
	v_cndmask_b32_e64 v33, v33, v6, s0
	v_cmp_eq_u32_e64 s0, 4, v28
	v_cndmask_b32_e32 v32, v32, v9, vcc_lo
	v_cndmask_b32_e32 v33, v33, v8, vcc_lo
	v_cmp_eq_u32_e32 vcc_lo, 5, v28
	v_cndmask_b32_e64 v32, v32, v11, s0
	v_cndmask_b32_e64 v33, v33, v10, s0
	;; [unrolled: 6-line block ×3, first 2 shown]
	v_cmp_eq_u32_e64 s0, 8, v28
	v_cndmask_b32_e32 v34, v32, v17, vcc_lo
	v_cndmask_b32_e32 v35, v33, v16, vcc_lo
	ds_read_b64 v[32:33], v31
	v_cmp_eq_u32_e32 vcc_lo, 9, v28
	v_add_nc_u32_e32 v31, 8, v31
	v_cndmask_b32_e64 v34, v34, v19, s0
	v_cndmask_b32_e64 v35, v35, v18, s0
	v_cmp_eq_u32_e64 s0, 10, v28
	v_cndmask_b32_e32 v34, v34, v21, vcc_lo
	v_cndmask_b32_e32 v35, v35, v20, vcc_lo
	v_cmp_eq_u32_e32 vcc_lo, 11, v28
	v_cndmask_b32_e64 v34, v34, v23, s0
	v_cndmask_b32_e64 v36, v35, v22, s0
	v_cndmask_b32_e32 v35, v34, v25, vcc_lo
	v_cndmask_b32_e32 v34, v36, v24, vcc_lo
	v_add_co_u32 v28, vcc_lo, v28, 1
	v_add_co_ci_u32_e64 v29, null, 0, v29, vcc_lo
	s_waitcnt lgkmcnt(0)
	v_fma_f64 v[26:27], v[34:35], v[32:33], v[26:27]
	v_add_nc_u32_e32 v32, -1, v28
	v_cmp_lt_u32_e32 vcc_lo, 8, v32
	s_or_b32 s2, vcc_lo, s2
	s_andn2_b32 exec_lo, exec_lo, s2
	s_cbranch_execnz .LBB11_65
; %bb.66:
	s_or_b32 exec_lo, exec_lo, s2
	v_mov_b32_e32 v22, 0
	ds_read_b64 v[22:23], v22 offset:80
	s_waitcnt lgkmcnt(0)
	v_mul_f64 v[22:23], v[26:27], v[22:23]
.LBB11_67:
	s_or_b32 exec_lo, exec_lo, s1
	s_mov_b32 s1, exec_lo
	s_barrier
	buffer_gl0_inv
	ds_write_b64 v30, v[24:25]
	s_waitcnt lgkmcnt(0)
	s_barrier
	buffer_gl0_inv
	v_cmpx_ne_u32_e32 11, v0
	s_cbranch_execz .LBB11_71
; %bb.68:
	v_mov_b32_e32 v26, 0
	v_mov_b32_e32 v29, v1
	v_lshl_add_u32 v30, v0, 3, 0x60
	v_mov_b32_e32 v27, 0
	v_mov_b32_e32 v28, v0
	s_mov_b32 s2, 0
.LBB11_69:                              ; =>This Inner Loop Header: Depth=1
	v_cmp_eq_u32_e32 vcc_lo, 1, v28
	v_cmp_eq_u32_e64 s0, 2, v28
	v_cndmask_b32_e32 v1, v3, v5, vcc_lo
	v_cndmask_b32_e32 v31, v2, v4, vcc_lo
	v_cmp_eq_u32_e32 vcc_lo, 3, v28
	v_cndmask_b32_e64 v1, v1, v7, s0
	v_cndmask_b32_e64 v31, v31, v6, s0
	v_cmp_eq_u32_e64 s0, 4, v28
	v_cndmask_b32_e32 v1, v1, v9, vcc_lo
	v_cndmask_b32_e32 v31, v31, v8, vcc_lo
	v_cmp_eq_u32_e32 vcc_lo, 5, v28
	v_cndmask_b32_e64 v1, v1, v11, s0
	v_cndmask_b32_e64 v31, v31, v10, s0
	;; [unrolled: 6-line block ×3, first 2 shown]
	v_cmp_eq_u32_e64 s0, 8, v28
	v_cndmask_b32_e32 v1, v1, v17, vcc_lo
	v_cndmask_b32_e32 v33, v31, v16, vcc_lo
	ds_read_b64 v[31:32], v30
	v_cmp_eq_u32_e32 vcc_lo, 9, v28
	v_add_nc_u32_e32 v30, 8, v30
	v_cndmask_b32_e64 v1, v1, v19, s0
	v_cndmask_b32_e64 v33, v33, v18, s0
	v_cmp_eq_u32_e64 s0, 10, v28
	v_cndmask_b32_e32 v1, v1, v21, vcc_lo
	v_cndmask_b32_e32 v33, v33, v20, vcc_lo
	v_cmp_eq_u32_e32 vcc_lo, 11, v28
	v_cndmask_b32_e64 v1, v1, v23, s0
	v_cndmask_b32_e64 v33, v33, v22, s0
	v_cndmask_b32_e32 v34, v1, v25, vcc_lo
	v_cndmask_b32_e32 v33, v33, v24, vcc_lo
	v_add_co_u32 v28, vcc_lo, v28, 1
	v_add_co_ci_u32_e64 v29, null, 0, v29, vcc_lo
	s_waitcnt lgkmcnt(0)
	v_fma_f64 v[26:27], v[33:34], v[31:32], v[26:27]
	v_add_nc_u32_e32 v1, -1, v28
	v_cmp_lt_u32_e32 vcc_lo, 9, v1
	s_or_b32 s2, vcc_lo, s2
	s_andn2_b32 exec_lo, exec_lo, s2
	s_cbranch_execnz .LBB11_69
; %bb.70:
	s_or_b32 exec_lo, exec_lo, s2
	v_mov_b32_e32 v1, 0
	ds_read_b64 v[24:25], v1 offset:88
	s_waitcnt lgkmcnt(0)
	v_mul_f64 v[24:25], v[26:27], v[24:25]
.LBB11_71:
	s_or_b32 exec_lo, exec_lo, s1
	s_barrier
	buffer_gl0_inv
	s_cbranch_execnz .LBB11_15
	s_branch .LBB11_16
.LBB11_72:
	v_lshl_add_u32 v1, v0, 3, 0x60
	s_mov_b32 s0, exec_lo
	v_cmpx_eq_u32_e32 11, v0
	s_cbranch_execz .LBB11_74
; %bb.73:
	v_mov_b32_e32 v46, 0
	v_mov_b32_e32 v26, v2
	;; [unrolled: 1-line block ×24, first 2 shown]
	ds_write_b64 v1, v[22:23]
	v_mov_b32_e32 v2, v26
	v_mov_b32_e32 v3, v27
	v_mov_b32_e32 v4, v28
	v_mov_b32_e32 v5, v29
	v_mov_b32_e32 v6, v30
	v_mov_b32_e32 v7, v31
	v_mov_b32_e32 v8, v32
	v_mov_b32_e32 v9, v33
	v_mov_b32_e32 v10, v34
	v_mov_b32_e32 v11, v35
	v_mov_b32_e32 v12, v36
	v_mov_b32_e32 v13, v37
	v_mov_b32_e32 v14, v38
	v_mov_b32_e32 v15, v39
	v_mov_b32_e32 v16, v40
	v_mov_b32_e32 v17, v41
	v_mov_b32_e32 v18, v42
	v_mov_b32_e32 v19, v43
	v_mov_b32_e32 v20, v44
	v_mov_b32_e32 v21, v45
	v_mov_b32_e32 v22, v46
	v_mov_b32_e32 v23, v47
	v_mov_b32_e32 v24, v48
	v_mov_b32_e32 v25, v49
	v_mov_b32_e32 v26, v50
	v_mov_b32_e32 v27, v51
	v_mov_b32_e32 v28, v52
	v_mov_b32_e32 v29, v53
	v_mov_b32_e32 v30, v54
	v_mov_b32_e32 v31, v55
	v_mov_b32_e32 v32, v56
	v_mov_b32_e32 v33, v57
.LBB11_74:
	s_or_b32 exec_lo, exec_lo, s0
	v_mov_b32_e32 v44, 0
	s_waitcnt lgkmcnt(0)
	s_waitcnt_vscnt null, 0x0
	s_barrier
	buffer_gl0_inv
	s_mov_b32 s0, exec_lo
	ds_read_b64 v[26:27], v44 offset:184
	s_waitcnt lgkmcnt(0)
	v_fma_f64 v[26:27], v[24:25], v[26:27], 0
	v_add_f64 v[22:23], v[22:23], -v[26:27]
	v_cmpx_lt_u32_e32 9, v0
	s_cbranch_execz .LBB11_76
; %bb.75:
	v_mov_b32_e32 v26, v2
	v_mov_b32_e32 v34, v10
	;; [unrolled: 1-line block ×23, first 2 shown]
	ds_write_b64 v1, v[20:21]
	v_mov_b32_e32 v2, v26
	v_mov_b32_e32 v3, v27
	;; [unrolled: 1-line block ×32, first 2 shown]
.LBB11_76:
	s_or_b32 exec_lo, exec_lo, s0
	s_waitcnt lgkmcnt(0)
	s_barrier
	buffer_gl0_inv
	ds_read_b128 v[26:29], v44 offset:176
	s_mov_b32 s0, exec_lo
	s_waitcnt lgkmcnt(0)
	v_fma_f64 v[26:27], v[22:23], v[26:27], 0
	v_fma_f64 v[26:27], v[24:25], v[28:29], v[26:27]
	v_add_f64 v[20:21], v[20:21], -v[26:27]
	v_cmpx_lt_u32_e32 8, v0
	s_cbranch_execz .LBB11_78
; %bb.77:
	v_mov_b32_e32 v42, 0
	v_mov_b32_e32 v26, v2
	;; [unrolled: 1-line block ×24, first 2 shown]
	ds_write_b64 v1, v[18:19]
	v_mov_b32_e32 v2, v26
	v_mov_b32_e32 v3, v27
	;; [unrolled: 1-line block ×32, first 2 shown]
.LBB11_78:
	s_or_b32 exec_lo, exec_lo, s0
	v_mov_b32_e32 v40, 0
	s_waitcnt lgkmcnt(0)
	s_barrier
	buffer_gl0_inv
	s_mov_b32 s0, exec_lo
	ds_read2_b64 v[26:29], v40 offset0:21 offset1:22
	ds_read_b64 v[30:31], v40 offset:184
	s_waitcnt lgkmcnt(1)
	v_fma_f64 v[26:27], v[20:21], v[26:27], 0
	v_fma_f64 v[26:27], v[22:23], v[28:29], v[26:27]
	s_waitcnt lgkmcnt(0)
	v_fma_f64 v[26:27], v[24:25], v[30:31], v[26:27]
	v_add_f64 v[18:19], v[18:19], -v[26:27]
	v_cmpx_lt_u32_e32 7, v0
	s_cbranch_execz .LBB11_80
; %bb.79:
	v_mov_b32_e32 v26, v2
	v_mov_b32_e32 v34, v10
	;; [unrolled: 1-line block ×23, first 2 shown]
	ds_write_b64 v1, v[16:17]
	v_mov_b32_e32 v2, v26
	v_mov_b32_e32 v3, v27
	;; [unrolled: 1-line block ×32, first 2 shown]
.LBB11_80:
	s_or_b32 exec_lo, exec_lo, s0
	s_waitcnt lgkmcnt(0)
	s_barrier
	buffer_gl0_inv
	ds_read_b128 v[26:29], v40 offset:160
	ds_read_b128 v[30:33], v40 offset:176
	s_mov_b32 s0, exec_lo
	s_waitcnt lgkmcnt(1)
	v_fma_f64 v[26:27], v[18:19], v[26:27], 0
	v_fma_f64 v[26:27], v[20:21], v[28:29], v[26:27]
	s_waitcnt lgkmcnt(0)
	v_fma_f64 v[26:27], v[22:23], v[30:31], v[26:27]
	v_fma_f64 v[26:27], v[24:25], v[32:33], v[26:27]
	v_add_f64 v[16:17], v[16:17], -v[26:27]
	v_cmpx_lt_u32_e32 6, v0
	s_cbranch_execz .LBB11_82
; %bb.81:
	v_mov_b32_e32 v38, 0
	v_mov_b32_e32 v26, v2
	;; [unrolled: 1-line block ×24, first 2 shown]
	ds_write_b64 v1, v[14:15]
	v_mov_b32_e32 v2, v26
	v_mov_b32_e32 v3, v27
	;; [unrolled: 1-line block ×32, first 2 shown]
.LBB11_82:
	s_or_b32 exec_lo, exec_lo, s0
	v_mov_b32_e32 v36, 0
	s_waitcnt lgkmcnt(0)
	s_barrier
	buffer_gl0_inv
	s_mov_b32 s0, exec_lo
	ds_read2_b64 v[26:29], v36 offset0:19 offset1:20
	ds_read2_b64 v[30:33], v36 offset0:21 offset1:22
	s_waitcnt lgkmcnt(1)
	v_fma_f64 v[26:27], v[16:17], v[26:27], 0
	v_fma_f64 v[26:27], v[18:19], v[28:29], v[26:27]
	ds_read_b64 v[28:29], v36 offset:184
	s_waitcnt lgkmcnt(1)
	v_fma_f64 v[26:27], v[20:21], v[30:31], v[26:27]
	v_fma_f64 v[26:27], v[22:23], v[32:33], v[26:27]
	s_waitcnt lgkmcnt(0)
	v_fma_f64 v[26:27], v[24:25], v[28:29], v[26:27]
	v_add_f64 v[14:15], v[14:15], -v[26:27]
	v_cmpx_lt_u32_e32 5, v0
	s_cbranch_execz .LBB11_84
; %bb.83:
	v_mov_b32_e32 v26, v2
	v_mov_b32_e32 v34, v10
	;; [unrolled: 1-line block ×23, first 2 shown]
	ds_write_b64 v1, v[12:13]
	v_mov_b32_e32 v2, v26
	v_mov_b32_e32 v3, v27
	;; [unrolled: 1-line block ×32, first 2 shown]
.LBB11_84:
	s_or_b32 exec_lo, exec_lo, s0
	s_waitcnt lgkmcnt(0)
	s_barrier
	buffer_gl0_inv
	ds_read_b128 v[26:29], v36 offset:144
	ds_read_b128 v[30:33], v36 offset:160
	s_mov_b32 s0, exec_lo
	s_waitcnt lgkmcnt(1)
	v_fma_f64 v[26:27], v[14:15], v[26:27], 0
	v_fma_f64 v[26:27], v[16:17], v[28:29], v[26:27]
	s_waitcnt lgkmcnt(0)
	v_fma_f64 v[26:27], v[18:19], v[30:31], v[26:27]
	v_fma_f64 v[30:31], v[20:21], v[32:33], v[26:27]
	ds_read_b128 v[26:29], v36 offset:176
	s_waitcnt lgkmcnt(0)
	v_fma_f64 v[26:27], v[22:23], v[26:27], v[30:31]
	v_fma_f64 v[26:27], v[24:25], v[28:29], v[26:27]
	v_add_f64 v[12:13], v[12:13], -v[26:27]
	v_cmpx_lt_u32_e32 4, v0
	s_cbranch_execz .LBB11_86
; %bb.85:
	v_mov_b32_e32 v34, 0
	v_mov_b32_e32 v26, v2
	;; [unrolled: 1-line block ×24, first 2 shown]
	ds_write_b64 v1, v[10:11]
	v_mov_b32_e32 v2, v26
	v_mov_b32_e32 v3, v27
	v_mov_b32_e32 v4, v28
	v_mov_b32_e32 v5, v29
	v_mov_b32_e32 v6, v30
	v_mov_b32_e32 v7, v31
	v_mov_b32_e32 v8, v32
	v_mov_b32_e32 v9, v33
	v_mov_b32_e32 v10, v34
	v_mov_b32_e32 v11, v35
	v_mov_b32_e32 v12, v36
	v_mov_b32_e32 v13, v37
	v_mov_b32_e32 v14, v38
	v_mov_b32_e32 v15, v39
	v_mov_b32_e32 v16, v40
	v_mov_b32_e32 v17, v41
	v_mov_b32_e32 v18, v42
	v_mov_b32_e32 v19, v43
	v_mov_b32_e32 v20, v44
	v_mov_b32_e32 v21, v45
	v_mov_b32_e32 v22, v46
	v_mov_b32_e32 v23, v47
	v_mov_b32_e32 v24, v48
	v_mov_b32_e32 v25, v49
	v_mov_b32_e32 v26, v50
	v_mov_b32_e32 v27, v51
	v_mov_b32_e32 v28, v52
	v_mov_b32_e32 v29, v53
	v_mov_b32_e32 v30, v54
	v_mov_b32_e32 v31, v55
	v_mov_b32_e32 v32, v56
	v_mov_b32_e32 v33, v57
.LBB11_86:
	s_or_b32 exec_lo, exec_lo, s0
	v_mov_b32_e32 v34, 0
	s_waitcnt lgkmcnt(0)
	s_barrier
	buffer_gl0_inv
	s_mov_b32 s0, exec_lo
	ds_read2_b64 v[26:29], v34 offset0:17 offset1:18
	ds_read2_b64 v[30:33], v34 offset0:19 offset1:20
	s_waitcnt lgkmcnt(1)
	v_fma_f64 v[26:27], v[12:13], v[26:27], 0
	v_fma_f64 v[26:27], v[14:15], v[28:29], v[26:27]
	s_waitcnt lgkmcnt(0)
	v_fma_f64 v[26:27], v[16:17], v[30:31], v[26:27]
	v_fma_f64 v[30:31], v[18:19], v[32:33], v[26:27]
	ds_read2_b64 v[26:29], v34 offset0:21 offset1:22
	ds_read_b64 v[32:33], v34 offset:184
	s_waitcnt lgkmcnt(1)
	v_fma_f64 v[26:27], v[20:21], v[26:27], v[30:31]
	v_fma_f64 v[26:27], v[22:23], v[28:29], v[26:27]
	s_waitcnt lgkmcnt(0)
	v_fma_f64 v[26:27], v[24:25], v[32:33], v[26:27]
	v_add_f64 v[10:11], v[10:11], -v[26:27]
	v_cmpx_lt_u32_e32 3, v0
	s_cbranch_execz .LBB11_88
; %bb.87:
	v_mov_b32_e32 v28, v2
	v_mov_b32_e32 v35, v34
	v_mov_b32_e32 v36, v10
	v_mov_b32_e32 v37, v11
	v_mov_b32_e32 v38, v12
	v_mov_b32_e32 v39, v13
	v_mov_b32_e32 v40, v14
	v_mov_b32_e32 v41, v15
	v_mov_b32_e32 v42, v16
	v_mov_b32_e32 v43, v17
	v_mov_b32_e32 v44, v18
	v_mov_b32_e32 v45, v19
	v_mov_b32_e32 v46, v20
	v_mov_b32_e32 v47, v21
	v_mov_b32_e32 v48, v22
	v_mov_b32_e32 v49, v23
	v_mov_b32_e32 v50, v24
	v_mov_b32_e32 v51, v25
	v_mov_b32_e32 v29, v3
	v_mov_b32_e32 v30, v4
	v_mov_b32_e32 v31, v5
	v_mov_b32_e32 v32, v6
	v_mov_b32_e32 v33, v7
	ds_write_b64 v1, v[8:9]
	v_mov_b32_e32 v2, v28
	v_mov_b32_e32 v3, v29
	;; [unrolled: 1-line block ×32, first 2 shown]
.LBB11_88:
	s_or_b32 exec_lo, exec_lo, s0
	s_waitcnt lgkmcnt(0)
	s_barrier
	buffer_gl0_inv
	ds_read_b128 v[26:29], v34 offset:128
	ds_read_b128 v[30:33], v34 offset:144
	s_mov_b32 s0, exec_lo
	s_waitcnt lgkmcnt(1)
	v_fma_f64 v[26:27], v[10:11], v[26:27], 0
	v_fma_f64 v[26:27], v[12:13], v[28:29], v[26:27]
	s_waitcnt lgkmcnt(0)
	v_fma_f64 v[26:27], v[14:15], v[30:31], v[26:27]
	v_fma_f64 v[35:36], v[16:17], v[32:33], v[26:27]
	ds_read_b128 v[26:29], v34 offset:160
	ds_read_b128 v[30:33], v34 offset:176
	s_waitcnt lgkmcnt(1)
	v_fma_f64 v[26:27], v[18:19], v[26:27], v[35:36]
	v_fma_f64 v[26:27], v[20:21], v[28:29], v[26:27]
	s_waitcnt lgkmcnt(0)
	v_fma_f64 v[26:27], v[22:23], v[30:31], v[26:27]
	v_fma_f64 v[26:27], v[24:25], v[32:33], v[26:27]
	v_add_f64 v[8:9], v[8:9], -v[26:27]
	v_cmpx_lt_u32_e32 2, v0
	s_cbranch_execz .LBB11_90
; %bb.89:
	v_mov_b32_e32 v30, 0
	v_mov_b32_e32 v26, v2
	;; [unrolled: 1-line block ×24, first 2 shown]
	ds_write_b64 v1, v[6:7]
	v_mov_b32_e32 v2, v26
	v_mov_b32_e32 v3, v27
	;; [unrolled: 1-line block ×32, first 2 shown]
.LBB11_90:
	s_or_b32 exec_lo, exec_lo, s0
	v_mov_b32_e32 v34, 0
	s_waitcnt lgkmcnt(0)
	s_barrier
	buffer_gl0_inv
	s_mov_b32 s0, exec_lo
	ds_read2_b64 v[26:29], v34 offset0:15 offset1:16
	ds_read2_b64 v[30:33], v34 offset0:17 offset1:18
	s_waitcnt lgkmcnt(1)
	v_fma_f64 v[26:27], v[8:9], v[26:27], 0
	v_fma_f64 v[26:27], v[10:11], v[28:29], v[26:27]
	s_waitcnt lgkmcnt(0)
	v_fma_f64 v[26:27], v[12:13], v[30:31], v[26:27]
	v_fma_f64 v[35:36], v[14:15], v[32:33], v[26:27]
	ds_read2_b64 v[26:29], v34 offset0:19 offset1:20
	ds_read2_b64 v[30:33], v34 offset0:21 offset1:22
	s_waitcnt lgkmcnt(1)
	v_fma_f64 v[26:27], v[16:17], v[26:27], v[35:36]
	v_fma_f64 v[26:27], v[18:19], v[28:29], v[26:27]
	ds_read_b64 v[28:29], v34 offset:184
	s_waitcnt lgkmcnt(1)
	v_fma_f64 v[26:27], v[20:21], v[30:31], v[26:27]
	v_fma_f64 v[26:27], v[22:23], v[32:33], v[26:27]
	s_waitcnt lgkmcnt(0)
	v_fma_f64 v[26:27], v[24:25], v[28:29], v[26:27]
	v_add_f64 v[6:7], v[6:7], -v[26:27]
	v_cmpx_lt_u32_e32 1, v0
	s_cbranch_execz .LBB11_92
; %bb.91:
	v_mov_b32_e32 v32, v2
	v_mov_b32_e32 v35, v34
	;; [unrolled: 1-line block ×23, first 2 shown]
	ds_write_b64 v1, v[4:5]
	v_mov_b32_e32 v2, v32
	v_mov_b32_e32 v3, v33
	;; [unrolled: 1-line block ×32, first 2 shown]
.LBB11_92:
	s_or_b32 exec_lo, exec_lo, s0
	s_waitcnt lgkmcnt(0)
	s_barrier
	buffer_gl0_inv
	ds_read_b128 v[26:29], v34 offset:112
	ds_read_b128 v[30:33], v34 offset:128
	s_mov_b32 s0, exec_lo
	s_waitcnt lgkmcnt(1)
	v_fma_f64 v[26:27], v[6:7], v[26:27], 0
	v_fma_f64 v[26:27], v[8:9], v[28:29], v[26:27]
	s_waitcnt lgkmcnt(0)
	v_fma_f64 v[26:27], v[10:11], v[30:31], v[26:27]
	v_fma_f64 v[35:36], v[12:13], v[32:33], v[26:27]
	ds_read_b128 v[26:29], v34 offset:144
	ds_read_b128 v[30:33], v34 offset:160
	s_waitcnt lgkmcnt(1)
	v_fma_f64 v[26:27], v[14:15], v[26:27], v[35:36]
	v_fma_f64 v[26:27], v[16:17], v[28:29], v[26:27]
	s_waitcnt lgkmcnt(0)
	v_fma_f64 v[26:27], v[18:19], v[30:31], v[26:27]
	v_fma_f64 v[30:31], v[20:21], v[32:33], v[26:27]
	ds_read_b128 v[26:29], v34 offset:176
	s_waitcnt lgkmcnt(0)
	v_fma_f64 v[26:27], v[22:23], v[26:27], v[30:31]
	v_fma_f64 v[26:27], v[24:25], v[28:29], v[26:27]
	v_add_f64 v[4:5], v[4:5], -v[26:27]
	v_cmpx_ne_u32_e32 0, v0
	s_cbranch_execz .LBB11_94
; %bb.93:
	v_mov_b32_e32 v26, 0
	v_mov_b32_e32 v34, v10
	;; [unrolled: 1-line block ×58, first 2 shown]
	ds_write_b64 v1, v[50:51]
.LBB11_94:
	s_or_b32 exec_lo, exec_lo, s0
	v_mov_b32_e32 v0, 0
	s_waitcnt lgkmcnt(0)
	s_barrier
	buffer_gl0_inv
	s_and_b32 vcc_lo, exec_lo, s18
	ds_read2_b64 v[26:29], v0 offset0:13 offset1:14
	ds_read2_b64 v[30:33], v0 offset0:15 offset1:16
	s_waitcnt lgkmcnt(1)
	v_fma_f64 v[26:27], v[4:5], v[26:27], 0
	v_fma_f64 v[26:27], v[6:7], v[28:29], v[26:27]
	s_waitcnt lgkmcnt(0)
	v_fma_f64 v[26:27], v[8:9], v[30:31], v[26:27]
	v_fma_f64 v[34:35], v[10:11], v[32:33], v[26:27]
	ds_read2_b64 v[26:29], v0 offset0:17 offset1:18
	ds_read2_b64 v[30:33], v0 offset0:19 offset1:20
	s_waitcnt lgkmcnt(1)
	v_fma_f64 v[26:27], v[12:13], v[26:27], v[34:35]
	v_fma_f64 v[26:27], v[14:15], v[28:29], v[26:27]
	s_waitcnt lgkmcnt(0)
	v_fma_f64 v[26:27], v[16:17], v[30:31], v[26:27]
	v_fma_f64 v[30:31], v[18:19], v[32:33], v[26:27]
	ds_read2_b64 v[26:29], v0 offset0:21 offset1:22
	ds_read_b64 v[32:33], v0 offset:184
	s_waitcnt lgkmcnt(1)
	v_fma_f64 v[26:27], v[20:21], v[26:27], v[30:31]
	v_fma_f64 v[26:27], v[22:23], v[28:29], v[26:27]
	s_waitcnt lgkmcnt(0)
	v_fma_f64 v[26:27], v[24:25], v[32:33], v[26:27]
	v_add_f64 v[2:3], v[2:3], -v[26:27]
	s_cbranch_vccz .LBB11_117
; %bb.95:
	global_load_dword v0, v0, s[16:17] offset:40
	s_waitcnt vmcnt(0)
	v_readfirstlane_b32 s0, v0
	s_add_i32 s0, s0, -1
	s_cmp_lg_u32 s0, 10
	s_cbranch_scc0 .LBB11_97
; %bb.96:
	s_lshl_b32 m0, s0, 1
	v_movrels_b32_e32 v0, v2
	v_movrels_b32_e32 v1, v3
	v_mov_b32_e32 v55, v33
	v_mov_b32_e32 v54, v32
	;; [unrolled: 1-line block ×34, first 2 shown]
	v_movreld_b32_e32 v24, v22
	v_movreld_b32_e32 v25, v23
	v_mov_b32_e32 v2, v24
	v_mov_b32_e32 v3, v25
	v_mov_b32_e32 v4, v26
	v_mov_b32_e32 v5, v27
	v_mov_b32_e32 v6, v28
	v_mov_b32_e32 v7, v29
	v_mov_b32_e32 v8, v30
	v_mov_b32_e32 v9, v31
	v_mov_b32_e32 v10, v32
	v_mov_b32_e32 v11, v33
	v_mov_b32_e32 v12, v34
	v_mov_b32_e32 v13, v35
	v_mov_b32_e32 v14, v36
	v_mov_b32_e32 v15, v37
	v_mov_b32_e32 v16, v38
	v_mov_b32_e32 v17, v39
	v_mov_b32_e32 v18, v40
	v_mov_b32_e32 v19, v41
	v_mov_b32_e32 v20, v42
	v_mov_b32_e32 v21, v43
	v_mov_b32_e32 v22, v44
	v_mov_b32_e32 v23, v45
	v_mov_b32_e32 v24, v46
	v_mov_b32_e32 v25, v47
	v_mov_b32_e32 v26, v48
	v_mov_b32_e32 v27, v49
	v_mov_b32_e32 v28, v50
	v_mov_b32_e32 v29, v51
	v_mov_b32_e32 v30, v52
	v_mov_b32_e32 v31, v53
	v_mov_b32_e32 v32, v54
	v_mov_b32_e32 v33, v55
.LBB11_97:
	v_mov_b32_e32 v0, 0
	global_load_dword v1, v0, s[16:17] offset:36
	s_waitcnt vmcnt(0)
	v_readfirstlane_b32 s0, v1
	s_add_i32 s0, s0, -1
	s_cmp_eq_u32 s0, 9
	s_cbranch_scc1 .LBB11_99
; %bb.98:
	s_lshl_b32 m0, s0, 1
	v_movrels_b32_e32 v1, v2
	v_movrels_b32_e32 v54, v3
	v_mov_b32_e32 v53, v33
	v_mov_b32_e32 v52, v32
	;; [unrolled: 1-line block ×34, first 2 shown]
	v_movreld_b32_e32 v22, v20
	v_movreld_b32_e32 v23, v21
	v_mov_b32_e32 v2, v22
	v_mov_b32_e32 v3, v23
	v_mov_b32_e32 v4, v24
	v_mov_b32_e32 v5, v25
	v_mov_b32_e32 v6, v26
	v_mov_b32_e32 v7, v27
	v_mov_b32_e32 v8, v28
	v_mov_b32_e32 v9, v29
	v_mov_b32_e32 v10, v30
	v_mov_b32_e32 v11, v31
	v_mov_b32_e32 v12, v32
	v_mov_b32_e32 v13, v33
	v_mov_b32_e32 v14, v34
	v_mov_b32_e32 v15, v35
	v_mov_b32_e32 v16, v36
	v_mov_b32_e32 v17, v37
	v_mov_b32_e32 v18, v38
	v_mov_b32_e32 v19, v39
	v_mov_b32_e32 v20, v40
	v_mov_b32_e32 v21, v41
	v_mov_b32_e32 v22, v42
	v_mov_b32_e32 v23, v43
	v_mov_b32_e32 v24, v44
	v_mov_b32_e32 v25, v45
	v_mov_b32_e32 v26, v46
	v_mov_b32_e32 v27, v47
	v_mov_b32_e32 v28, v48
	v_mov_b32_e32 v29, v49
	v_mov_b32_e32 v30, v50
	v_mov_b32_e32 v31, v51
	v_mov_b32_e32 v32, v52
	v_mov_b32_e32 v33, v53
.LBB11_99:
	global_load_dword v0, v0, s[16:17] offset:32
	s_waitcnt vmcnt(0)
	v_readfirstlane_b32 s0, v0
	s_add_i32 s0, s0, -1
	s_cmp_eq_u32 s0, 8
	s_cbranch_scc1 .LBB11_101
; %bb.100:
	s_lshl_b32 m0, s0, 1
	v_movrels_b32_e32 v0, v2
	v_movrels_b32_e32 v1, v3
	v_mov_b32_e32 v51, v33
	v_mov_b32_e32 v50, v32
	;; [unrolled: 1-line block ×34, first 2 shown]
	v_movreld_b32_e32 v20, v18
	v_movreld_b32_e32 v21, v19
	v_mov_b32_e32 v2, v20
	v_mov_b32_e32 v3, v21
	;; [unrolled: 1-line block ×32, first 2 shown]
.LBB11_101:
	v_mov_b32_e32 v0, 0
	global_load_dword v1, v0, s[16:17] offset:28
	s_waitcnt vmcnt(0)
	v_readfirstlane_b32 s0, v1
	s_add_i32 s0, s0, -1
	s_cmp_eq_u32 s0, 7
	s_cbranch_scc1 .LBB11_103
; %bb.102:
	s_lshl_b32 m0, s0, 1
	v_movrels_b32_e32 v1, v2
	v_movrels_b32_e32 v50, v3
	v_mov_b32_e32 v49, v33
	v_mov_b32_e32 v48, v32
	v_mov_b32_e32 v47, v31
	v_mov_b32_e32 v46, v30
	v_mov_b32_e32 v45, v29
	v_mov_b32_e32 v44, v28
	v_mov_b32_e32 v43, v27
	v_mov_b32_e32 v42, v26
	v_mov_b32_e32 v41, v25
	v_mov_b32_e32 v40, v24
	v_mov_b32_e32 v39, v23
	v_mov_b32_e32 v38, v22
	v_mov_b32_e32 v37, v21
	v_mov_b32_e32 v36, v20
	v_mov_b32_e32 v35, v19
	v_mov_b32_e32 v34, v18
	v_mov_b32_e32 v33, v17
	v_mov_b32_e32 v32, v16
	v_mov_b32_e32 v31, v15
	v_mov_b32_e32 v30, v14
	v_mov_b32_e32 v29, v13
	v_mov_b32_e32 v28, v12
	v_mov_b32_e32 v27, v11
	v_mov_b32_e32 v26, v10
	v_mov_b32_e32 v25, v9
	v_mov_b32_e32 v24, v8
	v_mov_b32_e32 v23, v7
	v_mov_b32_e32 v22, v6
	v_mov_b32_e32 v21, v5
	v_mov_b32_e32 v20, v4
	v_mov_b32_e32 v19, v3
	v_mov_b32_e32 v18, v2
	v_mov_b32_e32 v32, v1
	v_mov_b32_e32 v33, v50
	v_movreld_b32_e32 v18, v16
	v_movreld_b32_e32 v19, v17
	v_mov_b32_e32 v2, v18
	v_mov_b32_e32 v3, v19
	;; [unrolled: 1-line block ×32, first 2 shown]
.LBB11_103:
	global_load_dword v0, v0, s[16:17] offset:24
	s_waitcnt vmcnt(0)
	v_readfirstlane_b32 s0, v0
	s_add_i32 s0, s0, -1
	s_cmp_eq_u32 s0, 6
	s_cbranch_scc1 .LBB11_105
; %bb.104:
	s_lshl_b32 m0, s0, 1
	v_movrels_b32_e32 v0, v2
	v_movrels_b32_e32 v1, v3
	v_mov_b32_e32 v47, v33
	v_mov_b32_e32 v46, v32
	;; [unrolled: 1-line block ×34, first 2 shown]
	v_movreld_b32_e32 v16, v14
	v_movreld_b32_e32 v17, v15
	v_mov_b32_e32 v2, v16
	v_mov_b32_e32 v3, v17
	;; [unrolled: 1-line block ×32, first 2 shown]
.LBB11_105:
	v_mov_b32_e32 v0, 0
	global_load_dword v1, v0, s[16:17] offset:20
	s_waitcnt vmcnt(0)
	v_readfirstlane_b32 s0, v1
	s_add_i32 s0, s0, -1
	s_cmp_eq_u32 s0, 5
	s_cbranch_scc1 .LBB11_107
; %bb.106:
	s_lshl_b32 m0, s0, 1
	v_movrels_b32_e32 v1, v2
	v_movrels_b32_e32 v46, v3
	v_mov_b32_e32 v45, v33
	v_mov_b32_e32 v44, v32
	;; [unrolled: 1-line block ×34, first 2 shown]
	v_movreld_b32_e32 v14, v12
	v_movreld_b32_e32 v15, v13
	v_mov_b32_e32 v2, v14
	v_mov_b32_e32 v3, v15
	;; [unrolled: 1-line block ×32, first 2 shown]
.LBB11_107:
	global_load_dword v0, v0, s[16:17] offset:16
	s_waitcnt vmcnt(0)
	v_readfirstlane_b32 s0, v0
	s_add_i32 s0, s0, -1
	s_cmp_eq_u32 s0, 4
	s_cbranch_scc1 .LBB11_109
; %bb.108:
	s_lshl_b32 m0, s0, 1
	v_movrels_b32_e32 v0, v2
	v_movrels_b32_e32 v1, v3
	v_mov_b32_e32 v43, v33
	v_mov_b32_e32 v42, v32
	;; [unrolled: 1-line block ×34, first 2 shown]
	v_movreld_b32_e32 v12, v10
	v_movreld_b32_e32 v13, v11
	v_mov_b32_e32 v2, v12
	v_mov_b32_e32 v3, v13
	;; [unrolled: 1-line block ×32, first 2 shown]
.LBB11_109:
	v_mov_b32_e32 v0, 0
	global_load_dword v1, v0, s[16:17] offset:12
	s_waitcnt vmcnt(0)
	v_readfirstlane_b32 s0, v1
	s_add_i32 s0, s0, -1
	s_cmp_eq_u32 s0, 3
	s_cbranch_scc1 .LBB11_111
; %bb.110:
	s_lshl_b32 m0, s0, 1
	v_movrels_b32_e32 v1, v2
	v_movrels_b32_e32 v42, v3
	v_mov_b32_e32 v41, v33
	v_mov_b32_e32 v40, v32
	;; [unrolled: 1-line block ×34, first 2 shown]
	v_movreld_b32_e32 v10, v8
	v_movreld_b32_e32 v11, v9
	v_mov_b32_e32 v2, v10
	v_mov_b32_e32 v3, v11
	v_mov_b32_e32 v4, v12
	v_mov_b32_e32 v5, v13
	v_mov_b32_e32 v6, v14
	v_mov_b32_e32 v7, v15
	v_mov_b32_e32 v8, v16
	v_mov_b32_e32 v9, v17
	v_mov_b32_e32 v10, v18
	v_mov_b32_e32 v11, v19
	v_mov_b32_e32 v12, v20
	v_mov_b32_e32 v13, v21
	v_mov_b32_e32 v14, v22
	v_mov_b32_e32 v15, v23
	v_mov_b32_e32 v16, v24
	v_mov_b32_e32 v17, v25
	v_mov_b32_e32 v18, v26
	v_mov_b32_e32 v19, v27
	v_mov_b32_e32 v20, v28
	v_mov_b32_e32 v21, v29
	v_mov_b32_e32 v22, v30
	v_mov_b32_e32 v23, v31
	v_mov_b32_e32 v24, v32
	v_mov_b32_e32 v25, v33
	v_mov_b32_e32 v26, v34
	v_mov_b32_e32 v27, v35
	v_mov_b32_e32 v28, v36
	v_mov_b32_e32 v29, v37
	v_mov_b32_e32 v30, v38
	v_mov_b32_e32 v31, v39
	v_mov_b32_e32 v32, v40
	v_mov_b32_e32 v33, v41
.LBB11_111:
	global_load_dword v0, v0, s[16:17] offset:8
	s_waitcnt vmcnt(0)
	v_readfirstlane_b32 s0, v0
	s_add_i32 s0, s0, -1
	s_cmp_eq_u32 s0, 2
	s_cbranch_scc1 .LBB11_113
; %bb.112:
	s_lshl_b32 m0, s0, 1
	v_movrels_b32_e32 v0, v2
	v_movrels_b32_e32 v1, v3
	v_mov_b32_e32 v39, v33
	v_mov_b32_e32 v38, v32
	;; [unrolled: 1-line block ×34, first 2 shown]
	v_movreld_b32_e32 v8, v6
	v_movreld_b32_e32 v9, v7
	v_mov_b32_e32 v2, v8
	v_mov_b32_e32 v3, v9
	;; [unrolled: 1-line block ×32, first 2 shown]
.LBB11_113:
	v_mov_b32_e32 v0, 0
	global_load_dword v1, v0, s[16:17] offset:4
	s_waitcnt vmcnt(0)
	v_readfirstlane_b32 s0, v1
	s_add_i32 s0, s0, -1
	s_cmp_eq_u32 s0, 1
	s_cbranch_scc1 .LBB11_115
; %bb.114:
	s_lshl_b32 m0, s0, 1
	v_movrels_b32_e32 v1, v2
	v_movrels_b32_e32 v38, v3
	v_mov_b32_e32 v37, v33
	v_mov_b32_e32 v36, v32
	;; [unrolled: 1-line block ×34, first 2 shown]
	v_movreld_b32_e32 v6, v4
	v_movreld_b32_e32 v7, v5
	v_mov_b32_e32 v2, v6
	v_mov_b32_e32 v3, v7
	;; [unrolled: 1-line block ×32, first 2 shown]
.LBB11_115:
	global_load_dword v0, v0, s[16:17]
	s_waitcnt vmcnt(0)
	v_readfirstlane_b32 s0, v0
	s_add_i32 s0, s0, -1
	s_cmp_eq_u32 s0, 0
	s_cbranch_scc1 .LBB11_117
; %bb.116:
	s_lshl_b32 m0, s0, 1
	v_movrels_b32_e32 v0, v2
	v_movrels_b32_e32 v1, v3
	v_mov_b32_e32 v35, v33
	v_mov_b32_e32 v34, v32
	v_mov_b32_e32 v33, v31
	v_mov_b32_e32 v32, v30
	v_mov_b32_e32 v31, v29
	v_mov_b32_e32 v30, v28
	v_mov_b32_e32 v29, v27
	v_mov_b32_e32 v28, v26
	v_mov_b32_e32 v27, v25
	v_mov_b32_e32 v26, v24
	v_mov_b32_e32 v25, v23
	v_mov_b32_e32 v24, v22
	v_mov_b32_e32 v23, v21
	v_mov_b32_e32 v22, v20
	v_mov_b32_e32 v21, v19
	v_mov_b32_e32 v20, v18
	v_mov_b32_e32 v19, v17
	v_mov_b32_e32 v18, v16
	v_mov_b32_e32 v17, v15
	v_mov_b32_e32 v16, v14
	v_mov_b32_e32 v15, v13
	v_mov_b32_e32 v14, v12
	v_mov_b32_e32 v13, v11
	v_mov_b32_e32 v12, v10
	v_mov_b32_e32 v11, v9
	v_mov_b32_e32 v10, v8
	v_mov_b32_e32 v9, v7
	v_mov_b32_e32 v8, v6
	v_mov_b32_e32 v7, v5
	v_mov_b32_e32 v6, v4
	v_mov_b32_e32 v5, v3
	v_mov_b32_e32 v4, v2
	v_mov_b32_e32 v4, v0
	v_mov_b32_e32 v5, v1
	v_movreld_b32_e32 v4, v2
	v_movreld_b32_e32 v5, v3
	v_mov_b32_e32 v2, v4
	v_mov_b32_e32 v3, v5
	;; [unrolled: 1-line block ×32, first 2 shown]
.LBB11_117:
	v_mov_b32_e32 v0, v2
	v_mov_b32_e32 v1, v3
	v_mov_b32_e32 v2, v4
	v_mov_b32_e32 v3, v5
	v_mov_b32_e32 v4, v10
	global_store_dwordx2 v[56:57], v[0:1], off
	global_store_dwordx2 v[60:61], v[2:3], off
	v_mov_b32_e32 v0, v6
	v_mov_b32_e32 v1, v7
	;; [unrolled: 1-line block ×9, first 2 shown]
	global_store_dwordx2 v[58:59], v[0:1], off
	global_store_dwordx2 v[62:63], v[2:3], off
	;; [unrolled: 1-line block ×5, first 2 shown]
	v_mov_b32_e32 v0, v16
	v_mov_b32_e32 v1, v17
	v_mov_b32_e32 v2, v18
	v_mov_b32_e32 v3, v19
	v_mov_b32_e32 v4, v20
	v_mov_b32_e32 v5, v21
	v_mov_b32_e32 v6, v22
	v_mov_b32_e32 v7, v23
	v_mov_b32_e32 v8, v24
	v_mov_b32_e32 v9, v25
	global_store_dwordx2 v[68:69], v[0:1], off
	global_store_dwordx2 v[72:73], v[2:3], off
	;; [unrolled: 1-line block ×5, first 2 shown]
	s_endpgm
	.section	.rodata,"a",@progbits
	.p2align	6, 0x0
	.amdhsa_kernel _ZN9rocsolver6v33100L18getri_kernel_smallILi12EdPdEEvT1_iilPiilS4_bb
		.amdhsa_group_segment_fixed_size 200
		.amdhsa_private_segment_fixed_size 0
		.amdhsa_kernarg_size 60
		.amdhsa_user_sgpr_count 6
		.amdhsa_user_sgpr_private_segment_buffer 1
		.amdhsa_user_sgpr_dispatch_ptr 0
		.amdhsa_user_sgpr_queue_ptr 0
		.amdhsa_user_sgpr_kernarg_segment_ptr 1
		.amdhsa_user_sgpr_dispatch_id 0
		.amdhsa_user_sgpr_flat_scratch_init 0
		.amdhsa_user_sgpr_private_segment_size 0
		.amdhsa_wavefront_size32 1
		.amdhsa_uses_dynamic_stack 0
		.amdhsa_system_sgpr_private_segment_wavefront_offset 0
		.amdhsa_system_sgpr_workgroup_id_x 1
		.amdhsa_system_sgpr_workgroup_id_y 0
		.amdhsa_system_sgpr_workgroup_id_z 0
		.amdhsa_system_sgpr_workgroup_info 0
		.amdhsa_system_vgpr_workitem_id 0
		.amdhsa_next_free_vgpr 80
		.amdhsa_next_free_sgpr 19
		.amdhsa_reserve_vcc 1
		.amdhsa_reserve_flat_scratch 0
		.amdhsa_float_round_mode_32 0
		.amdhsa_float_round_mode_16_64 0
		.amdhsa_float_denorm_mode_32 3
		.amdhsa_float_denorm_mode_16_64 3
		.amdhsa_dx10_clamp 1
		.amdhsa_ieee_mode 1
		.amdhsa_fp16_overflow 0
		.amdhsa_workgroup_processor_mode 1
		.amdhsa_memory_ordered 1
		.amdhsa_forward_progress 1
		.amdhsa_shared_vgpr_count 0
		.amdhsa_exception_fp_ieee_invalid_op 0
		.amdhsa_exception_fp_denorm_src 0
		.amdhsa_exception_fp_ieee_div_zero 0
		.amdhsa_exception_fp_ieee_overflow 0
		.amdhsa_exception_fp_ieee_underflow 0
		.amdhsa_exception_fp_ieee_inexact 0
		.amdhsa_exception_int_div_zero 0
	.end_amdhsa_kernel
	.section	.text._ZN9rocsolver6v33100L18getri_kernel_smallILi12EdPdEEvT1_iilPiilS4_bb,"axG",@progbits,_ZN9rocsolver6v33100L18getri_kernel_smallILi12EdPdEEvT1_iilPiilS4_bb,comdat
.Lfunc_end11:
	.size	_ZN9rocsolver6v33100L18getri_kernel_smallILi12EdPdEEvT1_iilPiilS4_bb, .Lfunc_end11-_ZN9rocsolver6v33100L18getri_kernel_smallILi12EdPdEEvT1_iilPiilS4_bb
                                        ; -- End function
	.set _ZN9rocsolver6v33100L18getri_kernel_smallILi12EdPdEEvT1_iilPiilS4_bb.num_vgpr, 80
	.set _ZN9rocsolver6v33100L18getri_kernel_smallILi12EdPdEEvT1_iilPiilS4_bb.num_agpr, 0
	.set _ZN9rocsolver6v33100L18getri_kernel_smallILi12EdPdEEvT1_iilPiilS4_bb.numbered_sgpr, 19
	.set _ZN9rocsolver6v33100L18getri_kernel_smallILi12EdPdEEvT1_iilPiilS4_bb.num_named_barrier, 0
	.set _ZN9rocsolver6v33100L18getri_kernel_smallILi12EdPdEEvT1_iilPiilS4_bb.private_seg_size, 0
	.set _ZN9rocsolver6v33100L18getri_kernel_smallILi12EdPdEEvT1_iilPiilS4_bb.uses_vcc, 1
	.set _ZN9rocsolver6v33100L18getri_kernel_smallILi12EdPdEEvT1_iilPiilS4_bb.uses_flat_scratch, 0
	.set _ZN9rocsolver6v33100L18getri_kernel_smallILi12EdPdEEvT1_iilPiilS4_bb.has_dyn_sized_stack, 0
	.set _ZN9rocsolver6v33100L18getri_kernel_smallILi12EdPdEEvT1_iilPiilS4_bb.has_recursion, 0
	.set _ZN9rocsolver6v33100L18getri_kernel_smallILi12EdPdEEvT1_iilPiilS4_bb.has_indirect_call, 0
	.section	.AMDGPU.csdata,"",@progbits
; Kernel info:
; codeLenInByte = 15020
; TotalNumSgprs: 21
; NumVgprs: 80
; ScratchSize: 0
; MemoryBound: 0
; FloatMode: 240
; IeeeMode: 1
; LDSByteSize: 200 bytes/workgroup (compile time only)
; SGPRBlocks: 0
; VGPRBlocks: 9
; NumSGPRsForWavesPerEU: 21
; NumVGPRsForWavesPerEU: 80
; Occupancy: 12
; WaveLimiterHint : 0
; COMPUTE_PGM_RSRC2:SCRATCH_EN: 0
; COMPUTE_PGM_RSRC2:USER_SGPR: 6
; COMPUTE_PGM_RSRC2:TRAP_HANDLER: 0
; COMPUTE_PGM_RSRC2:TGID_X_EN: 1
; COMPUTE_PGM_RSRC2:TGID_Y_EN: 0
; COMPUTE_PGM_RSRC2:TGID_Z_EN: 0
; COMPUTE_PGM_RSRC2:TIDIG_COMP_CNT: 0
	.section	.text._ZN9rocsolver6v33100L18getri_kernel_smallILi13EdPdEEvT1_iilPiilS4_bb,"axG",@progbits,_ZN9rocsolver6v33100L18getri_kernel_smallILi13EdPdEEvT1_iilPiilS4_bb,comdat
	.globl	_ZN9rocsolver6v33100L18getri_kernel_smallILi13EdPdEEvT1_iilPiilS4_bb ; -- Begin function _ZN9rocsolver6v33100L18getri_kernel_smallILi13EdPdEEvT1_iilPiilS4_bb
	.p2align	8
	.type	_ZN9rocsolver6v33100L18getri_kernel_smallILi13EdPdEEvT1_iilPiilS4_bb,@function
_ZN9rocsolver6v33100L18getri_kernel_smallILi13EdPdEEvT1_iilPiilS4_bb: ; @_ZN9rocsolver6v33100L18getri_kernel_smallILi13EdPdEEvT1_iilPiilS4_bb
; %bb.0:
	s_mov_b32 s0, exec_lo
	v_cmpx_gt_u32_e32 13, v0
	s_cbranch_execz .LBB12_16
; %bb.1:
	s_clause 0x2
	s_load_dword s0, s[4:5], 0x38
	s_load_dwordx4 s[8:11], s[4:5], 0x10
	s_load_dwordx4 s[16:19], s[4:5], 0x28
                                        ; implicit-def: $sgpr20_sgpr21
	s_waitcnt lgkmcnt(0)
	s_bitcmp1_b32 s0, 8
	s_cselect_b32 s15, -1, 0
	s_bfe_u32 s0, s0, 0x10008
	s_ashr_i32 s7, s6, 31
	s_cmp_eq_u32 s0, 0
	s_cbranch_scc1 .LBB12_3
; %bb.2:
	s_load_dword s0, s[4:5], 0x20
	s_mul_i32 s1, s16, s7
	s_mul_hi_u32 s2, s16, s6
	s_mul_i32 s3, s17, s6
	s_add_i32 s1, s2, s1
	s_mul_i32 s2, s16, s6
	s_add_i32 s3, s1, s3
	s_lshl_b64 s[2:3], s[2:3], 2
	s_waitcnt lgkmcnt(0)
	s_ashr_i32 s1, s0, 31
	s_add_u32 s2, s10, s2
	s_addc_u32 s3, s11, s3
	s_lshl_b64 s[0:1], s[0:1], 2
	s_add_u32 s20, s2, s0
	s_addc_u32 s21, s3, s1
.LBB12_3:
	s_clause 0x1
	s_load_dwordx4 s[0:3], s[4:5], 0x0
	s_load_dword s4, s[4:5], 0x38
	s_mul_i32 s5, s8, s7
	s_mul_hi_u32 s10, s8, s6
	s_mul_i32 s9, s9, s6
	s_add_i32 s5, s10, s5
	s_mul_i32 s8, s8, s6
	s_add_i32 s9, s5, s9
	v_lshlrev_b32_e32 v30, 3, v0
	s_lshl_b64 s[8:9], s[8:9], 3
	s_waitcnt lgkmcnt(0)
	v_add3_u32 v1, s3, s3, v0
	s_ashr_i32 s11, s2, 31
	s_mov_b32 s10, s2
	s_add_u32 s2, s0, s8
	s_addc_u32 s5, s1, s9
	v_add_nc_u32_e32 v3, s3, v1
	s_lshl_b64 s[0:1], s[10:11], 3
	v_ashrrev_i32_e32 v2, 31, v1
	s_add_u32 s0, s2, s0
	s_addc_u32 s1, s5, s1
	v_add_nc_u32_e32 v5, s3, v3
	v_add_co_u32 v60, s2, s0, v30
	s_mov_b32 s8, s3
	s_ashr_i32 s9, s3, 31
	v_lshlrev_b64 v[1:2], 3, v[1:2]
	v_ashrrev_i32_e32 v4, 31, v3
	v_add_co_ci_u32_e64 v61, null, s1, 0, s2
	s_lshl_b64 s[8:9], s[8:9], 3
	v_ashrrev_i32_e32 v6, 31, v5
	v_add_nc_u32_e32 v7, s3, v5
	v_add_co_u32 v62, vcc_lo, v60, s8
	v_lshlrev_b64 v[3:4], 3, v[3:4]
	v_add_co_ci_u32_e64 v63, null, s9, v61, vcc_lo
	v_add_co_u32 v66, vcc_lo, s0, v1
	v_add_co_ci_u32_e64 v67, null, s1, v2, vcc_lo
	v_lshlrev_b64 v[1:2], 3, v[5:6]
	v_ashrrev_i32_e32 v8, 31, v7
	v_add_nc_u32_e32 v5, s3, v7
	v_add_co_u32 v64, vcc_lo, s0, v3
	v_add_co_ci_u32_e64 v65, null, s1, v4, vcc_lo
	v_lshlrev_b64 v[3:4], 3, v[7:8]
	v_ashrrev_i32_e32 v6, 31, v5
	v_add_nc_u32_e32 v7, s3, v5
	;; [unrolled: 5-line block ×6, first 2 shown]
	v_add_co_u32 v74, vcc_lo, s0, v1
	v_add_co_ci_u32_e64 v75, null, s1, v2, vcc_lo
	v_lshlrev_b64 v[1:2], 3, v[5:6]
	v_add_nc_u32_e32 v5, s3, v7
	v_ashrrev_i32_e32 v8, 31, v7
	v_add_co_u32 v78, vcc_lo, s0, v3
	v_add_co_ci_u32_e64 v79, null, s1, v4, vcc_lo
	v_ashrrev_i32_e32 v6, 31, v5
	v_lshlrev_b64 v[3:4], 3, v[7:8]
	v_add_co_u32 v80, vcc_lo, s0, v1
	v_add_co_ci_u32_e64 v81, null, s1, v2, vcc_lo
	v_lshlrev_b64 v[1:2], 3, v[5:6]
	v_add_co_u32 v82, vcc_lo, s0, v3
	v_add_co_ci_u32_e64 v83, null, s1, v4, vcc_lo
	s_bitcmp0_b32 s4, 0
	v_add_co_u32 v84, vcc_lo, s0, v1
	v_add_co_ci_u32_e64 v85, null, s1, v2, vcc_lo
	s_clause 0xc
	global_load_dwordx2 v[2:3], v30, s[0:1]
	global_load_dwordx2 v[4:5], v[62:63], off
	global_load_dwordx2 v[6:7], v[66:67], off
	;; [unrolled: 1-line block ×12, first 2 shown]
	v_mov_b32_e32 v1, 0
	s_mov_b32 s0, -1
	s_cbranch_scc1 .LBB12_14
; %bb.4:
	v_cmp_eq_u32_e64 s0, 0, v0
	s_and_saveexec_b32 s1, s0
; %bb.5:
	v_mov_b32_e32 v28, 0
	ds_write_b32 v28, v28 offset:104
; %bb.6:
	s_or_b32 exec_lo, exec_lo, s1
	v_cmp_eq_u32_e32 vcc_lo, 1, v0
	s_mov_b32 s2, exec_lo
	s_waitcnt vmcnt(0) lgkmcnt(0)
	s_barrier
	buffer_gl0_inv
	v_cndmask_b32_e32 v28, v3, v5, vcc_lo
	v_cndmask_b32_e32 v29, v2, v4, vcc_lo
	v_cmp_eq_u32_e32 vcc_lo, 2, v0
	v_cndmask_b32_e32 v28, v28, v7, vcc_lo
	v_cndmask_b32_e32 v29, v29, v6, vcc_lo
	v_cmp_eq_u32_e32 vcc_lo, 3, v0
	;; [unrolled: 3-line block ×11, first 2 shown]
	v_cndmask_b32_e32 v29, v28, v27, vcc_lo
	v_cndmask_b32_e32 v28, v31, v26, vcc_lo
	v_cmpx_eq_f64_e32 0, v[28:29]
	s_cbranch_execz .LBB12_10
; %bb.7:
	v_mov_b32_e32 v31, 0
	s_mov_b32 s3, 0
	ds_read_b32 v32, v31 offset:104
	s_waitcnt lgkmcnt(0)
	v_readfirstlane_b32 s1, v32
	v_add_nc_u32_e32 v32, 1, v0
	s_cmp_eq_u32 s1, 0
	v_cmp_gt_i32_e32 vcc_lo, s1, v32
	s_cselect_b32 s4, -1, 0
	s_or_b32 s4, s4, vcc_lo
	s_and_b32 exec_lo, exec_lo, s4
	s_cbranch_execz .LBB12_10
; %bb.8:
	v_mov_b32_e32 v33, s1
.LBB12_9:                               ; =>This Inner Loop Header: Depth=1
	ds_cmpst_rtn_b32 v33, v31, v33, v32 offset:104
	s_waitcnt lgkmcnt(0)
	v_cmp_ne_u32_e32 vcc_lo, 0, v33
	v_cmp_le_i32_e64 s1, v33, v32
	s_and_b32 s1, vcc_lo, s1
	s_and_b32 s1, exec_lo, s1
	s_or_b32 s3, s1, s3
	s_andn2_b32 exec_lo, exec_lo, s3
	s_cbranch_execnz .LBB12_9
.LBB12_10:
	s_or_b32 exec_lo, exec_lo, s2
	v_mov_b32_e32 v31, 0
	s_barrier
	buffer_gl0_inv
	ds_read_b32 v32, v31 offset:104
	s_and_saveexec_b32 s1, s0
	s_cbranch_execz .LBB12_12
; %bb.11:
	s_lshl_b64 s[2:3], s[6:7], 2
	s_add_u32 s2, s18, s2
	s_addc_u32 s3, s19, s3
	s_waitcnt lgkmcnt(0)
	global_store_dword v31, v32, s[2:3]
.LBB12_12:
	s_or_b32 exec_lo, exec_lo, s1
	s_waitcnt lgkmcnt(0)
	v_cmp_ne_u32_e32 vcc_lo, 0, v32
	s_cbranch_vccz .LBB12_17
; %bb.13:
	s_mov_b32 s0, 0
                                        ; implicit-def: $vgpr2_vgpr3_vgpr4_vgpr5_vgpr6_vgpr7_vgpr8_vgpr9_vgpr10_vgpr11_vgpr12_vgpr13_vgpr14_vgpr15_vgpr16_vgpr17_vgpr18_vgpr19_vgpr20_vgpr21_vgpr22_vgpr23_vgpr24_vgpr25_vgpr26_vgpr27_vgpr28_vgpr29_vgpr30_vgpr31_vgpr32_vgpr33
.LBB12_14:
	s_and_b32 vcc_lo, exec_lo, s0
	s_cbranch_vccz .LBB12_16
.LBB12_15:
	s_lshl_b64 s[0:1], s[6:7], 2
	v_mov_b32_e32 v1, 0
	s_add_u32 s0, s18, s0
	s_addc_u32 s1, s19, s1
	global_load_dword v1, v1, s[0:1]
	s_waitcnt vmcnt(0)
	v_cmp_ne_u32_e32 vcc_lo, 0, v1
	s_cbranch_vccz .LBB12_76
.LBB12_16:
	s_endpgm
.LBB12_17:
	v_div_scale_f64 v[31:32], null, v[28:29], v[28:29], 1.0
	v_div_scale_f64 v[37:38], vcc_lo, 1.0, v[28:29], 1.0
	v_cmp_eq_u32_e64 s1, 11, v0
	v_cmp_eq_u32_e64 s2, 10, v0
	;; [unrolled: 1-line block ×12, first 2 shown]
	v_rcp_f64_e32 v[33:34], v[31:32]
	v_fma_f64 v[35:36], -v[31:32], v[33:34], 1.0
	v_fma_f64 v[33:34], v[33:34], v[35:36], v[33:34]
	v_fma_f64 v[35:36], -v[31:32], v[33:34], 1.0
	v_fma_f64 v[33:34], v[33:34], v[35:36], v[33:34]
	v_mul_f64 v[35:36], v[37:38], v[33:34]
	v_fma_f64 v[31:32], -v[31:32], v[35:36], v[37:38]
	v_div_fmas_f64 v[31:32], v[31:32], v[33:34], v[35:36]
	v_cmp_eq_u32_e32 vcc_lo, 12, v0
	v_div_fixup_f64 v[28:29], v[31:32], v[28:29], 1.0
	v_add_nc_u32_e32 v32, 0x70, v30
	v_cndmask_b32_e32 v27, v27, v29, vcc_lo
	v_cndmask_b32_e32 v26, v26, v28, vcc_lo
	v_cndmask_b32_e64 v25, v25, v29, s1
	v_cndmask_b32_e64 v24, v24, v28, s1
	;; [unrolled: 1-line block ×20, first 2 shown]
	v_xor_b32_e32 v34, 0x80000000, v29
	v_mov_b32_e32 v33, v28
	v_cndmask_b32_e64 v7, v7, v29, s12
	v_cndmask_b32_e64 v6, v6, v28, s12
	;; [unrolled: 1-line block ×4, first 2 shown]
	ds_write2_b64 v30, v[33:34], v[4:5] offset1:14
	s_waitcnt lgkmcnt(0)
	s_waitcnt_vscnt null, 0x0
	s_barrier
	buffer_gl0_inv
	s_and_saveexec_b32 s1, s0
	s_cbranch_execz .LBB12_19
; %bb.18:
	ds_read_b64 v[4:5], v32
	v_mov_b32_e32 v30, 0
	ds_read_b64 v[30:31], v30 offset:8
	s_waitcnt lgkmcnt(1)
	v_fma_f64 v[4:5], v[28:29], v[4:5], 0
	s_waitcnt lgkmcnt(0)
	v_mul_f64 v[4:5], v[4:5], v[30:31]
.LBB12_19:
	s_or_b32 exec_lo, exec_lo, s1
	v_cmp_gt_u32_e32 vcc_lo, 2, v0
	s_barrier
	buffer_gl0_inv
	ds_write_b64 v32, v[6:7]
	s_waitcnt lgkmcnt(0)
	s_barrier
	buffer_gl0_inv
	s_and_saveexec_b32 s3, vcc_lo
	s_cbranch_execz .LBB12_23
; %bb.20:
	v_cmp_eq_u32_e64 s1, 1, v0
	v_cmp_eq_u32_e64 s2, 10, v0
	v_cndmask_b32_e64 v28, v3, v5, s1
	v_cndmask_b32_e64 v29, v2, v4, s1
	v_cmp_eq_u32_e64 s1, 2, v0
	v_cndmask_b32_e64 v7, v28, v7, s1
	v_cndmask_b32_e64 v6, v29, v6, s1
	;; [unrolled: 3-line block ×9, first 2 shown]
	ds_read_b64 v[6:7], v32
	v_cmp_eq_u32_e64 s1, 11, v0
	v_cndmask_b32_e64 v28, v28, v23, s2
	v_cndmask_b32_e64 v29, v29, v22, s2
	v_cndmask_b32_e64 v28, v28, v25, s1
	v_cndmask_b32_e64 v30, v29, v24, s1
	v_cmp_eq_u32_e64 s1, 12, v0
	v_cndmask_b32_e64 v29, v28, v27, s1
	v_cndmask_b32_e64 v28, v30, v26, s1
	s_waitcnt lgkmcnt(0)
	v_fma_f64 v[6:7], v[28:29], v[6:7], 0
	s_and_saveexec_b32 s1, s0
	s_cbranch_execz .LBB12_22
; %bb.21:
	v_mov_b32_e32 v28, 0
	ds_read_b64 v[28:29], v28 offset:120
	s_waitcnt lgkmcnt(0)
	v_fma_f64 v[6:7], v[4:5], v[28:29], v[6:7]
.LBB12_22:
	s_or_b32 exec_lo, exec_lo, s1
	v_mov_b32_e32 v28, 0
	ds_read_b64 v[28:29], v28 offset:16
	s_waitcnt lgkmcnt(0)
	v_mul_f64 v[6:7], v[6:7], v[28:29]
.LBB12_23:
	s_or_b32 exec_lo, exec_lo, s3
	s_mov_b32 s3, exec_lo
	s_barrier
	buffer_gl0_inv
	ds_write_b64 v32, v[8:9]
	s_waitcnt lgkmcnt(0)
	s_barrier
	buffer_gl0_inv
	v_cmpx_gt_u32_e32 3, v0
	s_cbranch_execz .LBB12_27
; %bb.24:
	v_mov_b32_e32 v28, 0
	v_mov_b32_e32 v31, v1
	v_lshl_add_u32 v33, v0, 3, 0x70
	v_mov_b32_e32 v29, 0
	v_mov_b32_e32 v30, v0
	s_mov_b32 s4, 0
.LBB12_25:                              ; =>This Inner Loop Header: Depth=1
	v_cmp_eq_u32_e64 s1, 1, v30
	v_cmp_eq_u32_e64 s2, 2, v30
	v_cndmask_b32_e64 v34, v3, v5, s1
	v_cndmask_b32_e64 v35, v2, v4, s1
	v_cmp_eq_u32_e64 s1, 3, v30
	v_cndmask_b32_e64 v34, v34, v7, s2
	v_cndmask_b32_e64 v35, v35, v6, s2
	;; [unrolled: 3-line block ×8, first 2 shown]
	ds_read_b64 v[34:35], v33
	v_cmp_eq_u32_e64 s2, 10, v30
	v_add_nc_u32_e32 v33, 8, v33
	v_cndmask_b32_e64 v36, v36, v21, s1
	v_cndmask_b32_e64 v37, v37, v20, s1
	v_cmp_eq_u32_e64 s1, 11, v30
	v_cndmask_b32_e64 v36, v36, v23, s2
	v_cndmask_b32_e64 v37, v37, v22, s2
	v_cmp_eq_u32_e64 s2, 12, v30
	v_cndmask_b32_e64 v36, v36, v25, s1
	v_cndmask_b32_e64 v38, v37, v24, s1
	v_add_co_u32 v30, s1, v30, 1
	v_add_co_ci_u32_e64 v31, null, 0, v31, s1
	v_cndmask_b32_e64 v37, v36, v27, s2
	v_cndmask_b32_e64 v36, v38, v26, s2
	s_waitcnt lgkmcnt(0)
	v_fma_f64 v[28:29], v[36:37], v[34:35], v[28:29]
	v_add_nc_u32_e32 v34, -1, v30
	v_cmp_lt_u32_e64 s1, 1, v34
	s_or_b32 s4, s1, s4
	s_andn2_b32 exec_lo, exec_lo, s4
	s_cbranch_execnz .LBB12_25
; %bb.26:
	s_or_b32 exec_lo, exec_lo, s4
	v_mov_b32_e32 v8, 0
	ds_read_b64 v[8:9], v8 offset:24
	s_waitcnt lgkmcnt(0)
	v_mul_f64 v[8:9], v[28:29], v[8:9]
.LBB12_27:
	s_or_b32 exec_lo, exec_lo, s3
	v_cmp_gt_u32_e64 s1, 4, v0
	s_barrier
	buffer_gl0_inv
	ds_write_b64 v32, v[10:11]
	s_waitcnt lgkmcnt(0)
	s_barrier
	buffer_gl0_inv
	s_and_saveexec_b32 s4, s1
	s_cbranch_execz .LBB12_31
; %bb.28:
	v_mov_b32_e32 v28, 0
	v_mov_b32_e32 v31, v1
	v_lshl_add_u32 v33, v0, 3, 0x70
	v_mov_b32_e32 v29, 0
	v_mov_b32_e32 v30, v0
	s_mov_b32 s5, 0
.LBB12_29:                              ; =>This Inner Loop Header: Depth=1
	v_cmp_eq_u32_e64 s2, 1, v30
	v_cmp_eq_u32_e64 s3, 2, v30
	v_cndmask_b32_e64 v34, v3, v5, s2
	v_cndmask_b32_e64 v35, v2, v4, s2
	v_cmp_eq_u32_e64 s2, 3, v30
	v_cndmask_b32_e64 v34, v34, v7, s3
	v_cndmask_b32_e64 v35, v35, v6, s3
	;; [unrolled: 3-line block ×8, first 2 shown]
	ds_read_b64 v[34:35], v33
	v_cmp_eq_u32_e64 s3, 10, v30
	v_add_nc_u32_e32 v33, 8, v33
	v_cndmask_b32_e64 v36, v36, v21, s2
	v_cndmask_b32_e64 v37, v37, v20, s2
	v_cmp_eq_u32_e64 s2, 11, v30
	v_cndmask_b32_e64 v36, v36, v23, s3
	v_cndmask_b32_e64 v37, v37, v22, s3
	v_cmp_eq_u32_e64 s3, 12, v30
	v_cndmask_b32_e64 v36, v36, v25, s2
	v_cndmask_b32_e64 v38, v37, v24, s2
	v_add_co_u32 v30, s2, v30, 1
	v_add_co_ci_u32_e64 v31, null, 0, v31, s2
	v_cndmask_b32_e64 v37, v36, v27, s3
	v_cndmask_b32_e64 v36, v38, v26, s3
	s_waitcnt lgkmcnt(0)
	v_fma_f64 v[28:29], v[36:37], v[34:35], v[28:29]
	v_add_nc_u32_e32 v34, -1, v30
	v_cmp_lt_u32_e64 s2, 2, v34
	s_or_b32 s5, s2, s5
	s_andn2_b32 exec_lo, exec_lo, s5
	s_cbranch_execnz .LBB12_29
; %bb.30:
	s_or_b32 exec_lo, exec_lo, s5
	v_mov_b32_e32 v10, 0
	ds_read_b64 v[10:11], v10 offset:32
	s_waitcnt lgkmcnt(0)
	v_mul_f64 v[10:11], v[28:29], v[10:11]
.LBB12_31:
	s_or_b32 exec_lo, exec_lo, s4
	s_mov_b32 s4, exec_lo
	s_barrier
	buffer_gl0_inv
	ds_write_b64 v32, v[12:13]
	s_waitcnt lgkmcnt(0)
	s_barrier
	buffer_gl0_inv
	v_cmpx_gt_u32_e32 5, v0
	s_cbranch_execz .LBB12_35
; %bb.32:
	v_mov_b32_e32 v28, 0
	v_mov_b32_e32 v31, v1
	v_lshl_add_u32 v33, v0, 3, 0x70
	v_mov_b32_e32 v29, 0
	v_mov_b32_e32 v30, v0
	s_mov_b32 s5, 0
.LBB12_33:                              ; =>This Inner Loop Header: Depth=1
	v_cmp_eq_u32_e64 s2, 1, v30
	v_cmp_eq_u32_e64 s3, 2, v30
	v_cndmask_b32_e64 v34, v3, v5, s2
	v_cndmask_b32_e64 v35, v2, v4, s2
	v_cmp_eq_u32_e64 s2, 3, v30
	v_cndmask_b32_e64 v34, v34, v7, s3
	v_cndmask_b32_e64 v35, v35, v6, s3
	;; [unrolled: 3-line block ×8, first 2 shown]
	ds_read_b64 v[34:35], v33
	v_cmp_eq_u32_e64 s3, 10, v30
	v_add_nc_u32_e32 v33, 8, v33
	v_cndmask_b32_e64 v36, v36, v21, s2
	v_cndmask_b32_e64 v37, v37, v20, s2
	v_cmp_eq_u32_e64 s2, 11, v30
	v_cndmask_b32_e64 v36, v36, v23, s3
	v_cndmask_b32_e64 v37, v37, v22, s3
	v_cmp_eq_u32_e64 s3, 12, v30
	v_cndmask_b32_e64 v36, v36, v25, s2
	v_cndmask_b32_e64 v38, v37, v24, s2
	v_add_co_u32 v30, s2, v30, 1
	v_add_co_ci_u32_e64 v31, null, 0, v31, s2
	v_cndmask_b32_e64 v37, v36, v27, s3
	v_cndmask_b32_e64 v36, v38, v26, s3
	s_waitcnt lgkmcnt(0)
	v_fma_f64 v[28:29], v[36:37], v[34:35], v[28:29]
	v_add_nc_u32_e32 v34, -1, v30
	v_cmp_lt_u32_e64 s2, 3, v34
	s_or_b32 s5, s2, s5
	s_andn2_b32 exec_lo, exec_lo, s5
	s_cbranch_execnz .LBB12_33
; %bb.34:
	s_or_b32 exec_lo, exec_lo, s5
	v_mov_b32_e32 v12, 0
	ds_read_b64 v[12:13], v12 offset:40
	s_waitcnt lgkmcnt(0)
	v_mul_f64 v[12:13], v[28:29], v[12:13]
.LBB12_35:
	s_or_b32 exec_lo, exec_lo, s4
	v_cmp_gt_u32_e64 s2, 6, v0
	s_barrier
	buffer_gl0_inv
	ds_write_b64 v32, v[14:15]
	s_waitcnt lgkmcnt(0)
	s_barrier
	buffer_gl0_inv
	s_and_saveexec_b32 s5, s2
	s_cbranch_execz .LBB12_39
; %bb.36:
	v_mov_b32_e32 v28, 0
	v_mov_b32_e32 v31, v1
	v_lshl_add_u32 v33, v0, 3, 0x70
	v_mov_b32_e32 v29, 0
	v_mov_b32_e32 v30, v0
	s_mov_b32 s8, 0
.LBB12_37:                              ; =>This Inner Loop Header: Depth=1
	v_cmp_eq_u32_e64 s3, 1, v30
	v_cmp_eq_u32_e64 s4, 2, v30
	v_cndmask_b32_e64 v34, v3, v5, s3
	v_cndmask_b32_e64 v35, v2, v4, s3
	v_cmp_eq_u32_e64 s3, 3, v30
	v_cndmask_b32_e64 v34, v34, v7, s4
	v_cndmask_b32_e64 v35, v35, v6, s4
	;; [unrolled: 3-line block ×8, first 2 shown]
	ds_read_b64 v[34:35], v33
	v_cmp_eq_u32_e64 s4, 10, v30
	v_add_nc_u32_e32 v33, 8, v33
	v_cndmask_b32_e64 v36, v36, v21, s3
	v_cndmask_b32_e64 v37, v37, v20, s3
	v_cmp_eq_u32_e64 s3, 11, v30
	v_cndmask_b32_e64 v36, v36, v23, s4
	v_cndmask_b32_e64 v37, v37, v22, s4
	v_cmp_eq_u32_e64 s4, 12, v30
	v_cndmask_b32_e64 v36, v36, v25, s3
	v_cndmask_b32_e64 v38, v37, v24, s3
	v_add_co_u32 v30, s3, v30, 1
	v_add_co_ci_u32_e64 v31, null, 0, v31, s3
	v_cndmask_b32_e64 v37, v36, v27, s4
	v_cndmask_b32_e64 v36, v38, v26, s4
	s_waitcnt lgkmcnt(0)
	v_fma_f64 v[28:29], v[36:37], v[34:35], v[28:29]
	v_add_nc_u32_e32 v34, -1, v30
	v_cmp_lt_u32_e64 s3, 4, v34
	s_or_b32 s8, s3, s8
	s_andn2_b32 exec_lo, exec_lo, s8
	s_cbranch_execnz .LBB12_37
; %bb.38:
	s_or_b32 exec_lo, exec_lo, s8
	v_mov_b32_e32 v14, 0
	ds_read_b64 v[14:15], v14 offset:48
	s_waitcnt lgkmcnt(0)
	v_mul_f64 v[14:15], v[28:29], v[14:15]
.LBB12_39:
	s_or_b32 exec_lo, exec_lo, s5
	s_mov_b32 s5, exec_lo
	s_barrier
	buffer_gl0_inv
	ds_write_b64 v32, v[16:17]
	s_waitcnt lgkmcnt(0)
	s_barrier
	buffer_gl0_inv
	v_cmpx_gt_u32_e32 7, v0
	s_cbranch_execz .LBB12_43
; %bb.40:
	v_mov_b32_e32 v28, 0
	v_mov_b32_e32 v31, v1
	v_lshl_add_u32 v33, v0, 3, 0x70
	v_mov_b32_e32 v29, 0
	v_mov_b32_e32 v30, v0
	s_mov_b32 s8, 0
.LBB12_41:                              ; =>This Inner Loop Header: Depth=1
	v_cmp_eq_u32_e64 s3, 1, v30
	v_cmp_eq_u32_e64 s4, 2, v30
	v_cndmask_b32_e64 v34, v3, v5, s3
	v_cndmask_b32_e64 v35, v2, v4, s3
	v_cmp_eq_u32_e64 s3, 3, v30
	v_cndmask_b32_e64 v34, v34, v7, s4
	v_cndmask_b32_e64 v35, v35, v6, s4
	;; [unrolled: 3-line block ×8, first 2 shown]
	ds_read_b64 v[34:35], v33
	v_cmp_eq_u32_e64 s4, 10, v30
	v_add_nc_u32_e32 v33, 8, v33
	v_cndmask_b32_e64 v36, v36, v21, s3
	v_cndmask_b32_e64 v37, v37, v20, s3
	v_cmp_eq_u32_e64 s3, 11, v30
	v_cndmask_b32_e64 v36, v36, v23, s4
	v_cndmask_b32_e64 v37, v37, v22, s4
	v_cmp_eq_u32_e64 s4, 12, v30
	v_cndmask_b32_e64 v36, v36, v25, s3
	v_cndmask_b32_e64 v38, v37, v24, s3
	v_add_co_u32 v30, s3, v30, 1
	v_add_co_ci_u32_e64 v31, null, 0, v31, s3
	v_cndmask_b32_e64 v37, v36, v27, s4
	v_cndmask_b32_e64 v36, v38, v26, s4
	s_waitcnt lgkmcnt(0)
	v_fma_f64 v[28:29], v[36:37], v[34:35], v[28:29]
	v_add_nc_u32_e32 v34, -1, v30
	v_cmp_lt_u32_e64 s3, 5, v34
	s_or_b32 s8, s3, s8
	s_andn2_b32 exec_lo, exec_lo, s8
	s_cbranch_execnz .LBB12_41
; %bb.42:
	s_or_b32 exec_lo, exec_lo, s8
	v_mov_b32_e32 v16, 0
	ds_read_b64 v[16:17], v16 offset:56
	s_waitcnt lgkmcnt(0)
	v_mul_f64 v[16:17], v[28:29], v[16:17]
.LBB12_43:
	s_or_b32 exec_lo, exec_lo, s5
	s_mov_b32 s5, exec_lo
	s_barrier
	buffer_gl0_inv
	ds_write_b64 v32, v[18:19]
	s_waitcnt lgkmcnt(0)
	s_barrier
	buffer_gl0_inv
	v_cmpx_gt_u32_e32 8, v0
	s_cbranch_execz .LBB12_59
; %bb.44:
	v_cmp_eq_u32_e64 s3, 1, v0
	v_cmp_eq_u32_e64 s4, 10, v0
	s_mov_b32 s8, exec_lo
	v_cndmask_b32_e64 v28, v3, v5, s3
	v_cndmask_b32_e64 v29, v2, v4, s3
	v_cmp_eq_u32_e64 s3, 2, v0
	v_cndmask_b32_e64 v28, v28, v7, s3
	v_cndmask_b32_e64 v29, v29, v6, s3
	v_cmp_eq_u32_e64 s3, 3, v0
	;; [unrolled: 3-line block ×8, first 2 shown]
	v_cndmask_b32_e64 v30, v28, v21, s3
	v_cndmask_b32_e64 v31, v29, v20, s3
	ds_read_b64 v[28:29], v32
	v_cmp_eq_u32_e64 s3, 11, v0
	v_cndmask_b32_e64 v30, v30, v23, s4
	v_cndmask_b32_e64 v31, v31, v22, s4
	;; [unrolled: 1-line block ×4, first 2 shown]
	v_cmp_eq_u32_e64 s3, 12, v0
	v_cndmask_b32_e64 v31, v30, v27, s3
	v_cndmask_b32_e64 v30, v33, v26, s3
	s_waitcnt lgkmcnt(0)
	v_fma_f64 v[28:29], v[30:31], v[28:29], 0
	v_cmpx_ne_u32_e32 7, v0
	s_cbranch_execz .LBB12_58
; %bb.45:
	v_add_nc_u32_e32 v33, 1, v0
	v_cmp_eq_u32_e64 s3, 1, v33
	v_cmp_eq_u32_e64 s4, 10, v33
	v_cndmask_b32_e64 v30, v3, v5, s3
	v_cndmask_b32_e64 v31, v2, v4, s3
	v_cmp_eq_u32_e64 s3, 2, v33
	v_cndmask_b32_e64 v30, v30, v7, s3
	v_cndmask_b32_e64 v31, v31, v6, s3
	;; [unrolled: 3-line block ×9, first 2 shown]
	ds_read_b64 v[30:31], v32 offset:8
	v_cmp_eq_u32_e64 s3, 11, v33
	v_cndmask_b32_e64 v34, v34, v23, s4
	v_cndmask_b32_e64 v35, v35, v22, s4
	;; [unrolled: 1-line block ×4, first 2 shown]
	v_cmp_eq_u32_e64 s3, 12, v33
	v_cndmask_b32_e64 v34, v34, v27, s3
	v_cndmask_b32_e64 v33, v35, v26, s3
	s_waitcnt lgkmcnt(0)
	v_fma_f64 v[28:29], v[33:34], v[30:31], v[28:29]
	s_and_saveexec_b32 s4, s2
	s_cbranch_execz .LBB12_57
; %bb.46:
	v_add_nc_u32_e32 v33, 2, v0
	s_mov_b32 s9, exec_lo
	v_cmp_eq_u32_e64 s2, 1, v33
	v_cmp_eq_u32_e64 s3, 10, v33
	v_cndmask_b32_e64 v30, v3, v5, s2
	v_cndmask_b32_e64 v31, v2, v4, s2
	v_cmp_eq_u32_e64 s2, 2, v33
	v_cndmask_b32_e64 v30, v30, v7, s2
	v_cndmask_b32_e64 v31, v31, v6, s2
	;; [unrolled: 3-line block ×9, first 2 shown]
	ds_read_b64 v[30:31], v32 offset:16
	v_cmp_eq_u32_e64 s2, 11, v33
	v_cndmask_b32_e64 v34, v34, v23, s3
	v_cndmask_b32_e64 v35, v35, v22, s3
	;; [unrolled: 1-line block ×4, first 2 shown]
	v_cmp_eq_u32_e64 s2, 12, v33
	v_cndmask_b32_e64 v34, v34, v27, s2
	v_cndmask_b32_e64 v33, v35, v26, s2
	s_waitcnt lgkmcnt(0)
	v_fma_f64 v[28:29], v[33:34], v[30:31], v[28:29]
	v_cmpx_ne_u32_e32 5, v0
	s_cbranch_execz .LBB12_56
; %bb.47:
	v_add_nc_u32_e32 v33, 3, v0
	v_cmp_eq_u32_e64 s2, 1, v33
	v_cmp_eq_u32_e64 s3, 10, v33
	v_cndmask_b32_e64 v30, v3, v5, s2
	v_cndmask_b32_e64 v31, v2, v4, s2
	v_cmp_eq_u32_e64 s2, 2, v33
	v_cndmask_b32_e64 v30, v30, v7, s2
	v_cndmask_b32_e64 v31, v31, v6, s2
	;; [unrolled: 3-line block ×9, first 2 shown]
	ds_read_b64 v[30:31], v32 offset:24
	v_cmp_eq_u32_e64 s2, 11, v33
	v_cndmask_b32_e64 v34, v34, v23, s3
	v_cndmask_b32_e64 v35, v35, v22, s3
	;; [unrolled: 1-line block ×4, first 2 shown]
	v_cmp_eq_u32_e64 s2, 12, v33
	v_cndmask_b32_e64 v34, v34, v27, s2
	v_cndmask_b32_e64 v33, v35, v26, s2
	s_waitcnt lgkmcnt(0)
	v_fma_f64 v[28:29], v[33:34], v[30:31], v[28:29]
	s_and_saveexec_b32 s3, s1
	s_cbranch_execz .LBB12_55
; %bb.48:
	v_or_b32_e32 v33, 4, v0
	s_mov_b32 s10, exec_lo
	v_cmp_eq_u32_e64 s1, 1, v33
	v_cmp_eq_u32_e64 s2, 10, v33
	v_cndmask_b32_e64 v30, v3, v5, s1
	v_cndmask_b32_e64 v31, v2, v4, s1
	v_cmp_eq_u32_e64 s1, 2, v33
	v_cndmask_b32_e64 v30, v30, v7, s1
	v_cndmask_b32_e64 v31, v31, v6, s1
	;; [unrolled: 3-line block ×9, first 2 shown]
	ds_read_b64 v[30:31], v32 offset:32
	v_cmp_eq_u32_e64 s1, 11, v33
	v_cndmask_b32_e64 v34, v34, v23, s2
	v_cndmask_b32_e64 v35, v35, v22, s2
	;; [unrolled: 1-line block ×4, first 2 shown]
	v_cmp_eq_u32_e64 s1, 12, v33
	v_cndmask_b32_e64 v34, v34, v27, s1
	v_cndmask_b32_e64 v33, v35, v26, s1
	s_waitcnt lgkmcnt(0)
	v_fma_f64 v[28:29], v[33:34], v[30:31], v[28:29]
	v_cmpx_ne_u32_e32 3, v0
	s_cbranch_execz .LBB12_54
; %bb.49:
	v_add_nc_u32_e32 v33, 5, v0
	v_cmp_eq_u32_e64 s1, 1, v33
	v_cmp_eq_u32_e64 s2, 10, v33
	v_cndmask_b32_e64 v30, v3, v5, s1
	v_cndmask_b32_e64 v31, v2, v4, s1
	v_cmp_eq_u32_e64 s1, 2, v33
	v_cndmask_b32_e64 v30, v30, v7, s1
	v_cndmask_b32_e64 v31, v31, v6, s1
	;; [unrolled: 3-line block ×9, first 2 shown]
	ds_read_b64 v[30:31], v32 offset:40
	v_cmp_eq_u32_e64 s1, 11, v33
	v_cndmask_b32_e64 v34, v34, v23, s2
	v_cndmask_b32_e64 v35, v35, v22, s2
	;; [unrolled: 1-line block ×4, first 2 shown]
	v_cmp_eq_u32_e64 s1, 12, v33
	v_cndmask_b32_e64 v34, v34, v27, s1
	v_cndmask_b32_e64 v33, v35, v26, s1
	s_waitcnt lgkmcnt(0)
	v_fma_f64 v[28:29], v[33:34], v[30:31], v[28:29]
	s_and_saveexec_b32 s2, vcc_lo
	s_cbranch_execz .LBB12_53
; %bb.50:
	v_or_b32_e32 v30, 6, v0
	v_cmp_eq_u32_e32 vcc_lo, 1, v30
	v_cmp_eq_u32_e64 s1, 10, v30
	v_cndmask_b32_e32 v31, v3, v5, vcc_lo
	v_cndmask_b32_e32 v33, v2, v4, vcc_lo
	v_cmp_eq_u32_e32 vcc_lo, 2, v30
	v_cndmask_b32_e32 v31, v31, v7, vcc_lo
	v_cndmask_b32_e32 v33, v33, v6, vcc_lo
	v_cmp_eq_u32_e32 vcc_lo, 3, v30
	;; [unrolled: 3-line block ×8, first 2 shown]
	v_cndmask_b32_e32 v31, v19, v21, vcc_lo
	v_cndmask_b32_e32 v33, v18, v20, vcc_lo
	ds_read_b64 v[18:19], v32 offset:48
	v_cmp_eq_u32_e32 vcc_lo, 11, v30
	v_cndmask_b32_e64 v31, v31, v23, s1
	v_cndmask_b32_e64 v33, v33, v22, s1
	v_cndmask_b32_e32 v31, v31, v25, vcc_lo
	v_cndmask_b32_e32 v33, v33, v24, vcc_lo
	v_cmp_eq_u32_e32 vcc_lo, 12, v30
	v_cndmask_b32_e32 v31, v31, v27, vcc_lo
	v_cndmask_b32_e32 v30, v33, v26, vcc_lo
	s_waitcnt lgkmcnt(0)
	v_fma_f64 v[28:29], v[30:31], v[18:19], v[28:29]
	s_and_saveexec_b32 s1, s0
	s_cbranch_execz .LBB12_52
; %bb.51:
	ds_read_b64 v[18:19], v32 offset:56
	s_waitcnt lgkmcnt(0)
	v_fma_f64 v[28:29], v[16:17], v[18:19], v[28:29]
.LBB12_52:
	s_or_b32 exec_lo, exec_lo, s1
.LBB12_53:
	s_or_b32 exec_lo, exec_lo, s2
.LBB12_54:
	s_or_b32 exec_lo, exec_lo, s10
.LBB12_55:
	s_or_b32 exec_lo, exec_lo, s3
.LBB12_56:
	s_or_b32 exec_lo, exec_lo, s9
.LBB12_57:
	s_or_b32 exec_lo, exec_lo, s4
.LBB12_58:
	s_or_b32 exec_lo, exec_lo, s8
	v_mov_b32_e32 v18, 0
	ds_read_b64 v[18:19], v18 offset:64
	s_waitcnt lgkmcnt(0)
	v_mul_f64 v[18:19], v[28:29], v[18:19]
.LBB12_59:
	s_or_b32 exec_lo, exec_lo, s5
	s_mov_b32 s1, exec_lo
	s_barrier
	buffer_gl0_inv
	ds_write_b64 v32, v[20:21]
	s_waitcnt lgkmcnt(0)
	s_barrier
	buffer_gl0_inv
	v_cmpx_gt_u32_e32 9, v0
	s_cbranch_execz .LBB12_63
; %bb.60:
	v_mov_b32_e32 v28, 0
	v_mov_b32_e32 v31, v1
	v_lshl_add_u32 v33, v0, 3, 0x70
	v_mov_b32_e32 v29, 0
	v_mov_b32_e32 v30, v0
	s_mov_b32 s2, 0
.LBB12_61:                              ; =>This Inner Loop Header: Depth=1
	v_cmp_eq_u32_e32 vcc_lo, 1, v30
	v_cmp_eq_u32_e64 s0, 2, v30
	v_cndmask_b32_e32 v34, v3, v5, vcc_lo
	v_cndmask_b32_e32 v35, v2, v4, vcc_lo
	v_cmp_eq_u32_e32 vcc_lo, 3, v30
	v_cndmask_b32_e64 v34, v34, v7, s0
	v_cndmask_b32_e64 v35, v35, v6, s0
	v_cmp_eq_u32_e64 s0, 4, v30
	v_cndmask_b32_e32 v34, v34, v9, vcc_lo
	v_cndmask_b32_e32 v35, v35, v8, vcc_lo
	v_cmp_eq_u32_e32 vcc_lo, 5, v30
	v_cndmask_b32_e64 v34, v34, v11, s0
	v_cndmask_b32_e64 v35, v35, v10, s0
	;; [unrolled: 6-line block ×4, first 2 shown]
	ds_read_b64 v[34:35], v33
	v_cmp_eq_u32_e64 s0, 10, v30
	v_add_nc_u32_e32 v33, 8, v33
	v_cndmask_b32_e32 v36, v36, v21, vcc_lo
	v_cndmask_b32_e32 v37, v37, v20, vcc_lo
	v_cmp_eq_u32_e32 vcc_lo, 11, v30
	v_cndmask_b32_e64 v36, v36, v23, s0
	v_cndmask_b32_e64 v37, v37, v22, s0
	v_cmp_eq_u32_e64 s0, 12, v30
	v_cndmask_b32_e32 v36, v36, v25, vcc_lo
	v_cndmask_b32_e32 v38, v37, v24, vcc_lo
	v_add_co_u32 v30, vcc_lo, v30, 1
	v_add_co_ci_u32_e64 v31, null, 0, v31, vcc_lo
	v_cndmask_b32_e64 v37, v36, v27, s0
	v_cndmask_b32_e64 v36, v38, v26, s0
	s_waitcnt lgkmcnt(0)
	v_fma_f64 v[28:29], v[36:37], v[34:35], v[28:29]
	v_add_nc_u32_e32 v34, -1, v30
	v_cmp_lt_u32_e32 vcc_lo, 7, v34
	s_or_b32 s2, vcc_lo, s2
	s_andn2_b32 exec_lo, exec_lo, s2
	s_cbranch_execnz .LBB12_61
; %bb.62:
	s_or_b32 exec_lo, exec_lo, s2
	v_mov_b32_e32 v20, 0
	ds_read_b64 v[20:21], v20 offset:72
	s_waitcnt lgkmcnt(0)
	v_mul_f64 v[20:21], v[28:29], v[20:21]
.LBB12_63:
	s_or_b32 exec_lo, exec_lo, s1
	s_mov_b32 s1, exec_lo
	s_barrier
	buffer_gl0_inv
	ds_write_b64 v32, v[22:23]
	s_waitcnt lgkmcnt(0)
	s_barrier
	buffer_gl0_inv
	v_cmpx_gt_u32_e32 10, v0
	s_cbranch_execz .LBB12_67
; %bb.64:
	v_mov_b32_e32 v28, 0
	v_mov_b32_e32 v31, v1
	v_lshl_add_u32 v33, v0, 3, 0x70
	v_mov_b32_e32 v29, 0
	v_mov_b32_e32 v30, v0
	s_mov_b32 s2, 0
.LBB12_65:                              ; =>This Inner Loop Header: Depth=1
	v_cmp_eq_u32_e32 vcc_lo, 1, v30
	v_cmp_eq_u32_e64 s0, 2, v30
	v_cndmask_b32_e32 v34, v3, v5, vcc_lo
	v_cndmask_b32_e32 v35, v2, v4, vcc_lo
	v_cmp_eq_u32_e32 vcc_lo, 3, v30
	v_cndmask_b32_e64 v34, v34, v7, s0
	v_cndmask_b32_e64 v35, v35, v6, s0
	v_cmp_eq_u32_e64 s0, 4, v30
	v_cndmask_b32_e32 v34, v34, v9, vcc_lo
	v_cndmask_b32_e32 v35, v35, v8, vcc_lo
	v_cmp_eq_u32_e32 vcc_lo, 5, v30
	v_cndmask_b32_e64 v34, v34, v11, s0
	v_cndmask_b32_e64 v35, v35, v10, s0
	;; [unrolled: 6-line block ×4, first 2 shown]
	ds_read_b64 v[34:35], v33
	v_cmp_eq_u32_e64 s0, 10, v30
	v_add_nc_u32_e32 v33, 8, v33
	v_cndmask_b32_e32 v36, v36, v21, vcc_lo
	v_cndmask_b32_e32 v37, v37, v20, vcc_lo
	v_cmp_eq_u32_e32 vcc_lo, 11, v30
	v_cndmask_b32_e64 v36, v36, v23, s0
	v_cndmask_b32_e64 v37, v37, v22, s0
	v_cmp_eq_u32_e64 s0, 12, v30
	v_cndmask_b32_e32 v36, v36, v25, vcc_lo
	v_cndmask_b32_e32 v38, v37, v24, vcc_lo
	v_add_co_u32 v30, vcc_lo, v30, 1
	v_add_co_ci_u32_e64 v31, null, 0, v31, vcc_lo
	v_cndmask_b32_e64 v37, v36, v27, s0
	v_cndmask_b32_e64 v36, v38, v26, s0
	s_waitcnt lgkmcnt(0)
	v_fma_f64 v[28:29], v[36:37], v[34:35], v[28:29]
	v_add_nc_u32_e32 v34, -1, v30
	v_cmp_lt_u32_e32 vcc_lo, 8, v34
	s_or_b32 s2, vcc_lo, s2
	s_andn2_b32 exec_lo, exec_lo, s2
	s_cbranch_execnz .LBB12_65
; %bb.66:
	s_or_b32 exec_lo, exec_lo, s2
	v_mov_b32_e32 v22, 0
	ds_read_b64 v[22:23], v22 offset:80
	s_waitcnt lgkmcnt(0)
	v_mul_f64 v[22:23], v[28:29], v[22:23]
.LBB12_67:
	s_or_b32 exec_lo, exec_lo, s1
	s_mov_b32 s1, exec_lo
	s_barrier
	buffer_gl0_inv
	ds_write_b64 v32, v[24:25]
	s_waitcnt lgkmcnt(0)
	s_barrier
	buffer_gl0_inv
	v_cmpx_gt_u32_e32 11, v0
	s_cbranch_execz .LBB12_71
; %bb.68:
	v_mov_b32_e32 v28, 0
	v_mov_b32_e32 v31, v1
	v_lshl_add_u32 v33, v0, 3, 0x70
	v_mov_b32_e32 v29, 0
	v_mov_b32_e32 v30, v0
	s_mov_b32 s2, 0
.LBB12_69:                              ; =>This Inner Loop Header: Depth=1
	v_cmp_eq_u32_e32 vcc_lo, 1, v30
	v_cmp_eq_u32_e64 s0, 2, v30
	v_cndmask_b32_e32 v34, v3, v5, vcc_lo
	v_cndmask_b32_e32 v35, v2, v4, vcc_lo
	v_cmp_eq_u32_e32 vcc_lo, 3, v30
	v_cndmask_b32_e64 v34, v34, v7, s0
	v_cndmask_b32_e64 v35, v35, v6, s0
	v_cmp_eq_u32_e64 s0, 4, v30
	v_cndmask_b32_e32 v34, v34, v9, vcc_lo
	v_cndmask_b32_e32 v35, v35, v8, vcc_lo
	v_cmp_eq_u32_e32 vcc_lo, 5, v30
	v_cndmask_b32_e64 v34, v34, v11, s0
	v_cndmask_b32_e64 v35, v35, v10, s0
	;; [unrolled: 6-line block ×4, first 2 shown]
	ds_read_b64 v[34:35], v33
	v_cmp_eq_u32_e64 s0, 10, v30
	v_add_nc_u32_e32 v33, 8, v33
	v_cndmask_b32_e32 v36, v36, v21, vcc_lo
	v_cndmask_b32_e32 v37, v37, v20, vcc_lo
	v_cmp_eq_u32_e32 vcc_lo, 11, v30
	v_cndmask_b32_e64 v36, v36, v23, s0
	v_cndmask_b32_e64 v37, v37, v22, s0
	v_cmp_eq_u32_e64 s0, 12, v30
	v_cndmask_b32_e32 v36, v36, v25, vcc_lo
	v_cndmask_b32_e32 v38, v37, v24, vcc_lo
	v_add_co_u32 v30, vcc_lo, v30, 1
	v_add_co_ci_u32_e64 v31, null, 0, v31, vcc_lo
	v_cndmask_b32_e64 v37, v36, v27, s0
	v_cndmask_b32_e64 v36, v38, v26, s0
	s_waitcnt lgkmcnt(0)
	v_fma_f64 v[28:29], v[36:37], v[34:35], v[28:29]
	v_add_nc_u32_e32 v34, -1, v30
	v_cmp_lt_u32_e32 vcc_lo, 9, v34
	s_or_b32 s2, vcc_lo, s2
	s_andn2_b32 exec_lo, exec_lo, s2
	s_cbranch_execnz .LBB12_69
; %bb.70:
	s_or_b32 exec_lo, exec_lo, s2
	v_mov_b32_e32 v24, 0
	ds_read_b64 v[24:25], v24 offset:88
	s_waitcnt lgkmcnt(0)
	v_mul_f64 v[24:25], v[28:29], v[24:25]
.LBB12_71:
	s_or_b32 exec_lo, exec_lo, s1
	s_mov_b32 s1, exec_lo
	s_barrier
	buffer_gl0_inv
	ds_write_b64 v32, v[26:27]
	s_waitcnt lgkmcnt(0)
	s_barrier
	buffer_gl0_inv
	v_cmpx_ne_u32_e32 12, v0
	s_cbranch_execz .LBB12_75
; %bb.72:
	v_mov_b32_e32 v28, 0
	v_mov_b32_e32 v31, v1
	v_lshl_add_u32 v32, v0, 3, 0x70
	v_mov_b32_e32 v29, 0
	v_mov_b32_e32 v30, v0
	s_mov_b32 s2, 0
.LBB12_73:                              ; =>This Inner Loop Header: Depth=1
	v_cmp_eq_u32_e32 vcc_lo, 1, v30
	v_cmp_eq_u32_e64 s0, 2, v30
	v_cndmask_b32_e32 v1, v3, v5, vcc_lo
	v_cndmask_b32_e32 v33, v2, v4, vcc_lo
	v_cmp_eq_u32_e32 vcc_lo, 3, v30
	v_cndmask_b32_e64 v1, v1, v7, s0
	v_cndmask_b32_e64 v33, v33, v6, s0
	v_cmp_eq_u32_e64 s0, 4, v30
	v_cndmask_b32_e32 v1, v1, v9, vcc_lo
	v_cndmask_b32_e32 v33, v33, v8, vcc_lo
	v_cmp_eq_u32_e32 vcc_lo, 5, v30
	v_cndmask_b32_e64 v1, v1, v11, s0
	v_cndmask_b32_e64 v33, v33, v10, s0
	;; [unrolled: 6-line block ×4, first 2 shown]
	ds_read_b64 v[33:34], v32
	v_cmp_eq_u32_e64 s0, 10, v30
	v_add_nc_u32_e32 v32, 8, v32
	v_cndmask_b32_e32 v1, v1, v21, vcc_lo
	v_cndmask_b32_e32 v35, v35, v20, vcc_lo
	v_cmp_eq_u32_e32 vcc_lo, 11, v30
	v_cndmask_b32_e64 v1, v1, v23, s0
	v_cndmask_b32_e64 v35, v35, v22, s0
	v_cmp_eq_u32_e64 s0, 12, v30
	v_cndmask_b32_e32 v1, v1, v25, vcc_lo
	v_cndmask_b32_e32 v35, v35, v24, vcc_lo
	v_add_co_u32 v30, vcc_lo, v30, 1
	v_add_co_ci_u32_e64 v31, null, 0, v31, vcc_lo
	v_cndmask_b32_e64 v36, v1, v27, s0
	v_cndmask_b32_e64 v35, v35, v26, s0
	v_add_nc_u32_e32 v1, -1, v30
	s_waitcnt lgkmcnt(0)
	v_fma_f64 v[28:29], v[35:36], v[33:34], v[28:29]
	v_cmp_lt_u32_e32 vcc_lo, 10, v1
	s_or_b32 s2, vcc_lo, s2
	s_andn2_b32 exec_lo, exec_lo, s2
	s_cbranch_execnz .LBB12_73
; %bb.74:
	s_or_b32 exec_lo, exec_lo, s2
	v_mov_b32_e32 v1, 0
	ds_read_b64 v[26:27], v1 offset:96
	s_waitcnt lgkmcnt(0)
	v_mul_f64 v[26:27], v[28:29], v[26:27]
.LBB12_75:
	s_or_b32 exec_lo, exec_lo, s1
	s_barrier
	buffer_gl0_inv
	s_cbranch_execnz .LBB12_15
	s_branch .LBB12_16
.LBB12_76:
	v_lshl_add_u32 v1, v0, 3, 0x70
	s_mov_b32 s0, exec_lo
	v_cmpx_eq_u32_e32 12, v0
	s_cbranch_execz .LBB12_78
; %bb.77:
	v_mov_b32_e32 v50, 0
	v_mov_b32_e32 v28, v2
	;; [unrolled: 1-line block ×26, first 2 shown]
	ds_write_b64 v1, v[24:25]
	v_mov_b32_e32 v2, v28
	v_mov_b32_e32 v3, v29
	v_mov_b32_e32 v4, v30
	v_mov_b32_e32 v5, v31
	v_mov_b32_e32 v6, v32
	v_mov_b32_e32 v7, v33
	v_mov_b32_e32 v8, v34
	v_mov_b32_e32 v9, v35
	v_mov_b32_e32 v10, v36
	v_mov_b32_e32 v11, v37
	v_mov_b32_e32 v12, v38
	v_mov_b32_e32 v13, v39
	v_mov_b32_e32 v14, v40
	v_mov_b32_e32 v15, v41
	v_mov_b32_e32 v16, v42
	v_mov_b32_e32 v17, v43
	v_mov_b32_e32 v18, v44
	v_mov_b32_e32 v19, v45
	v_mov_b32_e32 v20, v46
	v_mov_b32_e32 v21, v47
	v_mov_b32_e32 v22, v48
	v_mov_b32_e32 v23, v49
	v_mov_b32_e32 v24, v50
	v_mov_b32_e32 v25, v51
	v_mov_b32_e32 v26, v52
	v_mov_b32_e32 v27, v53
	v_mov_b32_e32 v28, v54
	v_mov_b32_e32 v29, v55
	v_mov_b32_e32 v30, v56
	v_mov_b32_e32 v31, v57
	v_mov_b32_e32 v32, v58
	v_mov_b32_e32 v33, v59
.LBB12_78:
	s_or_b32 exec_lo, exec_lo, s0
	v_mov_b32_e32 v48, 0
	s_waitcnt lgkmcnt(0)
	s_waitcnt_vscnt null, 0x0
	s_barrier
	buffer_gl0_inv
	s_mov_b32 s0, exec_lo
	ds_read_b64 v[28:29], v48 offset:208
	s_waitcnt lgkmcnt(0)
	v_fma_f64 v[28:29], v[26:27], v[28:29], 0
	v_add_f64 v[24:25], v[24:25], -v[28:29]
	v_cmpx_lt_u32_e32 10, v0
	s_cbranch_execz .LBB12_80
; %bb.79:
	v_mov_b32_e32 v28, v2
	v_mov_b32_e32 v34, v8
	;; [unrolled: 1-line block ×25, first 2 shown]
	ds_write_b64 v1, v[22:23]
	v_mov_b32_e32 v2, v28
	v_mov_b32_e32 v3, v29
	;; [unrolled: 1-line block ×32, first 2 shown]
.LBB12_80:
	s_or_b32 exec_lo, exec_lo, s0
	s_waitcnt lgkmcnt(0)
	s_barrier
	buffer_gl0_inv
	ds_read2_b64 v[28:31], v48 offset0:25 offset1:26
	s_mov_b32 s0, exec_lo
	s_waitcnt lgkmcnt(0)
	v_fma_f64 v[28:29], v[24:25], v[28:29], 0
	v_fma_f64 v[28:29], v[26:27], v[30:31], v[28:29]
	v_add_f64 v[22:23], v[22:23], -v[28:29]
	v_cmpx_lt_u32_e32 9, v0
	s_cbranch_execz .LBB12_82
; %bb.81:
	v_mov_b32_e32 v46, 0
	v_mov_b32_e32 v28, v2
	;; [unrolled: 1-line block ×26, first 2 shown]
	ds_write_b64 v1, v[20:21]
	v_mov_b32_e32 v2, v28
	v_mov_b32_e32 v3, v29
	;; [unrolled: 1-line block ×32, first 2 shown]
.LBB12_82:
	s_or_b32 exec_lo, exec_lo, s0
	v_mov_b32_e32 v44, 0
	s_waitcnt lgkmcnt(0)
	s_barrier
	buffer_gl0_inv
	s_mov_b32 s0, exec_lo
	ds_read_b128 v[28:31], v44 offset:192
	ds_read_b64 v[32:33], v44 offset:208
	s_waitcnt lgkmcnt(1)
	v_fma_f64 v[28:29], v[22:23], v[28:29], 0
	v_fma_f64 v[28:29], v[24:25], v[30:31], v[28:29]
	s_waitcnt lgkmcnt(0)
	v_fma_f64 v[28:29], v[26:27], v[32:33], v[28:29]
	v_add_f64 v[20:21], v[20:21], -v[28:29]
	v_cmpx_lt_u32_e32 8, v0
	s_cbranch_execz .LBB12_84
; %bb.83:
	v_mov_b32_e32 v28, v2
	v_mov_b32_e32 v34, v8
	v_mov_b32_e32 v35, v9
	v_mov_b32_e32 v36, v10
	v_mov_b32_e32 v37, v11
	v_mov_b32_e32 v38, v12
	v_mov_b32_e32 v39, v13
	v_mov_b32_e32 v40, v14
	v_mov_b32_e32 v41, v15
	v_mov_b32_e32 v42, v16
	v_mov_b32_e32 v43, v17
	v_mov_b32_e32 v45, v44
	v_mov_b32_e32 v46, v20
	v_mov_b32_e32 v47, v21
	v_mov_b32_e32 v48, v22
	v_mov_b32_e32 v49, v23
	v_mov_b32_e32 v50, v24
	v_mov_b32_e32 v51, v25
	v_mov_b32_e32 v52, v26
	v_mov_b32_e32 v53, v27
	v_mov_b32_e32 v29, v3
	v_mov_b32_e32 v30, v4
	v_mov_b32_e32 v31, v5
	v_mov_b32_e32 v32, v6
	v_mov_b32_e32 v33, v7
	ds_write_b64 v1, v[18:19]
	v_mov_b32_e32 v2, v28
	v_mov_b32_e32 v3, v29
	;; [unrolled: 1-line block ×32, first 2 shown]
.LBB12_84:
	s_or_b32 exec_lo, exec_lo, s0
	s_waitcnt lgkmcnt(0)
	s_barrier
	buffer_gl0_inv
	ds_read2_b64 v[28:31], v44 offset0:23 offset1:24
	ds_read2_b64 v[32:35], v44 offset0:25 offset1:26
	s_mov_b32 s0, exec_lo
	s_waitcnt lgkmcnt(1)
	v_fma_f64 v[28:29], v[20:21], v[28:29], 0
	v_fma_f64 v[28:29], v[22:23], v[30:31], v[28:29]
	s_waitcnt lgkmcnt(0)
	v_fma_f64 v[28:29], v[24:25], v[32:33], v[28:29]
	v_fma_f64 v[28:29], v[26:27], v[34:35], v[28:29]
	v_add_f64 v[18:19], v[18:19], -v[28:29]
	v_cmpx_lt_u32_e32 7, v0
	s_cbranch_execz .LBB12_86
; %bb.85:
	v_mov_b32_e32 v42, 0
	v_mov_b32_e32 v28, v2
	;; [unrolled: 1-line block ×26, first 2 shown]
	ds_write_b64 v1, v[16:17]
	v_mov_b32_e32 v2, v28
	v_mov_b32_e32 v3, v29
	;; [unrolled: 1-line block ×32, first 2 shown]
.LBB12_86:
	s_or_b32 exec_lo, exec_lo, s0
	v_mov_b32_e32 v40, 0
	s_waitcnt lgkmcnt(0)
	s_barrier
	buffer_gl0_inv
	s_mov_b32 s0, exec_lo
	ds_read_b128 v[28:31], v40 offset:176
	ds_read_b128 v[32:35], v40 offset:192
	s_waitcnt lgkmcnt(1)
	v_fma_f64 v[28:29], v[18:19], v[28:29], 0
	v_fma_f64 v[28:29], v[20:21], v[30:31], v[28:29]
	ds_read_b64 v[30:31], v40 offset:208
	s_waitcnt lgkmcnt(1)
	v_fma_f64 v[28:29], v[22:23], v[32:33], v[28:29]
	v_fma_f64 v[28:29], v[24:25], v[34:35], v[28:29]
	s_waitcnt lgkmcnt(0)
	v_fma_f64 v[28:29], v[26:27], v[30:31], v[28:29]
	v_add_f64 v[16:17], v[16:17], -v[28:29]
	v_cmpx_lt_u32_e32 6, v0
	s_cbranch_execz .LBB12_88
; %bb.87:
	v_mov_b32_e32 v28, v2
	v_mov_b32_e32 v34, v8
	;; [unrolled: 1-line block ×25, first 2 shown]
	ds_write_b64 v1, v[14:15]
	v_mov_b32_e32 v2, v28
	v_mov_b32_e32 v3, v29
	;; [unrolled: 1-line block ×32, first 2 shown]
.LBB12_88:
	s_or_b32 exec_lo, exec_lo, s0
	s_waitcnt lgkmcnt(0)
	s_barrier
	buffer_gl0_inv
	ds_read2_b64 v[28:31], v40 offset0:21 offset1:22
	ds_read2_b64 v[32:35], v40 offset0:23 offset1:24
	s_mov_b32 s0, exec_lo
	s_waitcnt lgkmcnt(1)
	v_fma_f64 v[28:29], v[16:17], v[28:29], 0
	v_fma_f64 v[28:29], v[18:19], v[30:31], v[28:29]
	s_waitcnt lgkmcnt(0)
	v_fma_f64 v[28:29], v[20:21], v[32:33], v[28:29]
	v_fma_f64 v[32:33], v[22:23], v[34:35], v[28:29]
	ds_read2_b64 v[28:31], v40 offset0:25 offset1:26
	s_waitcnt lgkmcnt(0)
	v_fma_f64 v[28:29], v[24:25], v[28:29], v[32:33]
	v_fma_f64 v[28:29], v[26:27], v[30:31], v[28:29]
	v_add_f64 v[14:15], v[14:15], -v[28:29]
	v_cmpx_lt_u32_e32 5, v0
	s_cbranch_execz .LBB12_90
; %bb.89:
	v_mov_b32_e32 v38, 0
	v_mov_b32_e32 v28, v2
	v_mov_b32_e32 v34, v8
	v_mov_b32_e32 v35, v9
	v_mov_b32_e32 v36, v10
	v_mov_b32_e32 v37, v11
	v_mov_b32_e32 v39, v38
	v_mov_b32_e32 v40, v14
	v_mov_b32_e32 v41, v15
	v_mov_b32_e32 v42, v16
	v_mov_b32_e32 v43, v17
	v_mov_b32_e32 v44, v18
	v_mov_b32_e32 v45, v19
	v_mov_b32_e32 v46, v20
	v_mov_b32_e32 v47, v21
	v_mov_b32_e32 v48, v22
	v_mov_b32_e32 v49, v23
	v_mov_b32_e32 v50, v24
	v_mov_b32_e32 v51, v25
	v_mov_b32_e32 v52, v26
	v_mov_b32_e32 v53, v27
	v_mov_b32_e32 v29, v3
	v_mov_b32_e32 v30, v4
	v_mov_b32_e32 v31, v5
	v_mov_b32_e32 v32, v6
	v_mov_b32_e32 v33, v7
	ds_write_b64 v1, v[12:13]
	v_mov_b32_e32 v2, v28
	v_mov_b32_e32 v3, v29
	;; [unrolled: 1-line block ×32, first 2 shown]
.LBB12_90:
	s_or_b32 exec_lo, exec_lo, s0
	v_mov_b32_e32 v36, 0
	s_waitcnt lgkmcnt(0)
	s_barrier
	buffer_gl0_inv
	s_mov_b32 s0, exec_lo
	ds_read_b128 v[28:31], v36 offset:160
	ds_read_b128 v[32:35], v36 offset:176
	s_waitcnt lgkmcnt(1)
	v_fma_f64 v[28:29], v[14:15], v[28:29], 0
	v_fma_f64 v[28:29], v[16:17], v[30:31], v[28:29]
	s_waitcnt lgkmcnt(0)
	v_fma_f64 v[28:29], v[18:19], v[32:33], v[28:29]
	v_fma_f64 v[32:33], v[20:21], v[34:35], v[28:29]
	ds_read_b128 v[28:31], v36 offset:192
	ds_read_b64 v[34:35], v36 offset:208
	s_waitcnt lgkmcnt(1)
	v_fma_f64 v[28:29], v[22:23], v[28:29], v[32:33]
	v_fma_f64 v[28:29], v[24:25], v[30:31], v[28:29]
	s_waitcnt lgkmcnt(0)
	v_fma_f64 v[28:29], v[26:27], v[34:35], v[28:29]
	v_add_f64 v[12:13], v[12:13], -v[28:29]
	v_cmpx_lt_u32_e32 4, v0
	s_cbranch_execz .LBB12_92
; %bb.91:
	v_mov_b32_e32 v28, v2
	v_mov_b32_e32 v34, v8
	;; [unrolled: 1-line block ×25, first 2 shown]
	ds_write_b64 v1, v[10:11]
	v_mov_b32_e32 v2, v28
	v_mov_b32_e32 v3, v29
	;; [unrolled: 1-line block ×32, first 2 shown]
.LBB12_92:
	s_or_b32 exec_lo, exec_lo, s0
	s_waitcnt lgkmcnt(0)
	s_barrier
	buffer_gl0_inv
	ds_read2_b64 v[28:31], v36 offset0:19 offset1:20
	ds_read2_b64 v[32:35], v36 offset0:21 offset1:22
	s_mov_b32 s0, exec_lo
	s_waitcnt lgkmcnt(1)
	v_fma_f64 v[28:29], v[12:13], v[28:29], 0
	v_fma_f64 v[28:29], v[14:15], v[30:31], v[28:29]
	s_waitcnt lgkmcnt(0)
	v_fma_f64 v[28:29], v[16:17], v[32:33], v[28:29]
	v_fma_f64 v[37:38], v[18:19], v[34:35], v[28:29]
	ds_read2_b64 v[28:31], v36 offset0:23 offset1:24
	ds_read2_b64 v[32:35], v36 offset0:25 offset1:26
	s_waitcnt lgkmcnt(1)
	v_fma_f64 v[28:29], v[20:21], v[28:29], v[37:38]
	v_fma_f64 v[28:29], v[22:23], v[30:31], v[28:29]
	s_waitcnt lgkmcnt(0)
	v_fma_f64 v[28:29], v[24:25], v[32:33], v[28:29]
	v_fma_f64 v[28:29], v[26:27], v[34:35], v[28:29]
	v_add_f64 v[10:11], v[10:11], -v[28:29]
	v_cmpx_lt_u32_e32 3, v0
	s_cbranch_execz .LBB12_94
; %bb.93:
	v_mov_b32_e32 v34, 0
	v_mov_b32_e32 v28, v2
	;; [unrolled: 1-line block ×26, first 2 shown]
	ds_write_b64 v1, v[8:9]
	v_mov_b32_e32 v2, v28
	v_mov_b32_e32 v3, v29
	;; [unrolled: 1-line block ×32, first 2 shown]
.LBB12_94:
	s_or_b32 exec_lo, exec_lo, s0
	v_mov_b32_e32 v34, 0
	s_waitcnt lgkmcnt(0)
	s_barrier
	buffer_gl0_inv
	s_mov_b32 s0, exec_lo
	ds_read_b128 v[28:31], v34 offset:144
	ds_read_b128 v[35:38], v34 offset:160
	s_waitcnt lgkmcnt(1)
	v_fma_f64 v[28:29], v[10:11], v[28:29], 0
	v_fma_f64 v[28:29], v[12:13], v[30:31], v[28:29]
	s_waitcnt lgkmcnt(0)
	v_fma_f64 v[28:29], v[14:15], v[35:36], v[28:29]
	v_fma_f64 v[32:33], v[16:17], v[37:38], v[28:29]
	ds_read_b128 v[28:31], v34 offset:176
	ds_read_b128 v[35:38], v34 offset:192
	s_waitcnt lgkmcnt(1)
	v_fma_f64 v[28:29], v[18:19], v[28:29], v[32:33]
	v_fma_f64 v[28:29], v[20:21], v[30:31], v[28:29]
	ds_read_b64 v[30:31], v34 offset:208
	s_waitcnt lgkmcnt(1)
	v_fma_f64 v[28:29], v[22:23], v[35:36], v[28:29]
	v_fma_f64 v[28:29], v[24:25], v[37:38], v[28:29]
	s_waitcnt lgkmcnt(0)
	v_fma_f64 v[28:29], v[26:27], v[30:31], v[28:29]
	v_add_f64 v[8:9], v[8:9], -v[28:29]
	v_cmpx_lt_u32_e32 2, v0
	s_cbranch_execz .LBB12_96
; %bb.95:
	v_mov_b32_e32 v30, v2
	v_mov_b32_e32 v35, v34
	;; [unrolled: 1-line block ×59, first 2 shown]
	ds_write_b64 v1, v[56:57]
.LBB12_96:
	s_or_b32 exec_lo, exec_lo, s0
	s_waitcnt lgkmcnt(0)
	s_barrier
	buffer_gl0_inv
	ds_read2_b64 v[28:31], v34 offset0:17 offset1:18
	ds_read2_b64 v[35:38], v34 offset0:19 offset1:20
	s_mov_b32 s0, exec_lo
	s_waitcnt lgkmcnt(1)
	v_fma_f64 v[28:29], v[8:9], v[28:29], 0
	v_fma_f64 v[28:29], v[10:11], v[30:31], v[28:29]
	s_waitcnt lgkmcnt(0)
	v_fma_f64 v[28:29], v[12:13], v[35:36], v[28:29]
	v_fma_f64 v[32:33], v[14:15], v[37:38], v[28:29]
	ds_read2_b64 v[28:31], v34 offset0:21 offset1:22
	ds_read2_b64 v[35:38], v34 offset0:23 offset1:24
	s_waitcnt lgkmcnt(1)
	v_fma_f64 v[28:29], v[16:17], v[28:29], v[32:33]
	v_fma_f64 v[28:29], v[18:19], v[30:31], v[28:29]
	s_waitcnt lgkmcnt(0)
	v_fma_f64 v[28:29], v[20:21], v[35:36], v[28:29]
	v_fma_f64 v[32:33], v[22:23], v[37:38], v[28:29]
	ds_read2_b64 v[28:31], v34 offset0:25 offset1:26
	s_waitcnt lgkmcnt(0)
	v_fma_f64 v[28:29], v[24:25], v[28:29], v[32:33]
	v_fma_f64 v[28:29], v[26:27], v[30:31], v[28:29]
	v_add_f64 v[6:7], v[6:7], -v[28:29]
	v_cmpx_lt_u32_e32 1, v0
	s_cbranch_execz .LBB12_98
; %bb.97:
	v_mov_b32_e32 v30, 0
	v_mov_b32_e32 v28, v2
	;; [unrolled: 1-line block ×60, first 2 shown]
	ds_write_b64 v1, v[54:55]
.LBB12_98:
	s_or_b32 exec_lo, exec_lo, s0
	v_mov_b32_e32 v34, 0
	s_waitcnt lgkmcnt(0)
	s_barrier
	buffer_gl0_inv
	s_mov_b32 s0, exec_lo
	ds_read_b128 v[28:31], v34 offset:128
	ds_read_b128 v[35:38], v34 offset:144
	s_waitcnt lgkmcnt(1)
	v_fma_f64 v[28:29], v[6:7], v[28:29], 0
	v_fma_f64 v[28:29], v[8:9], v[30:31], v[28:29]
	s_waitcnt lgkmcnt(0)
	v_fma_f64 v[28:29], v[10:11], v[35:36], v[28:29]
	v_fma_f64 v[32:33], v[12:13], v[37:38], v[28:29]
	ds_read_b128 v[28:31], v34 offset:160
	ds_read_b128 v[35:38], v34 offset:176
	s_waitcnt lgkmcnt(1)
	v_fma_f64 v[28:29], v[14:15], v[28:29], v[32:33]
	v_fma_f64 v[28:29], v[16:17], v[30:31], v[28:29]
	s_waitcnt lgkmcnt(0)
	v_fma_f64 v[28:29], v[18:19], v[35:36], v[28:29]
	v_fma_f64 v[32:33], v[20:21], v[37:38], v[28:29]
	ds_read_b128 v[28:31], v34 offset:192
	ds_read_b64 v[35:36], v34 offset:208
	s_waitcnt lgkmcnt(1)
	v_fma_f64 v[28:29], v[22:23], v[28:29], v[32:33]
	v_fma_f64 v[28:29], v[24:25], v[30:31], v[28:29]
	s_waitcnt lgkmcnt(0)
	v_fma_f64 v[28:29], v[26:27], v[35:36], v[28:29]
	v_add_f64 v[4:5], v[4:5], -v[28:29]
	v_cmpx_ne_u32_e32 0, v0
	s_cbranch_execz .LBB12_100
; %bb.99:
	v_mov_b32_e32 v35, v34
	v_mov_b32_e32 v36, v4
	;; [unrolled: 1-line block ×59, first 2 shown]
	ds_write_b64 v1, v[86:87]
.LBB12_100:
	s_or_b32 exec_lo, exec_lo, s0
	s_waitcnt lgkmcnt(0)
	s_barrier
	buffer_gl0_inv
	ds_read2_b64 v[28:31], v34 offset0:15 offset1:16
	ds_read2_b64 v[35:38], v34 offset0:17 offset1:18
	s_and_b32 vcc_lo, exec_lo, s15
	s_waitcnt lgkmcnt(1)
	v_fma_f64 v[0:1], v[4:5], v[28:29], 0
	v_fma_f64 v[0:1], v[6:7], v[30:31], v[0:1]
	s_waitcnt lgkmcnt(0)
	v_fma_f64 v[0:1], v[8:9], v[35:36], v[0:1]
	v_fma_f64 v[0:1], v[10:11], v[37:38], v[0:1]
	ds_read2_b64 v[28:31], v34 offset0:19 offset1:20
	ds_read2_b64 v[35:38], v34 offset0:21 offset1:22
	s_waitcnt lgkmcnt(1)
	v_fma_f64 v[0:1], v[12:13], v[28:29], v[0:1]
	v_fma_f64 v[0:1], v[14:15], v[30:31], v[0:1]
	s_waitcnt lgkmcnt(0)
	v_fma_f64 v[0:1], v[16:17], v[35:36], v[0:1]
	ds_read2_b64 v[28:31], v34 offset0:23 offset1:24
	ds_read2_b64 v[32:35], v34 offset0:25 offset1:26
	v_fma_f64 v[0:1], v[18:19], v[37:38], v[0:1]
	s_waitcnt lgkmcnt(1)
	v_fma_f64 v[0:1], v[20:21], v[28:29], v[0:1]
	v_fma_f64 v[0:1], v[22:23], v[30:31], v[0:1]
	s_waitcnt lgkmcnt(0)
	v_fma_f64 v[0:1], v[24:25], v[32:33], v[0:1]
	v_fma_f64 v[0:1], v[26:27], v[34:35], v[0:1]
	v_add_f64 v[2:3], v[2:3], -v[0:1]
	s_cbranch_vccz .LBB12_125
; %bb.101:
	v_mov_b32_e32 v0, 0
	global_load_dword v1, v0, s[20:21] offset:44
	s_waitcnt vmcnt(0)
	v_readfirstlane_b32 s0, v1
	s_add_i32 s0, s0, -1
	s_cmp_lg_u32 s0, 11
	s_cbranch_scc0 .LBB12_103
; %bb.102:
	s_lshl_b32 m0, s0, 1
	v_movrels_b32_e32 v1, v2
	v_movrels_b32_e32 v58, v3
	v_mov_b32_e32 v57, v33
	v_mov_b32_e32 v56, v32
	;; [unrolled: 1-line block ×34, first 2 shown]
	v_movreld_b32_e32 v26, v24
	v_movreld_b32_e32 v27, v25
	v_mov_b32_e32 v2, v26
	v_mov_b32_e32 v3, v27
	v_mov_b32_e32 v4, v28
	v_mov_b32_e32 v5, v29
	v_mov_b32_e32 v6, v30
	v_mov_b32_e32 v7, v31
	v_mov_b32_e32 v8, v32
	v_mov_b32_e32 v9, v33
	v_mov_b32_e32 v10, v34
	v_mov_b32_e32 v11, v35
	v_mov_b32_e32 v12, v36
	v_mov_b32_e32 v13, v37
	v_mov_b32_e32 v14, v38
	v_mov_b32_e32 v15, v39
	v_mov_b32_e32 v16, v40
	v_mov_b32_e32 v17, v41
	v_mov_b32_e32 v18, v42
	v_mov_b32_e32 v19, v43
	v_mov_b32_e32 v20, v44
	v_mov_b32_e32 v21, v45
	v_mov_b32_e32 v22, v46
	v_mov_b32_e32 v23, v47
	v_mov_b32_e32 v24, v48
	v_mov_b32_e32 v25, v49
	v_mov_b32_e32 v26, v50
	v_mov_b32_e32 v27, v51
	v_mov_b32_e32 v28, v52
	v_mov_b32_e32 v29, v53
	v_mov_b32_e32 v30, v54
	v_mov_b32_e32 v31, v55
	v_mov_b32_e32 v32, v56
	v_mov_b32_e32 v33, v57
.LBB12_103:
	global_load_dword v0, v0, s[20:21] offset:40
	s_waitcnt vmcnt(0)
	v_readfirstlane_b32 s0, v0
	s_add_i32 s0, s0, -1
	s_cmp_eq_u32 s0, 10
	s_cbranch_scc1 .LBB12_105
; %bb.104:
	s_lshl_b32 m0, s0, 1
	v_movrels_b32_e32 v0, v2
	v_movrels_b32_e32 v1, v3
	v_mov_b32_e32 v55, v33
	v_mov_b32_e32 v54, v32
	;; [unrolled: 1-line block ×34, first 2 shown]
	v_movreld_b32_e32 v24, v22
	v_movreld_b32_e32 v25, v23
	v_mov_b32_e32 v2, v24
	v_mov_b32_e32 v3, v25
	;; [unrolled: 1-line block ×32, first 2 shown]
.LBB12_105:
	v_mov_b32_e32 v0, 0
	global_load_dword v1, v0, s[20:21] offset:36
	s_waitcnt vmcnt(0)
	v_readfirstlane_b32 s0, v1
	s_add_i32 s0, s0, -1
	s_cmp_eq_u32 s0, 9
	s_cbranch_scc1 .LBB12_107
; %bb.106:
	s_lshl_b32 m0, s0, 1
	v_movrels_b32_e32 v1, v2
	v_movrels_b32_e32 v54, v3
	v_mov_b32_e32 v53, v33
	v_mov_b32_e32 v52, v32
	;; [unrolled: 1-line block ×34, first 2 shown]
	v_movreld_b32_e32 v22, v20
	v_movreld_b32_e32 v23, v21
	v_mov_b32_e32 v2, v22
	v_mov_b32_e32 v3, v23
	;; [unrolled: 1-line block ×32, first 2 shown]
.LBB12_107:
	global_load_dword v0, v0, s[20:21] offset:32
	s_waitcnt vmcnt(0)
	v_readfirstlane_b32 s0, v0
	s_add_i32 s0, s0, -1
	s_cmp_eq_u32 s0, 8
	s_cbranch_scc1 .LBB12_109
; %bb.108:
	s_lshl_b32 m0, s0, 1
	v_movrels_b32_e32 v0, v2
	v_movrels_b32_e32 v1, v3
	v_mov_b32_e32 v51, v33
	v_mov_b32_e32 v50, v32
	v_mov_b32_e32 v49, v31
	v_mov_b32_e32 v48, v30
	v_mov_b32_e32 v47, v29
	v_mov_b32_e32 v46, v28
	v_mov_b32_e32 v45, v27
	v_mov_b32_e32 v44, v26
	v_mov_b32_e32 v43, v25
	v_mov_b32_e32 v42, v24
	v_mov_b32_e32 v41, v23
	v_mov_b32_e32 v40, v22
	v_mov_b32_e32 v39, v21
	v_mov_b32_e32 v38, v20
	v_mov_b32_e32 v37, v19
	v_mov_b32_e32 v36, v18
	v_mov_b32_e32 v35, v17
	v_mov_b32_e32 v34, v16
	v_mov_b32_e32 v33, v15
	v_mov_b32_e32 v32, v14
	v_mov_b32_e32 v31, v13
	v_mov_b32_e32 v30, v12
	v_mov_b32_e32 v29, v11
	v_mov_b32_e32 v28, v10
	v_mov_b32_e32 v27, v9
	v_mov_b32_e32 v26, v8
	v_mov_b32_e32 v25, v7
	v_mov_b32_e32 v24, v6
	v_mov_b32_e32 v23, v5
	v_mov_b32_e32 v22, v4
	v_mov_b32_e32 v21, v3
	v_mov_b32_e32 v20, v2
	v_mov_b32_e32 v36, v0
	v_mov_b32_e32 v37, v1
	v_movreld_b32_e32 v20, v18
	v_movreld_b32_e32 v21, v19
	v_mov_b32_e32 v2, v20
	v_mov_b32_e32 v3, v21
	;; [unrolled: 1-line block ×32, first 2 shown]
.LBB12_109:
	v_mov_b32_e32 v0, 0
	global_load_dword v1, v0, s[20:21] offset:28
	s_waitcnt vmcnt(0)
	v_readfirstlane_b32 s0, v1
	s_add_i32 s0, s0, -1
	s_cmp_eq_u32 s0, 7
	s_cbranch_scc1 .LBB12_111
; %bb.110:
	s_lshl_b32 m0, s0, 1
	v_movrels_b32_e32 v1, v2
	v_movrels_b32_e32 v50, v3
	v_mov_b32_e32 v49, v33
	v_mov_b32_e32 v48, v32
	;; [unrolled: 1-line block ×34, first 2 shown]
	v_movreld_b32_e32 v18, v16
	v_movreld_b32_e32 v19, v17
	v_mov_b32_e32 v2, v18
	v_mov_b32_e32 v3, v19
	;; [unrolled: 1-line block ×32, first 2 shown]
.LBB12_111:
	global_load_dword v0, v0, s[20:21] offset:24
	s_waitcnt vmcnt(0)
	v_readfirstlane_b32 s0, v0
	s_add_i32 s0, s0, -1
	s_cmp_eq_u32 s0, 6
	s_cbranch_scc1 .LBB12_113
; %bb.112:
	s_lshl_b32 m0, s0, 1
	v_movrels_b32_e32 v0, v2
	v_movrels_b32_e32 v1, v3
	v_mov_b32_e32 v47, v33
	v_mov_b32_e32 v46, v32
	;; [unrolled: 1-line block ×34, first 2 shown]
	v_movreld_b32_e32 v16, v14
	v_movreld_b32_e32 v17, v15
	v_mov_b32_e32 v2, v16
	v_mov_b32_e32 v3, v17
	;; [unrolled: 1-line block ×32, first 2 shown]
.LBB12_113:
	v_mov_b32_e32 v0, 0
	global_load_dword v1, v0, s[20:21] offset:20
	s_waitcnt vmcnt(0)
	v_readfirstlane_b32 s0, v1
	s_add_i32 s0, s0, -1
	s_cmp_eq_u32 s0, 5
	s_cbranch_scc1 .LBB12_115
; %bb.114:
	s_lshl_b32 m0, s0, 1
	v_movrels_b32_e32 v1, v2
	v_movrels_b32_e32 v46, v3
	v_mov_b32_e32 v45, v33
	v_mov_b32_e32 v44, v32
	;; [unrolled: 1-line block ×34, first 2 shown]
	v_movreld_b32_e32 v14, v12
	v_movreld_b32_e32 v15, v13
	v_mov_b32_e32 v2, v14
	v_mov_b32_e32 v3, v15
	;; [unrolled: 1-line block ×32, first 2 shown]
.LBB12_115:
	global_load_dword v0, v0, s[20:21] offset:16
	s_waitcnt vmcnt(0)
	v_readfirstlane_b32 s0, v0
	s_add_i32 s0, s0, -1
	s_cmp_eq_u32 s0, 4
	s_cbranch_scc1 .LBB12_117
; %bb.116:
	s_lshl_b32 m0, s0, 1
	v_movrels_b32_e32 v0, v2
	v_movrels_b32_e32 v1, v3
	v_mov_b32_e32 v43, v33
	v_mov_b32_e32 v42, v32
	;; [unrolled: 1-line block ×34, first 2 shown]
	v_movreld_b32_e32 v12, v10
	v_movreld_b32_e32 v13, v11
	v_mov_b32_e32 v2, v12
	v_mov_b32_e32 v3, v13
	v_mov_b32_e32 v4, v14
	v_mov_b32_e32 v5, v15
	v_mov_b32_e32 v6, v16
	v_mov_b32_e32 v7, v17
	v_mov_b32_e32 v8, v18
	v_mov_b32_e32 v9, v19
	v_mov_b32_e32 v10, v20
	v_mov_b32_e32 v11, v21
	v_mov_b32_e32 v12, v22
	v_mov_b32_e32 v13, v23
	v_mov_b32_e32 v14, v24
	v_mov_b32_e32 v15, v25
	v_mov_b32_e32 v16, v26
	v_mov_b32_e32 v17, v27
	v_mov_b32_e32 v18, v28
	v_mov_b32_e32 v19, v29
	v_mov_b32_e32 v20, v30
	v_mov_b32_e32 v21, v31
	v_mov_b32_e32 v22, v32
	v_mov_b32_e32 v23, v33
	v_mov_b32_e32 v24, v34
	v_mov_b32_e32 v25, v35
	v_mov_b32_e32 v26, v36
	v_mov_b32_e32 v27, v37
	v_mov_b32_e32 v28, v38
	v_mov_b32_e32 v29, v39
	v_mov_b32_e32 v30, v40
	v_mov_b32_e32 v31, v41
	v_mov_b32_e32 v32, v42
	v_mov_b32_e32 v33, v43
.LBB12_117:
	v_mov_b32_e32 v0, 0
	global_load_dword v1, v0, s[20:21] offset:12
	s_waitcnt vmcnt(0)
	v_readfirstlane_b32 s0, v1
	s_add_i32 s0, s0, -1
	s_cmp_eq_u32 s0, 3
	s_cbranch_scc1 .LBB12_119
; %bb.118:
	s_lshl_b32 m0, s0, 1
	v_movrels_b32_e32 v1, v2
	v_movrels_b32_e32 v42, v3
	v_mov_b32_e32 v41, v33
	v_mov_b32_e32 v40, v32
	;; [unrolled: 1-line block ×34, first 2 shown]
	v_movreld_b32_e32 v10, v8
	v_movreld_b32_e32 v11, v9
	v_mov_b32_e32 v2, v10
	v_mov_b32_e32 v3, v11
	;; [unrolled: 1-line block ×32, first 2 shown]
.LBB12_119:
	global_load_dword v0, v0, s[20:21] offset:8
	s_waitcnt vmcnt(0)
	v_readfirstlane_b32 s0, v0
	s_add_i32 s0, s0, -1
	s_cmp_eq_u32 s0, 2
	s_cbranch_scc1 .LBB12_121
; %bb.120:
	s_lshl_b32 m0, s0, 1
	v_movrels_b32_e32 v0, v2
	v_movrels_b32_e32 v1, v3
	v_mov_b32_e32 v39, v33
	v_mov_b32_e32 v38, v32
	;; [unrolled: 1-line block ×34, first 2 shown]
	v_movreld_b32_e32 v8, v6
	v_movreld_b32_e32 v9, v7
	v_mov_b32_e32 v2, v8
	v_mov_b32_e32 v3, v9
	;; [unrolled: 1-line block ×32, first 2 shown]
.LBB12_121:
	v_mov_b32_e32 v0, 0
	global_load_dword v1, v0, s[20:21] offset:4
	s_waitcnt vmcnt(0)
	v_readfirstlane_b32 s0, v1
	s_add_i32 s0, s0, -1
	s_cmp_eq_u32 s0, 1
	s_cbranch_scc1 .LBB12_123
; %bb.122:
	s_lshl_b32 m0, s0, 1
	v_movrels_b32_e32 v1, v2
	v_movrels_b32_e32 v38, v3
	v_mov_b32_e32 v37, v33
	v_mov_b32_e32 v36, v32
	;; [unrolled: 1-line block ×34, first 2 shown]
	v_movreld_b32_e32 v6, v4
	v_movreld_b32_e32 v7, v5
	v_mov_b32_e32 v2, v6
	v_mov_b32_e32 v3, v7
	;; [unrolled: 1-line block ×32, first 2 shown]
.LBB12_123:
	global_load_dword v0, v0, s[20:21]
	s_waitcnt vmcnt(0)
	v_readfirstlane_b32 s0, v0
	s_add_i32 s0, s0, -1
	s_cmp_eq_u32 s0, 0
	s_cbranch_scc1 .LBB12_125
; %bb.124:
	s_lshl_b32 m0, s0, 1
	v_movrels_b32_e32 v0, v2
	v_movrels_b32_e32 v1, v3
	v_mov_b32_e32 v35, v33
	v_mov_b32_e32 v34, v32
	v_mov_b32_e32 v33, v31
	v_mov_b32_e32 v32, v30
	v_mov_b32_e32 v31, v29
	v_mov_b32_e32 v30, v28
	v_mov_b32_e32 v29, v27
	v_mov_b32_e32 v28, v26
	v_mov_b32_e32 v27, v25
	v_mov_b32_e32 v26, v24
	v_mov_b32_e32 v25, v23
	v_mov_b32_e32 v24, v22
	v_mov_b32_e32 v23, v21
	v_mov_b32_e32 v22, v20
	v_mov_b32_e32 v21, v19
	v_mov_b32_e32 v20, v18
	v_mov_b32_e32 v19, v17
	v_mov_b32_e32 v18, v16
	v_mov_b32_e32 v17, v15
	v_mov_b32_e32 v16, v14
	v_mov_b32_e32 v15, v13
	v_mov_b32_e32 v14, v12
	v_mov_b32_e32 v13, v11
	v_mov_b32_e32 v12, v10
	v_mov_b32_e32 v11, v9
	v_mov_b32_e32 v10, v8
	v_mov_b32_e32 v9, v7
	v_mov_b32_e32 v8, v6
	v_mov_b32_e32 v7, v5
	v_mov_b32_e32 v6, v4
	v_mov_b32_e32 v5, v3
	v_mov_b32_e32 v4, v2
	v_mov_b32_e32 v4, v0
	v_mov_b32_e32 v5, v1
	v_movreld_b32_e32 v4, v2
	v_movreld_b32_e32 v5, v3
	v_mov_b32_e32 v2, v4
	v_mov_b32_e32 v3, v5
	v_mov_b32_e32 v4, v6
	v_mov_b32_e32 v5, v7
	v_mov_b32_e32 v6, v8
	v_mov_b32_e32 v7, v9
	v_mov_b32_e32 v8, v10
	v_mov_b32_e32 v9, v11
	v_mov_b32_e32 v10, v12
	v_mov_b32_e32 v11, v13
	v_mov_b32_e32 v12, v14
	v_mov_b32_e32 v13, v15
	v_mov_b32_e32 v14, v16
	v_mov_b32_e32 v15, v17
	v_mov_b32_e32 v16, v18
	v_mov_b32_e32 v17, v19
	v_mov_b32_e32 v18, v20
	v_mov_b32_e32 v19, v21
	v_mov_b32_e32 v20, v22
	v_mov_b32_e32 v21, v23
	v_mov_b32_e32 v22, v24
	v_mov_b32_e32 v23, v25
	v_mov_b32_e32 v24, v26
	v_mov_b32_e32 v25, v27
	v_mov_b32_e32 v26, v28
	v_mov_b32_e32 v27, v29
	v_mov_b32_e32 v28, v30
	v_mov_b32_e32 v29, v31
	v_mov_b32_e32 v30, v32
	v_mov_b32_e32 v31, v33
	v_mov_b32_e32 v32, v34
	v_mov_b32_e32 v33, v35
.LBB12_125:
	v_mov_b32_e32 v0, v2
	v_mov_b32_e32 v1, v3
	;; [unrolled: 1-line block ×6, first 2 shown]
	global_store_dwordx2 v[60:61], v[0:1], off
	global_store_dwordx2 v[62:63], v[2:3], off
	;; [unrolled: 1-line block ×3, first 2 shown]
	v_mov_b32_e32 v0, v8
	v_mov_b32_e32 v1, v9
	v_mov_b32_e32 v2, v10
	v_mov_b32_e32 v3, v11
	v_mov_b32_e32 v4, v12
	v_mov_b32_e32 v5, v13
	v_mov_b32_e32 v6, v14
	v_mov_b32_e32 v7, v15
	v_mov_b32_e32 v8, v16
	v_mov_b32_e32 v9, v17
	global_store_dwordx2 v[64:65], v[0:1], off
	global_store_dwordx2 v[68:69], v[2:3], off
	;; [unrolled: 1-line block ×5, first 2 shown]
	v_mov_b32_e32 v0, v18
	v_mov_b32_e32 v1, v19
	;; [unrolled: 1-line block ×10, first 2 shown]
	global_store_dwordx2 v[74:75], v[0:1], off
	global_store_dwordx2 v[78:79], v[2:3], off
	;; [unrolled: 1-line block ×5, first 2 shown]
	s_endpgm
	.section	.rodata,"a",@progbits
	.p2align	6, 0x0
	.amdhsa_kernel _ZN9rocsolver6v33100L18getri_kernel_smallILi13EdPdEEvT1_iilPiilS4_bb
		.amdhsa_group_segment_fixed_size 216
		.amdhsa_private_segment_fixed_size 0
		.amdhsa_kernarg_size 60
		.amdhsa_user_sgpr_count 6
		.amdhsa_user_sgpr_private_segment_buffer 1
		.amdhsa_user_sgpr_dispatch_ptr 0
		.amdhsa_user_sgpr_queue_ptr 0
		.amdhsa_user_sgpr_kernarg_segment_ptr 1
		.amdhsa_user_sgpr_dispatch_id 0
		.amdhsa_user_sgpr_flat_scratch_init 0
		.amdhsa_user_sgpr_private_segment_size 0
		.amdhsa_wavefront_size32 1
		.amdhsa_uses_dynamic_stack 0
		.amdhsa_system_sgpr_private_segment_wavefront_offset 0
		.amdhsa_system_sgpr_workgroup_id_x 1
		.amdhsa_system_sgpr_workgroup_id_y 0
		.amdhsa_system_sgpr_workgroup_id_z 0
		.amdhsa_system_sgpr_workgroup_info 0
		.amdhsa_system_vgpr_workitem_id 0
		.amdhsa_next_free_vgpr 88
		.amdhsa_next_free_sgpr 22
		.amdhsa_reserve_vcc 1
		.amdhsa_reserve_flat_scratch 0
		.amdhsa_float_round_mode_32 0
		.amdhsa_float_round_mode_16_64 0
		.amdhsa_float_denorm_mode_32 3
		.amdhsa_float_denorm_mode_16_64 3
		.amdhsa_dx10_clamp 1
		.amdhsa_ieee_mode 1
		.amdhsa_fp16_overflow 0
		.amdhsa_workgroup_processor_mode 1
		.amdhsa_memory_ordered 1
		.amdhsa_forward_progress 1
		.amdhsa_shared_vgpr_count 0
		.amdhsa_exception_fp_ieee_invalid_op 0
		.amdhsa_exception_fp_denorm_src 0
		.amdhsa_exception_fp_ieee_div_zero 0
		.amdhsa_exception_fp_ieee_overflow 0
		.amdhsa_exception_fp_ieee_underflow 0
		.amdhsa_exception_fp_ieee_inexact 0
		.amdhsa_exception_int_div_zero 0
	.end_amdhsa_kernel
	.section	.text._ZN9rocsolver6v33100L18getri_kernel_smallILi13EdPdEEvT1_iilPiilS4_bb,"axG",@progbits,_ZN9rocsolver6v33100L18getri_kernel_smallILi13EdPdEEvT1_iilPiilS4_bb,comdat
.Lfunc_end12:
	.size	_ZN9rocsolver6v33100L18getri_kernel_smallILi13EdPdEEvT1_iilPiilS4_bb, .Lfunc_end12-_ZN9rocsolver6v33100L18getri_kernel_smallILi13EdPdEEvT1_iilPiilS4_bb
                                        ; -- End function
	.set _ZN9rocsolver6v33100L18getri_kernel_smallILi13EdPdEEvT1_iilPiilS4_bb.num_vgpr, 88
	.set _ZN9rocsolver6v33100L18getri_kernel_smallILi13EdPdEEvT1_iilPiilS4_bb.num_agpr, 0
	.set _ZN9rocsolver6v33100L18getri_kernel_smallILi13EdPdEEvT1_iilPiilS4_bb.numbered_sgpr, 22
	.set _ZN9rocsolver6v33100L18getri_kernel_smallILi13EdPdEEvT1_iilPiilS4_bb.num_named_barrier, 0
	.set _ZN9rocsolver6v33100L18getri_kernel_smallILi13EdPdEEvT1_iilPiilS4_bb.private_seg_size, 0
	.set _ZN9rocsolver6v33100L18getri_kernel_smallILi13EdPdEEvT1_iilPiilS4_bb.uses_vcc, 1
	.set _ZN9rocsolver6v33100L18getri_kernel_smallILi13EdPdEEvT1_iilPiilS4_bb.uses_flat_scratch, 0
	.set _ZN9rocsolver6v33100L18getri_kernel_smallILi13EdPdEEvT1_iilPiilS4_bb.has_dyn_sized_stack, 0
	.set _ZN9rocsolver6v33100L18getri_kernel_smallILi13EdPdEEvT1_iilPiilS4_bb.has_recursion, 0
	.set _ZN9rocsolver6v33100L18getri_kernel_smallILi13EdPdEEvT1_iilPiilS4_bb.has_indirect_call, 0
	.section	.AMDGPU.csdata,"",@progbits
; Kernel info:
; codeLenInByte = 16736
; TotalNumSgprs: 24
; NumVgprs: 88
; ScratchSize: 0
; MemoryBound: 0
; FloatMode: 240
; IeeeMode: 1
; LDSByteSize: 216 bytes/workgroup (compile time only)
; SGPRBlocks: 0
; VGPRBlocks: 10
; NumSGPRsForWavesPerEU: 24
; NumVGPRsForWavesPerEU: 88
; Occupancy: 10
; WaveLimiterHint : 0
; COMPUTE_PGM_RSRC2:SCRATCH_EN: 0
; COMPUTE_PGM_RSRC2:USER_SGPR: 6
; COMPUTE_PGM_RSRC2:TRAP_HANDLER: 0
; COMPUTE_PGM_RSRC2:TGID_X_EN: 1
; COMPUTE_PGM_RSRC2:TGID_Y_EN: 0
; COMPUTE_PGM_RSRC2:TGID_Z_EN: 0
; COMPUTE_PGM_RSRC2:TIDIG_COMP_CNT: 0
	.section	.text._ZN9rocsolver6v33100L18getri_kernel_smallILi14EdPdEEvT1_iilPiilS4_bb,"axG",@progbits,_ZN9rocsolver6v33100L18getri_kernel_smallILi14EdPdEEvT1_iilPiilS4_bb,comdat
	.globl	_ZN9rocsolver6v33100L18getri_kernel_smallILi14EdPdEEvT1_iilPiilS4_bb ; -- Begin function _ZN9rocsolver6v33100L18getri_kernel_smallILi14EdPdEEvT1_iilPiilS4_bb
	.p2align	8
	.type	_ZN9rocsolver6v33100L18getri_kernel_smallILi14EdPdEEvT1_iilPiilS4_bb,@function
_ZN9rocsolver6v33100L18getri_kernel_smallILi14EdPdEEvT1_iilPiilS4_bb: ; @_ZN9rocsolver6v33100L18getri_kernel_smallILi14EdPdEEvT1_iilPiilS4_bb
; %bb.0:
	s_mov_b32 s0, exec_lo
	v_cmpx_gt_u32_e32 14, v0
	s_cbranch_execz .LBB13_16
; %bb.1:
	s_clause 0x2
	s_load_dword s0, s[4:5], 0x38
	s_load_dwordx4 s[8:11], s[4:5], 0x10
	s_load_dwordx4 s[16:19], s[4:5], 0x28
                                        ; implicit-def: $sgpr20_sgpr21
	s_waitcnt lgkmcnt(0)
	s_bitcmp1_b32 s0, 8
	s_cselect_b32 s22, -1, 0
	s_bfe_u32 s0, s0, 0x10008
	s_ashr_i32 s7, s6, 31
	s_cmp_eq_u32 s0, 0
	s_cbranch_scc1 .LBB13_3
; %bb.2:
	s_load_dword s0, s[4:5], 0x20
	s_mul_i32 s1, s16, s7
	s_mul_hi_u32 s2, s16, s6
	s_mul_i32 s3, s17, s6
	s_add_i32 s1, s2, s1
	s_mul_i32 s2, s16, s6
	s_add_i32 s3, s1, s3
	s_lshl_b64 s[2:3], s[2:3], 2
	s_waitcnt lgkmcnt(0)
	s_ashr_i32 s1, s0, 31
	s_add_u32 s2, s10, s2
	s_addc_u32 s3, s11, s3
	s_lshl_b64 s[0:1], s[0:1], 2
	s_add_u32 s20, s2, s0
	s_addc_u32 s21, s3, s1
.LBB13_3:
	s_clause 0x1
	s_load_dwordx4 s[0:3], s[4:5], 0x0
	s_load_dword s4, s[4:5], 0x38
	s_mul_i32 s5, s8, s7
	s_mul_hi_u32 s10, s8, s6
	s_mul_i32 s9, s9, s6
	s_add_i32 s5, s10, s5
	s_mul_i32 s8, s8, s6
	s_add_i32 s9, s5, s9
	v_lshlrev_b32_e32 v32, 3, v0
	s_lshl_b64 s[8:9], s[8:9], 3
	s_waitcnt lgkmcnt(0)
	v_add3_u32 v1, s3, s3, v0
	s_ashr_i32 s11, s2, 31
	s_mov_b32 s10, s2
	s_add_u32 s2, s0, s8
	s_addc_u32 s5, s1, s9
	v_add_nc_u32_e32 v3, s3, v1
	s_lshl_b64 s[0:1], s[10:11], 3
	v_ashrrev_i32_e32 v2, 31, v1
	s_add_u32 s0, s2, s0
	s_addc_u32 s1, s5, s1
	v_add_nc_u32_e32 v5, s3, v3
	v_add_co_u32 v60, s2, s0, v32
	s_mov_b32 s8, s3
	s_ashr_i32 s9, s3, 31
	v_lshlrev_b64 v[1:2], 3, v[1:2]
	v_ashrrev_i32_e32 v4, 31, v3
	v_add_co_ci_u32_e64 v61, null, s1, 0, s2
	s_lshl_b64 s[8:9], s[8:9], 3
	v_ashrrev_i32_e32 v6, 31, v5
	v_add_nc_u32_e32 v7, s3, v5
	v_add_co_u32 v62, vcc_lo, v60, s8
	v_lshlrev_b64 v[3:4], 3, v[3:4]
	v_add_co_ci_u32_e64 v63, null, s9, v61, vcc_lo
	v_add_co_u32 v64, vcc_lo, s0, v1
	v_add_co_ci_u32_e64 v65, null, s1, v2, vcc_lo
	v_lshlrev_b64 v[1:2], 3, v[5:6]
	v_ashrrev_i32_e32 v8, 31, v7
	v_add_nc_u32_e32 v5, s3, v7
	v_add_co_u32 v68, vcc_lo, s0, v3
	v_add_co_ci_u32_e64 v69, null, s1, v4, vcc_lo
	v_lshlrev_b64 v[3:4], 3, v[7:8]
	v_ashrrev_i32_e32 v6, 31, v5
	v_add_nc_u32_e32 v7, s3, v5
	;; [unrolled: 5-line block ×7, first 2 shown]
	v_add_co_u32 v76, vcc_lo, s0, v3
	v_add_co_ci_u32_e64 v77, null, s1, v4, vcc_lo
	v_lshlrev_b64 v[3:4], 3, v[7:8]
	v_add_nc_u32_e32 v7, s3, v5
	v_ashrrev_i32_e32 v6, 31, v5
	v_add_co_u32 v80, vcc_lo, s0, v1
	v_add_co_ci_u32_e64 v81, null, s1, v2, vcc_lo
	v_ashrrev_i32_e32 v8, 31, v7
	v_lshlrev_b64 v[1:2], 3, v[5:6]
	v_add_co_u32 v82, vcc_lo, s0, v3
	v_add_co_ci_u32_e64 v83, null, s1, v4, vcc_lo
	v_lshlrev_b64 v[3:4], 3, v[7:8]
	v_add_co_u32 v84, vcc_lo, s0, v1
	v_add_co_ci_u32_e64 v85, null, s1, v2, vcc_lo
	v_mov_b32_e32 v1, 0
	v_add_co_u32 v86, vcc_lo, s0, v3
	v_add_co_ci_u32_e64 v87, null, s1, v4, vcc_lo
	s_clause 0xd
	global_load_dwordx2 v[2:3], v32, s[0:1]
	global_load_dwordx2 v[4:5], v[62:63], off
	global_load_dwordx2 v[6:7], v[64:65], off
	;; [unrolled: 1-line block ×13, first 2 shown]
	s_bitcmp0_b32 s4, 0
	s_mov_b32 s0, -1
	s_cbranch_scc1 .LBB13_14
; %bb.4:
	v_cmp_eq_u32_e64 s0, 0, v0
	s_and_saveexec_b32 s1, s0
; %bb.5:
	v_mov_b32_e32 v30, 0
	ds_write_b32 v30, v30 offset:224
; %bb.6:
	s_or_b32 exec_lo, exec_lo, s1
	v_cmp_eq_u32_e32 vcc_lo, 1, v0
	s_mov_b32 s2, exec_lo
	s_waitcnt vmcnt(0) lgkmcnt(0)
	s_barrier
	buffer_gl0_inv
	v_cndmask_b32_e32 v30, v3, v5, vcc_lo
	v_cndmask_b32_e32 v31, v2, v4, vcc_lo
	v_cmp_eq_u32_e32 vcc_lo, 2, v0
	v_cndmask_b32_e32 v30, v30, v7, vcc_lo
	v_cndmask_b32_e32 v31, v31, v6, vcc_lo
	v_cmp_eq_u32_e32 vcc_lo, 3, v0
	;; [unrolled: 3-line block ×12, first 2 shown]
	v_cndmask_b32_e32 v31, v30, v29, vcc_lo
	v_cndmask_b32_e32 v30, v33, v28, vcc_lo
	v_cmpx_eq_f64_e32 0, v[30:31]
	s_cbranch_execz .LBB13_10
; %bb.7:
	v_mov_b32_e32 v33, 0
	s_mov_b32 s3, 0
	ds_read_b32 v34, v33 offset:224
	s_waitcnt lgkmcnt(0)
	v_readfirstlane_b32 s1, v34
	v_add_nc_u32_e32 v34, 1, v0
	s_cmp_eq_u32 s1, 0
	v_cmp_gt_i32_e32 vcc_lo, s1, v34
	s_cselect_b32 s4, -1, 0
	s_or_b32 s4, s4, vcc_lo
	s_and_b32 exec_lo, exec_lo, s4
	s_cbranch_execz .LBB13_10
; %bb.8:
	v_mov_b32_e32 v35, s1
.LBB13_9:                               ; =>This Inner Loop Header: Depth=1
	ds_cmpst_rtn_b32 v35, v33, v35, v34 offset:224
	s_waitcnt lgkmcnt(0)
	v_cmp_ne_u32_e32 vcc_lo, 0, v35
	v_cmp_le_i32_e64 s1, v35, v34
	s_and_b32 s1, vcc_lo, s1
	s_and_b32 s1, exec_lo, s1
	s_or_b32 s3, s1, s3
	s_andn2_b32 exec_lo, exec_lo, s3
	s_cbranch_execnz .LBB13_9
.LBB13_10:
	s_or_b32 exec_lo, exec_lo, s2
	v_mov_b32_e32 v33, 0
	s_barrier
	buffer_gl0_inv
	ds_read_b32 v34, v33 offset:224
	s_and_saveexec_b32 s1, s0
	s_cbranch_execz .LBB13_12
; %bb.11:
	s_lshl_b64 s[2:3], s[6:7], 2
	s_add_u32 s2, s18, s2
	s_addc_u32 s3, s19, s3
	s_waitcnt lgkmcnt(0)
	global_store_dword v33, v34, s[2:3]
.LBB13_12:
	s_or_b32 exec_lo, exec_lo, s1
	s_waitcnt lgkmcnt(0)
	v_cmp_ne_u32_e32 vcc_lo, 0, v34
	s_cbranch_vccz .LBB13_17
; %bb.13:
	s_mov_b32 s0, 0
                                        ; implicit-def: $vgpr2_vgpr3_vgpr4_vgpr5_vgpr6_vgpr7_vgpr8_vgpr9_vgpr10_vgpr11_vgpr12_vgpr13_vgpr14_vgpr15_vgpr16_vgpr17_vgpr18_vgpr19_vgpr20_vgpr21_vgpr22_vgpr23_vgpr24_vgpr25_vgpr26_vgpr27_vgpr28_vgpr29_vgpr30_vgpr31_vgpr32_vgpr33
.LBB13_14:
	s_and_b32 vcc_lo, exec_lo, s0
	s_cbranch_vccz .LBB13_16
.LBB13_15:
	s_lshl_b64 s[0:1], s[6:7], 2
	v_mov_b32_e32 v1, 0
	s_add_u32 s0, s18, s0
	s_addc_u32 s1, s19, s1
	global_load_dword v1, v1, s[0:1]
	s_waitcnt vmcnt(0)
	v_cmp_ne_u32_e32 vcc_lo, 0, v1
	s_cbranch_vccz .LBB13_80
.LBB13_16:
	s_endpgm
.LBB13_17:
	v_div_scale_f64 v[33:34], null, v[30:31], v[30:31], 1.0
	v_div_scale_f64 v[39:40], vcc_lo, 1.0, v[30:31], 1.0
	v_cmp_eq_u32_e64 s1, 12, v0
	v_cmp_eq_u32_e64 s2, 11, v0
	;; [unrolled: 1-line block ×13, first 2 shown]
	v_rcp_f64_e32 v[35:36], v[33:34]
	v_fma_f64 v[37:38], -v[33:34], v[35:36], 1.0
	v_fma_f64 v[35:36], v[35:36], v[37:38], v[35:36]
	v_fma_f64 v[37:38], -v[33:34], v[35:36], 1.0
	v_fma_f64 v[35:36], v[35:36], v[37:38], v[35:36]
	v_mul_f64 v[37:38], v[39:40], v[35:36]
	v_fma_f64 v[33:34], -v[33:34], v[37:38], v[39:40]
	v_div_fmas_f64 v[33:34], v[33:34], v[35:36], v[37:38]
	v_cmp_eq_u32_e32 vcc_lo, 13, v0
	v_div_fixup_f64 v[30:31], v[33:34], v[30:31], 1.0
	v_add_nc_u32_e32 v34, 0x70, v32
	v_cndmask_b32_e32 v29, v29, v31, vcc_lo
	v_cndmask_b32_e32 v28, v28, v30, vcc_lo
	v_cndmask_b32_e64 v27, v27, v31, s1
	v_cndmask_b32_e64 v26, v26, v30, s1
	;; [unrolled: 1-line block ×22, first 2 shown]
	v_xor_b32_e32 v36, 0x80000000, v31
	v_mov_b32_e32 v35, v30
	v_cndmask_b32_e64 v7, v7, v31, s13
	v_cndmask_b32_e64 v6, v6, v30, s13
	;; [unrolled: 1-line block ×4, first 2 shown]
	ds_write2_b64 v32, v[35:36], v[4:5] offset1:14
	s_waitcnt lgkmcnt(0)
	s_waitcnt_vscnt null, 0x0
	s_barrier
	buffer_gl0_inv
	s_and_saveexec_b32 s1, s0
	s_cbranch_execz .LBB13_19
; %bb.18:
	ds_read_b64 v[4:5], v34
	v_mov_b32_e32 v32, 0
	ds_read_b64 v[32:33], v32 offset:8
	s_waitcnt lgkmcnt(1)
	v_fma_f64 v[4:5], v[30:31], v[4:5], 0
	s_waitcnt lgkmcnt(0)
	v_mul_f64 v[4:5], v[4:5], v[32:33]
.LBB13_19:
	s_or_b32 exec_lo, exec_lo, s1
	v_cmp_gt_u32_e32 vcc_lo, 2, v0
	s_barrier
	buffer_gl0_inv
	ds_write_b64 v34, v[6:7]
	s_waitcnt lgkmcnt(0)
	s_barrier
	buffer_gl0_inv
	s_and_saveexec_b32 s3, vcc_lo
	s_cbranch_execz .LBB13_23
; %bb.20:
	v_cmp_eq_u32_e64 s1, 1, v0
	v_cmp_eq_u32_e64 s2, 11, v0
	v_cndmask_b32_e64 v30, v3, v5, s1
	v_cndmask_b32_e64 v31, v2, v4, s1
	v_cmp_eq_u32_e64 s1, 2, v0
	v_cndmask_b32_e64 v7, v30, v7, s1
	v_cndmask_b32_e64 v6, v31, v6, s1
	;; [unrolled: 3-line block ×10, first 2 shown]
	ds_read_b64 v[6:7], v34
	v_cmp_eq_u32_e64 s1, 12, v0
	v_cndmask_b32_e64 v30, v30, v25, s2
	v_cndmask_b32_e64 v31, v31, v24, s2
	;; [unrolled: 1-line block ×4, first 2 shown]
	v_cmp_eq_u32_e64 s1, 13, v0
	v_cndmask_b32_e64 v31, v30, v29, s1
	v_cndmask_b32_e64 v30, v32, v28, s1
	s_waitcnt lgkmcnt(0)
	v_fma_f64 v[6:7], v[30:31], v[6:7], 0
	s_and_saveexec_b32 s1, s0
	s_cbranch_execz .LBB13_22
; %bb.21:
	v_mov_b32_e32 v30, 0
	ds_read_b64 v[30:31], v30 offset:120
	s_waitcnt lgkmcnt(0)
	v_fma_f64 v[6:7], v[4:5], v[30:31], v[6:7]
.LBB13_22:
	s_or_b32 exec_lo, exec_lo, s1
	v_mov_b32_e32 v30, 0
	ds_read_b64 v[30:31], v30 offset:16
	s_waitcnt lgkmcnt(0)
	v_mul_f64 v[6:7], v[6:7], v[30:31]
.LBB13_23:
	s_or_b32 exec_lo, exec_lo, s3
	s_mov_b32 s3, exec_lo
	s_barrier
	buffer_gl0_inv
	ds_write_b64 v34, v[8:9]
	s_waitcnt lgkmcnt(0)
	s_barrier
	buffer_gl0_inv
	v_cmpx_gt_u32_e32 3, v0
	s_cbranch_execz .LBB13_27
; %bb.24:
	v_mov_b32_e32 v30, 0
	v_mov_b32_e32 v33, v1
	v_lshl_add_u32 v35, v0, 3, 0x70
	v_mov_b32_e32 v31, 0
	v_mov_b32_e32 v32, v0
	s_mov_b32 s4, 0
.LBB13_25:                              ; =>This Inner Loop Header: Depth=1
	v_cmp_eq_u32_e64 s1, 1, v32
	v_cmp_eq_u32_e64 s2, 2, v32
	v_cndmask_b32_e64 v36, v3, v5, s1
	v_cndmask_b32_e64 v37, v2, v4, s1
	v_cmp_eq_u32_e64 s1, 3, v32
	v_cndmask_b32_e64 v36, v36, v7, s2
	v_cndmask_b32_e64 v37, v37, v6, s2
	;; [unrolled: 3-line block ×9, first 2 shown]
	ds_read_b64 v[36:37], v35
	v_cmp_eq_u32_e64 s1, 11, v32
	v_add_nc_u32_e32 v35, 8, v35
	v_cndmask_b32_e64 v38, v38, v23, s2
	v_cndmask_b32_e64 v39, v39, v22, s2
	v_cmp_eq_u32_e64 s2, 12, v32
	v_cndmask_b32_e64 v38, v38, v25, s1
	v_cndmask_b32_e64 v39, v39, v24, s1
	v_cmp_eq_u32_e64 s1, 13, v32
	v_cndmask_b32_e64 v38, v38, v27, s2
	v_cndmask_b32_e64 v40, v39, v26, s2
	;; [unrolled: 1-line block ×4, first 2 shown]
	v_add_co_u32 v32, s1, v32, 1
	v_add_co_ci_u32_e64 v33, null, 0, v33, s1
	s_waitcnt lgkmcnt(0)
	v_fma_f64 v[30:31], v[38:39], v[36:37], v[30:31]
	v_add_nc_u32_e32 v36, -1, v32
	v_cmp_lt_u32_e64 s1, 1, v36
	s_or_b32 s4, s1, s4
	s_andn2_b32 exec_lo, exec_lo, s4
	s_cbranch_execnz .LBB13_25
; %bb.26:
	s_or_b32 exec_lo, exec_lo, s4
	v_mov_b32_e32 v8, 0
	ds_read_b64 v[8:9], v8 offset:24
	s_waitcnt lgkmcnt(0)
	v_mul_f64 v[8:9], v[30:31], v[8:9]
.LBB13_27:
	s_or_b32 exec_lo, exec_lo, s3
	v_cmp_gt_u32_e64 s1, 4, v0
	s_barrier
	buffer_gl0_inv
	ds_write_b64 v34, v[10:11]
	s_waitcnt lgkmcnt(0)
	s_barrier
	buffer_gl0_inv
	s_and_saveexec_b32 s4, s1
	s_cbranch_execz .LBB13_31
; %bb.28:
	v_mov_b32_e32 v30, 0
	v_mov_b32_e32 v33, v1
	v_lshl_add_u32 v35, v0, 3, 0x70
	v_mov_b32_e32 v31, 0
	v_mov_b32_e32 v32, v0
	s_mov_b32 s5, 0
.LBB13_29:                              ; =>This Inner Loop Header: Depth=1
	v_cmp_eq_u32_e64 s2, 1, v32
	v_cmp_eq_u32_e64 s3, 2, v32
	v_cndmask_b32_e64 v36, v3, v5, s2
	v_cndmask_b32_e64 v37, v2, v4, s2
	v_cmp_eq_u32_e64 s2, 3, v32
	v_cndmask_b32_e64 v36, v36, v7, s3
	v_cndmask_b32_e64 v37, v37, v6, s3
	v_cmp_eq_u32_e64 s3, 4, v32
	v_cndmask_b32_e64 v36, v36, v9, s2
	v_cndmask_b32_e64 v37, v37, v8, s2
	v_cmp_eq_u32_e64 s2, 5, v32
	v_cndmask_b32_e64 v36, v36, v11, s3
	v_cndmask_b32_e64 v37, v37, v10, s3
	v_cmp_eq_u32_e64 s3, 6, v32
	v_cndmask_b32_e64 v36, v36, v13, s2
	v_cndmask_b32_e64 v37, v37, v12, s2
	v_cmp_eq_u32_e64 s2, 7, v32
	v_cndmask_b32_e64 v36, v36, v15, s3
	v_cndmask_b32_e64 v37, v37, v14, s3
	v_cmp_eq_u32_e64 s3, 8, v32
	v_cndmask_b32_e64 v36, v36, v17, s2
	v_cndmask_b32_e64 v37, v37, v16, s2
	v_cmp_eq_u32_e64 s2, 9, v32
	v_cndmask_b32_e64 v36, v36, v19, s3
	v_cndmask_b32_e64 v37, v37, v18, s3
	v_cmp_eq_u32_e64 s3, 10, v32
	v_cndmask_b32_e64 v38, v36, v21, s2
	v_cndmask_b32_e64 v39, v37, v20, s2
	ds_read_b64 v[36:37], v35
	v_cmp_eq_u32_e64 s2, 11, v32
	v_add_nc_u32_e32 v35, 8, v35
	v_cndmask_b32_e64 v38, v38, v23, s3
	v_cndmask_b32_e64 v39, v39, v22, s3
	v_cmp_eq_u32_e64 s3, 12, v32
	v_cndmask_b32_e64 v38, v38, v25, s2
	v_cndmask_b32_e64 v39, v39, v24, s2
	v_cmp_eq_u32_e64 s2, 13, v32
	v_cndmask_b32_e64 v38, v38, v27, s3
	v_cndmask_b32_e64 v40, v39, v26, s3
	;; [unrolled: 1-line block ×4, first 2 shown]
	v_add_co_u32 v32, s2, v32, 1
	v_add_co_ci_u32_e64 v33, null, 0, v33, s2
	s_waitcnt lgkmcnt(0)
	v_fma_f64 v[30:31], v[38:39], v[36:37], v[30:31]
	v_add_nc_u32_e32 v36, -1, v32
	v_cmp_lt_u32_e64 s2, 2, v36
	s_or_b32 s5, s2, s5
	s_andn2_b32 exec_lo, exec_lo, s5
	s_cbranch_execnz .LBB13_29
; %bb.30:
	s_or_b32 exec_lo, exec_lo, s5
	v_mov_b32_e32 v10, 0
	ds_read_b64 v[10:11], v10 offset:32
	s_waitcnt lgkmcnt(0)
	v_mul_f64 v[10:11], v[30:31], v[10:11]
.LBB13_31:
	s_or_b32 exec_lo, exec_lo, s4
	s_mov_b32 s4, exec_lo
	s_barrier
	buffer_gl0_inv
	ds_write_b64 v34, v[12:13]
	s_waitcnt lgkmcnt(0)
	s_barrier
	buffer_gl0_inv
	v_cmpx_gt_u32_e32 5, v0
	s_cbranch_execz .LBB13_35
; %bb.32:
	v_mov_b32_e32 v30, 0
	v_mov_b32_e32 v33, v1
	v_lshl_add_u32 v35, v0, 3, 0x70
	v_mov_b32_e32 v31, 0
	v_mov_b32_e32 v32, v0
	s_mov_b32 s5, 0
.LBB13_33:                              ; =>This Inner Loop Header: Depth=1
	v_cmp_eq_u32_e64 s2, 1, v32
	v_cmp_eq_u32_e64 s3, 2, v32
	v_cndmask_b32_e64 v36, v3, v5, s2
	v_cndmask_b32_e64 v37, v2, v4, s2
	v_cmp_eq_u32_e64 s2, 3, v32
	v_cndmask_b32_e64 v36, v36, v7, s3
	v_cndmask_b32_e64 v37, v37, v6, s3
	;; [unrolled: 3-line block ×9, first 2 shown]
	ds_read_b64 v[36:37], v35
	v_cmp_eq_u32_e64 s2, 11, v32
	v_add_nc_u32_e32 v35, 8, v35
	v_cndmask_b32_e64 v38, v38, v23, s3
	v_cndmask_b32_e64 v39, v39, v22, s3
	v_cmp_eq_u32_e64 s3, 12, v32
	v_cndmask_b32_e64 v38, v38, v25, s2
	v_cndmask_b32_e64 v39, v39, v24, s2
	v_cmp_eq_u32_e64 s2, 13, v32
	v_cndmask_b32_e64 v38, v38, v27, s3
	v_cndmask_b32_e64 v40, v39, v26, s3
	v_cndmask_b32_e64 v39, v38, v29, s2
	v_cndmask_b32_e64 v38, v40, v28, s2
	v_add_co_u32 v32, s2, v32, 1
	v_add_co_ci_u32_e64 v33, null, 0, v33, s2
	s_waitcnt lgkmcnt(0)
	v_fma_f64 v[30:31], v[38:39], v[36:37], v[30:31]
	v_add_nc_u32_e32 v36, -1, v32
	v_cmp_lt_u32_e64 s2, 3, v36
	s_or_b32 s5, s2, s5
	s_andn2_b32 exec_lo, exec_lo, s5
	s_cbranch_execnz .LBB13_33
; %bb.34:
	s_or_b32 exec_lo, exec_lo, s5
	v_mov_b32_e32 v12, 0
	ds_read_b64 v[12:13], v12 offset:40
	s_waitcnt lgkmcnt(0)
	v_mul_f64 v[12:13], v[30:31], v[12:13]
.LBB13_35:
	s_or_b32 exec_lo, exec_lo, s4
	v_cmp_gt_u32_e64 s2, 6, v0
	s_barrier
	buffer_gl0_inv
	ds_write_b64 v34, v[14:15]
	s_waitcnt lgkmcnt(0)
	s_barrier
	buffer_gl0_inv
	s_and_saveexec_b32 s5, s2
	s_cbranch_execz .LBB13_39
; %bb.36:
	v_mov_b32_e32 v30, 0
	v_mov_b32_e32 v33, v1
	v_lshl_add_u32 v35, v0, 3, 0x70
	v_mov_b32_e32 v31, 0
	v_mov_b32_e32 v32, v0
	s_mov_b32 s8, 0
.LBB13_37:                              ; =>This Inner Loop Header: Depth=1
	v_cmp_eq_u32_e64 s3, 1, v32
	v_cmp_eq_u32_e64 s4, 2, v32
	v_cndmask_b32_e64 v36, v3, v5, s3
	v_cndmask_b32_e64 v37, v2, v4, s3
	v_cmp_eq_u32_e64 s3, 3, v32
	v_cndmask_b32_e64 v36, v36, v7, s4
	v_cndmask_b32_e64 v37, v37, v6, s4
	;; [unrolled: 3-line block ×9, first 2 shown]
	ds_read_b64 v[36:37], v35
	v_cmp_eq_u32_e64 s3, 11, v32
	v_add_nc_u32_e32 v35, 8, v35
	v_cndmask_b32_e64 v38, v38, v23, s4
	v_cndmask_b32_e64 v39, v39, v22, s4
	v_cmp_eq_u32_e64 s4, 12, v32
	v_cndmask_b32_e64 v38, v38, v25, s3
	v_cndmask_b32_e64 v39, v39, v24, s3
	v_cmp_eq_u32_e64 s3, 13, v32
	v_cndmask_b32_e64 v38, v38, v27, s4
	v_cndmask_b32_e64 v40, v39, v26, s4
	;; [unrolled: 1-line block ×4, first 2 shown]
	v_add_co_u32 v32, s3, v32, 1
	v_add_co_ci_u32_e64 v33, null, 0, v33, s3
	s_waitcnt lgkmcnt(0)
	v_fma_f64 v[30:31], v[38:39], v[36:37], v[30:31]
	v_add_nc_u32_e32 v36, -1, v32
	v_cmp_lt_u32_e64 s3, 4, v36
	s_or_b32 s8, s3, s8
	s_andn2_b32 exec_lo, exec_lo, s8
	s_cbranch_execnz .LBB13_37
; %bb.38:
	s_or_b32 exec_lo, exec_lo, s8
	v_mov_b32_e32 v14, 0
	ds_read_b64 v[14:15], v14 offset:48
	s_waitcnt lgkmcnt(0)
	v_mul_f64 v[14:15], v[30:31], v[14:15]
.LBB13_39:
	s_or_b32 exec_lo, exec_lo, s5
	s_mov_b32 s5, exec_lo
	s_barrier
	buffer_gl0_inv
	ds_write_b64 v34, v[16:17]
	s_waitcnt lgkmcnt(0)
	s_barrier
	buffer_gl0_inv
	v_cmpx_gt_u32_e32 7, v0
	s_cbranch_execz .LBB13_43
; %bb.40:
	v_mov_b32_e32 v30, 0
	v_mov_b32_e32 v33, v1
	v_lshl_add_u32 v35, v0, 3, 0x70
	v_mov_b32_e32 v31, 0
	v_mov_b32_e32 v32, v0
	s_mov_b32 s8, 0
.LBB13_41:                              ; =>This Inner Loop Header: Depth=1
	v_cmp_eq_u32_e64 s3, 1, v32
	v_cmp_eq_u32_e64 s4, 2, v32
	v_cndmask_b32_e64 v36, v3, v5, s3
	v_cndmask_b32_e64 v37, v2, v4, s3
	v_cmp_eq_u32_e64 s3, 3, v32
	v_cndmask_b32_e64 v36, v36, v7, s4
	v_cndmask_b32_e64 v37, v37, v6, s4
	;; [unrolled: 3-line block ×9, first 2 shown]
	ds_read_b64 v[36:37], v35
	v_cmp_eq_u32_e64 s3, 11, v32
	v_add_nc_u32_e32 v35, 8, v35
	v_cndmask_b32_e64 v38, v38, v23, s4
	v_cndmask_b32_e64 v39, v39, v22, s4
	v_cmp_eq_u32_e64 s4, 12, v32
	v_cndmask_b32_e64 v38, v38, v25, s3
	v_cndmask_b32_e64 v39, v39, v24, s3
	v_cmp_eq_u32_e64 s3, 13, v32
	v_cndmask_b32_e64 v38, v38, v27, s4
	v_cndmask_b32_e64 v40, v39, v26, s4
	v_cndmask_b32_e64 v39, v38, v29, s3
	v_cndmask_b32_e64 v38, v40, v28, s3
	v_add_co_u32 v32, s3, v32, 1
	v_add_co_ci_u32_e64 v33, null, 0, v33, s3
	s_waitcnt lgkmcnt(0)
	v_fma_f64 v[30:31], v[38:39], v[36:37], v[30:31]
	v_add_nc_u32_e32 v36, -1, v32
	v_cmp_lt_u32_e64 s3, 5, v36
	s_or_b32 s8, s3, s8
	s_andn2_b32 exec_lo, exec_lo, s8
	s_cbranch_execnz .LBB13_41
; %bb.42:
	s_or_b32 exec_lo, exec_lo, s8
	v_mov_b32_e32 v16, 0
	ds_read_b64 v[16:17], v16 offset:56
	s_waitcnt lgkmcnt(0)
	v_mul_f64 v[16:17], v[30:31], v[16:17]
.LBB13_43:
	s_or_b32 exec_lo, exec_lo, s5
	s_mov_b32 s5, exec_lo
	s_barrier
	buffer_gl0_inv
	ds_write_b64 v34, v[18:19]
	s_waitcnt lgkmcnt(0)
	s_barrier
	buffer_gl0_inv
	v_cmpx_gt_u32_e32 8, v0
	s_cbranch_execz .LBB13_59
; %bb.44:
	v_cmp_eq_u32_e64 s3, 1, v0
	v_cmp_eq_u32_e64 s4, 11, v0
	s_mov_b32 s8, exec_lo
	v_cndmask_b32_e64 v30, v3, v5, s3
	v_cndmask_b32_e64 v31, v2, v4, s3
	v_cmp_eq_u32_e64 s3, 2, v0
	v_cndmask_b32_e64 v30, v30, v7, s3
	v_cndmask_b32_e64 v31, v31, v6, s3
	v_cmp_eq_u32_e64 s3, 3, v0
	;; [unrolled: 3-line block ×9, first 2 shown]
	v_cndmask_b32_e64 v32, v30, v23, s3
	v_cndmask_b32_e64 v33, v31, v22, s3
	ds_read_b64 v[30:31], v34
	v_cmp_eq_u32_e64 s3, 12, v0
	v_cndmask_b32_e64 v32, v32, v25, s4
	v_cndmask_b32_e64 v33, v33, v24, s4
	;; [unrolled: 1-line block ×4, first 2 shown]
	v_cmp_eq_u32_e64 s3, 13, v0
	v_cndmask_b32_e64 v33, v32, v29, s3
	v_cndmask_b32_e64 v32, v35, v28, s3
	s_waitcnt lgkmcnt(0)
	v_fma_f64 v[30:31], v[32:33], v[30:31], 0
	v_cmpx_ne_u32_e32 7, v0
	s_cbranch_execz .LBB13_58
; %bb.45:
	v_add_nc_u32_e32 v35, 1, v0
	v_cmp_eq_u32_e64 s3, 1, v35
	v_cmp_eq_u32_e64 s4, 11, v35
	v_cndmask_b32_e64 v32, v3, v5, s3
	v_cndmask_b32_e64 v33, v2, v4, s3
	v_cmp_eq_u32_e64 s3, 2, v35
	v_cndmask_b32_e64 v32, v32, v7, s3
	v_cndmask_b32_e64 v33, v33, v6, s3
	;; [unrolled: 3-line block ×10, first 2 shown]
	ds_read_b64 v[32:33], v34 offset:8
	v_cmp_eq_u32_e64 s3, 12, v35
	v_cndmask_b32_e64 v36, v36, v25, s4
	v_cndmask_b32_e64 v37, v37, v24, s4
	;; [unrolled: 1-line block ×4, first 2 shown]
	v_cmp_eq_u32_e64 s3, 13, v35
	v_cndmask_b32_e64 v36, v36, v29, s3
	v_cndmask_b32_e64 v35, v37, v28, s3
	s_waitcnt lgkmcnt(0)
	v_fma_f64 v[30:31], v[35:36], v[32:33], v[30:31]
	s_and_saveexec_b32 s4, s2
	s_cbranch_execz .LBB13_57
; %bb.46:
	v_add_nc_u32_e32 v35, 2, v0
	s_mov_b32 s9, exec_lo
	v_cmp_eq_u32_e64 s2, 1, v35
	v_cmp_eq_u32_e64 s3, 11, v35
	v_cndmask_b32_e64 v32, v3, v5, s2
	v_cndmask_b32_e64 v33, v2, v4, s2
	v_cmp_eq_u32_e64 s2, 2, v35
	v_cndmask_b32_e64 v32, v32, v7, s2
	v_cndmask_b32_e64 v33, v33, v6, s2
	v_cmp_eq_u32_e64 s2, 3, v35
	v_cndmask_b32_e64 v32, v32, v9, s2
	v_cndmask_b32_e64 v33, v33, v8, s2
	v_cmp_eq_u32_e64 s2, 4, v35
	v_cndmask_b32_e64 v32, v32, v11, s2
	v_cndmask_b32_e64 v33, v33, v10, s2
	v_cmp_eq_u32_e64 s2, 5, v35
	v_cndmask_b32_e64 v32, v32, v13, s2
	v_cndmask_b32_e64 v33, v33, v12, s2
	v_cmp_eq_u32_e64 s2, 6, v35
	v_cndmask_b32_e64 v32, v32, v15, s2
	v_cndmask_b32_e64 v33, v33, v14, s2
	v_cmp_eq_u32_e64 s2, 7, v35
	v_cndmask_b32_e64 v32, v32, v17, s2
	v_cndmask_b32_e64 v33, v33, v16, s2
	v_cmp_eq_u32_e64 s2, 8, v35
	v_cndmask_b32_e64 v32, v32, v19, s2
	v_cndmask_b32_e64 v33, v33, v18, s2
	v_cmp_eq_u32_e64 s2, 9, v35
	v_cndmask_b32_e64 v32, v32, v21, s2
	v_cndmask_b32_e64 v33, v33, v20, s2
	v_cmp_eq_u32_e64 s2, 10, v35
	v_cndmask_b32_e64 v36, v32, v23, s2
	v_cndmask_b32_e64 v37, v33, v22, s2
	ds_read_b64 v[32:33], v34 offset:16
	v_cmp_eq_u32_e64 s2, 12, v35
	v_cndmask_b32_e64 v36, v36, v25, s3
	v_cndmask_b32_e64 v37, v37, v24, s3
	;; [unrolled: 1-line block ×4, first 2 shown]
	v_cmp_eq_u32_e64 s2, 13, v35
	v_cndmask_b32_e64 v36, v36, v29, s2
	v_cndmask_b32_e64 v35, v37, v28, s2
	s_waitcnt lgkmcnt(0)
	v_fma_f64 v[30:31], v[35:36], v[32:33], v[30:31]
	v_cmpx_ne_u32_e32 5, v0
	s_cbranch_execz .LBB13_56
; %bb.47:
	v_add_nc_u32_e32 v35, 3, v0
	v_cmp_eq_u32_e64 s2, 1, v35
	v_cmp_eq_u32_e64 s3, 11, v35
	v_cndmask_b32_e64 v32, v3, v5, s2
	v_cndmask_b32_e64 v33, v2, v4, s2
	v_cmp_eq_u32_e64 s2, 2, v35
	v_cndmask_b32_e64 v32, v32, v7, s2
	v_cndmask_b32_e64 v33, v33, v6, s2
	;; [unrolled: 3-line block ×10, first 2 shown]
	ds_read_b64 v[32:33], v34 offset:24
	v_cmp_eq_u32_e64 s2, 12, v35
	v_cndmask_b32_e64 v36, v36, v25, s3
	v_cndmask_b32_e64 v37, v37, v24, s3
	;; [unrolled: 1-line block ×4, first 2 shown]
	v_cmp_eq_u32_e64 s2, 13, v35
	v_cndmask_b32_e64 v36, v36, v29, s2
	v_cndmask_b32_e64 v35, v37, v28, s2
	s_waitcnt lgkmcnt(0)
	v_fma_f64 v[30:31], v[35:36], v[32:33], v[30:31]
	s_and_saveexec_b32 s3, s1
	s_cbranch_execz .LBB13_55
; %bb.48:
	v_or_b32_e32 v35, 4, v0
	s_mov_b32 s10, exec_lo
	v_cmp_eq_u32_e64 s1, 1, v35
	v_cmp_eq_u32_e64 s2, 11, v35
	v_cndmask_b32_e64 v32, v3, v5, s1
	v_cndmask_b32_e64 v33, v2, v4, s1
	v_cmp_eq_u32_e64 s1, 2, v35
	v_cndmask_b32_e64 v32, v32, v7, s1
	v_cndmask_b32_e64 v33, v33, v6, s1
	;; [unrolled: 3-line block ×10, first 2 shown]
	ds_read_b64 v[32:33], v34 offset:32
	v_cmp_eq_u32_e64 s1, 12, v35
	v_cndmask_b32_e64 v36, v36, v25, s2
	v_cndmask_b32_e64 v37, v37, v24, s2
	;; [unrolled: 1-line block ×4, first 2 shown]
	v_cmp_eq_u32_e64 s1, 13, v35
	v_cndmask_b32_e64 v36, v36, v29, s1
	v_cndmask_b32_e64 v35, v37, v28, s1
	s_waitcnt lgkmcnt(0)
	v_fma_f64 v[30:31], v[35:36], v[32:33], v[30:31]
	v_cmpx_ne_u32_e32 3, v0
	s_cbranch_execz .LBB13_54
; %bb.49:
	v_add_nc_u32_e32 v35, 5, v0
	v_cmp_eq_u32_e64 s1, 1, v35
	v_cmp_eq_u32_e64 s2, 11, v35
	v_cndmask_b32_e64 v32, v3, v5, s1
	v_cndmask_b32_e64 v33, v2, v4, s1
	v_cmp_eq_u32_e64 s1, 2, v35
	v_cndmask_b32_e64 v32, v32, v7, s1
	v_cndmask_b32_e64 v33, v33, v6, s1
	;; [unrolled: 3-line block ×10, first 2 shown]
	ds_read_b64 v[32:33], v34 offset:40
	v_cmp_eq_u32_e64 s1, 12, v35
	v_cndmask_b32_e64 v36, v36, v25, s2
	v_cndmask_b32_e64 v37, v37, v24, s2
	;; [unrolled: 1-line block ×4, first 2 shown]
	v_cmp_eq_u32_e64 s1, 13, v35
	v_cndmask_b32_e64 v36, v36, v29, s1
	v_cndmask_b32_e64 v35, v37, v28, s1
	s_waitcnt lgkmcnt(0)
	v_fma_f64 v[30:31], v[35:36], v[32:33], v[30:31]
	s_and_saveexec_b32 s2, vcc_lo
	s_cbranch_execz .LBB13_53
; %bb.50:
	v_or_b32_e32 v32, 6, v0
	v_cmp_eq_u32_e32 vcc_lo, 1, v32
	v_cmp_eq_u32_e64 s1, 11, v32
	v_cndmask_b32_e32 v33, v3, v5, vcc_lo
	v_cndmask_b32_e32 v35, v2, v4, vcc_lo
	v_cmp_eq_u32_e32 vcc_lo, 2, v32
	v_cndmask_b32_e32 v33, v33, v7, vcc_lo
	v_cndmask_b32_e32 v35, v35, v6, vcc_lo
	v_cmp_eq_u32_e32 vcc_lo, 3, v32
	;; [unrolled: 3-line block ×9, first 2 shown]
	v_cndmask_b32_e32 v33, v19, v23, vcc_lo
	v_cndmask_b32_e32 v35, v18, v22, vcc_lo
	ds_read_b64 v[18:19], v34 offset:48
	v_cmp_eq_u32_e32 vcc_lo, 12, v32
	v_cndmask_b32_e64 v33, v33, v25, s1
	v_cndmask_b32_e64 v35, v35, v24, s1
	v_cndmask_b32_e32 v33, v33, v27, vcc_lo
	v_cndmask_b32_e32 v35, v35, v26, vcc_lo
	v_cmp_eq_u32_e32 vcc_lo, 13, v32
	v_cndmask_b32_e32 v33, v33, v29, vcc_lo
	v_cndmask_b32_e32 v32, v35, v28, vcc_lo
	s_waitcnt lgkmcnt(0)
	v_fma_f64 v[30:31], v[32:33], v[18:19], v[30:31]
	s_and_saveexec_b32 s1, s0
	s_cbranch_execz .LBB13_52
; %bb.51:
	ds_read_b64 v[18:19], v34 offset:56
	s_waitcnt lgkmcnt(0)
	v_fma_f64 v[30:31], v[16:17], v[18:19], v[30:31]
.LBB13_52:
	s_or_b32 exec_lo, exec_lo, s1
.LBB13_53:
	s_or_b32 exec_lo, exec_lo, s2
.LBB13_54:
	s_or_b32 exec_lo, exec_lo, s10
.LBB13_55:
	s_or_b32 exec_lo, exec_lo, s3
.LBB13_56:
	s_or_b32 exec_lo, exec_lo, s9
.LBB13_57:
	s_or_b32 exec_lo, exec_lo, s4
.LBB13_58:
	s_or_b32 exec_lo, exec_lo, s8
	v_mov_b32_e32 v18, 0
	ds_read_b64 v[18:19], v18 offset:64
	s_waitcnt lgkmcnt(0)
	v_mul_f64 v[18:19], v[30:31], v[18:19]
.LBB13_59:
	s_or_b32 exec_lo, exec_lo, s5
	s_mov_b32 s1, exec_lo
	s_barrier
	buffer_gl0_inv
	ds_write_b64 v34, v[20:21]
	s_waitcnt lgkmcnt(0)
	s_barrier
	buffer_gl0_inv
	v_cmpx_gt_u32_e32 9, v0
	s_cbranch_execz .LBB13_63
; %bb.60:
	v_mov_b32_e32 v30, 0
	v_mov_b32_e32 v33, v1
	v_lshl_add_u32 v35, v0, 3, 0x70
	v_mov_b32_e32 v31, 0
	v_mov_b32_e32 v32, v0
	s_mov_b32 s2, 0
.LBB13_61:                              ; =>This Inner Loop Header: Depth=1
	v_cmp_eq_u32_e32 vcc_lo, 1, v32
	v_cmp_eq_u32_e64 s0, 2, v32
	v_cndmask_b32_e32 v36, v3, v5, vcc_lo
	v_cndmask_b32_e32 v37, v2, v4, vcc_lo
	v_cmp_eq_u32_e32 vcc_lo, 3, v32
	v_cndmask_b32_e64 v36, v36, v7, s0
	v_cndmask_b32_e64 v37, v37, v6, s0
	v_cmp_eq_u32_e64 s0, 4, v32
	v_cndmask_b32_e32 v36, v36, v9, vcc_lo
	v_cndmask_b32_e32 v37, v37, v8, vcc_lo
	v_cmp_eq_u32_e32 vcc_lo, 5, v32
	v_cndmask_b32_e64 v36, v36, v11, s0
	v_cndmask_b32_e64 v37, v37, v10, s0
	;; [unrolled: 6-line block ×4, first 2 shown]
	v_cmp_eq_u32_e64 s0, 10, v32
	v_cndmask_b32_e32 v38, v36, v21, vcc_lo
	v_cndmask_b32_e32 v39, v37, v20, vcc_lo
	ds_read_b64 v[36:37], v35
	v_cmp_eq_u32_e32 vcc_lo, 11, v32
	v_add_nc_u32_e32 v35, 8, v35
	v_cndmask_b32_e64 v38, v38, v23, s0
	v_cndmask_b32_e64 v39, v39, v22, s0
	v_cmp_eq_u32_e64 s0, 12, v32
	v_cndmask_b32_e32 v38, v38, v25, vcc_lo
	v_cndmask_b32_e32 v39, v39, v24, vcc_lo
	v_cmp_eq_u32_e32 vcc_lo, 13, v32
	v_cndmask_b32_e64 v38, v38, v27, s0
	v_cndmask_b32_e64 v40, v39, v26, s0
	v_cndmask_b32_e32 v39, v38, v29, vcc_lo
	v_cndmask_b32_e32 v38, v40, v28, vcc_lo
	v_add_co_u32 v32, vcc_lo, v32, 1
	v_add_co_ci_u32_e64 v33, null, 0, v33, vcc_lo
	s_waitcnt lgkmcnt(0)
	v_fma_f64 v[30:31], v[38:39], v[36:37], v[30:31]
	v_add_nc_u32_e32 v36, -1, v32
	v_cmp_lt_u32_e32 vcc_lo, 7, v36
	s_or_b32 s2, vcc_lo, s2
	s_andn2_b32 exec_lo, exec_lo, s2
	s_cbranch_execnz .LBB13_61
; %bb.62:
	s_or_b32 exec_lo, exec_lo, s2
	v_mov_b32_e32 v20, 0
	ds_read_b64 v[20:21], v20 offset:72
	s_waitcnt lgkmcnt(0)
	v_mul_f64 v[20:21], v[30:31], v[20:21]
.LBB13_63:
	s_or_b32 exec_lo, exec_lo, s1
	s_mov_b32 s1, exec_lo
	s_barrier
	buffer_gl0_inv
	ds_write_b64 v34, v[22:23]
	s_waitcnt lgkmcnt(0)
	s_barrier
	buffer_gl0_inv
	v_cmpx_gt_u32_e32 10, v0
	s_cbranch_execz .LBB13_67
; %bb.64:
	v_mov_b32_e32 v30, 0
	v_mov_b32_e32 v33, v1
	v_lshl_add_u32 v35, v0, 3, 0x70
	v_mov_b32_e32 v31, 0
	v_mov_b32_e32 v32, v0
	s_mov_b32 s2, 0
.LBB13_65:                              ; =>This Inner Loop Header: Depth=1
	v_cmp_eq_u32_e32 vcc_lo, 1, v32
	v_cmp_eq_u32_e64 s0, 2, v32
	v_cndmask_b32_e32 v36, v3, v5, vcc_lo
	v_cndmask_b32_e32 v37, v2, v4, vcc_lo
	v_cmp_eq_u32_e32 vcc_lo, 3, v32
	v_cndmask_b32_e64 v36, v36, v7, s0
	v_cndmask_b32_e64 v37, v37, v6, s0
	v_cmp_eq_u32_e64 s0, 4, v32
	v_cndmask_b32_e32 v36, v36, v9, vcc_lo
	v_cndmask_b32_e32 v37, v37, v8, vcc_lo
	v_cmp_eq_u32_e32 vcc_lo, 5, v32
	v_cndmask_b32_e64 v36, v36, v11, s0
	v_cndmask_b32_e64 v37, v37, v10, s0
	;; [unrolled: 6-line block ×4, first 2 shown]
	v_cmp_eq_u32_e64 s0, 10, v32
	v_cndmask_b32_e32 v38, v36, v21, vcc_lo
	v_cndmask_b32_e32 v39, v37, v20, vcc_lo
	ds_read_b64 v[36:37], v35
	v_cmp_eq_u32_e32 vcc_lo, 11, v32
	v_add_nc_u32_e32 v35, 8, v35
	v_cndmask_b32_e64 v38, v38, v23, s0
	v_cndmask_b32_e64 v39, v39, v22, s0
	v_cmp_eq_u32_e64 s0, 12, v32
	v_cndmask_b32_e32 v38, v38, v25, vcc_lo
	v_cndmask_b32_e32 v39, v39, v24, vcc_lo
	v_cmp_eq_u32_e32 vcc_lo, 13, v32
	v_cndmask_b32_e64 v38, v38, v27, s0
	v_cndmask_b32_e64 v40, v39, v26, s0
	v_cndmask_b32_e32 v39, v38, v29, vcc_lo
	v_cndmask_b32_e32 v38, v40, v28, vcc_lo
	v_add_co_u32 v32, vcc_lo, v32, 1
	v_add_co_ci_u32_e64 v33, null, 0, v33, vcc_lo
	s_waitcnt lgkmcnt(0)
	v_fma_f64 v[30:31], v[38:39], v[36:37], v[30:31]
	v_add_nc_u32_e32 v36, -1, v32
	v_cmp_lt_u32_e32 vcc_lo, 8, v36
	s_or_b32 s2, vcc_lo, s2
	s_andn2_b32 exec_lo, exec_lo, s2
	s_cbranch_execnz .LBB13_65
; %bb.66:
	s_or_b32 exec_lo, exec_lo, s2
	v_mov_b32_e32 v22, 0
	ds_read_b64 v[22:23], v22 offset:80
	s_waitcnt lgkmcnt(0)
	v_mul_f64 v[22:23], v[30:31], v[22:23]
.LBB13_67:
	s_or_b32 exec_lo, exec_lo, s1
	s_mov_b32 s1, exec_lo
	s_barrier
	buffer_gl0_inv
	ds_write_b64 v34, v[24:25]
	s_waitcnt lgkmcnt(0)
	s_barrier
	buffer_gl0_inv
	v_cmpx_gt_u32_e32 11, v0
	s_cbranch_execz .LBB13_71
; %bb.68:
	v_mov_b32_e32 v30, 0
	v_mov_b32_e32 v33, v1
	v_lshl_add_u32 v35, v0, 3, 0x70
	v_mov_b32_e32 v31, 0
	v_mov_b32_e32 v32, v0
	s_mov_b32 s2, 0
.LBB13_69:                              ; =>This Inner Loop Header: Depth=1
	v_cmp_eq_u32_e32 vcc_lo, 1, v32
	v_cmp_eq_u32_e64 s0, 2, v32
	v_cndmask_b32_e32 v36, v3, v5, vcc_lo
	v_cndmask_b32_e32 v37, v2, v4, vcc_lo
	v_cmp_eq_u32_e32 vcc_lo, 3, v32
	v_cndmask_b32_e64 v36, v36, v7, s0
	v_cndmask_b32_e64 v37, v37, v6, s0
	v_cmp_eq_u32_e64 s0, 4, v32
	v_cndmask_b32_e32 v36, v36, v9, vcc_lo
	v_cndmask_b32_e32 v37, v37, v8, vcc_lo
	v_cmp_eq_u32_e32 vcc_lo, 5, v32
	v_cndmask_b32_e64 v36, v36, v11, s0
	v_cndmask_b32_e64 v37, v37, v10, s0
	;; [unrolled: 6-line block ×4, first 2 shown]
	v_cmp_eq_u32_e64 s0, 10, v32
	v_cndmask_b32_e32 v38, v36, v21, vcc_lo
	v_cndmask_b32_e32 v39, v37, v20, vcc_lo
	ds_read_b64 v[36:37], v35
	v_cmp_eq_u32_e32 vcc_lo, 11, v32
	v_add_nc_u32_e32 v35, 8, v35
	v_cndmask_b32_e64 v38, v38, v23, s0
	v_cndmask_b32_e64 v39, v39, v22, s0
	v_cmp_eq_u32_e64 s0, 12, v32
	v_cndmask_b32_e32 v38, v38, v25, vcc_lo
	v_cndmask_b32_e32 v39, v39, v24, vcc_lo
	v_cmp_eq_u32_e32 vcc_lo, 13, v32
	v_cndmask_b32_e64 v38, v38, v27, s0
	v_cndmask_b32_e64 v40, v39, v26, s0
	v_cndmask_b32_e32 v39, v38, v29, vcc_lo
	v_cndmask_b32_e32 v38, v40, v28, vcc_lo
	v_add_co_u32 v32, vcc_lo, v32, 1
	v_add_co_ci_u32_e64 v33, null, 0, v33, vcc_lo
	s_waitcnt lgkmcnt(0)
	v_fma_f64 v[30:31], v[38:39], v[36:37], v[30:31]
	v_add_nc_u32_e32 v36, -1, v32
	v_cmp_lt_u32_e32 vcc_lo, 9, v36
	s_or_b32 s2, vcc_lo, s2
	s_andn2_b32 exec_lo, exec_lo, s2
	s_cbranch_execnz .LBB13_69
; %bb.70:
	s_or_b32 exec_lo, exec_lo, s2
	v_mov_b32_e32 v24, 0
	ds_read_b64 v[24:25], v24 offset:88
	s_waitcnt lgkmcnt(0)
	v_mul_f64 v[24:25], v[30:31], v[24:25]
.LBB13_71:
	s_or_b32 exec_lo, exec_lo, s1
	s_mov_b32 s1, exec_lo
	s_barrier
	buffer_gl0_inv
	ds_write_b64 v34, v[26:27]
	s_waitcnt lgkmcnt(0)
	s_barrier
	buffer_gl0_inv
	v_cmpx_gt_u32_e32 12, v0
	s_cbranch_execz .LBB13_75
; %bb.72:
	v_mov_b32_e32 v30, 0
	v_mov_b32_e32 v33, v1
	v_lshl_add_u32 v35, v0, 3, 0x70
	v_mov_b32_e32 v31, 0
	v_mov_b32_e32 v32, v0
	s_mov_b32 s2, 0
.LBB13_73:                              ; =>This Inner Loop Header: Depth=1
	v_cmp_eq_u32_e32 vcc_lo, 1, v32
	v_cmp_eq_u32_e64 s0, 2, v32
	v_cndmask_b32_e32 v36, v3, v5, vcc_lo
	v_cndmask_b32_e32 v37, v2, v4, vcc_lo
	v_cmp_eq_u32_e32 vcc_lo, 3, v32
	v_cndmask_b32_e64 v36, v36, v7, s0
	v_cndmask_b32_e64 v37, v37, v6, s0
	v_cmp_eq_u32_e64 s0, 4, v32
	v_cndmask_b32_e32 v36, v36, v9, vcc_lo
	v_cndmask_b32_e32 v37, v37, v8, vcc_lo
	v_cmp_eq_u32_e32 vcc_lo, 5, v32
	v_cndmask_b32_e64 v36, v36, v11, s0
	v_cndmask_b32_e64 v37, v37, v10, s0
	;; [unrolled: 6-line block ×4, first 2 shown]
	v_cmp_eq_u32_e64 s0, 10, v32
	v_cndmask_b32_e32 v38, v36, v21, vcc_lo
	v_cndmask_b32_e32 v39, v37, v20, vcc_lo
	ds_read_b64 v[36:37], v35
	v_cmp_eq_u32_e32 vcc_lo, 11, v32
	v_add_nc_u32_e32 v35, 8, v35
	v_cndmask_b32_e64 v38, v38, v23, s0
	v_cndmask_b32_e64 v39, v39, v22, s0
	v_cmp_eq_u32_e64 s0, 12, v32
	v_cndmask_b32_e32 v38, v38, v25, vcc_lo
	v_cndmask_b32_e32 v39, v39, v24, vcc_lo
	v_cmp_eq_u32_e32 vcc_lo, 13, v32
	v_cndmask_b32_e64 v38, v38, v27, s0
	v_cndmask_b32_e64 v40, v39, v26, s0
	v_cndmask_b32_e32 v39, v38, v29, vcc_lo
	v_cndmask_b32_e32 v38, v40, v28, vcc_lo
	v_add_co_u32 v32, vcc_lo, v32, 1
	v_add_co_ci_u32_e64 v33, null, 0, v33, vcc_lo
	s_waitcnt lgkmcnt(0)
	v_fma_f64 v[30:31], v[38:39], v[36:37], v[30:31]
	v_add_nc_u32_e32 v36, -1, v32
	v_cmp_lt_u32_e32 vcc_lo, 10, v36
	s_or_b32 s2, vcc_lo, s2
	s_andn2_b32 exec_lo, exec_lo, s2
	s_cbranch_execnz .LBB13_73
; %bb.74:
	s_or_b32 exec_lo, exec_lo, s2
	v_mov_b32_e32 v26, 0
	ds_read_b64 v[26:27], v26 offset:96
	s_waitcnt lgkmcnt(0)
	v_mul_f64 v[26:27], v[30:31], v[26:27]
.LBB13_75:
	s_or_b32 exec_lo, exec_lo, s1
	s_mov_b32 s1, exec_lo
	s_barrier
	buffer_gl0_inv
	ds_write_b64 v34, v[28:29]
	s_waitcnt lgkmcnt(0)
	s_barrier
	buffer_gl0_inv
	v_cmpx_ne_u32_e32 13, v0
	s_cbranch_execz .LBB13_79
; %bb.76:
	v_mov_b32_e32 v30, 0
	v_mov_b32_e32 v33, v1
	v_lshl_add_u32 v34, v0, 3, 0x70
	v_mov_b32_e32 v31, 0
	v_mov_b32_e32 v32, v0
	s_mov_b32 s2, 0
.LBB13_77:                              ; =>This Inner Loop Header: Depth=1
	v_cmp_eq_u32_e32 vcc_lo, 1, v32
	v_cmp_eq_u32_e64 s0, 2, v32
	v_cndmask_b32_e32 v1, v3, v5, vcc_lo
	v_cndmask_b32_e32 v35, v2, v4, vcc_lo
	v_cmp_eq_u32_e32 vcc_lo, 3, v32
	v_cndmask_b32_e64 v1, v1, v7, s0
	v_cndmask_b32_e64 v35, v35, v6, s0
	v_cmp_eq_u32_e64 s0, 4, v32
	v_cndmask_b32_e32 v1, v1, v9, vcc_lo
	v_cndmask_b32_e32 v35, v35, v8, vcc_lo
	v_cmp_eq_u32_e32 vcc_lo, 5, v32
	v_cndmask_b32_e64 v1, v1, v11, s0
	v_cndmask_b32_e64 v35, v35, v10, s0
	;; [unrolled: 6-line block ×4, first 2 shown]
	v_cmp_eq_u32_e64 s0, 10, v32
	v_cndmask_b32_e32 v1, v1, v21, vcc_lo
	v_cndmask_b32_e32 v37, v35, v20, vcc_lo
	ds_read_b64 v[35:36], v34
	v_cmp_eq_u32_e32 vcc_lo, 11, v32
	v_add_nc_u32_e32 v34, 8, v34
	v_cndmask_b32_e64 v1, v1, v23, s0
	v_cndmask_b32_e64 v37, v37, v22, s0
	v_cmp_eq_u32_e64 s0, 12, v32
	v_cndmask_b32_e32 v1, v1, v25, vcc_lo
	v_cndmask_b32_e32 v37, v37, v24, vcc_lo
	v_cmp_eq_u32_e32 vcc_lo, 13, v32
	v_cndmask_b32_e64 v1, v1, v27, s0
	v_cndmask_b32_e64 v37, v37, v26, s0
	v_cndmask_b32_e32 v38, v1, v29, vcc_lo
	v_cndmask_b32_e32 v37, v37, v28, vcc_lo
	v_add_co_u32 v32, vcc_lo, v32, 1
	v_add_co_ci_u32_e64 v33, null, 0, v33, vcc_lo
	s_waitcnt lgkmcnt(0)
	v_fma_f64 v[30:31], v[37:38], v[35:36], v[30:31]
	v_add_nc_u32_e32 v1, -1, v32
	v_cmp_lt_u32_e32 vcc_lo, 11, v1
	s_or_b32 s2, vcc_lo, s2
	s_andn2_b32 exec_lo, exec_lo, s2
	s_cbranch_execnz .LBB13_77
; %bb.78:
	s_or_b32 exec_lo, exec_lo, s2
	v_mov_b32_e32 v1, 0
	ds_read_b64 v[28:29], v1 offset:104
	s_waitcnt lgkmcnt(0)
	v_mul_f64 v[28:29], v[30:31], v[28:29]
.LBB13_79:
	s_or_b32 exec_lo, exec_lo, s1
	s_barrier
	buffer_gl0_inv
	s_cbranch_execnz .LBB13_15
	s_branch .LBB13_16
.LBB13_80:
	v_lshl_add_u32 v1, v0, 3, 0x70
	s_mov_b32 s0, exec_lo
	v_cmpx_eq_u32_e32 13, v0
	s_cbranch_execz .LBB13_82
; %bb.81:
	v_mov_b32_e32 v54, 0
	v_mov_b32_e32 v30, v2
	;; [unrolled: 1-line block ×28, first 2 shown]
	ds_write_b64 v1, v[26:27]
	v_mov_b32_e32 v2, v30
	v_mov_b32_e32 v3, v31
	;; [unrolled: 1-line block ×32, first 2 shown]
.LBB13_82:
	s_or_b32 exec_lo, exec_lo, s0
	v_mov_b32_e32 v52, 0
	s_waitcnt lgkmcnt(0)
	s_waitcnt_vscnt null, 0x0
	s_barrier
	buffer_gl0_inv
	s_mov_b32 s0, exec_lo
	ds_read_b64 v[30:31], v52 offset:216
	s_waitcnt lgkmcnt(0)
	v_fma_f64 v[30:31], v[28:29], v[30:31], 0
	v_add_f64 v[26:27], v[26:27], -v[30:31]
	v_cmpx_lt_u32_e32 11, v0
	s_cbranch_execz .LBB13_84
; %bb.83:
	v_mov_b32_e32 v30, v2
	v_mov_b32_e32 v34, v6
	;; [unrolled: 1-line block ×27, first 2 shown]
	ds_write_b64 v1, v[24:25]
	v_mov_b32_e32 v2, v30
	v_mov_b32_e32 v3, v31
	;; [unrolled: 1-line block ×32, first 2 shown]
.LBB13_84:
	s_or_b32 exec_lo, exec_lo, s0
	s_waitcnt lgkmcnt(0)
	s_barrier
	buffer_gl0_inv
	ds_read_b128 v[30:33], v52 offset:208
	s_mov_b32 s0, exec_lo
	s_waitcnt lgkmcnt(0)
	v_fma_f64 v[30:31], v[26:27], v[30:31], 0
	v_fma_f64 v[30:31], v[28:29], v[32:33], v[30:31]
	v_add_f64 v[24:25], v[24:25], -v[30:31]
	v_cmpx_lt_u32_e32 10, v0
	s_cbranch_execz .LBB13_86
; %bb.85:
	v_mov_b32_e32 v50, 0
	v_mov_b32_e32 v30, v2
	;; [unrolled: 1-line block ×28, first 2 shown]
	ds_write_b64 v1, v[22:23]
	v_mov_b32_e32 v2, v30
	v_mov_b32_e32 v3, v31
	;; [unrolled: 1-line block ×32, first 2 shown]
.LBB13_86:
	s_or_b32 exec_lo, exec_lo, s0
	v_mov_b32_e32 v48, 0
	s_waitcnt lgkmcnt(0)
	s_barrier
	buffer_gl0_inv
	s_mov_b32 s0, exec_lo
	ds_read2_b64 v[30:33], v48 offset0:25 offset1:26
	ds_read_b64 v[34:35], v48 offset:216
	s_waitcnt lgkmcnt(1)
	v_fma_f64 v[30:31], v[24:25], v[30:31], 0
	v_fma_f64 v[30:31], v[26:27], v[32:33], v[30:31]
	s_waitcnt lgkmcnt(0)
	v_fma_f64 v[30:31], v[28:29], v[34:35], v[30:31]
	v_add_f64 v[22:23], v[22:23], -v[30:31]
	v_cmpx_lt_u32_e32 9, v0
	s_cbranch_execz .LBB13_88
; %bb.87:
	v_mov_b32_e32 v30, v2
	v_mov_b32_e32 v34, v6
	;; [unrolled: 1-line block ×27, first 2 shown]
	ds_write_b64 v1, v[20:21]
	v_mov_b32_e32 v2, v30
	v_mov_b32_e32 v3, v31
	;; [unrolled: 1-line block ×32, first 2 shown]
.LBB13_88:
	s_or_b32 exec_lo, exec_lo, s0
	s_waitcnt lgkmcnt(0)
	s_barrier
	buffer_gl0_inv
	ds_read_b128 v[30:33], v48 offset:192
	ds_read_b128 v[34:37], v48 offset:208
	s_mov_b32 s0, exec_lo
	s_waitcnt lgkmcnt(1)
	v_fma_f64 v[30:31], v[22:23], v[30:31], 0
	v_fma_f64 v[30:31], v[24:25], v[32:33], v[30:31]
	s_waitcnt lgkmcnt(0)
	v_fma_f64 v[30:31], v[26:27], v[34:35], v[30:31]
	v_fma_f64 v[30:31], v[28:29], v[36:37], v[30:31]
	v_add_f64 v[20:21], v[20:21], -v[30:31]
	v_cmpx_lt_u32_e32 8, v0
	s_cbranch_execz .LBB13_90
; %bb.89:
	v_mov_b32_e32 v46, 0
	v_mov_b32_e32 v30, v2
	;; [unrolled: 1-line block ×28, first 2 shown]
	ds_write_b64 v1, v[18:19]
	v_mov_b32_e32 v2, v30
	v_mov_b32_e32 v3, v31
	;; [unrolled: 1-line block ×32, first 2 shown]
.LBB13_90:
	s_or_b32 exec_lo, exec_lo, s0
	v_mov_b32_e32 v44, 0
	s_waitcnt lgkmcnt(0)
	s_barrier
	buffer_gl0_inv
	s_mov_b32 s0, exec_lo
	ds_read2_b64 v[30:33], v44 offset0:23 offset1:24
	ds_read2_b64 v[34:37], v44 offset0:25 offset1:26
	s_waitcnt lgkmcnt(1)
	v_fma_f64 v[30:31], v[20:21], v[30:31], 0
	v_fma_f64 v[30:31], v[22:23], v[32:33], v[30:31]
	ds_read_b64 v[32:33], v44 offset:216
	s_waitcnt lgkmcnt(1)
	v_fma_f64 v[30:31], v[24:25], v[34:35], v[30:31]
	v_fma_f64 v[30:31], v[26:27], v[36:37], v[30:31]
	s_waitcnt lgkmcnt(0)
	v_fma_f64 v[30:31], v[28:29], v[32:33], v[30:31]
	v_add_f64 v[18:19], v[18:19], -v[30:31]
	v_cmpx_lt_u32_e32 7, v0
	s_cbranch_execz .LBB13_92
; %bb.91:
	v_mov_b32_e32 v30, v2
	v_mov_b32_e32 v34, v6
	;; [unrolled: 1-line block ×27, first 2 shown]
	ds_write_b64 v1, v[16:17]
	v_mov_b32_e32 v2, v30
	v_mov_b32_e32 v3, v31
	v_mov_b32_e32 v4, v32
	v_mov_b32_e32 v5, v33
	v_mov_b32_e32 v6, v34
	v_mov_b32_e32 v7, v35
	v_mov_b32_e32 v8, v36
	v_mov_b32_e32 v9, v37
	v_mov_b32_e32 v10, v38
	v_mov_b32_e32 v11, v39
	v_mov_b32_e32 v12, v40
	v_mov_b32_e32 v13, v41
	v_mov_b32_e32 v14, v42
	v_mov_b32_e32 v15, v43
	v_mov_b32_e32 v16, v44
	v_mov_b32_e32 v17, v45
	v_mov_b32_e32 v18, v46
	v_mov_b32_e32 v19, v47
	v_mov_b32_e32 v20, v48
	v_mov_b32_e32 v21, v49
	v_mov_b32_e32 v22, v50
	v_mov_b32_e32 v23, v51
	v_mov_b32_e32 v24, v52
	v_mov_b32_e32 v25, v53
	v_mov_b32_e32 v26, v54
	v_mov_b32_e32 v27, v55
	v_mov_b32_e32 v28, v56
	v_mov_b32_e32 v29, v57
	v_mov_b32_e32 v30, v58
	v_mov_b32_e32 v31, v59
	v_mov_b32_e32 v32, v60
	v_mov_b32_e32 v33, v61
.LBB13_92:
	s_or_b32 exec_lo, exec_lo, s0
	s_waitcnt lgkmcnt(0)
	s_barrier
	buffer_gl0_inv
	ds_read_b128 v[30:33], v44 offset:176
	ds_read_b128 v[34:37], v44 offset:192
	s_mov_b32 s0, exec_lo
	s_waitcnt lgkmcnt(1)
	v_fma_f64 v[30:31], v[18:19], v[30:31], 0
	v_fma_f64 v[30:31], v[20:21], v[32:33], v[30:31]
	s_waitcnt lgkmcnt(0)
	v_fma_f64 v[30:31], v[22:23], v[34:35], v[30:31]
	v_fma_f64 v[34:35], v[24:25], v[36:37], v[30:31]
	ds_read_b128 v[30:33], v44 offset:208
	s_waitcnt lgkmcnt(0)
	v_fma_f64 v[30:31], v[26:27], v[30:31], v[34:35]
	v_fma_f64 v[30:31], v[28:29], v[32:33], v[30:31]
	v_add_f64 v[16:17], v[16:17], -v[30:31]
	v_cmpx_lt_u32_e32 6, v0
	s_cbranch_execz .LBB13_94
; %bb.93:
	v_mov_b32_e32 v42, 0
	v_mov_b32_e32 v30, v2
	;; [unrolled: 1-line block ×28, first 2 shown]
	ds_write_b64 v1, v[14:15]
	v_mov_b32_e32 v2, v30
	v_mov_b32_e32 v3, v31
	;; [unrolled: 1-line block ×32, first 2 shown]
.LBB13_94:
	s_or_b32 exec_lo, exec_lo, s0
	v_mov_b32_e32 v40, 0
	s_waitcnt lgkmcnt(0)
	s_barrier
	buffer_gl0_inv
	s_mov_b32 s0, exec_lo
	ds_read2_b64 v[30:33], v40 offset0:21 offset1:22
	ds_read2_b64 v[34:37], v40 offset0:23 offset1:24
	s_waitcnt lgkmcnt(1)
	v_fma_f64 v[30:31], v[16:17], v[30:31], 0
	v_fma_f64 v[30:31], v[18:19], v[32:33], v[30:31]
	s_waitcnt lgkmcnt(0)
	v_fma_f64 v[30:31], v[20:21], v[34:35], v[30:31]
	v_fma_f64 v[34:35], v[22:23], v[36:37], v[30:31]
	ds_read2_b64 v[30:33], v40 offset0:25 offset1:26
	ds_read_b64 v[36:37], v40 offset:216
	s_waitcnt lgkmcnt(1)
	v_fma_f64 v[30:31], v[24:25], v[30:31], v[34:35]
	v_fma_f64 v[30:31], v[26:27], v[32:33], v[30:31]
	s_waitcnt lgkmcnt(0)
	v_fma_f64 v[30:31], v[28:29], v[36:37], v[30:31]
	v_add_f64 v[14:15], v[14:15], -v[30:31]
	v_cmpx_lt_u32_e32 5, v0
	s_cbranch_execz .LBB13_96
; %bb.95:
	v_mov_b32_e32 v30, v2
	v_mov_b32_e32 v34, v6
	;; [unrolled: 1-line block ×27, first 2 shown]
	ds_write_b64 v1, v[12:13]
	v_mov_b32_e32 v2, v30
	v_mov_b32_e32 v3, v31
	;; [unrolled: 1-line block ×32, first 2 shown]
.LBB13_96:
	s_or_b32 exec_lo, exec_lo, s0
	s_waitcnt lgkmcnt(0)
	s_barrier
	buffer_gl0_inv
	ds_read_b128 v[30:33], v40 offset:160
	ds_read_b128 v[34:37], v40 offset:176
	s_mov_b32 s0, exec_lo
	s_waitcnt lgkmcnt(1)
	v_fma_f64 v[30:31], v[14:15], v[30:31], 0
	v_fma_f64 v[30:31], v[16:17], v[32:33], v[30:31]
	s_waitcnt lgkmcnt(0)
	v_fma_f64 v[30:31], v[18:19], v[34:35], v[30:31]
	v_fma_f64 v[38:39], v[20:21], v[36:37], v[30:31]
	ds_read_b128 v[30:33], v40 offset:192
	ds_read_b128 v[34:37], v40 offset:208
	s_waitcnt lgkmcnt(1)
	v_fma_f64 v[30:31], v[22:23], v[30:31], v[38:39]
	v_fma_f64 v[30:31], v[24:25], v[32:33], v[30:31]
	s_waitcnt lgkmcnt(0)
	v_fma_f64 v[30:31], v[26:27], v[34:35], v[30:31]
	v_fma_f64 v[30:31], v[28:29], v[36:37], v[30:31]
	v_add_f64 v[12:13], v[12:13], -v[30:31]
	v_cmpx_lt_u32_e32 4, v0
	s_cbranch_execz .LBB13_98
; %bb.97:
	v_mov_b32_e32 v38, 0
	v_mov_b32_e32 v30, v2
	;; [unrolled: 1-line block ×28, first 2 shown]
	ds_write_b64 v1, v[10:11]
	v_mov_b32_e32 v2, v30
	v_mov_b32_e32 v3, v31
	;; [unrolled: 1-line block ×32, first 2 shown]
.LBB13_98:
	s_or_b32 exec_lo, exec_lo, s0
	v_mov_b32_e32 v36, 0
	s_waitcnt lgkmcnt(0)
	s_barrier
	buffer_gl0_inv
	s_mov_b32 s0, exec_lo
	ds_read2_b64 v[30:33], v36 offset0:19 offset1:20
	ds_read2_b64 v[37:40], v36 offset0:21 offset1:22
	s_waitcnt lgkmcnt(1)
	v_fma_f64 v[30:31], v[12:13], v[30:31], 0
	v_fma_f64 v[30:31], v[14:15], v[32:33], v[30:31]
	s_waitcnt lgkmcnt(0)
	v_fma_f64 v[30:31], v[16:17], v[37:38], v[30:31]
	v_fma_f64 v[34:35], v[18:19], v[39:40], v[30:31]
	ds_read2_b64 v[30:33], v36 offset0:23 offset1:24
	ds_read2_b64 v[37:40], v36 offset0:25 offset1:26
	s_waitcnt lgkmcnt(1)
	v_fma_f64 v[30:31], v[20:21], v[30:31], v[34:35]
	v_fma_f64 v[30:31], v[22:23], v[32:33], v[30:31]
	ds_read_b64 v[32:33], v36 offset:216
	s_waitcnt lgkmcnt(1)
	v_fma_f64 v[30:31], v[24:25], v[37:38], v[30:31]
	v_fma_f64 v[30:31], v[26:27], v[39:40], v[30:31]
	s_waitcnt lgkmcnt(0)
	v_fma_f64 v[30:31], v[28:29], v[32:33], v[30:31]
	v_add_f64 v[10:11], v[10:11], -v[30:31]
	v_cmpx_lt_u32_e32 3, v0
	s_cbranch_execz .LBB13_100
; %bb.99:
	v_mov_b32_e32 v30, v2
	v_mov_b32_e32 v34, v6
	;; [unrolled: 1-line block ×61, first 2 shown]
	ds_write_b64 v1, v[58:59]
.LBB13_100:
	s_or_b32 exec_lo, exec_lo, s0
	s_waitcnt lgkmcnt(0)
	s_barrier
	buffer_gl0_inv
	ds_read_b128 v[30:33], v36 offset:144
	ds_read_b128 v[37:40], v36 offset:160
	s_mov_b32 s0, exec_lo
	s_waitcnt lgkmcnt(1)
	v_fma_f64 v[30:31], v[10:11], v[30:31], 0
	v_fma_f64 v[30:31], v[12:13], v[32:33], v[30:31]
	s_waitcnt lgkmcnt(0)
	v_fma_f64 v[30:31], v[14:15], v[37:38], v[30:31]
	v_fma_f64 v[34:35], v[16:17], v[39:40], v[30:31]
	ds_read_b128 v[30:33], v36 offset:176
	ds_read_b128 v[37:40], v36 offset:192
	s_waitcnt lgkmcnt(1)
	v_fma_f64 v[30:31], v[18:19], v[30:31], v[34:35]
	v_fma_f64 v[30:31], v[20:21], v[32:33], v[30:31]
	s_waitcnt lgkmcnt(0)
	v_fma_f64 v[30:31], v[22:23], v[37:38], v[30:31]
	v_fma_f64 v[34:35], v[24:25], v[39:40], v[30:31]
	ds_read_b128 v[30:33], v36 offset:208
	s_waitcnt lgkmcnt(0)
	v_fma_f64 v[30:31], v[26:27], v[30:31], v[34:35]
	v_fma_f64 v[30:31], v[28:29], v[32:33], v[30:31]
	v_add_f64 v[8:9], v[8:9], -v[30:31]
	v_cmpx_lt_u32_e32 2, v0
	s_cbranch_execz .LBB13_102
; %bb.101:
	v_mov_b32_e32 v34, 0
	v_mov_b32_e32 v30, v2
	;; [unrolled: 1-line block ×62, first 2 shown]
	ds_write_b64 v1, v[58:59]
.LBB13_102:
	s_or_b32 exec_lo, exec_lo, s0
	v_mov_b32_e32 v34, 0
	s_waitcnt lgkmcnt(0)
	s_barrier
	buffer_gl0_inv
	s_mov_b32 s0, exec_lo
	ds_read2_b64 v[30:33], v34 offset0:17 offset1:18
	ds_read2_b64 v[35:38], v34 offset0:19 offset1:20
	s_waitcnt lgkmcnt(1)
	v_fma_f64 v[30:31], v[8:9], v[30:31], 0
	v_fma_f64 v[30:31], v[10:11], v[32:33], v[30:31]
	s_waitcnt lgkmcnt(0)
	v_fma_f64 v[30:31], v[12:13], v[35:36], v[30:31]
	v_fma_f64 v[39:40], v[14:15], v[37:38], v[30:31]
	ds_read2_b64 v[30:33], v34 offset0:21 offset1:22
	ds_read2_b64 v[35:38], v34 offset0:23 offset1:24
	s_waitcnt lgkmcnt(1)
	v_fma_f64 v[30:31], v[16:17], v[30:31], v[39:40]
	v_fma_f64 v[30:31], v[18:19], v[32:33], v[30:31]
	s_waitcnt lgkmcnt(0)
	v_fma_f64 v[30:31], v[20:21], v[35:36], v[30:31]
	v_fma_f64 v[35:36], v[22:23], v[37:38], v[30:31]
	ds_read2_b64 v[30:33], v34 offset0:25 offset1:26
	ds_read_b64 v[37:38], v34 offset:216
	s_waitcnt lgkmcnt(1)
	v_fma_f64 v[30:31], v[24:25], v[30:31], v[35:36]
	v_fma_f64 v[30:31], v[26:27], v[32:33], v[30:31]
	s_waitcnt lgkmcnt(0)
	v_fma_f64 v[30:31], v[28:29], v[37:38], v[30:31]
	v_add_f64 v[6:7], v[6:7], -v[30:31]
	v_cmpx_lt_u32_e32 1, v0
	s_cbranch_execz .LBB13_104
; %bb.103:
	v_mov_b32_e32 v32, v2
	v_mov_b32_e32 v35, v34
	;; [unrolled: 1-line block ×61, first 2 shown]
	ds_write_b64 v1, v[88:89]
.LBB13_104:
	s_or_b32 exec_lo, exec_lo, s0
	s_waitcnt lgkmcnt(0)
	s_barrier
	buffer_gl0_inv
	ds_read_b128 v[30:33], v34 offset:128
	ds_read_b128 v[35:38], v34 offset:144
	s_mov_b32 s0, exec_lo
	s_waitcnt lgkmcnt(1)
	v_fma_f64 v[30:31], v[6:7], v[30:31], 0
	v_fma_f64 v[30:31], v[8:9], v[32:33], v[30:31]
	s_waitcnt lgkmcnt(0)
	v_fma_f64 v[30:31], v[10:11], v[35:36], v[30:31]
	v_fma_f64 v[39:40], v[12:13], v[37:38], v[30:31]
	ds_read_b128 v[30:33], v34 offset:160
	ds_read_b128 v[35:38], v34 offset:176
	s_waitcnt lgkmcnt(1)
	v_fma_f64 v[30:31], v[14:15], v[30:31], v[39:40]
	v_fma_f64 v[30:31], v[16:17], v[32:33], v[30:31]
	s_waitcnt lgkmcnt(0)
	v_fma_f64 v[30:31], v[18:19], v[35:36], v[30:31]
	v_fma_f64 v[38:39], v[20:21], v[37:38], v[30:31]
	ds_read_b128 v[30:33], v34 offset:192
	ds_read_b128 v[34:37], v34 offset:208
	s_waitcnt lgkmcnt(1)
	v_fma_f64 v[30:31], v[22:23], v[30:31], v[38:39]
	v_fma_f64 v[30:31], v[24:25], v[32:33], v[30:31]
	s_waitcnt lgkmcnt(0)
	v_fma_f64 v[30:31], v[26:27], v[34:35], v[30:31]
	v_fma_f64 v[30:31], v[28:29], v[36:37], v[30:31]
	v_add_f64 v[4:5], v[4:5], -v[30:31]
	v_cmpx_ne_u32_e32 0, v0
	s_cbranch_execz .LBB13_106
; %bb.105:
	v_mov_b32_e32 v30, 0
	v_mov_b32_e32 v34, v6
	;; [unrolled: 1-line block ×62, first 2 shown]
	ds_write_b64 v1, v[58:59]
.LBB13_106:
	s_or_b32 exec_lo, exec_lo, s0
	v_mov_b32_e32 v0, 0
	s_waitcnt lgkmcnt(0)
	s_barrier
	buffer_gl0_inv
	s_and_b32 vcc_lo, exec_lo, s22
	ds_read2_b64 v[30:33], v0 offset0:15 offset1:16
	ds_read2_b64 v[34:37], v0 offset0:17 offset1:18
	s_waitcnt lgkmcnt(1)
	v_fma_f64 v[30:31], v[4:5], v[30:31], 0
	v_fma_f64 v[30:31], v[6:7], v[32:33], v[30:31]
	s_waitcnt lgkmcnt(0)
	v_fma_f64 v[30:31], v[8:9], v[34:35], v[30:31]
	v_fma_f64 v[38:39], v[10:11], v[36:37], v[30:31]
	ds_read2_b64 v[30:33], v0 offset0:19 offset1:20
	ds_read2_b64 v[34:37], v0 offset0:21 offset1:22
	s_waitcnt lgkmcnt(1)
	v_fma_f64 v[30:31], v[12:13], v[30:31], v[38:39]
	v_fma_f64 v[30:31], v[14:15], v[32:33], v[30:31]
	s_waitcnt lgkmcnt(0)
	v_fma_f64 v[30:31], v[16:17], v[34:35], v[30:31]
	v_fma_f64 v[38:39], v[18:19], v[36:37], v[30:31]
	ds_read2_b64 v[30:33], v0 offset0:23 offset1:24
	ds_read2_b64 v[34:37], v0 offset0:25 offset1:26
	s_waitcnt lgkmcnt(1)
	v_fma_f64 v[30:31], v[20:21], v[30:31], v[38:39]
	v_fma_f64 v[30:31], v[22:23], v[32:33], v[30:31]
	ds_read_b64 v[32:33], v0 offset:216
	s_waitcnt lgkmcnt(1)
	v_fma_f64 v[30:31], v[24:25], v[34:35], v[30:31]
	v_fma_f64 v[30:31], v[26:27], v[36:37], v[30:31]
	s_waitcnt lgkmcnt(0)
	v_fma_f64 v[30:31], v[28:29], v[32:33], v[30:31]
	v_add_f64 v[2:3], v[2:3], -v[30:31]
	s_cbranch_vccz .LBB13_133
; %bb.107:
	global_load_dword v0, v0, s[20:21] offset:48
	s_waitcnt vmcnt(0)
	v_readfirstlane_b32 s0, v0
	s_add_i32 s0, s0, -1
	s_cmp_lg_u32 s0, 12
	s_cbranch_scc0 .LBB13_109
; %bb.108:
	s_lshl_b32 m0, s0, 1
	v_movrels_b32_e32 v0, v2
	v_movrels_b32_e32 v1, v3
	v_mov_b32_e32 v59, v33
	v_mov_b32_e32 v58, v32
	;; [unrolled: 1-line block ×34, first 2 shown]
	v_movreld_b32_e32 v28, v26
	v_movreld_b32_e32 v29, v27
	v_mov_b32_e32 v2, v28
	v_mov_b32_e32 v3, v29
	;; [unrolled: 1-line block ×32, first 2 shown]
.LBB13_109:
	v_mov_b32_e32 v0, 0
	global_load_dword v1, v0, s[20:21] offset:44
	s_waitcnt vmcnt(0)
	v_readfirstlane_b32 s0, v1
	s_add_i32 s0, s0, -1
	s_cmp_eq_u32 s0, 11
	s_cbranch_scc1 .LBB13_111
; %bb.110:
	s_lshl_b32 m0, s0, 1
	v_movrels_b32_e32 v1, v2
	v_movrels_b32_e32 v58, v3
	v_mov_b32_e32 v57, v33
	v_mov_b32_e32 v56, v32
	;; [unrolled: 1-line block ×34, first 2 shown]
	v_movreld_b32_e32 v26, v24
	v_movreld_b32_e32 v27, v25
	v_mov_b32_e32 v2, v26
	v_mov_b32_e32 v3, v27
	;; [unrolled: 1-line block ×32, first 2 shown]
.LBB13_111:
	global_load_dword v0, v0, s[20:21] offset:40
	s_waitcnt vmcnt(0)
	v_readfirstlane_b32 s0, v0
	s_add_i32 s0, s0, -1
	s_cmp_eq_u32 s0, 10
	s_cbranch_scc1 .LBB13_113
; %bb.112:
	s_lshl_b32 m0, s0, 1
	v_movrels_b32_e32 v0, v2
	v_movrels_b32_e32 v1, v3
	v_mov_b32_e32 v55, v33
	v_mov_b32_e32 v54, v32
	;; [unrolled: 1-line block ×34, first 2 shown]
	v_movreld_b32_e32 v24, v22
	v_movreld_b32_e32 v25, v23
	v_mov_b32_e32 v2, v24
	v_mov_b32_e32 v3, v25
	;; [unrolled: 1-line block ×32, first 2 shown]
.LBB13_113:
	v_mov_b32_e32 v0, 0
	global_load_dword v1, v0, s[20:21] offset:36
	s_waitcnt vmcnt(0)
	v_readfirstlane_b32 s0, v1
	s_add_i32 s0, s0, -1
	s_cmp_eq_u32 s0, 9
	s_cbranch_scc1 .LBB13_115
; %bb.114:
	s_lshl_b32 m0, s0, 1
	v_movrels_b32_e32 v1, v2
	v_movrels_b32_e32 v54, v3
	v_mov_b32_e32 v53, v33
	v_mov_b32_e32 v52, v32
	;; [unrolled: 1-line block ×34, first 2 shown]
	v_movreld_b32_e32 v22, v20
	v_movreld_b32_e32 v23, v21
	v_mov_b32_e32 v2, v22
	v_mov_b32_e32 v3, v23
	;; [unrolled: 1-line block ×32, first 2 shown]
.LBB13_115:
	global_load_dword v0, v0, s[20:21] offset:32
	s_waitcnt vmcnt(0)
	v_readfirstlane_b32 s0, v0
	s_add_i32 s0, s0, -1
	s_cmp_eq_u32 s0, 8
	s_cbranch_scc1 .LBB13_117
; %bb.116:
	s_lshl_b32 m0, s0, 1
	v_movrels_b32_e32 v0, v2
	v_movrels_b32_e32 v1, v3
	v_mov_b32_e32 v51, v33
	v_mov_b32_e32 v50, v32
	;; [unrolled: 1-line block ×34, first 2 shown]
	v_movreld_b32_e32 v20, v18
	v_movreld_b32_e32 v21, v19
	v_mov_b32_e32 v2, v20
	v_mov_b32_e32 v3, v21
	;; [unrolled: 1-line block ×32, first 2 shown]
.LBB13_117:
	v_mov_b32_e32 v0, 0
	global_load_dword v1, v0, s[20:21] offset:28
	s_waitcnt vmcnt(0)
	v_readfirstlane_b32 s0, v1
	s_add_i32 s0, s0, -1
	s_cmp_eq_u32 s0, 7
	s_cbranch_scc1 .LBB13_119
; %bb.118:
	s_lshl_b32 m0, s0, 1
	v_movrels_b32_e32 v1, v2
	v_movrels_b32_e32 v50, v3
	v_mov_b32_e32 v49, v33
	v_mov_b32_e32 v48, v32
	;; [unrolled: 1-line block ×34, first 2 shown]
	v_movreld_b32_e32 v18, v16
	v_movreld_b32_e32 v19, v17
	v_mov_b32_e32 v2, v18
	v_mov_b32_e32 v3, v19
	;; [unrolled: 1-line block ×32, first 2 shown]
.LBB13_119:
	global_load_dword v0, v0, s[20:21] offset:24
	s_waitcnt vmcnt(0)
	v_readfirstlane_b32 s0, v0
	s_add_i32 s0, s0, -1
	s_cmp_eq_u32 s0, 6
	s_cbranch_scc1 .LBB13_121
; %bb.120:
	s_lshl_b32 m0, s0, 1
	v_movrels_b32_e32 v0, v2
	v_movrels_b32_e32 v1, v3
	v_mov_b32_e32 v47, v33
	v_mov_b32_e32 v46, v32
	;; [unrolled: 1-line block ×34, first 2 shown]
	v_movreld_b32_e32 v16, v14
	v_movreld_b32_e32 v17, v15
	v_mov_b32_e32 v2, v16
	v_mov_b32_e32 v3, v17
	;; [unrolled: 1-line block ×32, first 2 shown]
.LBB13_121:
	v_mov_b32_e32 v0, 0
	global_load_dword v1, v0, s[20:21] offset:20
	s_waitcnt vmcnt(0)
	v_readfirstlane_b32 s0, v1
	s_add_i32 s0, s0, -1
	s_cmp_eq_u32 s0, 5
	s_cbranch_scc1 .LBB13_123
; %bb.122:
	s_lshl_b32 m0, s0, 1
	v_movrels_b32_e32 v1, v2
	v_movrels_b32_e32 v46, v3
	v_mov_b32_e32 v45, v33
	v_mov_b32_e32 v44, v32
	v_mov_b32_e32 v43, v31
	v_mov_b32_e32 v42, v30
	v_mov_b32_e32 v41, v29
	v_mov_b32_e32 v40, v28
	v_mov_b32_e32 v39, v27
	v_mov_b32_e32 v38, v26
	v_mov_b32_e32 v37, v25
	v_mov_b32_e32 v36, v24
	v_mov_b32_e32 v35, v23
	v_mov_b32_e32 v34, v22
	v_mov_b32_e32 v33, v21
	v_mov_b32_e32 v32, v20
	v_mov_b32_e32 v31, v19
	v_mov_b32_e32 v30, v18
	v_mov_b32_e32 v29, v17
	v_mov_b32_e32 v28, v16
	v_mov_b32_e32 v27, v15
	v_mov_b32_e32 v26, v14
	v_mov_b32_e32 v25, v13
	v_mov_b32_e32 v24, v12
	v_mov_b32_e32 v23, v11
	v_mov_b32_e32 v22, v10
	v_mov_b32_e32 v21, v9
	v_mov_b32_e32 v20, v8
	v_mov_b32_e32 v19, v7
	v_mov_b32_e32 v18, v6
	v_mov_b32_e32 v17, v5
	v_mov_b32_e32 v16, v4
	v_mov_b32_e32 v15, v3
	v_mov_b32_e32 v14, v2
	v_mov_b32_e32 v24, v1
	v_mov_b32_e32 v25, v46
	v_movreld_b32_e32 v14, v12
	v_movreld_b32_e32 v15, v13
	v_mov_b32_e32 v2, v14
	v_mov_b32_e32 v3, v15
	v_mov_b32_e32 v4, v16
	v_mov_b32_e32 v5, v17
	v_mov_b32_e32 v6, v18
	v_mov_b32_e32 v7, v19
	v_mov_b32_e32 v8, v20
	v_mov_b32_e32 v9, v21
	v_mov_b32_e32 v10, v22
	v_mov_b32_e32 v11, v23
	v_mov_b32_e32 v12, v24
	v_mov_b32_e32 v13, v25
	v_mov_b32_e32 v14, v26
	v_mov_b32_e32 v15, v27
	v_mov_b32_e32 v16, v28
	v_mov_b32_e32 v17, v29
	v_mov_b32_e32 v18, v30
	v_mov_b32_e32 v19, v31
	v_mov_b32_e32 v20, v32
	v_mov_b32_e32 v21, v33
	v_mov_b32_e32 v22, v34
	v_mov_b32_e32 v23, v35
	v_mov_b32_e32 v24, v36
	v_mov_b32_e32 v25, v37
	v_mov_b32_e32 v26, v38
	v_mov_b32_e32 v27, v39
	v_mov_b32_e32 v28, v40
	v_mov_b32_e32 v29, v41
	v_mov_b32_e32 v30, v42
	v_mov_b32_e32 v31, v43
	v_mov_b32_e32 v32, v44
	v_mov_b32_e32 v33, v45
.LBB13_123:
	global_load_dword v0, v0, s[20:21] offset:16
	s_waitcnt vmcnt(0)
	v_readfirstlane_b32 s0, v0
	s_add_i32 s0, s0, -1
	s_cmp_eq_u32 s0, 4
	s_cbranch_scc1 .LBB13_125
; %bb.124:
	s_lshl_b32 m0, s0, 1
	v_movrels_b32_e32 v0, v2
	v_movrels_b32_e32 v1, v3
	v_mov_b32_e32 v43, v33
	v_mov_b32_e32 v42, v32
	;; [unrolled: 1-line block ×34, first 2 shown]
	v_movreld_b32_e32 v12, v10
	v_movreld_b32_e32 v13, v11
	v_mov_b32_e32 v2, v12
	v_mov_b32_e32 v3, v13
	;; [unrolled: 1-line block ×32, first 2 shown]
.LBB13_125:
	v_mov_b32_e32 v0, 0
	global_load_dword v1, v0, s[20:21] offset:12
	s_waitcnt vmcnt(0)
	v_readfirstlane_b32 s0, v1
	s_add_i32 s0, s0, -1
	s_cmp_eq_u32 s0, 3
	s_cbranch_scc1 .LBB13_127
; %bb.126:
	s_lshl_b32 m0, s0, 1
	v_movrels_b32_e32 v1, v2
	v_movrels_b32_e32 v42, v3
	v_mov_b32_e32 v41, v33
	v_mov_b32_e32 v40, v32
	;; [unrolled: 1-line block ×34, first 2 shown]
	v_movreld_b32_e32 v10, v8
	v_movreld_b32_e32 v11, v9
	v_mov_b32_e32 v2, v10
	v_mov_b32_e32 v3, v11
	;; [unrolled: 1-line block ×32, first 2 shown]
.LBB13_127:
	global_load_dword v0, v0, s[20:21] offset:8
	s_waitcnt vmcnt(0)
	v_readfirstlane_b32 s0, v0
	s_add_i32 s0, s0, -1
	s_cmp_eq_u32 s0, 2
	s_cbranch_scc1 .LBB13_129
; %bb.128:
	s_lshl_b32 m0, s0, 1
	v_movrels_b32_e32 v0, v2
	v_movrels_b32_e32 v1, v3
	v_mov_b32_e32 v39, v33
	v_mov_b32_e32 v38, v32
	;; [unrolled: 1-line block ×34, first 2 shown]
	v_movreld_b32_e32 v8, v6
	v_movreld_b32_e32 v9, v7
	v_mov_b32_e32 v2, v8
	v_mov_b32_e32 v3, v9
	;; [unrolled: 1-line block ×32, first 2 shown]
.LBB13_129:
	v_mov_b32_e32 v0, 0
	global_load_dword v1, v0, s[20:21] offset:4
	s_waitcnt vmcnt(0)
	v_readfirstlane_b32 s0, v1
	s_add_i32 s0, s0, -1
	s_cmp_eq_u32 s0, 1
	s_cbranch_scc1 .LBB13_131
; %bb.130:
	s_lshl_b32 m0, s0, 1
	v_movrels_b32_e32 v1, v2
	v_movrels_b32_e32 v38, v3
	v_mov_b32_e32 v37, v33
	v_mov_b32_e32 v36, v32
	;; [unrolled: 1-line block ×34, first 2 shown]
	v_movreld_b32_e32 v6, v4
	v_movreld_b32_e32 v7, v5
	v_mov_b32_e32 v2, v6
	v_mov_b32_e32 v3, v7
	;; [unrolled: 1-line block ×32, first 2 shown]
.LBB13_131:
	global_load_dword v0, v0, s[20:21]
	s_waitcnt vmcnt(0)
	v_readfirstlane_b32 s0, v0
	s_add_i32 s0, s0, -1
	s_cmp_eq_u32 s0, 0
	s_cbranch_scc1 .LBB13_133
; %bb.132:
	s_lshl_b32 m0, s0, 1
	v_movrels_b32_e32 v0, v2
	v_movrels_b32_e32 v1, v3
	v_mov_b32_e32 v35, v33
	v_mov_b32_e32 v34, v32
	;; [unrolled: 1-line block ×34, first 2 shown]
	v_movreld_b32_e32 v4, v2
	v_movreld_b32_e32 v5, v3
	v_mov_b32_e32 v2, v4
	v_mov_b32_e32 v3, v5
	;; [unrolled: 1-line block ×32, first 2 shown]
.LBB13_133:
	v_mov_b32_e32 v0, v2
	v_mov_b32_e32 v1, v3
	;; [unrolled: 1-line block ×8, first 2 shown]
	global_store_dwordx2 v[60:61], v[0:1], off
	global_store_dwordx2 v[62:63], v[2:3], off
	;; [unrolled: 1-line block ×4, first 2 shown]
	v_mov_b32_e32 v0, v10
	v_mov_b32_e32 v1, v11
	;; [unrolled: 1-line block ×10, first 2 shown]
	global_store_dwordx2 v[66:67], v[0:1], off
	global_store_dwordx2 v[70:71], v[2:3], off
	;; [unrolled: 1-line block ×5, first 2 shown]
	v_mov_b32_e32 v0, v20
	v_mov_b32_e32 v1, v21
	;; [unrolled: 1-line block ×10, first 2 shown]
	global_store_dwordx2 v[76:77], v[0:1], off
	global_store_dwordx2 v[80:81], v[2:3], off
	;; [unrolled: 1-line block ×5, first 2 shown]
	s_endpgm
	.section	.rodata,"a",@progbits
	.p2align	6, 0x0
	.amdhsa_kernel _ZN9rocsolver6v33100L18getri_kernel_smallILi14EdPdEEvT1_iilPiilS4_bb
		.amdhsa_group_segment_fixed_size 232
		.amdhsa_private_segment_fixed_size 0
		.amdhsa_kernarg_size 60
		.amdhsa_user_sgpr_count 6
		.amdhsa_user_sgpr_private_segment_buffer 1
		.amdhsa_user_sgpr_dispatch_ptr 0
		.amdhsa_user_sgpr_queue_ptr 0
		.amdhsa_user_sgpr_kernarg_segment_ptr 1
		.amdhsa_user_sgpr_dispatch_id 0
		.amdhsa_user_sgpr_flat_scratch_init 0
		.amdhsa_user_sgpr_private_segment_size 0
		.amdhsa_wavefront_size32 1
		.amdhsa_uses_dynamic_stack 0
		.amdhsa_system_sgpr_private_segment_wavefront_offset 0
		.amdhsa_system_sgpr_workgroup_id_x 1
		.amdhsa_system_sgpr_workgroup_id_y 0
		.amdhsa_system_sgpr_workgroup_id_z 0
		.amdhsa_system_sgpr_workgroup_info 0
		.amdhsa_system_vgpr_workitem_id 0
		.amdhsa_next_free_vgpr 90
		.amdhsa_next_free_sgpr 23
		.amdhsa_reserve_vcc 1
		.amdhsa_reserve_flat_scratch 0
		.amdhsa_float_round_mode_32 0
		.amdhsa_float_round_mode_16_64 0
		.amdhsa_float_denorm_mode_32 3
		.amdhsa_float_denorm_mode_16_64 3
		.amdhsa_dx10_clamp 1
		.amdhsa_ieee_mode 1
		.amdhsa_fp16_overflow 0
		.amdhsa_workgroup_processor_mode 1
		.amdhsa_memory_ordered 1
		.amdhsa_forward_progress 1
		.amdhsa_shared_vgpr_count 0
		.amdhsa_exception_fp_ieee_invalid_op 0
		.amdhsa_exception_fp_denorm_src 0
		.amdhsa_exception_fp_ieee_div_zero 0
		.amdhsa_exception_fp_ieee_overflow 0
		.amdhsa_exception_fp_ieee_underflow 0
		.amdhsa_exception_fp_ieee_inexact 0
		.amdhsa_exception_int_div_zero 0
	.end_amdhsa_kernel
	.section	.text._ZN9rocsolver6v33100L18getri_kernel_smallILi14EdPdEEvT1_iilPiilS4_bb,"axG",@progbits,_ZN9rocsolver6v33100L18getri_kernel_smallILi14EdPdEEvT1_iilPiilS4_bb,comdat
.Lfunc_end13:
	.size	_ZN9rocsolver6v33100L18getri_kernel_smallILi14EdPdEEvT1_iilPiilS4_bb, .Lfunc_end13-_ZN9rocsolver6v33100L18getri_kernel_smallILi14EdPdEEvT1_iilPiilS4_bb
                                        ; -- End function
	.set _ZN9rocsolver6v33100L18getri_kernel_smallILi14EdPdEEvT1_iilPiilS4_bb.num_vgpr, 90
	.set _ZN9rocsolver6v33100L18getri_kernel_smallILi14EdPdEEvT1_iilPiilS4_bb.num_agpr, 0
	.set _ZN9rocsolver6v33100L18getri_kernel_smallILi14EdPdEEvT1_iilPiilS4_bb.numbered_sgpr, 23
	.set _ZN9rocsolver6v33100L18getri_kernel_smallILi14EdPdEEvT1_iilPiilS4_bb.num_named_barrier, 0
	.set _ZN9rocsolver6v33100L18getri_kernel_smallILi14EdPdEEvT1_iilPiilS4_bb.private_seg_size, 0
	.set _ZN9rocsolver6v33100L18getri_kernel_smallILi14EdPdEEvT1_iilPiilS4_bb.uses_vcc, 1
	.set _ZN9rocsolver6v33100L18getri_kernel_smallILi14EdPdEEvT1_iilPiilS4_bb.uses_flat_scratch, 0
	.set _ZN9rocsolver6v33100L18getri_kernel_smallILi14EdPdEEvT1_iilPiilS4_bb.has_dyn_sized_stack, 0
	.set _ZN9rocsolver6v33100L18getri_kernel_smallILi14EdPdEEvT1_iilPiilS4_bb.has_recursion, 0
	.set _ZN9rocsolver6v33100L18getri_kernel_smallILi14EdPdEEvT1_iilPiilS4_bb.has_indirect_call, 0
	.section	.AMDGPU.csdata,"",@progbits
; Kernel info:
; codeLenInByte = 18472
; TotalNumSgprs: 25
; NumVgprs: 90
; ScratchSize: 0
; MemoryBound: 0
; FloatMode: 240
; IeeeMode: 1
; LDSByteSize: 232 bytes/workgroup (compile time only)
; SGPRBlocks: 0
; VGPRBlocks: 11
; NumSGPRsForWavesPerEU: 25
; NumVGPRsForWavesPerEU: 90
; Occupancy: 10
; WaveLimiterHint : 0
; COMPUTE_PGM_RSRC2:SCRATCH_EN: 0
; COMPUTE_PGM_RSRC2:USER_SGPR: 6
; COMPUTE_PGM_RSRC2:TRAP_HANDLER: 0
; COMPUTE_PGM_RSRC2:TGID_X_EN: 1
; COMPUTE_PGM_RSRC2:TGID_Y_EN: 0
; COMPUTE_PGM_RSRC2:TGID_Z_EN: 0
; COMPUTE_PGM_RSRC2:TIDIG_COMP_CNT: 0
	.section	.text._ZN9rocsolver6v33100L18getri_kernel_smallILi15EdPdEEvT1_iilPiilS4_bb,"axG",@progbits,_ZN9rocsolver6v33100L18getri_kernel_smallILi15EdPdEEvT1_iilPiilS4_bb,comdat
	.globl	_ZN9rocsolver6v33100L18getri_kernel_smallILi15EdPdEEvT1_iilPiilS4_bb ; -- Begin function _ZN9rocsolver6v33100L18getri_kernel_smallILi15EdPdEEvT1_iilPiilS4_bb
	.p2align	8
	.type	_ZN9rocsolver6v33100L18getri_kernel_smallILi15EdPdEEvT1_iilPiilS4_bb,@function
_ZN9rocsolver6v33100L18getri_kernel_smallILi15EdPdEEvT1_iilPiilS4_bb: ; @_ZN9rocsolver6v33100L18getri_kernel_smallILi15EdPdEEvT1_iilPiilS4_bb
; %bb.0:
	s_mov_b32 s0, exec_lo
	v_cmpx_gt_u32_e32 15, v0
	s_cbranch_execz .LBB14_16
; %bb.1:
	s_clause 0x2
	s_load_dword s0, s[4:5], 0x38
	s_load_dwordx4 s[8:11], s[4:5], 0x10
	s_load_dwordx4 s[16:19], s[4:5], 0x28
                                        ; implicit-def: $sgpr20_sgpr21
	s_waitcnt lgkmcnt(0)
	s_bitcmp1_b32 s0, 8
	s_cselect_b32 s22, -1, 0
	s_bfe_u32 s0, s0, 0x10008
	s_ashr_i32 s7, s6, 31
	s_cmp_eq_u32 s0, 0
	s_cbranch_scc1 .LBB14_3
; %bb.2:
	s_load_dword s0, s[4:5], 0x20
	s_mul_i32 s1, s16, s7
	s_mul_hi_u32 s2, s16, s6
	s_mul_i32 s3, s17, s6
	s_add_i32 s1, s2, s1
	s_mul_i32 s2, s16, s6
	s_add_i32 s3, s1, s3
	s_lshl_b64 s[2:3], s[2:3], 2
	s_waitcnt lgkmcnt(0)
	s_ashr_i32 s1, s0, 31
	s_add_u32 s2, s10, s2
	s_addc_u32 s3, s11, s3
	s_lshl_b64 s[0:1], s[0:1], 2
	s_add_u32 s20, s2, s0
	s_addc_u32 s21, s3, s1
.LBB14_3:
	s_clause 0x1
	s_load_dwordx4 s[0:3], s[4:5], 0x0
	s_load_dword s4, s[4:5], 0x38
	s_mul_i32 s5, s8, s7
	s_mul_hi_u32 s10, s8, s6
	s_mul_i32 s9, s9, s6
	s_add_i32 s5, s10, s5
	s_mul_i32 s8, s8, s6
	s_add_i32 s9, s5, s9
	v_lshlrev_b32_e32 v34, 3, v0
	s_lshl_b64 s[8:9], s[8:9], 3
	s_waitcnt lgkmcnt(0)
	v_add3_u32 v1, s3, s3, v0
	s_ashr_i32 s11, s2, 31
	s_mov_b32 s10, s2
	s_add_u32 s2, s0, s8
	s_addc_u32 s5, s1, s9
	v_add_nc_u32_e32 v3, s3, v1
	s_lshl_b64 s[0:1], s[10:11], 3
	v_ashrrev_i32_e32 v2, 31, v1
	s_add_u32 s0, s2, s0
	s_addc_u32 s1, s5, s1
	v_add_nc_u32_e32 v5, s3, v3
	v_add_co_u32 v64, s2, s0, v34
	s_mov_b32 s8, s3
	s_ashr_i32 s9, s3, 31
	v_lshlrev_b64 v[1:2], 3, v[1:2]
	v_ashrrev_i32_e32 v4, 31, v3
	v_add_co_ci_u32_e64 v65, null, s1, 0, s2
	s_lshl_b64 s[8:9], s[8:9], 3
	v_ashrrev_i32_e32 v6, 31, v5
	v_add_nc_u32_e32 v7, s3, v5
	v_add_co_u32 v66, vcc_lo, v64, s8
	v_lshlrev_b64 v[3:4], 3, v[3:4]
	v_add_co_ci_u32_e64 v67, null, s9, v65, vcc_lo
	v_add_co_u32 v68, vcc_lo, s0, v1
	v_add_co_ci_u32_e64 v69, null, s1, v2, vcc_lo
	v_lshlrev_b64 v[1:2], 3, v[5:6]
	v_ashrrev_i32_e32 v8, 31, v7
	v_add_nc_u32_e32 v5, s3, v7
	v_add_co_u32 v70, vcc_lo, s0, v3
	v_add_co_ci_u32_e64 v71, null, s1, v4, vcc_lo
	v_lshlrev_b64 v[3:4], 3, v[7:8]
	v_ashrrev_i32_e32 v6, 31, v5
	v_add_nc_u32_e32 v7, s3, v5
	;; [unrolled: 5-line block ×8, first 2 shown]
	v_add_co_u32 v82, vcc_lo, s0, v1
	v_add_co_ci_u32_e64 v83, null, s1, v2, vcc_lo
	v_lshlrev_b64 v[1:2], 3, v[5:6]
	v_add_nc_u32_e32 v5, s3, v7
	v_ashrrev_i32_e32 v8, 31, v7
	v_add_co_u32 v86, vcc_lo, s0, v3
	v_add_co_ci_u32_e64 v87, null, s1, v4, vcc_lo
	v_ashrrev_i32_e32 v6, 31, v5
	v_lshlrev_b64 v[3:4], 3, v[7:8]
	v_add_co_u32 v88, vcc_lo, s0, v1
	v_add_co_ci_u32_e64 v89, null, s1, v2, vcc_lo
	v_lshlrev_b64 v[1:2], 3, v[5:6]
	v_add_co_u32 v90, vcc_lo, s0, v3
	v_add_co_ci_u32_e64 v91, null, s1, v4, vcc_lo
	s_bitcmp0_b32 s4, 0
	v_add_co_u32 v92, vcc_lo, s0, v1
	v_add_co_ci_u32_e64 v93, null, s1, v2, vcc_lo
	s_clause 0xe
	global_load_dwordx2 v[2:3], v34, s[0:1]
	global_load_dwordx2 v[4:5], v[66:67], off
	global_load_dwordx2 v[6:7], v[68:69], off
	;; [unrolled: 1-line block ×14, first 2 shown]
	v_mov_b32_e32 v1, 0
	s_mov_b32 s0, -1
	s_cbranch_scc1 .LBB14_14
; %bb.4:
	v_cmp_eq_u32_e64 s0, 0, v0
	s_and_saveexec_b32 s1, s0
; %bb.5:
	v_mov_b32_e32 v32, 0
	ds_write_b32 v32, v32 offset:120
; %bb.6:
	s_or_b32 exec_lo, exec_lo, s1
	v_cmp_eq_u32_e32 vcc_lo, 1, v0
	s_mov_b32 s2, exec_lo
	s_waitcnt vmcnt(0) lgkmcnt(0)
	s_barrier
	buffer_gl0_inv
	v_cndmask_b32_e32 v32, v3, v5, vcc_lo
	v_cndmask_b32_e32 v33, v2, v4, vcc_lo
	v_cmp_eq_u32_e32 vcc_lo, 2, v0
	v_cndmask_b32_e32 v32, v32, v7, vcc_lo
	v_cndmask_b32_e32 v33, v33, v6, vcc_lo
	v_cmp_eq_u32_e32 vcc_lo, 3, v0
	;; [unrolled: 3-line block ×13, first 2 shown]
	v_cndmask_b32_e32 v33, v32, v31, vcc_lo
	v_cndmask_b32_e32 v32, v35, v30, vcc_lo
	v_cmpx_eq_f64_e32 0, v[32:33]
	s_cbranch_execz .LBB14_10
; %bb.7:
	v_mov_b32_e32 v35, 0
	s_mov_b32 s3, 0
	ds_read_b32 v36, v35 offset:120
	s_waitcnt lgkmcnt(0)
	v_readfirstlane_b32 s1, v36
	v_add_nc_u32_e32 v36, 1, v0
	s_cmp_eq_u32 s1, 0
	v_cmp_gt_i32_e32 vcc_lo, s1, v36
	s_cselect_b32 s4, -1, 0
	s_or_b32 s4, s4, vcc_lo
	s_and_b32 exec_lo, exec_lo, s4
	s_cbranch_execz .LBB14_10
; %bb.8:
	v_mov_b32_e32 v37, s1
.LBB14_9:                               ; =>This Inner Loop Header: Depth=1
	ds_cmpst_rtn_b32 v37, v35, v37, v36 offset:120
	s_waitcnt lgkmcnt(0)
	v_cmp_ne_u32_e32 vcc_lo, 0, v37
	v_cmp_le_i32_e64 s1, v37, v36
	s_and_b32 s1, vcc_lo, s1
	s_and_b32 s1, exec_lo, s1
	s_or_b32 s3, s1, s3
	s_andn2_b32 exec_lo, exec_lo, s3
	s_cbranch_execnz .LBB14_9
.LBB14_10:
	s_or_b32 exec_lo, exec_lo, s2
	v_mov_b32_e32 v35, 0
	s_barrier
	buffer_gl0_inv
	ds_read_b32 v36, v35 offset:120
	s_and_saveexec_b32 s1, s0
	s_cbranch_execz .LBB14_12
; %bb.11:
	s_lshl_b64 s[2:3], s[6:7], 2
	s_add_u32 s2, s18, s2
	s_addc_u32 s3, s19, s3
	s_waitcnt lgkmcnt(0)
	global_store_dword v35, v36, s[2:3]
.LBB14_12:
	s_or_b32 exec_lo, exec_lo, s1
	s_waitcnt lgkmcnt(0)
	v_cmp_ne_u32_e32 vcc_lo, 0, v36
	s_cbranch_vccz .LBB14_17
; %bb.13:
	s_mov_b32 s0, 0
                                        ; implicit-def: $vgpr2_vgpr3_vgpr4_vgpr5_vgpr6_vgpr7_vgpr8_vgpr9_vgpr10_vgpr11_vgpr12_vgpr13_vgpr14_vgpr15_vgpr16_vgpr17_vgpr18_vgpr19_vgpr20_vgpr21_vgpr22_vgpr23_vgpr24_vgpr25_vgpr26_vgpr27_vgpr28_vgpr29_vgpr30_vgpr31_vgpr32_vgpr33
.LBB14_14:
	s_and_b32 vcc_lo, exec_lo, s0
	s_cbranch_vccz .LBB14_16
.LBB14_15:
	s_lshl_b64 s[0:1], s[6:7], 2
	v_mov_b32_e32 v1, 0
	s_add_u32 s0, s18, s0
	s_addc_u32 s1, s19, s1
	global_load_dword v1, v1, s[0:1]
	s_waitcnt vmcnt(0)
	v_cmp_ne_u32_e32 vcc_lo, 0, v1
	s_cbranch_vccz .LBB14_84
.LBB14_16:
	s_endpgm
.LBB14_17:
	v_div_scale_f64 v[35:36], null, v[32:33], v[32:33], 1.0
	v_div_scale_f64 v[41:42], vcc_lo, 1.0, v[32:33], 1.0
	v_cmp_eq_u32_e64 s1, 13, v0
	v_cmp_eq_u32_e64 s2, 12, v0
	;; [unrolled: 1-line block ×14, first 2 shown]
	v_rcp_f64_e32 v[37:38], v[35:36]
	v_fma_f64 v[39:40], -v[35:36], v[37:38], 1.0
	v_fma_f64 v[37:38], v[37:38], v[39:40], v[37:38]
	v_fma_f64 v[39:40], -v[35:36], v[37:38], 1.0
	v_fma_f64 v[37:38], v[37:38], v[39:40], v[37:38]
	v_mul_f64 v[39:40], v[41:42], v[37:38]
	v_fma_f64 v[35:36], -v[35:36], v[39:40], v[41:42]
	v_div_fmas_f64 v[35:36], v[35:36], v[37:38], v[39:40]
	v_cmp_eq_u32_e32 vcc_lo, 14, v0
	v_div_fixup_f64 v[32:33], v[35:36], v[32:33], 1.0
	v_add_nc_u32_e32 v36, 0x80, v34
	v_cndmask_b32_e32 v31, v31, v33, vcc_lo
	v_cndmask_b32_e32 v30, v30, v32, vcc_lo
	v_cndmask_b32_e64 v29, v29, v33, s1
	v_cndmask_b32_e64 v28, v28, v32, s1
	;; [unrolled: 1-line block ×24, first 2 shown]
	v_xor_b32_e32 v38, 0x80000000, v33
	v_mov_b32_e32 v37, v32
	v_cndmask_b32_e64 v7, v7, v33, s14
	v_cndmask_b32_e64 v6, v6, v32, s14
	;; [unrolled: 1-line block ×4, first 2 shown]
	ds_write2_b64 v34, v[37:38], v[4:5] offset1:16
	s_waitcnt lgkmcnt(0)
	s_waitcnt_vscnt null, 0x0
	s_barrier
	buffer_gl0_inv
	s_and_saveexec_b32 s1, s0
	s_cbranch_execz .LBB14_19
; %bb.18:
	ds_read_b64 v[4:5], v36
	v_mov_b32_e32 v34, 0
	ds_read_b64 v[34:35], v34 offset:8
	s_waitcnt lgkmcnt(1)
	v_fma_f64 v[4:5], v[32:33], v[4:5], 0
	s_waitcnt lgkmcnt(0)
	v_mul_f64 v[4:5], v[4:5], v[34:35]
.LBB14_19:
	s_or_b32 exec_lo, exec_lo, s1
	v_cmp_gt_u32_e32 vcc_lo, 2, v0
	s_barrier
	buffer_gl0_inv
	ds_write_b64 v36, v[6:7]
	s_waitcnt lgkmcnt(0)
	s_barrier
	buffer_gl0_inv
	s_and_saveexec_b32 s3, vcc_lo
	s_cbranch_execz .LBB14_23
; %bb.20:
	v_cmp_eq_u32_e64 s1, 1, v0
	v_cmp_eq_u32_e64 s2, 12, v0
	v_cndmask_b32_e64 v32, v3, v5, s1
	v_cndmask_b32_e64 v33, v2, v4, s1
	v_cmp_eq_u32_e64 s1, 2, v0
	v_cndmask_b32_e64 v7, v32, v7, s1
	v_cndmask_b32_e64 v6, v33, v6, s1
	;; [unrolled: 3-line block ×11, first 2 shown]
	ds_read_b64 v[6:7], v36
	v_cmp_eq_u32_e64 s1, 13, v0
	v_cndmask_b32_e64 v32, v32, v27, s2
	v_cndmask_b32_e64 v33, v33, v26, s2
	;; [unrolled: 1-line block ×4, first 2 shown]
	v_cmp_eq_u32_e64 s1, 14, v0
	v_cndmask_b32_e64 v33, v32, v31, s1
	v_cndmask_b32_e64 v32, v34, v30, s1
	s_waitcnt lgkmcnt(0)
	v_fma_f64 v[6:7], v[32:33], v[6:7], 0
	s_and_saveexec_b32 s1, s0
	s_cbranch_execz .LBB14_22
; %bb.21:
	v_mov_b32_e32 v32, 0
	ds_read_b64 v[32:33], v32 offset:136
	s_waitcnt lgkmcnt(0)
	v_fma_f64 v[6:7], v[4:5], v[32:33], v[6:7]
.LBB14_22:
	s_or_b32 exec_lo, exec_lo, s1
	v_mov_b32_e32 v32, 0
	ds_read_b64 v[32:33], v32 offset:16
	s_waitcnt lgkmcnt(0)
	v_mul_f64 v[6:7], v[6:7], v[32:33]
.LBB14_23:
	s_or_b32 exec_lo, exec_lo, s3
	s_mov_b32 s3, exec_lo
	s_barrier
	buffer_gl0_inv
	ds_write_b64 v36, v[8:9]
	s_waitcnt lgkmcnt(0)
	s_barrier
	buffer_gl0_inv
	v_cmpx_gt_u32_e32 3, v0
	s_cbranch_execz .LBB14_27
; %bb.24:
	v_mov_b32_e32 v32, 0
	v_mov_b32_e32 v35, v1
	v_lshl_add_u32 v37, v0, 3, 0x80
	v_mov_b32_e32 v33, 0
	v_mov_b32_e32 v34, v0
	s_mov_b32 s4, 0
.LBB14_25:                              ; =>This Inner Loop Header: Depth=1
	v_cmp_eq_u32_e64 s1, 1, v34
	v_cmp_eq_u32_e64 s2, 2, v34
	v_cndmask_b32_e64 v38, v3, v5, s1
	v_cndmask_b32_e64 v39, v2, v4, s1
	v_cmp_eq_u32_e64 s1, 3, v34
	v_cndmask_b32_e64 v38, v38, v7, s2
	v_cndmask_b32_e64 v39, v39, v6, s2
	;; [unrolled: 3-line block ×10, first 2 shown]
	ds_read_b64 v[38:39], v37
	v_cmp_eq_u32_e64 s2, 12, v34
	v_add_nc_u32_e32 v37, 8, v37
	v_cndmask_b32_e64 v40, v40, v25, s1
	v_cndmask_b32_e64 v41, v41, v24, s1
	v_cmp_eq_u32_e64 s1, 13, v34
	v_cndmask_b32_e64 v40, v40, v27, s2
	v_cndmask_b32_e64 v41, v41, v26, s2
	v_cmp_eq_u32_e64 s2, 14, v34
	v_cndmask_b32_e64 v40, v40, v29, s1
	v_cndmask_b32_e64 v42, v41, v28, s1
	v_add_co_u32 v34, s1, v34, 1
	v_add_co_ci_u32_e64 v35, null, 0, v35, s1
	v_cndmask_b32_e64 v41, v40, v31, s2
	v_cndmask_b32_e64 v40, v42, v30, s2
	s_waitcnt lgkmcnt(0)
	v_fma_f64 v[32:33], v[40:41], v[38:39], v[32:33]
	v_add_nc_u32_e32 v38, -1, v34
	v_cmp_lt_u32_e64 s1, 1, v38
	s_or_b32 s4, s1, s4
	s_andn2_b32 exec_lo, exec_lo, s4
	s_cbranch_execnz .LBB14_25
; %bb.26:
	s_or_b32 exec_lo, exec_lo, s4
	v_mov_b32_e32 v8, 0
	ds_read_b64 v[8:9], v8 offset:24
	s_waitcnt lgkmcnt(0)
	v_mul_f64 v[8:9], v[32:33], v[8:9]
.LBB14_27:
	s_or_b32 exec_lo, exec_lo, s3
	v_cmp_gt_u32_e64 s1, 4, v0
	s_barrier
	buffer_gl0_inv
	ds_write_b64 v36, v[10:11]
	s_waitcnt lgkmcnt(0)
	s_barrier
	buffer_gl0_inv
	s_and_saveexec_b32 s4, s1
	s_cbranch_execz .LBB14_31
; %bb.28:
	v_mov_b32_e32 v32, 0
	v_mov_b32_e32 v35, v1
	v_lshl_add_u32 v37, v0, 3, 0x80
	v_mov_b32_e32 v33, 0
	v_mov_b32_e32 v34, v0
	s_mov_b32 s5, 0
.LBB14_29:                              ; =>This Inner Loop Header: Depth=1
	v_cmp_eq_u32_e64 s2, 1, v34
	v_cmp_eq_u32_e64 s3, 2, v34
	v_cndmask_b32_e64 v38, v3, v5, s2
	v_cndmask_b32_e64 v39, v2, v4, s2
	v_cmp_eq_u32_e64 s2, 3, v34
	v_cndmask_b32_e64 v38, v38, v7, s3
	v_cndmask_b32_e64 v39, v39, v6, s3
	;; [unrolled: 3-line block ×10, first 2 shown]
	ds_read_b64 v[38:39], v37
	v_cmp_eq_u32_e64 s3, 12, v34
	v_add_nc_u32_e32 v37, 8, v37
	v_cndmask_b32_e64 v40, v40, v25, s2
	v_cndmask_b32_e64 v41, v41, v24, s2
	v_cmp_eq_u32_e64 s2, 13, v34
	v_cndmask_b32_e64 v40, v40, v27, s3
	v_cndmask_b32_e64 v41, v41, v26, s3
	v_cmp_eq_u32_e64 s3, 14, v34
	v_cndmask_b32_e64 v40, v40, v29, s2
	v_cndmask_b32_e64 v42, v41, v28, s2
	v_add_co_u32 v34, s2, v34, 1
	v_add_co_ci_u32_e64 v35, null, 0, v35, s2
	v_cndmask_b32_e64 v41, v40, v31, s3
	v_cndmask_b32_e64 v40, v42, v30, s3
	s_waitcnt lgkmcnt(0)
	v_fma_f64 v[32:33], v[40:41], v[38:39], v[32:33]
	v_add_nc_u32_e32 v38, -1, v34
	v_cmp_lt_u32_e64 s2, 2, v38
	s_or_b32 s5, s2, s5
	s_andn2_b32 exec_lo, exec_lo, s5
	s_cbranch_execnz .LBB14_29
; %bb.30:
	s_or_b32 exec_lo, exec_lo, s5
	v_mov_b32_e32 v10, 0
	ds_read_b64 v[10:11], v10 offset:32
	s_waitcnt lgkmcnt(0)
	v_mul_f64 v[10:11], v[32:33], v[10:11]
.LBB14_31:
	s_or_b32 exec_lo, exec_lo, s4
	s_mov_b32 s4, exec_lo
	s_barrier
	buffer_gl0_inv
	ds_write_b64 v36, v[12:13]
	s_waitcnt lgkmcnt(0)
	s_barrier
	buffer_gl0_inv
	v_cmpx_gt_u32_e32 5, v0
	s_cbranch_execz .LBB14_35
; %bb.32:
	v_mov_b32_e32 v32, 0
	v_mov_b32_e32 v35, v1
	v_lshl_add_u32 v37, v0, 3, 0x80
	v_mov_b32_e32 v33, 0
	v_mov_b32_e32 v34, v0
	s_mov_b32 s5, 0
.LBB14_33:                              ; =>This Inner Loop Header: Depth=1
	v_cmp_eq_u32_e64 s2, 1, v34
	v_cmp_eq_u32_e64 s3, 2, v34
	v_cndmask_b32_e64 v38, v3, v5, s2
	v_cndmask_b32_e64 v39, v2, v4, s2
	v_cmp_eq_u32_e64 s2, 3, v34
	v_cndmask_b32_e64 v38, v38, v7, s3
	v_cndmask_b32_e64 v39, v39, v6, s3
	v_cmp_eq_u32_e64 s3, 4, v34
	v_cndmask_b32_e64 v38, v38, v9, s2
	v_cndmask_b32_e64 v39, v39, v8, s2
	v_cmp_eq_u32_e64 s2, 5, v34
	v_cndmask_b32_e64 v38, v38, v11, s3
	v_cndmask_b32_e64 v39, v39, v10, s3
	v_cmp_eq_u32_e64 s3, 6, v34
	v_cndmask_b32_e64 v38, v38, v13, s2
	v_cndmask_b32_e64 v39, v39, v12, s2
	v_cmp_eq_u32_e64 s2, 7, v34
	v_cndmask_b32_e64 v38, v38, v15, s3
	v_cndmask_b32_e64 v39, v39, v14, s3
	v_cmp_eq_u32_e64 s3, 8, v34
	v_cndmask_b32_e64 v38, v38, v17, s2
	v_cndmask_b32_e64 v39, v39, v16, s2
	v_cmp_eq_u32_e64 s2, 9, v34
	v_cndmask_b32_e64 v38, v38, v19, s3
	v_cndmask_b32_e64 v39, v39, v18, s3
	v_cmp_eq_u32_e64 s3, 10, v34
	v_cndmask_b32_e64 v38, v38, v21, s2
	v_cndmask_b32_e64 v39, v39, v20, s2
	v_cmp_eq_u32_e64 s2, 11, v34
	v_cndmask_b32_e64 v40, v38, v23, s3
	v_cndmask_b32_e64 v41, v39, v22, s3
	ds_read_b64 v[38:39], v37
	v_cmp_eq_u32_e64 s3, 12, v34
	v_add_nc_u32_e32 v37, 8, v37
	v_cndmask_b32_e64 v40, v40, v25, s2
	v_cndmask_b32_e64 v41, v41, v24, s2
	v_cmp_eq_u32_e64 s2, 13, v34
	v_cndmask_b32_e64 v40, v40, v27, s3
	v_cndmask_b32_e64 v41, v41, v26, s3
	v_cmp_eq_u32_e64 s3, 14, v34
	v_cndmask_b32_e64 v40, v40, v29, s2
	v_cndmask_b32_e64 v42, v41, v28, s2
	v_add_co_u32 v34, s2, v34, 1
	v_add_co_ci_u32_e64 v35, null, 0, v35, s2
	v_cndmask_b32_e64 v41, v40, v31, s3
	v_cndmask_b32_e64 v40, v42, v30, s3
	s_waitcnt lgkmcnt(0)
	v_fma_f64 v[32:33], v[40:41], v[38:39], v[32:33]
	v_add_nc_u32_e32 v38, -1, v34
	v_cmp_lt_u32_e64 s2, 3, v38
	s_or_b32 s5, s2, s5
	s_andn2_b32 exec_lo, exec_lo, s5
	s_cbranch_execnz .LBB14_33
; %bb.34:
	s_or_b32 exec_lo, exec_lo, s5
	v_mov_b32_e32 v12, 0
	ds_read_b64 v[12:13], v12 offset:40
	s_waitcnt lgkmcnt(0)
	v_mul_f64 v[12:13], v[32:33], v[12:13]
.LBB14_35:
	s_or_b32 exec_lo, exec_lo, s4
	v_cmp_gt_u32_e64 s2, 6, v0
	s_barrier
	buffer_gl0_inv
	ds_write_b64 v36, v[14:15]
	s_waitcnt lgkmcnt(0)
	s_barrier
	buffer_gl0_inv
	s_and_saveexec_b32 s5, s2
	s_cbranch_execz .LBB14_39
; %bb.36:
	v_mov_b32_e32 v32, 0
	v_mov_b32_e32 v35, v1
	v_lshl_add_u32 v37, v0, 3, 0x80
	v_mov_b32_e32 v33, 0
	v_mov_b32_e32 v34, v0
	s_mov_b32 s8, 0
.LBB14_37:                              ; =>This Inner Loop Header: Depth=1
	v_cmp_eq_u32_e64 s3, 1, v34
	v_cmp_eq_u32_e64 s4, 2, v34
	v_cndmask_b32_e64 v38, v3, v5, s3
	v_cndmask_b32_e64 v39, v2, v4, s3
	v_cmp_eq_u32_e64 s3, 3, v34
	v_cndmask_b32_e64 v38, v38, v7, s4
	v_cndmask_b32_e64 v39, v39, v6, s4
	;; [unrolled: 3-line block ×10, first 2 shown]
	ds_read_b64 v[38:39], v37
	v_cmp_eq_u32_e64 s4, 12, v34
	v_add_nc_u32_e32 v37, 8, v37
	v_cndmask_b32_e64 v40, v40, v25, s3
	v_cndmask_b32_e64 v41, v41, v24, s3
	v_cmp_eq_u32_e64 s3, 13, v34
	v_cndmask_b32_e64 v40, v40, v27, s4
	v_cndmask_b32_e64 v41, v41, v26, s4
	v_cmp_eq_u32_e64 s4, 14, v34
	v_cndmask_b32_e64 v40, v40, v29, s3
	v_cndmask_b32_e64 v42, v41, v28, s3
	v_add_co_u32 v34, s3, v34, 1
	v_add_co_ci_u32_e64 v35, null, 0, v35, s3
	v_cndmask_b32_e64 v41, v40, v31, s4
	v_cndmask_b32_e64 v40, v42, v30, s4
	s_waitcnt lgkmcnt(0)
	v_fma_f64 v[32:33], v[40:41], v[38:39], v[32:33]
	v_add_nc_u32_e32 v38, -1, v34
	v_cmp_lt_u32_e64 s3, 4, v38
	s_or_b32 s8, s3, s8
	s_andn2_b32 exec_lo, exec_lo, s8
	s_cbranch_execnz .LBB14_37
; %bb.38:
	s_or_b32 exec_lo, exec_lo, s8
	v_mov_b32_e32 v14, 0
	ds_read_b64 v[14:15], v14 offset:48
	s_waitcnt lgkmcnt(0)
	v_mul_f64 v[14:15], v[32:33], v[14:15]
.LBB14_39:
	s_or_b32 exec_lo, exec_lo, s5
	s_mov_b32 s5, exec_lo
	s_barrier
	buffer_gl0_inv
	ds_write_b64 v36, v[16:17]
	s_waitcnt lgkmcnt(0)
	s_barrier
	buffer_gl0_inv
	v_cmpx_gt_u32_e32 7, v0
	s_cbranch_execz .LBB14_43
; %bb.40:
	v_mov_b32_e32 v32, 0
	v_mov_b32_e32 v35, v1
	v_lshl_add_u32 v37, v0, 3, 0x80
	v_mov_b32_e32 v33, 0
	v_mov_b32_e32 v34, v0
	s_mov_b32 s8, 0
.LBB14_41:                              ; =>This Inner Loop Header: Depth=1
	v_cmp_eq_u32_e64 s3, 1, v34
	v_cmp_eq_u32_e64 s4, 2, v34
	v_cndmask_b32_e64 v38, v3, v5, s3
	v_cndmask_b32_e64 v39, v2, v4, s3
	v_cmp_eq_u32_e64 s3, 3, v34
	v_cndmask_b32_e64 v38, v38, v7, s4
	v_cndmask_b32_e64 v39, v39, v6, s4
	;; [unrolled: 3-line block ×10, first 2 shown]
	ds_read_b64 v[38:39], v37
	v_cmp_eq_u32_e64 s4, 12, v34
	v_add_nc_u32_e32 v37, 8, v37
	v_cndmask_b32_e64 v40, v40, v25, s3
	v_cndmask_b32_e64 v41, v41, v24, s3
	v_cmp_eq_u32_e64 s3, 13, v34
	v_cndmask_b32_e64 v40, v40, v27, s4
	v_cndmask_b32_e64 v41, v41, v26, s4
	v_cmp_eq_u32_e64 s4, 14, v34
	v_cndmask_b32_e64 v40, v40, v29, s3
	v_cndmask_b32_e64 v42, v41, v28, s3
	v_add_co_u32 v34, s3, v34, 1
	v_add_co_ci_u32_e64 v35, null, 0, v35, s3
	v_cndmask_b32_e64 v41, v40, v31, s4
	v_cndmask_b32_e64 v40, v42, v30, s4
	s_waitcnt lgkmcnt(0)
	v_fma_f64 v[32:33], v[40:41], v[38:39], v[32:33]
	v_add_nc_u32_e32 v38, -1, v34
	v_cmp_lt_u32_e64 s3, 5, v38
	s_or_b32 s8, s3, s8
	s_andn2_b32 exec_lo, exec_lo, s8
	s_cbranch_execnz .LBB14_41
; %bb.42:
	s_or_b32 exec_lo, exec_lo, s8
	v_mov_b32_e32 v16, 0
	ds_read_b64 v[16:17], v16 offset:56
	s_waitcnt lgkmcnt(0)
	v_mul_f64 v[16:17], v[32:33], v[16:17]
.LBB14_43:
	s_or_b32 exec_lo, exec_lo, s5
	s_mov_b32 s5, exec_lo
	s_barrier
	buffer_gl0_inv
	ds_write_b64 v36, v[18:19]
	s_waitcnt lgkmcnt(0)
	s_barrier
	buffer_gl0_inv
	v_cmpx_gt_u32_e32 8, v0
	s_cbranch_execz .LBB14_59
; %bb.44:
	v_cmp_eq_u32_e64 s3, 1, v0
	v_cmp_eq_u32_e64 s4, 12, v0
	s_mov_b32 s8, exec_lo
	v_cndmask_b32_e64 v32, v3, v5, s3
	v_cndmask_b32_e64 v33, v2, v4, s3
	v_cmp_eq_u32_e64 s3, 2, v0
	v_cndmask_b32_e64 v32, v32, v7, s3
	v_cndmask_b32_e64 v33, v33, v6, s3
	v_cmp_eq_u32_e64 s3, 3, v0
	v_cndmask_b32_e64 v32, v32, v9, s3
	v_cndmask_b32_e64 v33, v33, v8, s3
	v_cmp_eq_u32_e64 s3, 4, v0
	v_cndmask_b32_e64 v32, v32, v11, s3
	v_cndmask_b32_e64 v33, v33, v10, s3
	v_cmp_eq_u32_e64 s3, 5, v0
	v_cndmask_b32_e64 v32, v32, v13, s3
	v_cndmask_b32_e64 v33, v33, v12, s3
	v_cmp_eq_u32_e64 s3, 6, v0
	v_cndmask_b32_e64 v32, v32, v15, s3
	v_cndmask_b32_e64 v33, v33, v14, s3
	v_cmp_eq_u32_e64 s3, 7, v0
	v_cndmask_b32_e64 v32, v32, v17, s3
	v_cndmask_b32_e64 v33, v33, v16, s3
	v_cmp_eq_u32_e64 s3, 8, v0
	v_cndmask_b32_e64 v32, v32, v19, s3
	v_cndmask_b32_e64 v33, v33, v18, s3
	v_cmp_eq_u32_e64 s3, 9, v0
	v_cndmask_b32_e64 v32, v32, v21, s3
	v_cndmask_b32_e64 v33, v33, v20, s3
	v_cmp_eq_u32_e64 s3, 10, v0
	v_cndmask_b32_e64 v32, v32, v23, s3
	v_cndmask_b32_e64 v33, v33, v22, s3
	v_cmp_eq_u32_e64 s3, 11, v0
	v_cndmask_b32_e64 v34, v32, v25, s3
	v_cndmask_b32_e64 v35, v33, v24, s3
	ds_read_b64 v[32:33], v36
	v_cmp_eq_u32_e64 s3, 13, v0
	v_cndmask_b32_e64 v34, v34, v27, s4
	v_cndmask_b32_e64 v35, v35, v26, s4
	;; [unrolled: 1-line block ×4, first 2 shown]
	v_cmp_eq_u32_e64 s3, 14, v0
	v_cndmask_b32_e64 v35, v34, v31, s3
	v_cndmask_b32_e64 v34, v37, v30, s3
	s_waitcnt lgkmcnt(0)
	v_fma_f64 v[32:33], v[34:35], v[32:33], 0
	v_cmpx_ne_u32_e32 7, v0
	s_cbranch_execz .LBB14_58
; %bb.45:
	v_add_nc_u32_e32 v37, 1, v0
	v_cmp_eq_u32_e64 s3, 1, v37
	v_cmp_eq_u32_e64 s4, 12, v37
	v_cndmask_b32_e64 v34, v3, v5, s3
	v_cndmask_b32_e64 v35, v2, v4, s3
	v_cmp_eq_u32_e64 s3, 2, v37
	v_cndmask_b32_e64 v34, v34, v7, s3
	v_cndmask_b32_e64 v35, v35, v6, s3
	;; [unrolled: 3-line block ×11, first 2 shown]
	ds_read_b64 v[34:35], v36 offset:8
	v_cmp_eq_u32_e64 s3, 13, v37
	v_cndmask_b32_e64 v38, v38, v27, s4
	v_cndmask_b32_e64 v39, v39, v26, s4
	;; [unrolled: 1-line block ×4, first 2 shown]
	v_cmp_eq_u32_e64 s3, 14, v37
	v_cndmask_b32_e64 v38, v38, v31, s3
	v_cndmask_b32_e64 v37, v39, v30, s3
	s_waitcnt lgkmcnt(0)
	v_fma_f64 v[32:33], v[37:38], v[34:35], v[32:33]
	s_and_saveexec_b32 s4, s2
	s_cbranch_execz .LBB14_57
; %bb.46:
	v_add_nc_u32_e32 v37, 2, v0
	s_mov_b32 s9, exec_lo
	v_cmp_eq_u32_e64 s2, 1, v37
	v_cmp_eq_u32_e64 s3, 12, v37
	v_cndmask_b32_e64 v34, v3, v5, s2
	v_cndmask_b32_e64 v35, v2, v4, s2
	v_cmp_eq_u32_e64 s2, 2, v37
	v_cndmask_b32_e64 v34, v34, v7, s2
	v_cndmask_b32_e64 v35, v35, v6, s2
	;; [unrolled: 3-line block ×11, first 2 shown]
	ds_read_b64 v[34:35], v36 offset:16
	v_cmp_eq_u32_e64 s2, 13, v37
	v_cndmask_b32_e64 v38, v38, v27, s3
	v_cndmask_b32_e64 v39, v39, v26, s3
	;; [unrolled: 1-line block ×4, first 2 shown]
	v_cmp_eq_u32_e64 s2, 14, v37
	v_cndmask_b32_e64 v38, v38, v31, s2
	v_cndmask_b32_e64 v37, v39, v30, s2
	s_waitcnt lgkmcnt(0)
	v_fma_f64 v[32:33], v[37:38], v[34:35], v[32:33]
	v_cmpx_ne_u32_e32 5, v0
	s_cbranch_execz .LBB14_56
; %bb.47:
	v_add_nc_u32_e32 v37, 3, v0
	v_cmp_eq_u32_e64 s2, 1, v37
	v_cmp_eq_u32_e64 s3, 12, v37
	v_cndmask_b32_e64 v34, v3, v5, s2
	v_cndmask_b32_e64 v35, v2, v4, s2
	v_cmp_eq_u32_e64 s2, 2, v37
	v_cndmask_b32_e64 v34, v34, v7, s2
	v_cndmask_b32_e64 v35, v35, v6, s2
	;; [unrolled: 3-line block ×11, first 2 shown]
	ds_read_b64 v[34:35], v36 offset:24
	v_cmp_eq_u32_e64 s2, 13, v37
	v_cndmask_b32_e64 v38, v38, v27, s3
	v_cndmask_b32_e64 v39, v39, v26, s3
	;; [unrolled: 1-line block ×4, first 2 shown]
	v_cmp_eq_u32_e64 s2, 14, v37
	v_cndmask_b32_e64 v38, v38, v31, s2
	v_cndmask_b32_e64 v37, v39, v30, s2
	s_waitcnt lgkmcnt(0)
	v_fma_f64 v[32:33], v[37:38], v[34:35], v[32:33]
	s_and_saveexec_b32 s3, s1
	s_cbranch_execz .LBB14_55
; %bb.48:
	v_or_b32_e32 v37, 4, v0
	s_mov_b32 s10, exec_lo
	v_cmp_eq_u32_e64 s1, 1, v37
	v_cmp_eq_u32_e64 s2, 12, v37
	v_cndmask_b32_e64 v34, v3, v5, s1
	v_cndmask_b32_e64 v35, v2, v4, s1
	v_cmp_eq_u32_e64 s1, 2, v37
	v_cndmask_b32_e64 v34, v34, v7, s1
	v_cndmask_b32_e64 v35, v35, v6, s1
	v_cmp_eq_u32_e64 s1, 3, v37
	v_cndmask_b32_e64 v34, v34, v9, s1
	v_cndmask_b32_e64 v35, v35, v8, s1
	v_cmp_eq_u32_e64 s1, 4, v37
	v_cndmask_b32_e64 v34, v34, v11, s1
	v_cndmask_b32_e64 v35, v35, v10, s1
	v_cmp_eq_u32_e64 s1, 5, v37
	v_cndmask_b32_e64 v34, v34, v13, s1
	v_cndmask_b32_e64 v35, v35, v12, s1
	v_cmp_eq_u32_e64 s1, 6, v37
	v_cndmask_b32_e64 v34, v34, v15, s1
	v_cndmask_b32_e64 v35, v35, v14, s1
	v_cmp_eq_u32_e64 s1, 7, v37
	v_cndmask_b32_e64 v34, v34, v17, s1
	v_cndmask_b32_e64 v35, v35, v16, s1
	v_cmp_eq_u32_e64 s1, 8, v37
	v_cndmask_b32_e64 v34, v34, v19, s1
	v_cndmask_b32_e64 v35, v35, v18, s1
	v_cmp_eq_u32_e64 s1, 9, v37
	v_cndmask_b32_e64 v34, v34, v21, s1
	v_cndmask_b32_e64 v35, v35, v20, s1
	v_cmp_eq_u32_e64 s1, 10, v37
	v_cndmask_b32_e64 v34, v34, v23, s1
	v_cndmask_b32_e64 v35, v35, v22, s1
	v_cmp_eq_u32_e64 s1, 11, v37
	v_cndmask_b32_e64 v38, v34, v25, s1
	v_cndmask_b32_e64 v39, v35, v24, s1
	ds_read_b64 v[34:35], v36 offset:32
	v_cmp_eq_u32_e64 s1, 13, v37
	v_cndmask_b32_e64 v38, v38, v27, s2
	v_cndmask_b32_e64 v39, v39, v26, s2
	;; [unrolled: 1-line block ×4, first 2 shown]
	v_cmp_eq_u32_e64 s1, 14, v37
	v_cndmask_b32_e64 v38, v38, v31, s1
	v_cndmask_b32_e64 v37, v39, v30, s1
	s_waitcnt lgkmcnt(0)
	v_fma_f64 v[32:33], v[37:38], v[34:35], v[32:33]
	v_cmpx_ne_u32_e32 3, v0
	s_cbranch_execz .LBB14_54
; %bb.49:
	v_add_nc_u32_e32 v37, 5, v0
	v_cmp_eq_u32_e64 s1, 1, v37
	v_cmp_eq_u32_e64 s2, 12, v37
	v_cndmask_b32_e64 v34, v3, v5, s1
	v_cndmask_b32_e64 v35, v2, v4, s1
	v_cmp_eq_u32_e64 s1, 2, v37
	v_cndmask_b32_e64 v34, v34, v7, s1
	v_cndmask_b32_e64 v35, v35, v6, s1
	;; [unrolled: 3-line block ×11, first 2 shown]
	ds_read_b64 v[34:35], v36 offset:40
	v_cmp_eq_u32_e64 s1, 13, v37
	v_cndmask_b32_e64 v38, v38, v27, s2
	v_cndmask_b32_e64 v39, v39, v26, s2
	;; [unrolled: 1-line block ×4, first 2 shown]
	v_cmp_eq_u32_e64 s1, 14, v37
	v_cndmask_b32_e64 v38, v38, v31, s1
	v_cndmask_b32_e64 v37, v39, v30, s1
	s_waitcnt lgkmcnt(0)
	v_fma_f64 v[32:33], v[37:38], v[34:35], v[32:33]
	s_and_saveexec_b32 s2, vcc_lo
	s_cbranch_execz .LBB14_53
; %bb.50:
	v_or_b32_e32 v34, 6, v0
	v_cmp_eq_u32_e32 vcc_lo, 1, v34
	v_cmp_eq_u32_e64 s1, 12, v34
	v_cndmask_b32_e32 v35, v3, v5, vcc_lo
	v_cndmask_b32_e32 v37, v2, v4, vcc_lo
	v_cmp_eq_u32_e32 vcc_lo, 2, v34
	v_cndmask_b32_e32 v35, v35, v7, vcc_lo
	v_cndmask_b32_e32 v37, v37, v6, vcc_lo
	v_cmp_eq_u32_e32 vcc_lo, 3, v34
	;; [unrolled: 3-line block ×10, first 2 shown]
	v_cndmask_b32_e32 v35, v19, v25, vcc_lo
	v_cndmask_b32_e32 v37, v18, v24, vcc_lo
	ds_read_b64 v[18:19], v36 offset:48
	v_cmp_eq_u32_e32 vcc_lo, 13, v34
	v_cndmask_b32_e64 v35, v35, v27, s1
	v_cndmask_b32_e64 v37, v37, v26, s1
	v_cndmask_b32_e32 v35, v35, v29, vcc_lo
	v_cndmask_b32_e32 v37, v37, v28, vcc_lo
	v_cmp_eq_u32_e32 vcc_lo, 14, v34
	v_cndmask_b32_e32 v35, v35, v31, vcc_lo
	v_cndmask_b32_e32 v34, v37, v30, vcc_lo
	s_waitcnt lgkmcnt(0)
	v_fma_f64 v[32:33], v[34:35], v[18:19], v[32:33]
	s_and_saveexec_b32 s1, s0
	s_cbranch_execz .LBB14_52
; %bb.51:
	ds_read_b64 v[18:19], v36 offset:56
	s_waitcnt lgkmcnt(0)
	v_fma_f64 v[32:33], v[16:17], v[18:19], v[32:33]
.LBB14_52:
	s_or_b32 exec_lo, exec_lo, s1
.LBB14_53:
	s_or_b32 exec_lo, exec_lo, s2
.LBB14_54:
	s_or_b32 exec_lo, exec_lo, s10
.LBB14_55:
	s_or_b32 exec_lo, exec_lo, s3
.LBB14_56:
	s_or_b32 exec_lo, exec_lo, s9
.LBB14_57:
	s_or_b32 exec_lo, exec_lo, s4
.LBB14_58:
	s_or_b32 exec_lo, exec_lo, s8
	v_mov_b32_e32 v18, 0
	ds_read_b64 v[18:19], v18 offset:64
	s_waitcnt lgkmcnt(0)
	v_mul_f64 v[18:19], v[32:33], v[18:19]
.LBB14_59:
	s_or_b32 exec_lo, exec_lo, s5
	s_mov_b32 s1, exec_lo
	s_barrier
	buffer_gl0_inv
	ds_write_b64 v36, v[20:21]
	s_waitcnt lgkmcnt(0)
	s_barrier
	buffer_gl0_inv
	v_cmpx_gt_u32_e32 9, v0
	s_cbranch_execz .LBB14_63
; %bb.60:
	v_mov_b32_e32 v32, 0
	v_mov_b32_e32 v35, v1
	v_lshl_add_u32 v37, v0, 3, 0x80
	v_mov_b32_e32 v33, 0
	v_mov_b32_e32 v34, v0
	s_mov_b32 s2, 0
.LBB14_61:                              ; =>This Inner Loop Header: Depth=1
	v_cmp_eq_u32_e32 vcc_lo, 1, v34
	v_cmp_eq_u32_e64 s0, 2, v34
	v_cndmask_b32_e32 v38, v3, v5, vcc_lo
	v_cndmask_b32_e32 v39, v2, v4, vcc_lo
	v_cmp_eq_u32_e32 vcc_lo, 3, v34
	v_cndmask_b32_e64 v38, v38, v7, s0
	v_cndmask_b32_e64 v39, v39, v6, s0
	v_cmp_eq_u32_e64 s0, 4, v34
	v_cndmask_b32_e32 v38, v38, v9, vcc_lo
	v_cndmask_b32_e32 v39, v39, v8, vcc_lo
	v_cmp_eq_u32_e32 vcc_lo, 5, v34
	v_cndmask_b32_e64 v38, v38, v11, s0
	v_cndmask_b32_e64 v39, v39, v10, s0
	;; [unrolled: 6-line block ×5, first 2 shown]
	ds_read_b64 v[38:39], v37
	v_cmp_eq_u32_e64 s0, 12, v34
	v_add_nc_u32_e32 v37, 8, v37
	v_cndmask_b32_e32 v40, v40, v25, vcc_lo
	v_cndmask_b32_e32 v41, v41, v24, vcc_lo
	v_cmp_eq_u32_e32 vcc_lo, 13, v34
	v_cndmask_b32_e64 v40, v40, v27, s0
	v_cndmask_b32_e64 v41, v41, v26, s0
	v_cmp_eq_u32_e64 s0, 14, v34
	v_cndmask_b32_e32 v40, v40, v29, vcc_lo
	v_cndmask_b32_e32 v42, v41, v28, vcc_lo
	v_add_co_u32 v34, vcc_lo, v34, 1
	v_add_co_ci_u32_e64 v35, null, 0, v35, vcc_lo
	v_cndmask_b32_e64 v41, v40, v31, s0
	v_cndmask_b32_e64 v40, v42, v30, s0
	s_waitcnt lgkmcnt(0)
	v_fma_f64 v[32:33], v[40:41], v[38:39], v[32:33]
	v_add_nc_u32_e32 v38, -1, v34
	v_cmp_lt_u32_e32 vcc_lo, 7, v38
	s_or_b32 s2, vcc_lo, s2
	s_andn2_b32 exec_lo, exec_lo, s2
	s_cbranch_execnz .LBB14_61
; %bb.62:
	s_or_b32 exec_lo, exec_lo, s2
	v_mov_b32_e32 v20, 0
	ds_read_b64 v[20:21], v20 offset:72
	s_waitcnt lgkmcnt(0)
	v_mul_f64 v[20:21], v[32:33], v[20:21]
.LBB14_63:
	s_or_b32 exec_lo, exec_lo, s1
	s_mov_b32 s1, exec_lo
	s_barrier
	buffer_gl0_inv
	ds_write_b64 v36, v[22:23]
	s_waitcnt lgkmcnt(0)
	s_barrier
	buffer_gl0_inv
	v_cmpx_gt_u32_e32 10, v0
	s_cbranch_execz .LBB14_67
; %bb.64:
	v_mov_b32_e32 v32, 0
	v_mov_b32_e32 v35, v1
	v_lshl_add_u32 v37, v0, 3, 0x80
	v_mov_b32_e32 v33, 0
	v_mov_b32_e32 v34, v0
	s_mov_b32 s2, 0
.LBB14_65:                              ; =>This Inner Loop Header: Depth=1
	v_cmp_eq_u32_e32 vcc_lo, 1, v34
	v_cmp_eq_u32_e64 s0, 2, v34
	v_cndmask_b32_e32 v38, v3, v5, vcc_lo
	v_cndmask_b32_e32 v39, v2, v4, vcc_lo
	v_cmp_eq_u32_e32 vcc_lo, 3, v34
	v_cndmask_b32_e64 v38, v38, v7, s0
	v_cndmask_b32_e64 v39, v39, v6, s0
	v_cmp_eq_u32_e64 s0, 4, v34
	v_cndmask_b32_e32 v38, v38, v9, vcc_lo
	v_cndmask_b32_e32 v39, v39, v8, vcc_lo
	v_cmp_eq_u32_e32 vcc_lo, 5, v34
	v_cndmask_b32_e64 v38, v38, v11, s0
	v_cndmask_b32_e64 v39, v39, v10, s0
	;; [unrolled: 6-line block ×5, first 2 shown]
	ds_read_b64 v[38:39], v37
	v_cmp_eq_u32_e64 s0, 12, v34
	v_add_nc_u32_e32 v37, 8, v37
	v_cndmask_b32_e32 v40, v40, v25, vcc_lo
	v_cndmask_b32_e32 v41, v41, v24, vcc_lo
	v_cmp_eq_u32_e32 vcc_lo, 13, v34
	v_cndmask_b32_e64 v40, v40, v27, s0
	v_cndmask_b32_e64 v41, v41, v26, s0
	v_cmp_eq_u32_e64 s0, 14, v34
	v_cndmask_b32_e32 v40, v40, v29, vcc_lo
	v_cndmask_b32_e32 v42, v41, v28, vcc_lo
	v_add_co_u32 v34, vcc_lo, v34, 1
	v_add_co_ci_u32_e64 v35, null, 0, v35, vcc_lo
	v_cndmask_b32_e64 v41, v40, v31, s0
	v_cndmask_b32_e64 v40, v42, v30, s0
	s_waitcnt lgkmcnt(0)
	v_fma_f64 v[32:33], v[40:41], v[38:39], v[32:33]
	v_add_nc_u32_e32 v38, -1, v34
	v_cmp_lt_u32_e32 vcc_lo, 8, v38
	s_or_b32 s2, vcc_lo, s2
	s_andn2_b32 exec_lo, exec_lo, s2
	s_cbranch_execnz .LBB14_65
; %bb.66:
	s_or_b32 exec_lo, exec_lo, s2
	v_mov_b32_e32 v22, 0
	ds_read_b64 v[22:23], v22 offset:80
	s_waitcnt lgkmcnt(0)
	v_mul_f64 v[22:23], v[32:33], v[22:23]
.LBB14_67:
	s_or_b32 exec_lo, exec_lo, s1
	s_mov_b32 s1, exec_lo
	s_barrier
	buffer_gl0_inv
	ds_write_b64 v36, v[24:25]
	s_waitcnt lgkmcnt(0)
	s_barrier
	buffer_gl0_inv
	v_cmpx_gt_u32_e32 11, v0
	s_cbranch_execz .LBB14_71
; %bb.68:
	v_mov_b32_e32 v32, 0
	v_mov_b32_e32 v35, v1
	v_lshl_add_u32 v37, v0, 3, 0x80
	v_mov_b32_e32 v33, 0
	v_mov_b32_e32 v34, v0
	s_mov_b32 s2, 0
.LBB14_69:                              ; =>This Inner Loop Header: Depth=1
	v_cmp_eq_u32_e32 vcc_lo, 1, v34
	v_cmp_eq_u32_e64 s0, 2, v34
	v_cndmask_b32_e32 v38, v3, v5, vcc_lo
	v_cndmask_b32_e32 v39, v2, v4, vcc_lo
	v_cmp_eq_u32_e32 vcc_lo, 3, v34
	v_cndmask_b32_e64 v38, v38, v7, s0
	v_cndmask_b32_e64 v39, v39, v6, s0
	v_cmp_eq_u32_e64 s0, 4, v34
	v_cndmask_b32_e32 v38, v38, v9, vcc_lo
	v_cndmask_b32_e32 v39, v39, v8, vcc_lo
	v_cmp_eq_u32_e32 vcc_lo, 5, v34
	v_cndmask_b32_e64 v38, v38, v11, s0
	v_cndmask_b32_e64 v39, v39, v10, s0
	;; [unrolled: 6-line block ×5, first 2 shown]
	ds_read_b64 v[38:39], v37
	v_cmp_eq_u32_e64 s0, 12, v34
	v_add_nc_u32_e32 v37, 8, v37
	v_cndmask_b32_e32 v40, v40, v25, vcc_lo
	v_cndmask_b32_e32 v41, v41, v24, vcc_lo
	v_cmp_eq_u32_e32 vcc_lo, 13, v34
	v_cndmask_b32_e64 v40, v40, v27, s0
	v_cndmask_b32_e64 v41, v41, v26, s0
	v_cmp_eq_u32_e64 s0, 14, v34
	v_cndmask_b32_e32 v40, v40, v29, vcc_lo
	v_cndmask_b32_e32 v42, v41, v28, vcc_lo
	v_add_co_u32 v34, vcc_lo, v34, 1
	v_add_co_ci_u32_e64 v35, null, 0, v35, vcc_lo
	v_cndmask_b32_e64 v41, v40, v31, s0
	v_cndmask_b32_e64 v40, v42, v30, s0
	s_waitcnt lgkmcnt(0)
	v_fma_f64 v[32:33], v[40:41], v[38:39], v[32:33]
	v_add_nc_u32_e32 v38, -1, v34
	v_cmp_lt_u32_e32 vcc_lo, 9, v38
	s_or_b32 s2, vcc_lo, s2
	s_andn2_b32 exec_lo, exec_lo, s2
	s_cbranch_execnz .LBB14_69
; %bb.70:
	s_or_b32 exec_lo, exec_lo, s2
	v_mov_b32_e32 v24, 0
	ds_read_b64 v[24:25], v24 offset:88
	s_waitcnt lgkmcnt(0)
	v_mul_f64 v[24:25], v[32:33], v[24:25]
.LBB14_71:
	s_or_b32 exec_lo, exec_lo, s1
	s_mov_b32 s1, exec_lo
	s_barrier
	buffer_gl0_inv
	ds_write_b64 v36, v[26:27]
	s_waitcnt lgkmcnt(0)
	s_barrier
	buffer_gl0_inv
	v_cmpx_gt_u32_e32 12, v0
	s_cbranch_execz .LBB14_75
; %bb.72:
	v_mov_b32_e32 v32, 0
	v_mov_b32_e32 v35, v1
	v_lshl_add_u32 v37, v0, 3, 0x80
	v_mov_b32_e32 v33, 0
	v_mov_b32_e32 v34, v0
	s_mov_b32 s2, 0
.LBB14_73:                              ; =>This Inner Loop Header: Depth=1
	v_cmp_eq_u32_e32 vcc_lo, 1, v34
	v_cmp_eq_u32_e64 s0, 2, v34
	v_cndmask_b32_e32 v38, v3, v5, vcc_lo
	v_cndmask_b32_e32 v39, v2, v4, vcc_lo
	v_cmp_eq_u32_e32 vcc_lo, 3, v34
	v_cndmask_b32_e64 v38, v38, v7, s0
	v_cndmask_b32_e64 v39, v39, v6, s0
	v_cmp_eq_u32_e64 s0, 4, v34
	v_cndmask_b32_e32 v38, v38, v9, vcc_lo
	v_cndmask_b32_e32 v39, v39, v8, vcc_lo
	v_cmp_eq_u32_e32 vcc_lo, 5, v34
	v_cndmask_b32_e64 v38, v38, v11, s0
	v_cndmask_b32_e64 v39, v39, v10, s0
	;; [unrolled: 6-line block ×5, first 2 shown]
	ds_read_b64 v[38:39], v37
	v_cmp_eq_u32_e64 s0, 12, v34
	v_add_nc_u32_e32 v37, 8, v37
	v_cndmask_b32_e32 v40, v40, v25, vcc_lo
	v_cndmask_b32_e32 v41, v41, v24, vcc_lo
	v_cmp_eq_u32_e32 vcc_lo, 13, v34
	v_cndmask_b32_e64 v40, v40, v27, s0
	v_cndmask_b32_e64 v41, v41, v26, s0
	v_cmp_eq_u32_e64 s0, 14, v34
	v_cndmask_b32_e32 v40, v40, v29, vcc_lo
	v_cndmask_b32_e32 v42, v41, v28, vcc_lo
	v_add_co_u32 v34, vcc_lo, v34, 1
	v_add_co_ci_u32_e64 v35, null, 0, v35, vcc_lo
	v_cndmask_b32_e64 v41, v40, v31, s0
	v_cndmask_b32_e64 v40, v42, v30, s0
	s_waitcnt lgkmcnt(0)
	v_fma_f64 v[32:33], v[40:41], v[38:39], v[32:33]
	v_add_nc_u32_e32 v38, -1, v34
	v_cmp_lt_u32_e32 vcc_lo, 10, v38
	s_or_b32 s2, vcc_lo, s2
	s_andn2_b32 exec_lo, exec_lo, s2
	s_cbranch_execnz .LBB14_73
; %bb.74:
	s_or_b32 exec_lo, exec_lo, s2
	v_mov_b32_e32 v26, 0
	ds_read_b64 v[26:27], v26 offset:96
	s_waitcnt lgkmcnt(0)
	v_mul_f64 v[26:27], v[32:33], v[26:27]
.LBB14_75:
	s_or_b32 exec_lo, exec_lo, s1
	s_mov_b32 s1, exec_lo
	s_barrier
	buffer_gl0_inv
	ds_write_b64 v36, v[28:29]
	s_waitcnt lgkmcnt(0)
	s_barrier
	buffer_gl0_inv
	v_cmpx_gt_u32_e32 13, v0
	s_cbranch_execz .LBB14_79
; %bb.76:
	v_mov_b32_e32 v32, 0
	v_mov_b32_e32 v35, v1
	v_lshl_add_u32 v37, v0, 3, 0x80
	v_mov_b32_e32 v33, 0
	v_mov_b32_e32 v34, v0
	s_mov_b32 s2, 0
.LBB14_77:                              ; =>This Inner Loop Header: Depth=1
	v_cmp_eq_u32_e32 vcc_lo, 1, v34
	v_cmp_eq_u32_e64 s0, 2, v34
	v_cndmask_b32_e32 v38, v3, v5, vcc_lo
	v_cndmask_b32_e32 v39, v2, v4, vcc_lo
	v_cmp_eq_u32_e32 vcc_lo, 3, v34
	v_cndmask_b32_e64 v38, v38, v7, s0
	v_cndmask_b32_e64 v39, v39, v6, s0
	v_cmp_eq_u32_e64 s0, 4, v34
	v_cndmask_b32_e32 v38, v38, v9, vcc_lo
	v_cndmask_b32_e32 v39, v39, v8, vcc_lo
	v_cmp_eq_u32_e32 vcc_lo, 5, v34
	v_cndmask_b32_e64 v38, v38, v11, s0
	v_cndmask_b32_e64 v39, v39, v10, s0
	;; [unrolled: 6-line block ×5, first 2 shown]
	ds_read_b64 v[38:39], v37
	v_cmp_eq_u32_e64 s0, 12, v34
	v_add_nc_u32_e32 v37, 8, v37
	v_cndmask_b32_e32 v40, v40, v25, vcc_lo
	v_cndmask_b32_e32 v41, v41, v24, vcc_lo
	v_cmp_eq_u32_e32 vcc_lo, 13, v34
	v_cndmask_b32_e64 v40, v40, v27, s0
	v_cndmask_b32_e64 v41, v41, v26, s0
	v_cmp_eq_u32_e64 s0, 14, v34
	v_cndmask_b32_e32 v40, v40, v29, vcc_lo
	v_cndmask_b32_e32 v42, v41, v28, vcc_lo
	v_add_co_u32 v34, vcc_lo, v34, 1
	v_add_co_ci_u32_e64 v35, null, 0, v35, vcc_lo
	v_cndmask_b32_e64 v41, v40, v31, s0
	v_cndmask_b32_e64 v40, v42, v30, s0
	s_waitcnt lgkmcnt(0)
	v_fma_f64 v[32:33], v[40:41], v[38:39], v[32:33]
	v_add_nc_u32_e32 v38, -1, v34
	v_cmp_lt_u32_e32 vcc_lo, 11, v38
	s_or_b32 s2, vcc_lo, s2
	s_andn2_b32 exec_lo, exec_lo, s2
	s_cbranch_execnz .LBB14_77
; %bb.78:
	s_or_b32 exec_lo, exec_lo, s2
	v_mov_b32_e32 v28, 0
	ds_read_b64 v[28:29], v28 offset:104
	s_waitcnt lgkmcnt(0)
	v_mul_f64 v[28:29], v[32:33], v[28:29]
.LBB14_79:
	s_or_b32 exec_lo, exec_lo, s1
	s_mov_b32 s1, exec_lo
	s_barrier
	buffer_gl0_inv
	ds_write_b64 v36, v[30:31]
	s_waitcnt lgkmcnt(0)
	s_barrier
	buffer_gl0_inv
	v_cmpx_ne_u32_e32 14, v0
	s_cbranch_execz .LBB14_83
; %bb.80:
	v_mov_b32_e32 v32, 0
	v_mov_b32_e32 v35, v1
	v_lshl_add_u32 v36, v0, 3, 0x80
	v_mov_b32_e32 v33, 0
	v_mov_b32_e32 v34, v0
	s_mov_b32 s2, 0
.LBB14_81:                              ; =>This Inner Loop Header: Depth=1
	v_cmp_eq_u32_e32 vcc_lo, 1, v34
	v_cmp_eq_u32_e64 s0, 2, v34
	v_cndmask_b32_e32 v1, v3, v5, vcc_lo
	v_cndmask_b32_e32 v37, v2, v4, vcc_lo
	v_cmp_eq_u32_e32 vcc_lo, 3, v34
	v_cndmask_b32_e64 v1, v1, v7, s0
	v_cndmask_b32_e64 v37, v37, v6, s0
	v_cmp_eq_u32_e64 s0, 4, v34
	v_cndmask_b32_e32 v1, v1, v9, vcc_lo
	v_cndmask_b32_e32 v37, v37, v8, vcc_lo
	v_cmp_eq_u32_e32 vcc_lo, 5, v34
	v_cndmask_b32_e64 v1, v1, v11, s0
	v_cndmask_b32_e64 v37, v37, v10, s0
	;; [unrolled: 6-line block ×5, first 2 shown]
	ds_read_b64 v[37:38], v36
	v_cmp_eq_u32_e64 s0, 12, v34
	v_add_nc_u32_e32 v36, 8, v36
	v_cndmask_b32_e32 v1, v1, v25, vcc_lo
	v_cndmask_b32_e32 v39, v39, v24, vcc_lo
	v_cmp_eq_u32_e32 vcc_lo, 13, v34
	v_cndmask_b32_e64 v1, v1, v27, s0
	v_cndmask_b32_e64 v39, v39, v26, s0
	v_cmp_eq_u32_e64 s0, 14, v34
	v_cndmask_b32_e32 v1, v1, v29, vcc_lo
	v_cndmask_b32_e32 v39, v39, v28, vcc_lo
	v_add_co_u32 v34, vcc_lo, v34, 1
	v_add_co_ci_u32_e64 v35, null, 0, v35, vcc_lo
	v_cndmask_b32_e64 v40, v1, v31, s0
	v_cndmask_b32_e64 v39, v39, v30, s0
	v_add_nc_u32_e32 v1, -1, v34
	s_waitcnt lgkmcnt(0)
	v_fma_f64 v[32:33], v[39:40], v[37:38], v[32:33]
	v_cmp_lt_u32_e32 vcc_lo, 12, v1
	s_or_b32 s2, vcc_lo, s2
	s_andn2_b32 exec_lo, exec_lo, s2
	s_cbranch_execnz .LBB14_81
; %bb.82:
	s_or_b32 exec_lo, exec_lo, s2
	v_mov_b32_e32 v1, 0
	ds_read_b64 v[30:31], v1 offset:112
	s_waitcnt lgkmcnt(0)
	v_mul_f64 v[30:31], v[32:33], v[30:31]
.LBB14_83:
	s_or_b32 exec_lo, exec_lo, s1
	s_barrier
	buffer_gl0_inv
	s_cbranch_execnz .LBB14_15
	s_branch .LBB14_16
.LBB14_84:
	v_lshl_add_u32 v1, v0, 3, 0x80
	s_mov_b32 s0, exec_lo
	v_cmpx_eq_u32_e32 14, v0
	s_cbranch_execz .LBB14_86
; %bb.85:
	v_mov_b32_e32 v58, 0
	v_mov_b32_e32 v32, v2
	;; [unrolled: 1-line block ×30, first 2 shown]
	ds_write_b64 v1, v[28:29]
	v_mov_b32_e32 v2, v32
	v_mov_b32_e32 v3, v33
	;; [unrolled: 1-line block ×32, first 2 shown]
.LBB14_86:
	s_or_b32 exec_lo, exec_lo, s0
	v_mov_b32_e32 v56, 0
	s_waitcnt lgkmcnt(0)
	s_waitcnt_vscnt null, 0x0
	s_barrier
	buffer_gl0_inv
	s_mov_b32 s0, exec_lo
	ds_read_b64 v[32:33], v56 offset:240
	s_waitcnt lgkmcnt(0)
	v_fma_f64 v[32:33], v[30:31], v[32:33], 0
	v_add_f64 v[28:29], v[28:29], -v[32:33]
	v_cmpx_lt_u32_e32 12, v0
	s_cbranch_execz .LBB14_88
; %bb.87:
	v_mov_b32_e32 v32, v2
	v_mov_b32_e32 v34, v4
	;; [unrolled: 1-line block ×29, first 2 shown]
	ds_write_b64 v1, v[26:27]
	v_mov_b32_e32 v2, v32
	v_mov_b32_e32 v3, v33
	;; [unrolled: 1-line block ×32, first 2 shown]
.LBB14_88:
	s_or_b32 exec_lo, exec_lo, s0
	s_waitcnt lgkmcnt(0)
	s_barrier
	buffer_gl0_inv
	ds_read2_b64 v[32:35], v56 offset0:29 offset1:30
	s_mov_b32 s0, exec_lo
	s_waitcnt lgkmcnt(0)
	v_fma_f64 v[32:33], v[28:29], v[32:33], 0
	v_fma_f64 v[32:33], v[30:31], v[34:35], v[32:33]
	v_add_f64 v[26:27], v[26:27], -v[32:33]
	v_cmpx_lt_u32_e32 11, v0
	s_cbranch_execz .LBB14_90
; %bb.89:
	v_mov_b32_e32 v54, 0
	v_mov_b32_e32 v32, v2
	;; [unrolled: 1-line block ×30, first 2 shown]
	ds_write_b64 v1, v[24:25]
	v_mov_b32_e32 v2, v32
	v_mov_b32_e32 v3, v33
	;; [unrolled: 1-line block ×32, first 2 shown]
.LBB14_90:
	s_or_b32 exec_lo, exec_lo, s0
	v_mov_b32_e32 v52, 0
	s_waitcnt lgkmcnt(0)
	s_barrier
	buffer_gl0_inv
	s_mov_b32 s0, exec_lo
	ds_read_b128 v[32:35], v52 offset:224
	ds_read_b64 v[36:37], v52 offset:240
	s_waitcnt lgkmcnt(1)
	v_fma_f64 v[32:33], v[26:27], v[32:33], 0
	v_fma_f64 v[32:33], v[28:29], v[34:35], v[32:33]
	s_waitcnt lgkmcnt(0)
	v_fma_f64 v[32:33], v[30:31], v[36:37], v[32:33]
	v_add_f64 v[24:25], v[24:25], -v[32:33]
	v_cmpx_lt_u32_e32 10, v0
	s_cbranch_execz .LBB14_92
; %bb.91:
	v_mov_b32_e32 v32, v2
	v_mov_b32_e32 v34, v4
	;; [unrolled: 1-line block ×29, first 2 shown]
	ds_write_b64 v1, v[22:23]
	v_mov_b32_e32 v2, v32
	v_mov_b32_e32 v3, v33
	;; [unrolled: 1-line block ×32, first 2 shown]
.LBB14_92:
	s_or_b32 exec_lo, exec_lo, s0
	s_waitcnt lgkmcnt(0)
	s_barrier
	buffer_gl0_inv
	ds_read2_b64 v[32:35], v52 offset0:27 offset1:28
	ds_read2_b64 v[36:39], v52 offset0:29 offset1:30
	s_mov_b32 s0, exec_lo
	s_waitcnt lgkmcnt(1)
	v_fma_f64 v[32:33], v[24:25], v[32:33], 0
	v_fma_f64 v[32:33], v[26:27], v[34:35], v[32:33]
	s_waitcnt lgkmcnt(0)
	v_fma_f64 v[32:33], v[28:29], v[36:37], v[32:33]
	v_fma_f64 v[32:33], v[30:31], v[38:39], v[32:33]
	v_add_f64 v[22:23], v[22:23], -v[32:33]
	v_cmpx_lt_u32_e32 9, v0
	s_cbranch_execz .LBB14_94
; %bb.93:
	v_mov_b32_e32 v50, 0
	v_mov_b32_e32 v32, v2
	;; [unrolled: 1-line block ×30, first 2 shown]
	ds_write_b64 v1, v[20:21]
	v_mov_b32_e32 v2, v32
	v_mov_b32_e32 v3, v33
	;; [unrolled: 1-line block ×32, first 2 shown]
.LBB14_94:
	s_or_b32 exec_lo, exec_lo, s0
	v_mov_b32_e32 v48, 0
	s_waitcnt lgkmcnt(0)
	s_barrier
	buffer_gl0_inv
	s_mov_b32 s0, exec_lo
	ds_read_b128 v[32:35], v48 offset:208
	ds_read_b128 v[36:39], v48 offset:224
	s_waitcnt lgkmcnt(1)
	v_fma_f64 v[32:33], v[22:23], v[32:33], 0
	v_fma_f64 v[32:33], v[24:25], v[34:35], v[32:33]
	ds_read_b64 v[34:35], v48 offset:240
	s_waitcnt lgkmcnt(1)
	v_fma_f64 v[32:33], v[26:27], v[36:37], v[32:33]
	v_fma_f64 v[32:33], v[28:29], v[38:39], v[32:33]
	s_waitcnt lgkmcnt(0)
	v_fma_f64 v[32:33], v[30:31], v[34:35], v[32:33]
	v_add_f64 v[20:21], v[20:21], -v[32:33]
	v_cmpx_lt_u32_e32 8, v0
	s_cbranch_execz .LBB14_96
; %bb.95:
	v_mov_b32_e32 v32, v2
	v_mov_b32_e32 v34, v4
	v_mov_b32_e32 v35, v5
	v_mov_b32_e32 v36, v6
	v_mov_b32_e32 v37, v7
	v_mov_b32_e32 v38, v8
	v_mov_b32_e32 v39, v9
	v_mov_b32_e32 v40, v10
	v_mov_b32_e32 v41, v11
	v_mov_b32_e32 v42, v12
	v_mov_b32_e32 v43, v13
	v_mov_b32_e32 v44, v14
	v_mov_b32_e32 v45, v15
	v_mov_b32_e32 v46, v16
	v_mov_b32_e32 v47, v17
	v_mov_b32_e32 v49, v48
	v_mov_b32_e32 v50, v20
	v_mov_b32_e32 v51, v21
	v_mov_b32_e32 v52, v22
	v_mov_b32_e32 v53, v23
	v_mov_b32_e32 v54, v24
	v_mov_b32_e32 v55, v25
	v_mov_b32_e32 v56, v26
	v_mov_b32_e32 v57, v27
	v_mov_b32_e32 v58, v28
	v_mov_b32_e32 v59, v29
	v_mov_b32_e32 v60, v30
	v_mov_b32_e32 v61, v31
	v_mov_b32_e32 v33, v3
	ds_write_b64 v1, v[18:19]
	v_mov_b32_e32 v2, v32
	v_mov_b32_e32 v3, v33
	;; [unrolled: 1-line block ×32, first 2 shown]
.LBB14_96:
	s_or_b32 exec_lo, exec_lo, s0
	s_waitcnt lgkmcnt(0)
	s_barrier
	buffer_gl0_inv
	ds_read2_b64 v[32:35], v48 offset0:25 offset1:26
	ds_read2_b64 v[36:39], v48 offset0:27 offset1:28
	s_mov_b32 s0, exec_lo
	s_waitcnt lgkmcnt(1)
	v_fma_f64 v[32:33], v[20:21], v[32:33], 0
	v_fma_f64 v[32:33], v[22:23], v[34:35], v[32:33]
	s_waitcnt lgkmcnt(0)
	v_fma_f64 v[32:33], v[24:25], v[36:37], v[32:33]
	v_fma_f64 v[36:37], v[26:27], v[38:39], v[32:33]
	ds_read2_b64 v[32:35], v48 offset0:29 offset1:30
	s_waitcnt lgkmcnt(0)
	v_fma_f64 v[32:33], v[28:29], v[32:33], v[36:37]
	v_fma_f64 v[32:33], v[30:31], v[34:35], v[32:33]
	v_add_f64 v[18:19], v[18:19], -v[32:33]
	v_cmpx_lt_u32_e32 7, v0
	s_cbranch_execz .LBB14_98
; %bb.97:
	v_mov_b32_e32 v46, 0
	v_mov_b32_e32 v32, v2
	;; [unrolled: 1-line block ×30, first 2 shown]
	ds_write_b64 v1, v[16:17]
	v_mov_b32_e32 v2, v32
	v_mov_b32_e32 v3, v33
	;; [unrolled: 1-line block ×32, first 2 shown]
.LBB14_98:
	s_or_b32 exec_lo, exec_lo, s0
	v_mov_b32_e32 v44, 0
	s_waitcnt lgkmcnt(0)
	s_barrier
	buffer_gl0_inv
	s_mov_b32 s0, exec_lo
	ds_read_b128 v[32:35], v44 offset:192
	ds_read_b128 v[36:39], v44 offset:208
	s_waitcnt lgkmcnt(1)
	v_fma_f64 v[32:33], v[18:19], v[32:33], 0
	v_fma_f64 v[32:33], v[20:21], v[34:35], v[32:33]
	s_waitcnt lgkmcnt(0)
	v_fma_f64 v[32:33], v[22:23], v[36:37], v[32:33]
	v_fma_f64 v[36:37], v[24:25], v[38:39], v[32:33]
	ds_read_b128 v[32:35], v44 offset:224
	ds_read_b64 v[38:39], v44 offset:240
	s_waitcnt lgkmcnt(1)
	v_fma_f64 v[32:33], v[26:27], v[32:33], v[36:37]
	v_fma_f64 v[32:33], v[28:29], v[34:35], v[32:33]
	s_waitcnt lgkmcnt(0)
	v_fma_f64 v[32:33], v[30:31], v[38:39], v[32:33]
	v_add_f64 v[16:17], v[16:17], -v[32:33]
	v_cmpx_lt_u32_e32 6, v0
	s_cbranch_execz .LBB14_100
; %bb.99:
	v_mov_b32_e32 v32, v2
	v_mov_b32_e32 v34, v4
	;; [unrolled: 1-line block ×29, first 2 shown]
	ds_write_b64 v1, v[14:15]
	v_mov_b32_e32 v2, v32
	v_mov_b32_e32 v3, v33
	;; [unrolled: 1-line block ×32, first 2 shown]
.LBB14_100:
	s_or_b32 exec_lo, exec_lo, s0
	s_waitcnt lgkmcnt(0)
	s_barrier
	buffer_gl0_inv
	ds_read2_b64 v[32:35], v44 offset0:23 offset1:24
	ds_read2_b64 v[36:39], v44 offset0:25 offset1:26
	s_mov_b32 s0, exec_lo
	s_waitcnt lgkmcnt(1)
	v_fma_f64 v[32:33], v[16:17], v[32:33], 0
	v_fma_f64 v[32:33], v[18:19], v[34:35], v[32:33]
	s_waitcnt lgkmcnt(0)
	v_fma_f64 v[32:33], v[20:21], v[36:37], v[32:33]
	v_fma_f64 v[40:41], v[22:23], v[38:39], v[32:33]
	ds_read2_b64 v[32:35], v44 offset0:27 offset1:28
	ds_read2_b64 v[36:39], v44 offset0:29 offset1:30
	s_waitcnt lgkmcnt(1)
	v_fma_f64 v[32:33], v[24:25], v[32:33], v[40:41]
	v_fma_f64 v[32:33], v[26:27], v[34:35], v[32:33]
	s_waitcnt lgkmcnt(0)
	v_fma_f64 v[32:33], v[28:29], v[36:37], v[32:33]
	v_fma_f64 v[32:33], v[30:31], v[38:39], v[32:33]
	v_add_f64 v[14:15], v[14:15], -v[32:33]
	v_cmpx_lt_u32_e32 5, v0
	s_cbranch_execz .LBB14_102
; %bb.101:
	v_mov_b32_e32 v42, 0
	v_mov_b32_e32 v32, v2
	v_mov_b32_e32 v34, v4
	v_mov_b32_e32 v35, v5
	v_mov_b32_e32 v36, v6
	v_mov_b32_e32 v37, v7
	v_mov_b32_e32 v38, v8
	v_mov_b32_e32 v39, v9
	v_mov_b32_e32 v40, v10
	v_mov_b32_e32 v41, v11
	v_mov_b32_e32 v43, v42
	v_mov_b32_e32 v44, v14
	v_mov_b32_e32 v45, v15
	v_mov_b32_e32 v46, v16
	v_mov_b32_e32 v47, v17
	v_mov_b32_e32 v48, v18
	v_mov_b32_e32 v49, v19
	v_mov_b32_e32 v50, v20
	v_mov_b32_e32 v51, v21
	v_mov_b32_e32 v52, v22
	v_mov_b32_e32 v53, v23
	v_mov_b32_e32 v54, v24
	v_mov_b32_e32 v55, v25
	v_mov_b32_e32 v56, v26
	v_mov_b32_e32 v57, v27
	v_mov_b32_e32 v58, v28
	v_mov_b32_e32 v59, v29
	v_mov_b32_e32 v60, v30
	v_mov_b32_e32 v61, v31
	v_mov_b32_e32 v33, v3
	v_mov_b32_e32 v62, v12
	v_mov_b32_e32 v63, v13
	v_mov_b32_e32 v2, v32
	v_mov_b32_e32 v3, v33
	v_mov_b32_e32 v4, v34
	v_mov_b32_e32 v5, v35
	v_mov_b32_e32 v6, v36
	v_mov_b32_e32 v7, v37
	v_mov_b32_e32 v8, v38
	v_mov_b32_e32 v9, v39
	v_mov_b32_e32 v10, v40
	v_mov_b32_e32 v11, v41
	v_mov_b32_e32 v12, v42
	v_mov_b32_e32 v13, v43
	v_mov_b32_e32 v14, v44
	v_mov_b32_e32 v15, v45
	v_mov_b32_e32 v16, v46
	v_mov_b32_e32 v17, v47
	v_mov_b32_e32 v18, v48
	v_mov_b32_e32 v19, v49
	v_mov_b32_e32 v20, v50
	v_mov_b32_e32 v21, v51
	v_mov_b32_e32 v22, v52
	v_mov_b32_e32 v23, v53
	v_mov_b32_e32 v24, v54
	v_mov_b32_e32 v25, v55
	v_mov_b32_e32 v26, v56
	v_mov_b32_e32 v27, v57
	v_mov_b32_e32 v28, v58
	v_mov_b32_e32 v29, v59
	v_mov_b32_e32 v30, v60
	v_mov_b32_e32 v31, v61
	v_mov_b32_e32 v32, v62
	v_mov_b32_e32 v33, v63
	ds_write_b64 v1, v[62:63]
.LBB14_102:
	s_or_b32 exec_lo, exec_lo, s0
	v_mov_b32_e32 v40, 0
	s_waitcnt lgkmcnt(0)
	s_barrier
	buffer_gl0_inv
	s_mov_b32 s0, exec_lo
	ds_read_b128 v[32:35], v40 offset:176
	ds_read_b128 v[36:39], v40 offset:192
	s_waitcnt lgkmcnt(1)
	v_fma_f64 v[32:33], v[14:15], v[32:33], 0
	v_fma_f64 v[32:33], v[16:17], v[34:35], v[32:33]
	s_waitcnt lgkmcnt(0)
	v_fma_f64 v[32:33], v[18:19], v[36:37], v[32:33]
	v_fma_f64 v[41:42], v[20:21], v[38:39], v[32:33]
	ds_read_b128 v[32:35], v40 offset:208
	ds_read_b128 v[36:39], v40 offset:224
	s_waitcnt lgkmcnt(1)
	v_fma_f64 v[32:33], v[22:23], v[32:33], v[41:42]
	v_fma_f64 v[32:33], v[24:25], v[34:35], v[32:33]
	ds_read_b64 v[34:35], v40 offset:240
	s_waitcnt lgkmcnt(1)
	v_fma_f64 v[32:33], v[26:27], v[36:37], v[32:33]
	v_fma_f64 v[32:33], v[28:29], v[38:39], v[32:33]
	s_waitcnt lgkmcnt(0)
	v_fma_f64 v[32:33], v[30:31], v[34:35], v[32:33]
	v_add_f64 v[12:13], v[12:13], -v[32:33]
	v_cmpx_lt_u32_e32 4, v0
	s_cbranch_execz .LBB14_104
; %bb.103:
	v_mov_b32_e32 v32, v2
	v_mov_b32_e32 v34, v4
	;; [unrolled: 1-line block ×63, first 2 shown]
	ds_write_b64 v1, v[62:63]
.LBB14_104:
	s_or_b32 exec_lo, exec_lo, s0
	s_waitcnt lgkmcnt(0)
	s_barrier
	buffer_gl0_inv
	ds_read2_b64 v[32:35], v40 offset0:21 offset1:22
	ds_read2_b64 v[36:39], v40 offset0:23 offset1:24
	s_mov_b32 s0, exec_lo
	s_waitcnt lgkmcnt(1)
	v_fma_f64 v[32:33], v[12:13], v[32:33], 0
	v_fma_f64 v[32:33], v[14:15], v[34:35], v[32:33]
	s_waitcnt lgkmcnt(0)
	v_fma_f64 v[32:33], v[16:17], v[36:37], v[32:33]
	v_fma_f64 v[41:42], v[18:19], v[38:39], v[32:33]
	ds_read2_b64 v[32:35], v40 offset0:25 offset1:26
	ds_read2_b64 v[36:39], v40 offset0:27 offset1:28
	s_waitcnt lgkmcnt(1)
	v_fma_f64 v[32:33], v[20:21], v[32:33], v[41:42]
	v_fma_f64 v[32:33], v[22:23], v[34:35], v[32:33]
	s_waitcnt lgkmcnt(0)
	v_fma_f64 v[32:33], v[24:25], v[36:37], v[32:33]
	v_fma_f64 v[36:37], v[26:27], v[38:39], v[32:33]
	ds_read2_b64 v[32:35], v40 offset0:29 offset1:30
	s_waitcnt lgkmcnt(0)
	v_fma_f64 v[32:33], v[28:29], v[32:33], v[36:37]
	v_fma_f64 v[32:33], v[30:31], v[34:35], v[32:33]
	v_add_f64 v[10:11], v[10:11], -v[32:33]
	v_cmpx_lt_u32_e32 3, v0
	s_cbranch_execz .LBB14_106
; %bb.105:
	v_mov_b32_e32 v38, 0
	v_mov_b32_e32 v32, v2
	v_mov_b32_e32 v34, v4
	v_mov_b32_e32 v35, v5
	v_mov_b32_e32 v36, v6
	v_mov_b32_e32 v37, v7
	v_mov_b32_e32 v39, v38
	v_mov_b32_e32 v40, v10
	v_mov_b32_e32 v41, v11
	v_mov_b32_e32 v42, v12
	v_mov_b32_e32 v43, v13
	v_mov_b32_e32 v44, v14
	v_mov_b32_e32 v45, v15
	v_mov_b32_e32 v46, v16
	v_mov_b32_e32 v47, v17
	v_mov_b32_e32 v48, v18
	v_mov_b32_e32 v49, v19
	v_mov_b32_e32 v50, v20
	v_mov_b32_e32 v51, v21
	v_mov_b32_e32 v52, v22
	v_mov_b32_e32 v53, v23
	v_mov_b32_e32 v54, v24
	v_mov_b32_e32 v55, v25
	v_mov_b32_e32 v56, v26
	v_mov_b32_e32 v57, v27
	v_mov_b32_e32 v58, v28
	v_mov_b32_e32 v59, v29
	v_mov_b32_e32 v60, v30
	v_mov_b32_e32 v61, v31
	v_mov_b32_e32 v33, v3
	v_mov_b32_e32 v62, v8
	v_mov_b32_e32 v63, v9
	v_mov_b32_e32 v2, v32
	v_mov_b32_e32 v3, v33
	v_mov_b32_e32 v4, v34
	v_mov_b32_e32 v5, v35
	v_mov_b32_e32 v6, v36
	v_mov_b32_e32 v7, v37
	v_mov_b32_e32 v8, v38
	v_mov_b32_e32 v9, v39
	v_mov_b32_e32 v10, v40
	v_mov_b32_e32 v11, v41
	v_mov_b32_e32 v12, v42
	v_mov_b32_e32 v13, v43
	v_mov_b32_e32 v14, v44
	v_mov_b32_e32 v15, v45
	v_mov_b32_e32 v16, v46
	v_mov_b32_e32 v17, v47
	v_mov_b32_e32 v18, v48
	v_mov_b32_e32 v19, v49
	v_mov_b32_e32 v20, v50
	v_mov_b32_e32 v21, v51
	v_mov_b32_e32 v22, v52
	v_mov_b32_e32 v23, v53
	v_mov_b32_e32 v24, v54
	v_mov_b32_e32 v25, v55
	v_mov_b32_e32 v26, v56
	v_mov_b32_e32 v27, v57
	v_mov_b32_e32 v28, v58
	v_mov_b32_e32 v29, v59
	v_mov_b32_e32 v30, v60
	v_mov_b32_e32 v31, v61
	v_mov_b32_e32 v32, v62
	v_mov_b32_e32 v33, v63
	ds_write_b64 v1, v[62:63]
.LBB14_106:
	s_or_b32 exec_lo, exec_lo, s0
	v_mov_b32_e32 v36, 0
	s_waitcnt lgkmcnt(0)
	s_barrier
	buffer_gl0_inv
	s_mov_b32 s0, exec_lo
	ds_read_b128 v[32:35], v36 offset:160
	ds_read_b128 v[37:40], v36 offset:176
	s_waitcnt lgkmcnt(1)
	v_fma_f64 v[32:33], v[10:11], v[32:33], 0
	v_fma_f64 v[32:33], v[12:13], v[34:35], v[32:33]
	s_waitcnt lgkmcnt(0)
	v_fma_f64 v[32:33], v[14:15], v[37:38], v[32:33]
	v_fma_f64 v[41:42], v[16:17], v[39:40], v[32:33]
	ds_read_b128 v[32:35], v36 offset:192
	ds_read_b128 v[37:40], v36 offset:208
	s_waitcnt lgkmcnt(1)
	v_fma_f64 v[32:33], v[18:19], v[32:33], v[41:42]
	v_fma_f64 v[32:33], v[20:21], v[34:35], v[32:33]
	s_waitcnt lgkmcnt(0)
	v_fma_f64 v[32:33], v[22:23], v[37:38], v[32:33]
	v_fma_f64 v[37:38], v[24:25], v[39:40], v[32:33]
	ds_read_b128 v[32:35], v36 offset:224
	ds_read_b64 v[39:40], v36 offset:240
	s_waitcnt lgkmcnt(1)
	v_fma_f64 v[32:33], v[26:27], v[32:33], v[37:38]
	v_fma_f64 v[32:33], v[28:29], v[34:35], v[32:33]
	s_waitcnt lgkmcnt(0)
	v_fma_f64 v[32:33], v[30:31], v[39:40], v[32:33]
	v_add_f64 v[8:9], v[8:9], -v[32:33]
	v_cmpx_lt_u32_e32 2, v0
	s_cbranch_execz .LBB14_108
; %bb.107:
	v_mov_b32_e32 v32, v2
	v_mov_b32_e32 v34, v4
	;; [unrolled: 1-line block ×63, first 2 shown]
	ds_write_b64 v1, v[62:63]
.LBB14_108:
	s_or_b32 exec_lo, exec_lo, s0
	s_waitcnt lgkmcnt(0)
	s_barrier
	buffer_gl0_inv
	ds_read2_b64 v[32:35], v36 offset0:19 offset1:20
	ds_read2_b64 v[37:40], v36 offset0:21 offset1:22
	s_mov_b32 s0, exec_lo
	s_waitcnt lgkmcnt(1)
	v_fma_f64 v[32:33], v[8:9], v[32:33], 0
	v_fma_f64 v[32:33], v[10:11], v[34:35], v[32:33]
	s_waitcnt lgkmcnt(0)
	v_fma_f64 v[32:33], v[12:13], v[37:38], v[32:33]
	v_fma_f64 v[41:42], v[14:15], v[39:40], v[32:33]
	ds_read2_b64 v[32:35], v36 offset0:23 offset1:24
	ds_read2_b64 v[37:40], v36 offset0:25 offset1:26
	s_waitcnt lgkmcnt(1)
	v_fma_f64 v[32:33], v[16:17], v[32:33], v[41:42]
	v_fma_f64 v[32:33], v[18:19], v[34:35], v[32:33]
	s_waitcnt lgkmcnt(0)
	v_fma_f64 v[32:33], v[20:21], v[37:38], v[32:33]
	v_fma_f64 v[40:41], v[22:23], v[39:40], v[32:33]
	ds_read2_b64 v[32:35], v36 offset0:27 offset1:28
	ds_read2_b64 v[36:39], v36 offset0:29 offset1:30
	s_waitcnt lgkmcnt(1)
	v_fma_f64 v[32:33], v[24:25], v[32:33], v[40:41]
	v_fma_f64 v[32:33], v[26:27], v[34:35], v[32:33]
	s_waitcnt lgkmcnt(0)
	v_fma_f64 v[32:33], v[28:29], v[36:37], v[32:33]
	v_fma_f64 v[32:33], v[30:31], v[38:39], v[32:33]
	v_add_f64 v[6:7], v[6:7], -v[32:33]
	v_cmpx_lt_u32_e32 1, v0
	s_cbranch_execz .LBB14_110
; %bb.109:
	v_mov_b32_e32 v34, 0
	v_mov_b32_e32 v32, v2
	;; [unrolled: 1-line block ×64, first 2 shown]
	ds_write_b64 v1, v[62:63]
.LBB14_110:
	s_or_b32 exec_lo, exec_lo, s0
	v_mov_b32_e32 v34, 0
	s_waitcnt lgkmcnt(0)
	s_barrier
	buffer_gl0_inv
	s_mov_b32 s0, exec_lo
	ds_read_b128 v[35:38], v34 offset:144
	ds_read_b128 v[39:42], v34 offset:160
	s_waitcnt lgkmcnt(1)
	v_fma_f64 v[32:33], v[6:7], v[35:36], 0
	v_fma_f64 v[32:33], v[8:9], v[37:38], v[32:33]
	s_waitcnt lgkmcnt(0)
	v_fma_f64 v[32:33], v[10:11], v[39:40], v[32:33]
	v_fma_f64 v[32:33], v[12:13], v[41:42], v[32:33]
	ds_read_b128 v[35:38], v34 offset:176
	ds_read_b128 v[39:42], v34 offset:192
	s_waitcnt lgkmcnt(1)
	v_fma_f64 v[32:33], v[14:15], v[35:36], v[32:33]
	v_fma_f64 v[32:33], v[16:17], v[37:38], v[32:33]
	s_waitcnt lgkmcnt(0)
	v_fma_f64 v[32:33], v[18:19], v[39:40], v[32:33]
	v_fma_f64 v[32:33], v[20:21], v[41:42], v[32:33]
	ds_read_b128 v[35:38], v34 offset:208
	ds_read_b128 v[39:42], v34 offset:224
	s_waitcnt lgkmcnt(1)
	v_fma_f64 v[32:33], v[22:23], v[35:36], v[32:33]
	ds_read_b64 v[35:36], v34 offset:240
	v_fma_f64 v[32:33], v[24:25], v[37:38], v[32:33]
	s_waitcnt lgkmcnt(1)
	v_fma_f64 v[32:33], v[26:27], v[39:40], v[32:33]
	v_fma_f64 v[32:33], v[28:29], v[41:42], v[32:33]
	s_waitcnt lgkmcnt(0)
	v_fma_f64 v[32:33], v[30:31], v[35:36], v[32:33]
	v_add_f64 v[4:5], v[4:5], -v[32:33]
	v_cmpx_ne_u32_e32 0, v0
	s_cbranch_execz .LBB14_112
; %bb.111:
	v_mov_b32_e32 v35, v34
	v_mov_b32_e32 v36, v4
	;; [unrolled: 1-line block ×63, first 2 shown]
	ds_write_b64 v1, v[94:95]
.LBB14_112:
	s_or_b32 exec_lo, exec_lo, s0
	s_waitcnt lgkmcnt(0)
	s_barrier
	buffer_gl0_inv
	ds_read2_b64 v[35:38], v34 offset0:17 offset1:18
	ds_read2_b64 v[39:42], v34 offset0:19 offset1:20
	s_and_b32 vcc_lo, exec_lo, s22
	s_waitcnt lgkmcnt(1)
	v_fma_f64 v[0:1], v[4:5], v[35:36], 0
	v_fma_f64 v[0:1], v[6:7], v[37:38], v[0:1]
	s_waitcnt lgkmcnt(0)
	v_fma_f64 v[0:1], v[8:9], v[39:40], v[0:1]
	v_fma_f64 v[0:1], v[10:11], v[41:42], v[0:1]
	ds_read2_b64 v[35:38], v34 offset0:21 offset1:22
	ds_read2_b64 v[39:42], v34 offset0:23 offset1:24
	s_waitcnt lgkmcnt(1)
	v_fma_f64 v[0:1], v[12:13], v[35:36], v[0:1]
	v_fma_f64 v[0:1], v[14:15], v[37:38], v[0:1]
	s_waitcnt lgkmcnt(0)
	v_fma_f64 v[0:1], v[16:17], v[39:40], v[0:1]
	v_fma_f64 v[0:1], v[18:19], v[41:42], v[0:1]
	ds_read2_b64 v[35:38], v34 offset0:25 offset1:26
	ds_read2_b64 v[39:42], v34 offset0:27 offset1:28
	s_waitcnt lgkmcnt(1)
	v_fma_f64 v[0:1], v[20:21], v[35:36], v[0:1]
	ds_read2_b64 v[32:35], v34 offset0:29 offset1:30
	v_fma_f64 v[0:1], v[22:23], v[37:38], v[0:1]
	s_waitcnt lgkmcnt(1)
	v_fma_f64 v[0:1], v[24:25], v[39:40], v[0:1]
	v_fma_f64 v[0:1], v[26:27], v[41:42], v[0:1]
	s_waitcnt lgkmcnt(0)
	v_fma_f64 v[0:1], v[28:29], v[32:33], v[0:1]
	v_fma_f64 v[0:1], v[30:31], v[34:35], v[0:1]
	v_add_f64 v[2:3], v[2:3], -v[0:1]
	s_cbranch_vccz .LBB14_141
; %bb.113:
	v_mov_b32_e32 v0, 0
	global_load_dword v1, v0, s[20:21] offset:52
	s_waitcnt vmcnt(0)
	v_readfirstlane_b32 s0, v1
	s_add_i32 s0, s0, -1
	s_cmp_lg_u32 s0, 13
	s_cbranch_scc0 .LBB14_115
; %bb.114:
	s_lshl_b32 m0, s0, 1
	v_movrels_b32_e32 v1, v2
	v_movrels_b32_e32 v62, v3
	v_mov_b32_e32 v61, v33
	v_mov_b32_e32 v60, v32
	v_mov_b32_e32 v59, v31
	v_mov_b32_e32 v58, v30
	v_mov_b32_e32 v57, v29
	v_mov_b32_e32 v56, v28
	v_mov_b32_e32 v55, v27
	v_mov_b32_e32 v54, v26
	v_mov_b32_e32 v53, v25
	v_mov_b32_e32 v52, v24
	v_mov_b32_e32 v51, v23
	v_mov_b32_e32 v50, v22
	v_mov_b32_e32 v49, v21
	v_mov_b32_e32 v48, v20
	v_mov_b32_e32 v47, v19
	v_mov_b32_e32 v46, v18
	v_mov_b32_e32 v45, v17
	v_mov_b32_e32 v44, v16
	v_mov_b32_e32 v43, v15
	v_mov_b32_e32 v42, v14
	v_mov_b32_e32 v41, v13
	v_mov_b32_e32 v40, v12
	v_mov_b32_e32 v39, v11
	v_mov_b32_e32 v38, v10
	v_mov_b32_e32 v37, v9
	v_mov_b32_e32 v36, v8
	v_mov_b32_e32 v35, v7
	v_mov_b32_e32 v34, v6
	v_mov_b32_e32 v33, v5
	v_mov_b32_e32 v32, v4
	v_mov_b32_e32 v31, v3
	v_mov_b32_e32 v30, v2
	v_mov_b32_e32 v56, v1
	v_mov_b32_e32 v57, v62
	v_movreld_b32_e32 v30, v28
	v_movreld_b32_e32 v31, v29
	v_mov_b32_e32 v2, v30
	v_mov_b32_e32 v3, v31
	;; [unrolled: 1-line block ×32, first 2 shown]
.LBB14_115:
	global_load_dword v0, v0, s[20:21] offset:48
	s_waitcnt vmcnt(0)
	v_readfirstlane_b32 s0, v0
	s_add_i32 s0, s0, -1
	s_cmp_eq_u32 s0, 12
	s_cbranch_scc1 .LBB14_117
; %bb.116:
	s_lshl_b32 m0, s0, 1
	v_movrels_b32_e32 v0, v2
	v_movrels_b32_e32 v1, v3
	v_mov_b32_e32 v59, v33
	v_mov_b32_e32 v58, v32
	v_mov_b32_e32 v57, v31
	v_mov_b32_e32 v56, v30
	v_mov_b32_e32 v55, v29
	v_mov_b32_e32 v54, v28
	v_mov_b32_e32 v53, v27
	v_mov_b32_e32 v52, v26
	v_mov_b32_e32 v51, v25
	v_mov_b32_e32 v50, v24
	v_mov_b32_e32 v49, v23
	v_mov_b32_e32 v48, v22
	v_mov_b32_e32 v47, v21
	v_mov_b32_e32 v46, v20
	v_mov_b32_e32 v45, v19
	v_mov_b32_e32 v44, v18
	v_mov_b32_e32 v43, v17
	v_mov_b32_e32 v42, v16
	v_mov_b32_e32 v41, v15
	v_mov_b32_e32 v40, v14
	v_mov_b32_e32 v39, v13
	v_mov_b32_e32 v38, v12
	v_mov_b32_e32 v37, v11
	v_mov_b32_e32 v36, v10
	v_mov_b32_e32 v35, v9
	v_mov_b32_e32 v34, v8
	v_mov_b32_e32 v33, v7
	v_mov_b32_e32 v32, v6
	v_mov_b32_e32 v31, v5
	v_mov_b32_e32 v30, v4
	v_mov_b32_e32 v29, v3
	v_mov_b32_e32 v28, v2
	v_mov_b32_e32 v52, v0
	v_mov_b32_e32 v53, v1
	v_movreld_b32_e32 v28, v26
	v_movreld_b32_e32 v29, v27
	v_mov_b32_e32 v2, v28
	v_mov_b32_e32 v3, v29
	;; [unrolled: 1-line block ×32, first 2 shown]
.LBB14_117:
	v_mov_b32_e32 v0, 0
	global_load_dword v1, v0, s[20:21] offset:44
	s_waitcnt vmcnt(0)
	v_readfirstlane_b32 s0, v1
	s_add_i32 s0, s0, -1
	s_cmp_eq_u32 s0, 11
	s_cbranch_scc1 .LBB14_119
; %bb.118:
	s_lshl_b32 m0, s0, 1
	v_movrels_b32_e32 v1, v2
	v_movrels_b32_e32 v58, v3
	v_mov_b32_e32 v57, v33
	v_mov_b32_e32 v56, v32
	;; [unrolled: 1-line block ×34, first 2 shown]
	v_movreld_b32_e32 v26, v24
	v_movreld_b32_e32 v27, v25
	v_mov_b32_e32 v2, v26
	v_mov_b32_e32 v3, v27
	;; [unrolled: 1-line block ×32, first 2 shown]
.LBB14_119:
	global_load_dword v0, v0, s[20:21] offset:40
	s_waitcnt vmcnt(0)
	v_readfirstlane_b32 s0, v0
	s_add_i32 s0, s0, -1
	s_cmp_eq_u32 s0, 10
	s_cbranch_scc1 .LBB14_121
; %bb.120:
	s_lshl_b32 m0, s0, 1
	v_movrels_b32_e32 v0, v2
	v_movrels_b32_e32 v1, v3
	v_mov_b32_e32 v55, v33
	v_mov_b32_e32 v54, v32
	;; [unrolled: 1-line block ×34, first 2 shown]
	v_movreld_b32_e32 v24, v22
	v_movreld_b32_e32 v25, v23
	v_mov_b32_e32 v2, v24
	v_mov_b32_e32 v3, v25
	;; [unrolled: 1-line block ×32, first 2 shown]
.LBB14_121:
	v_mov_b32_e32 v0, 0
	global_load_dword v1, v0, s[20:21] offset:36
	s_waitcnt vmcnt(0)
	v_readfirstlane_b32 s0, v1
	s_add_i32 s0, s0, -1
	s_cmp_eq_u32 s0, 9
	s_cbranch_scc1 .LBB14_123
; %bb.122:
	s_lshl_b32 m0, s0, 1
	v_movrels_b32_e32 v1, v2
	v_movrels_b32_e32 v54, v3
	v_mov_b32_e32 v53, v33
	v_mov_b32_e32 v52, v32
	;; [unrolled: 1-line block ×34, first 2 shown]
	v_movreld_b32_e32 v22, v20
	v_movreld_b32_e32 v23, v21
	v_mov_b32_e32 v2, v22
	v_mov_b32_e32 v3, v23
	;; [unrolled: 1-line block ×32, first 2 shown]
.LBB14_123:
	global_load_dword v0, v0, s[20:21] offset:32
	s_waitcnt vmcnt(0)
	v_readfirstlane_b32 s0, v0
	s_add_i32 s0, s0, -1
	s_cmp_eq_u32 s0, 8
	s_cbranch_scc1 .LBB14_125
; %bb.124:
	s_lshl_b32 m0, s0, 1
	v_movrels_b32_e32 v0, v2
	v_movrels_b32_e32 v1, v3
	v_mov_b32_e32 v51, v33
	v_mov_b32_e32 v50, v32
	;; [unrolled: 1-line block ×34, first 2 shown]
	v_movreld_b32_e32 v20, v18
	v_movreld_b32_e32 v21, v19
	v_mov_b32_e32 v2, v20
	v_mov_b32_e32 v3, v21
	v_mov_b32_e32 v4, v22
	v_mov_b32_e32 v5, v23
	v_mov_b32_e32 v6, v24
	v_mov_b32_e32 v7, v25
	v_mov_b32_e32 v8, v26
	v_mov_b32_e32 v9, v27
	v_mov_b32_e32 v10, v28
	v_mov_b32_e32 v11, v29
	v_mov_b32_e32 v12, v30
	v_mov_b32_e32 v13, v31
	v_mov_b32_e32 v14, v32
	v_mov_b32_e32 v15, v33
	v_mov_b32_e32 v16, v34
	v_mov_b32_e32 v17, v35
	v_mov_b32_e32 v18, v36
	v_mov_b32_e32 v19, v37
	v_mov_b32_e32 v20, v38
	v_mov_b32_e32 v21, v39
	v_mov_b32_e32 v22, v40
	v_mov_b32_e32 v23, v41
	v_mov_b32_e32 v24, v42
	v_mov_b32_e32 v25, v43
	v_mov_b32_e32 v26, v44
	v_mov_b32_e32 v27, v45
	v_mov_b32_e32 v28, v46
	v_mov_b32_e32 v29, v47
	v_mov_b32_e32 v30, v48
	v_mov_b32_e32 v31, v49
	v_mov_b32_e32 v32, v50
	v_mov_b32_e32 v33, v51
.LBB14_125:
	v_mov_b32_e32 v0, 0
	global_load_dword v1, v0, s[20:21] offset:28
	s_waitcnt vmcnt(0)
	v_readfirstlane_b32 s0, v1
	s_add_i32 s0, s0, -1
	s_cmp_eq_u32 s0, 7
	s_cbranch_scc1 .LBB14_127
; %bb.126:
	s_lshl_b32 m0, s0, 1
	v_movrels_b32_e32 v1, v2
	v_movrels_b32_e32 v50, v3
	v_mov_b32_e32 v49, v33
	v_mov_b32_e32 v48, v32
	;; [unrolled: 1-line block ×34, first 2 shown]
	v_movreld_b32_e32 v18, v16
	v_movreld_b32_e32 v19, v17
	v_mov_b32_e32 v2, v18
	v_mov_b32_e32 v3, v19
	;; [unrolled: 1-line block ×32, first 2 shown]
.LBB14_127:
	global_load_dword v0, v0, s[20:21] offset:24
	s_waitcnt vmcnt(0)
	v_readfirstlane_b32 s0, v0
	s_add_i32 s0, s0, -1
	s_cmp_eq_u32 s0, 6
	s_cbranch_scc1 .LBB14_129
; %bb.128:
	s_lshl_b32 m0, s0, 1
	v_movrels_b32_e32 v0, v2
	v_movrels_b32_e32 v1, v3
	v_mov_b32_e32 v47, v33
	v_mov_b32_e32 v46, v32
	;; [unrolled: 1-line block ×34, first 2 shown]
	v_movreld_b32_e32 v16, v14
	v_movreld_b32_e32 v17, v15
	v_mov_b32_e32 v2, v16
	v_mov_b32_e32 v3, v17
	;; [unrolled: 1-line block ×32, first 2 shown]
.LBB14_129:
	v_mov_b32_e32 v0, 0
	global_load_dword v1, v0, s[20:21] offset:20
	s_waitcnt vmcnt(0)
	v_readfirstlane_b32 s0, v1
	s_add_i32 s0, s0, -1
	s_cmp_eq_u32 s0, 5
	s_cbranch_scc1 .LBB14_131
; %bb.130:
	s_lshl_b32 m0, s0, 1
	v_movrels_b32_e32 v1, v2
	v_movrels_b32_e32 v46, v3
	v_mov_b32_e32 v45, v33
	v_mov_b32_e32 v44, v32
	;; [unrolled: 1-line block ×34, first 2 shown]
	v_movreld_b32_e32 v14, v12
	v_movreld_b32_e32 v15, v13
	v_mov_b32_e32 v2, v14
	v_mov_b32_e32 v3, v15
	;; [unrolled: 1-line block ×32, first 2 shown]
.LBB14_131:
	global_load_dword v0, v0, s[20:21] offset:16
	s_waitcnt vmcnt(0)
	v_readfirstlane_b32 s0, v0
	s_add_i32 s0, s0, -1
	s_cmp_eq_u32 s0, 4
	s_cbranch_scc1 .LBB14_133
; %bb.132:
	s_lshl_b32 m0, s0, 1
	v_movrels_b32_e32 v0, v2
	v_movrels_b32_e32 v1, v3
	v_mov_b32_e32 v43, v33
	v_mov_b32_e32 v42, v32
	;; [unrolled: 1-line block ×34, first 2 shown]
	v_movreld_b32_e32 v12, v10
	v_movreld_b32_e32 v13, v11
	v_mov_b32_e32 v2, v12
	v_mov_b32_e32 v3, v13
	;; [unrolled: 1-line block ×32, first 2 shown]
.LBB14_133:
	v_mov_b32_e32 v0, 0
	global_load_dword v1, v0, s[20:21] offset:12
	s_waitcnt vmcnt(0)
	v_readfirstlane_b32 s0, v1
	s_add_i32 s0, s0, -1
	s_cmp_eq_u32 s0, 3
	s_cbranch_scc1 .LBB14_135
; %bb.134:
	s_lshl_b32 m0, s0, 1
	v_movrels_b32_e32 v1, v2
	v_movrels_b32_e32 v42, v3
	v_mov_b32_e32 v41, v33
	v_mov_b32_e32 v40, v32
	;; [unrolled: 1-line block ×34, first 2 shown]
	v_movreld_b32_e32 v10, v8
	v_movreld_b32_e32 v11, v9
	v_mov_b32_e32 v2, v10
	v_mov_b32_e32 v3, v11
	v_mov_b32_e32 v4, v12
	v_mov_b32_e32 v5, v13
	v_mov_b32_e32 v6, v14
	v_mov_b32_e32 v7, v15
	v_mov_b32_e32 v8, v16
	v_mov_b32_e32 v9, v17
	v_mov_b32_e32 v10, v18
	v_mov_b32_e32 v11, v19
	v_mov_b32_e32 v12, v20
	v_mov_b32_e32 v13, v21
	v_mov_b32_e32 v14, v22
	v_mov_b32_e32 v15, v23
	v_mov_b32_e32 v16, v24
	v_mov_b32_e32 v17, v25
	v_mov_b32_e32 v18, v26
	v_mov_b32_e32 v19, v27
	v_mov_b32_e32 v20, v28
	v_mov_b32_e32 v21, v29
	v_mov_b32_e32 v22, v30
	v_mov_b32_e32 v23, v31
	v_mov_b32_e32 v24, v32
	v_mov_b32_e32 v25, v33
	v_mov_b32_e32 v26, v34
	v_mov_b32_e32 v27, v35
	v_mov_b32_e32 v28, v36
	v_mov_b32_e32 v29, v37
	v_mov_b32_e32 v30, v38
	v_mov_b32_e32 v31, v39
	v_mov_b32_e32 v32, v40
	v_mov_b32_e32 v33, v41
.LBB14_135:
	global_load_dword v0, v0, s[20:21] offset:8
	s_waitcnt vmcnt(0)
	v_readfirstlane_b32 s0, v0
	s_add_i32 s0, s0, -1
	s_cmp_eq_u32 s0, 2
	s_cbranch_scc1 .LBB14_137
; %bb.136:
	s_lshl_b32 m0, s0, 1
	v_movrels_b32_e32 v0, v2
	v_movrels_b32_e32 v1, v3
	v_mov_b32_e32 v39, v33
	v_mov_b32_e32 v38, v32
	;; [unrolled: 1-line block ×34, first 2 shown]
	v_movreld_b32_e32 v8, v6
	v_movreld_b32_e32 v9, v7
	v_mov_b32_e32 v2, v8
	v_mov_b32_e32 v3, v9
	;; [unrolled: 1-line block ×32, first 2 shown]
.LBB14_137:
	v_mov_b32_e32 v0, 0
	global_load_dword v1, v0, s[20:21] offset:4
	s_waitcnt vmcnt(0)
	v_readfirstlane_b32 s0, v1
	s_add_i32 s0, s0, -1
	s_cmp_eq_u32 s0, 1
	s_cbranch_scc1 .LBB14_139
; %bb.138:
	s_lshl_b32 m0, s0, 1
	v_movrels_b32_e32 v1, v2
	v_movrels_b32_e32 v38, v3
	v_mov_b32_e32 v37, v33
	v_mov_b32_e32 v36, v32
	;; [unrolled: 1-line block ×34, first 2 shown]
	v_movreld_b32_e32 v6, v4
	v_movreld_b32_e32 v7, v5
	v_mov_b32_e32 v2, v6
	v_mov_b32_e32 v3, v7
	;; [unrolled: 1-line block ×32, first 2 shown]
.LBB14_139:
	global_load_dword v0, v0, s[20:21]
	s_waitcnt vmcnt(0)
	v_readfirstlane_b32 s0, v0
	s_add_i32 s0, s0, -1
	s_cmp_eq_u32 s0, 0
	s_cbranch_scc1 .LBB14_141
; %bb.140:
	s_lshl_b32 m0, s0, 1
	v_movrels_b32_e32 v0, v2
	v_movrels_b32_e32 v1, v3
	v_mov_b32_e32 v35, v33
	v_mov_b32_e32 v34, v32
	;; [unrolled: 1-line block ×34, first 2 shown]
	v_movreld_b32_e32 v4, v2
	v_movreld_b32_e32 v5, v3
	v_mov_b32_e32 v2, v4
	v_mov_b32_e32 v3, v5
	;; [unrolled: 1-line block ×32, first 2 shown]
.LBB14_141:
	v_mov_b32_e32 v0, v2
	v_mov_b32_e32 v1, v3
	v_mov_b32_e32 v2, v4
	v_mov_b32_e32 v3, v5
	v_mov_b32_e32 v4, v6
	v_mov_b32_e32 v5, v7
	v_mov_b32_e32 v6, v8
	v_mov_b32_e32 v7, v9
	v_mov_b32_e32 v8, v10
	v_mov_b32_e32 v9, v11
	global_store_dwordx2 v[64:65], v[0:1], off
	global_store_dwordx2 v[66:67], v[2:3], off
	global_store_dwordx2 v[68:69], v[4:5], off
	global_store_dwordx2 v[70:71], v[6:7], off
	global_store_dwordx2 v[74:75], v[8:9], off
	v_mov_b32_e32 v0, v12
	v_mov_b32_e32 v1, v13
	v_mov_b32_e32 v2, v14
	v_mov_b32_e32 v3, v15
	v_mov_b32_e32 v4, v16
	v_mov_b32_e32 v5, v17
	v_mov_b32_e32 v6, v18
	v_mov_b32_e32 v7, v19
	v_mov_b32_e32 v8, v20
	v_mov_b32_e32 v9, v21
	global_store_dwordx2 v[72:73], v[0:1], off
	global_store_dwordx2 v[76:77], v[2:3], off
	global_store_dwordx2 v[78:79], v[4:5], off
	global_store_dwordx2 v[80:81], v[6:7], off
	global_store_dwordx2 v[84:85], v[8:9], off
	;; [unrolled: 15-line block ×3, first 2 shown]
	s_endpgm
	.section	.rodata,"a",@progbits
	.p2align	6, 0x0
	.amdhsa_kernel _ZN9rocsolver6v33100L18getri_kernel_smallILi15EdPdEEvT1_iilPiilS4_bb
		.amdhsa_group_segment_fixed_size 248
		.amdhsa_private_segment_fixed_size 0
		.amdhsa_kernarg_size 60
		.amdhsa_user_sgpr_count 6
		.amdhsa_user_sgpr_private_segment_buffer 1
		.amdhsa_user_sgpr_dispatch_ptr 0
		.amdhsa_user_sgpr_queue_ptr 0
		.amdhsa_user_sgpr_kernarg_segment_ptr 1
		.amdhsa_user_sgpr_dispatch_id 0
		.amdhsa_user_sgpr_flat_scratch_init 0
		.amdhsa_user_sgpr_private_segment_size 0
		.amdhsa_wavefront_size32 1
		.amdhsa_uses_dynamic_stack 0
		.amdhsa_system_sgpr_private_segment_wavefront_offset 0
		.amdhsa_system_sgpr_workgroup_id_x 1
		.amdhsa_system_sgpr_workgroup_id_y 0
		.amdhsa_system_sgpr_workgroup_id_z 0
		.amdhsa_system_sgpr_workgroup_info 0
		.amdhsa_system_vgpr_workitem_id 0
		.amdhsa_next_free_vgpr 96
		.amdhsa_next_free_sgpr 23
		.amdhsa_reserve_vcc 1
		.amdhsa_reserve_flat_scratch 0
		.amdhsa_float_round_mode_32 0
		.amdhsa_float_round_mode_16_64 0
		.amdhsa_float_denorm_mode_32 3
		.amdhsa_float_denorm_mode_16_64 3
		.amdhsa_dx10_clamp 1
		.amdhsa_ieee_mode 1
		.amdhsa_fp16_overflow 0
		.amdhsa_workgroup_processor_mode 1
		.amdhsa_memory_ordered 1
		.amdhsa_forward_progress 1
		.amdhsa_shared_vgpr_count 0
		.amdhsa_exception_fp_ieee_invalid_op 0
		.amdhsa_exception_fp_denorm_src 0
		.amdhsa_exception_fp_ieee_div_zero 0
		.amdhsa_exception_fp_ieee_overflow 0
		.amdhsa_exception_fp_ieee_underflow 0
		.amdhsa_exception_fp_ieee_inexact 0
		.amdhsa_exception_int_div_zero 0
	.end_amdhsa_kernel
	.section	.text._ZN9rocsolver6v33100L18getri_kernel_smallILi15EdPdEEvT1_iilPiilS4_bb,"axG",@progbits,_ZN9rocsolver6v33100L18getri_kernel_smallILi15EdPdEEvT1_iilPiilS4_bb,comdat
.Lfunc_end14:
	.size	_ZN9rocsolver6v33100L18getri_kernel_smallILi15EdPdEEvT1_iilPiilS4_bb, .Lfunc_end14-_ZN9rocsolver6v33100L18getri_kernel_smallILi15EdPdEEvT1_iilPiilS4_bb
                                        ; -- End function
	.set _ZN9rocsolver6v33100L18getri_kernel_smallILi15EdPdEEvT1_iilPiilS4_bb.num_vgpr, 96
	.set _ZN9rocsolver6v33100L18getri_kernel_smallILi15EdPdEEvT1_iilPiilS4_bb.num_agpr, 0
	.set _ZN9rocsolver6v33100L18getri_kernel_smallILi15EdPdEEvT1_iilPiilS4_bb.numbered_sgpr, 23
	.set _ZN9rocsolver6v33100L18getri_kernel_smallILi15EdPdEEvT1_iilPiilS4_bb.num_named_barrier, 0
	.set _ZN9rocsolver6v33100L18getri_kernel_smallILi15EdPdEEvT1_iilPiilS4_bb.private_seg_size, 0
	.set _ZN9rocsolver6v33100L18getri_kernel_smallILi15EdPdEEvT1_iilPiilS4_bb.uses_vcc, 1
	.set _ZN9rocsolver6v33100L18getri_kernel_smallILi15EdPdEEvT1_iilPiilS4_bb.uses_flat_scratch, 0
	.set _ZN9rocsolver6v33100L18getri_kernel_smallILi15EdPdEEvT1_iilPiilS4_bb.has_dyn_sized_stack, 0
	.set _ZN9rocsolver6v33100L18getri_kernel_smallILi15EdPdEEvT1_iilPiilS4_bb.has_recursion, 0
	.set _ZN9rocsolver6v33100L18getri_kernel_smallILi15EdPdEEvT1_iilPiilS4_bb.has_indirect_call, 0
	.section	.AMDGPU.csdata,"",@progbits
; Kernel info:
; codeLenInByte = 20332
; TotalNumSgprs: 25
; NumVgprs: 96
; ScratchSize: 0
; MemoryBound: 0
; FloatMode: 240
; IeeeMode: 1
; LDSByteSize: 248 bytes/workgroup (compile time only)
; SGPRBlocks: 0
; VGPRBlocks: 11
; NumSGPRsForWavesPerEU: 25
; NumVGPRsForWavesPerEU: 96
; Occupancy: 10
; WaveLimiterHint : 0
; COMPUTE_PGM_RSRC2:SCRATCH_EN: 0
; COMPUTE_PGM_RSRC2:USER_SGPR: 6
; COMPUTE_PGM_RSRC2:TRAP_HANDLER: 0
; COMPUTE_PGM_RSRC2:TGID_X_EN: 1
; COMPUTE_PGM_RSRC2:TGID_Y_EN: 0
; COMPUTE_PGM_RSRC2:TGID_Z_EN: 0
; COMPUTE_PGM_RSRC2:TIDIG_COMP_CNT: 0
	.section	.text._ZN9rocsolver6v33100L18getri_kernel_smallILi16EdPdEEvT1_iilPiilS4_bb,"axG",@progbits,_ZN9rocsolver6v33100L18getri_kernel_smallILi16EdPdEEvT1_iilPiilS4_bb,comdat
	.globl	_ZN9rocsolver6v33100L18getri_kernel_smallILi16EdPdEEvT1_iilPiilS4_bb ; -- Begin function _ZN9rocsolver6v33100L18getri_kernel_smallILi16EdPdEEvT1_iilPiilS4_bb
	.p2align	8
	.type	_ZN9rocsolver6v33100L18getri_kernel_smallILi16EdPdEEvT1_iilPiilS4_bb,@function
_ZN9rocsolver6v33100L18getri_kernel_smallILi16EdPdEEvT1_iilPiilS4_bb: ; @_ZN9rocsolver6v33100L18getri_kernel_smallILi16EdPdEEvT1_iilPiilS4_bb
; %bb.0:
	s_mov_b32 s0, exec_lo
	v_cmpx_gt_u32_e32 16, v0
	s_cbranch_execz .LBB15_16
; %bb.1:
	s_clause 0x2
	s_load_dword s0, s[4:5], 0x38
	s_load_dwordx4 s[8:11], s[4:5], 0x10
	s_load_dwordx4 s[16:19], s[4:5], 0x28
                                        ; implicit-def: $sgpr20_sgpr21
	s_waitcnt lgkmcnt(0)
	s_bitcmp1_b32 s0, 8
	s_cselect_b32 s22, -1, 0
	s_bfe_u32 s0, s0, 0x10008
	s_ashr_i32 s7, s6, 31
	s_cmp_eq_u32 s0, 0
	s_cbranch_scc1 .LBB15_3
; %bb.2:
	s_load_dword s0, s[4:5], 0x20
	s_mul_i32 s1, s16, s7
	s_mul_hi_u32 s2, s16, s6
	s_mul_i32 s3, s17, s6
	s_add_i32 s1, s2, s1
	s_mul_i32 s2, s16, s6
	s_add_i32 s3, s1, s3
	s_lshl_b64 s[2:3], s[2:3], 2
	s_waitcnt lgkmcnt(0)
	s_ashr_i32 s1, s0, 31
	s_add_u32 s2, s10, s2
	s_addc_u32 s3, s11, s3
	s_lshl_b64 s[0:1], s[0:1], 2
	s_add_u32 s20, s2, s0
	s_addc_u32 s21, s3, s1
.LBB15_3:
	s_clause 0x1
	s_load_dwordx4 s[0:3], s[4:5], 0x0
	s_load_dword s4, s[4:5], 0x38
	s_mul_i32 s5, s8, s7
	s_mul_hi_u32 s10, s8, s6
	s_mul_i32 s9, s9, s6
	s_add_i32 s5, s10, s5
	s_mul_i32 s8, s8, s6
	s_add_i32 s9, s5, s9
	v_lshlrev_b32_e32 v36, 3, v0
	s_lshl_b64 s[8:9], s[8:9], 3
	s_waitcnt lgkmcnt(0)
	v_add3_u32 v1, s3, s3, v0
	s_ashr_i32 s11, s2, 31
	s_mov_b32 s10, s2
	s_add_u32 s2, s0, s8
	s_addc_u32 s5, s1, s9
	v_add_nc_u32_e32 v3, s3, v1
	s_lshl_b64 s[0:1], s[10:11], 3
	v_ashrrev_i32_e32 v2, 31, v1
	s_add_u32 s0, s2, s0
	s_addc_u32 s1, s5, s1
	v_add_nc_u32_e32 v5, s3, v3
	v_add_co_u32 v64, s2, s0, v36
	s_mov_b32 s8, s3
	s_ashr_i32 s9, s3, 31
	v_lshlrev_b64 v[1:2], 3, v[1:2]
	v_ashrrev_i32_e32 v4, 31, v3
	v_add_co_ci_u32_e64 v65, null, s1, 0, s2
	s_lshl_b64 s[8:9], s[8:9], 3
	v_ashrrev_i32_e32 v6, 31, v5
	v_add_nc_u32_e32 v7, s3, v5
	v_add_co_u32 v66, vcc_lo, v64, s8
	v_lshlrev_b64 v[3:4], 3, v[3:4]
	v_add_co_ci_u32_e64 v67, null, s9, v65, vcc_lo
	v_add_co_u32 v68, vcc_lo, s0, v1
	v_add_co_ci_u32_e64 v69, null, s1, v2, vcc_lo
	v_lshlrev_b64 v[1:2], 3, v[5:6]
	v_ashrrev_i32_e32 v8, 31, v7
	v_add_nc_u32_e32 v5, s3, v7
	v_add_co_u32 v70, vcc_lo, s0, v3
	v_add_co_ci_u32_e64 v71, null, s1, v4, vcc_lo
	v_lshlrev_b64 v[3:4], 3, v[7:8]
	v_ashrrev_i32_e32 v6, 31, v5
	v_add_nc_u32_e32 v7, s3, v5
	;; [unrolled: 5-line block ×9, first 2 shown]
	v_add_co_u32 v86, vcc_lo, s0, v3
	v_add_co_ci_u32_e64 v87, null, s1, v4, vcc_lo
	v_lshlrev_b64 v[3:4], 3, v[7:8]
	v_add_nc_u32_e32 v7, s3, v5
	v_ashrrev_i32_e32 v6, 31, v5
	v_add_co_u32 v88, vcc_lo, s0, v1
	v_add_co_ci_u32_e64 v89, null, s1, v2, vcc_lo
	v_ashrrev_i32_e32 v8, 31, v7
	v_lshlrev_b64 v[1:2], 3, v[5:6]
	v_add_co_u32 v90, vcc_lo, s0, v3
	v_add_co_ci_u32_e64 v91, null, s1, v4, vcc_lo
	v_lshlrev_b64 v[3:4], 3, v[7:8]
	v_add_co_u32 v94, vcc_lo, s0, v1
	v_add_co_ci_u32_e64 v95, null, s1, v2, vcc_lo
	v_mov_b32_e32 v1, 0
	v_add_co_u32 v92, vcc_lo, s0, v3
	v_add_co_ci_u32_e64 v93, null, s1, v4, vcc_lo
	s_clause 0xf
	global_load_dwordx2 v[2:3], v36, s[0:1]
	global_load_dwordx2 v[4:5], v[66:67], off
	global_load_dwordx2 v[6:7], v[68:69], off
	;; [unrolled: 1-line block ×15, first 2 shown]
	s_bitcmp0_b32 s4, 0
	s_mov_b32 s0, -1
	s_cbranch_scc1 .LBB15_14
; %bb.4:
	v_cmp_eq_u32_e64 s0, 0, v0
	s_and_saveexec_b32 s1, s0
; %bb.5:
	v_mov_b32_e32 v34, 0
	ds_write_b32 v34, v34 offset:256
; %bb.6:
	s_or_b32 exec_lo, exec_lo, s1
	v_cmp_eq_u32_e32 vcc_lo, 1, v0
	s_mov_b32 s2, exec_lo
	s_waitcnt vmcnt(0) lgkmcnt(0)
	s_barrier
	buffer_gl0_inv
	v_cndmask_b32_e32 v34, v3, v5, vcc_lo
	v_cndmask_b32_e32 v35, v2, v4, vcc_lo
	v_cmp_eq_u32_e32 vcc_lo, 2, v0
	v_cndmask_b32_e32 v34, v34, v7, vcc_lo
	v_cndmask_b32_e32 v35, v35, v6, vcc_lo
	v_cmp_eq_u32_e32 vcc_lo, 3, v0
	;; [unrolled: 3-line block ×14, first 2 shown]
	v_cndmask_b32_e32 v35, v34, v33, vcc_lo
	v_cndmask_b32_e32 v34, v37, v32, vcc_lo
	v_cmpx_eq_f64_e32 0, v[34:35]
	s_cbranch_execz .LBB15_10
; %bb.7:
	v_mov_b32_e32 v37, 0
	s_mov_b32 s3, 0
	ds_read_b32 v38, v37 offset:256
	s_waitcnt lgkmcnt(0)
	v_readfirstlane_b32 s1, v38
	v_add_nc_u32_e32 v38, 1, v0
	s_cmp_eq_u32 s1, 0
	v_cmp_gt_i32_e32 vcc_lo, s1, v38
	s_cselect_b32 s4, -1, 0
	s_or_b32 s4, s4, vcc_lo
	s_and_b32 exec_lo, exec_lo, s4
	s_cbranch_execz .LBB15_10
; %bb.8:
	v_mov_b32_e32 v39, s1
.LBB15_9:                               ; =>This Inner Loop Header: Depth=1
	ds_cmpst_rtn_b32 v39, v37, v39, v38 offset:256
	s_waitcnt lgkmcnt(0)
	v_cmp_ne_u32_e32 vcc_lo, 0, v39
	v_cmp_le_i32_e64 s1, v39, v38
	s_and_b32 s1, vcc_lo, s1
	s_and_b32 s1, exec_lo, s1
	s_or_b32 s3, s1, s3
	s_andn2_b32 exec_lo, exec_lo, s3
	s_cbranch_execnz .LBB15_9
.LBB15_10:
	s_or_b32 exec_lo, exec_lo, s2
	v_mov_b32_e32 v37, 0
	s_barrier
	buffer_gl0_inv
	ds_read_b32 v38, v37 offset:256
	s_and_saveexec_b32 s1, s0
	s_cbranch_execz .LBB15_12
; %bb.11:
	s_lshl_b64 s[2:3], s[6:7], 2
	s_add_u32 s2, s18, s2
	s_addc_u32 s3, s19, s3
	s_waitcnt lgkmcnt(0)
	global_store_dword v37, v38, s[2:3]
.LBB15_12:
	s_or_b32 exec_lo, exec_lo, s1
	s_waitcnt lgkmcnt(0)
	v_cmp_ne_u32_e32 vcc_lo, 0, v38
	s_cbranch_vccz .LBB15_17
; %bb.13:
	s_mov_b32 s0, 0
                                        ; implicit-def: $vgpr2_vgpr3_vgpr4_vgpr5_vgpr6_vgpr7_vgpr8_vgpr9_vgpr10_vgpr11_vgpr12_vgpr13_vgpr14_vgpr15_vgpr16_vgpr17_vgpr18_vgpr19_vgpr20_vgpr21_vgpr22_vgpr23_vgpr24_vgpr25_vgpr26_vgpr27_vgpr28_vgpr29_vgpr30_vgpr31_vgpr32_vgpr33
.LBB15_14:
	s_and_b32 vcc_lo, exec_lo, s0
	s_cbranch_vccz .LBB15_16
.LBB15_15:
	s_lshl_b64 s[0:1], s[6:7], 2
	v_mov_b32_e32 v1, 0
	s_add_u32 s0, s18, s0
	s_addc_u32 s1, s19, s1
	global_load_dword v1, v1, s[0:1]
	s_waitcnt vmcnt(0)
	v_cmp_ne_u32_e32 vcc_lo, 0, v1
	s_cbranch_vccz .LBB15_88
.LBB15_16:
	s_endpgm
.LBB15_17:
	v_div_scale_f64 v[37:38], null, v[34:35], v[34:35], 1.0
	v_div_scale_f64 v[43:44], vcc_lo, 1.0, v[34:35], 1.0
	v_cmp_eq_u32_e64 s1, 14, v0
	v_cmp_eq_u32_e64 s2, 13, v0
	;; [unrolled: 1-line block ×15, first 2 shown]
	v_rcp_f64_e32 v[39:40], v[37:38]
	v_fma_f64 v[41:42], -v[37:38], v[39:40], 1.0
	v_fma_f64 v[39:40], v[39:40], v[41:42], v[39:40]
	v_fma_f64 v[41:42], -v[37:38], v[39:40], 1.0
	v_fma_f64 v[39:40], v[39:40], v[41:42], v[39:40]
	v_mul_f64 v[41:42], v[43:44], v[39:40]
	v_fma_f64 v[37:38], -v[37:38], v[41:42], v[43:44]
	v_div_fmas_f64 v[37:38], v[37:38], v[39:40], v[41:42]
	v_cmp_eq_u32_e32 vcc_lo, 15, v0
	v_div_fixup_f64 v[34:35], v[37:38], v[34:35], 1.0
	v_add_nc_u32_e32 v38, 0x80, v36
	v_cndmask_b32_e32 v33, v33, v35, vcc_lo
	v_cndmask_b32_e32 v32, v32, v34, vcc_lo
	v_cndmask_b32_e64 v31, v31, v35, s1
	v_cndmask_b32_e64 v30, v30, v34, s1
	;; [unrolled: 1-line block ×26, first 2 shown]
	v_xor_b32_e32 v40, 0x80000000, v35
	v_mov_b32_e32 v39, v34
	v_cndmask_b32_e64 v7, v7, v35, s15
	v_cndmask_b32_e64 v6, v6, v34, s15
	;; [unrolled: 1-line block ×4, first 2 shown]
	ds_write2_b64 v36, v[39:40], v[4:5] offset1:16
	s_waitcnt lgkmcnt(0)
	s_waitcnt_vscnt null, 0x0
	s_barrier
	buffer_gl0_inv
	s_and_saveexec_b32 s1, s0
	s_cbranch_execz .LBB15_19
; %bb.18:
	ds_read_b64 v[4:5], v38
	v_mov_b32_e32 v36, 0
	ds_read_b64 v[36:37], v36 offset:8
	s_waitcnt lgkmcnt(1)
	v_fma_f64 v[4:5], v[34:35], v[4:5], 0
	s_waitcnt lgkmcnt(0)
	v_mul_f64 v[4:5], v[4:5], v[36:37]
.LBB15_19:
	s_or_b32 exec_lo, exec_lo, s1
	v_cmp_gt_u32_e32 vcc_lo, 2, v0
	s_barrier
	buffer_gl0_inv
	ds_write_b64 v38, v[6:7]
	s_waitcnt lgkmcnt(0)
	s_barrier
	buffer_gl0_inv
	s_and_saveexec_b32 s3, vcc_lo
	s_cbranch_execz .LBB15_23
; %bb.20:
	v_cmp_eq_u32_e64 s1, 1, v0
	v_cmp_eq_u32_e64 s2, 13, v0
	v_cndmask_b32_e64 v34, v3, v5, s1
	v_cndmask_b32_e64 v35, v2, v4, s1
	v_cmp_eq_u32_e64 s1, 2, v0
	v_cndmask_b32_e64 v7, v34, v7, s1
	v_cndmask_b32_e64 v6, v35, v6, s1
	;; [unrolled: 3-line block ×12, first 2 shown]
	ds_read_b64 v[6:7], v38
	v_cmp_eq_u32_e64 s1, 14, v0
	v_cndmask_b32_e64 v34, v34, v29, s2
	v_cndmask_b32_e64 v35, v35, v28, s2
	;; [unrolled: 1-line block ×4, first 2 shown]
	v_cmp_eq_u32_e64 s1, 15, v0
	v_cndmask_b32_e64 v35, v34, v33, s1
	v_cndmask_b32_e64 v34, v36, v32, s1
	s_waitcnt lgkmcnt(0)
	v_fma_f64 v[6:7], v[34:35], v[6:7], 0
	s_and_saveexec_b32 s1, s0
	s_cbranch_execz .LBB15_22
; %bb.21:
	v_mov_b32_e32 v34, 0
	ds_read_b64 v[34:35], v34 offset:136
	s_waitcnt lgkmcnt(0)
	v_fma_f64 v[6:7], v[4:5], v[34:35], v[6:7]
.LBB15_22:
	s_or_b32 exec_lo, exec_lo, s1
	v_mov_b32_e32 v34, 0
	ds_read_b64 v[34:35], v34 offset:16
	s_waitcnt lgkmcnt(0)
	v_mul_f64 v[6:7], v[6:7], v[34:35]
.LBB15_23:
	s_or_b32 exec_lo, exec_lo, s3
	s_mov_b32 s3, exec_lo
	s_barrier
	buffer_gl0_inv
	ds_write_b64 v38, v[8:9]
	s_waitcnt lgkmcnt(0)
	s_barrier
	buffer_gl0_inv
	v_cmpx_gt_u32_e32 3, v0
	s_cbranch_execz .LBB15_27
; %bb.24:
	v_mov_b32_e32 v34, 0
	v_mov_b32_e32 v37, v1
	v_lshl_add_u32 v39, v0, 3, 0x80
	v_mov_b32_e32 v35, 0
	v_mov_b32_e32 v36, v0
	s_mov_b32 s4, 0
.LBB15_25:                              ; =>This Inner Loop Header: Depth=1
	v_cmp_eq_u32_e64 s1, 1, v36
	v_cmp_eq_u32_e64 s2, 2, v36
	v_cndmask_b32_e64 v40, v3, v5, s1
	v_cndmask_b32_e64 v41, v2, v4, s1
	v_cmp_eq_u32_e64 s1, 3, v36
	v_cndmask_b32_e64 v40, v40, v7, s2
	v_cndmask_b32_e64 v41, v41, v6, s2
	;; [unrolled: 3-line block ×11, first 2 shown]
	ds_read_b64 v[40:41], v39
	v_cmp_eq_u32_e64 s1, 13, v36
	v_add_nc_u32_e32 v39, 8, v39
	v_cndmask_b32_e64 v42, v42, v27, s2
	v_cndmask_b32_e64 v43, v43, v26, s2
	v_cmp_eq_u32_e64 s2, 14, v36
	v_cndmask_b32_e64 v42, v42, v29, s1
	v_cndmask_b32_e64 v43, v43, v28, s1
	v_cmp_eq_u32_e64 s1, 15, v36
	v_cndmask_b32_e64 v42, v42, v31, s2
	v_cndmask_b32_e64 v44, v43, v30, s2
	v_cndmask_b32_e64 v43, v42, v33, s1
	v_cndmask_b32_e64 v42, v44, v32, s1
	v_add_co_u32 v36, s1, v36, 1
	v_add_co_ci_u32_e64 v37, null, 0, v37, s1
	s_waitcnt lgkmcnt(0)
	v_fma_f64 v[34:35], v[42:43], v[40:41], v[34:35]
	v_add_nc_u32_e32 v40, -1, v36
	v_cmp_lt_u32_e64 s1, 1, v40
	s_or_b32 s4, s1, s4
	s_andn2_b32 exec_lo, exec_lo, s4
	s_cbranch_execnz .LBB15_25
; %bb.26:
	s_or_b32 exec_lo, exec_lo, s4
	v_mov_b32_e32 v8, 0
	ds_read_b64 v[8:9], v8 offset:24
	s_waitcnt lgkmcnt(0)
	v_mul_f64 v[8:9], v[34:35], v[8:9]
.LBB15_27:
	s_or_b32 exec_lo, exec_lo, s3
	v_cmp_gt_u32_e64 s1, 4, v0
	s_barrier
	buffer_gl0_inv
	ds_write_b64 v38, v[10:11]
	s_waitcnt lgkmcnt(0)
	s_barrier
	buffer_gl0_inv
	s_and_saveexec_b32 s4, s1
	s_cbranch_execz .LBB15_31
; %bb.28:
	v_mov_b32_e32 v34, 0
	v_mov_b32_e32 v37, v1
	v_lshl_add_u32 v39, v0, 3, 0x80
	v_mov_b32_e32 v35, 0
	v_mov_b32_e32 v36, v0
	s_mov_b32 s5, 0
.LBB15_29:                              ; =>This Inner Loop Header: Depth=1
	v_cmp_eq_u32_e64 s2, 1, v36
	v_cmp_eq_u32_e64 s3, 2, v36
	v_cndmask_b32_e64 v40, v3, v5, s2
	v_cndmask_b32_e64 v41, v2, v4, s2
	v_cmp_eq_u32_e64 s2, 3, v36
	v_cndmask_b32_e64 v40, v40, v7, s3
	v_cndmask_b32_e64 v41, v41, v6, s3
	;; [unrolled: 3-line block ×11, first 2 shown]
	ds_read_b64 v[40:41], v39
	v_cmp_eq_u32_e64 s2, 13, v36
	v_add_nc_u32_e32 v39, 8, v39
	v_cndmask_b32_e64 v42, v42, v27, s3
	v_cndmask_b32_e64 v43, v43, v26, s3
	v_cmp_eq_u32_e64 s3, 14, v36
	v_cndmask_b32_e64 v42, v42, v29, s2
	v_cndmask_b32_e64 v43, v43, v28, s2
	v_cmp_eq_u32_e64 s2, 15, v36
	v_cndmask_b32_e64 v42, v42, v31, s3
	v_cndmask_b32_e64 v44, v43, v30, s3
	;; [unrolled: 1-line block ×4, first 2 shown]
	v_add_co_u32 v36, s2, v36, 1
	v_add_co_ci_u32_e64 v37, null, 0, v37, s2
	s_waitcnt lgkmcnt(0)
	v_fma_f64 v[34:35], v[42:43], v[40:41], v[34:35]
	v_add_nc_u32_e32 v40, -1, v36
	v_cmp_lt_u32_e64 s2, 2, v40
	s_or_b32 s5, s2, s5
	s_andn2_b32 exec_lo, exec_lo, s5
	s_cbranch_execnz .LBB15_29
; %bb.30:
	s_or_b32 exec_lo, exec_lo, s5
	v_mov_b32_e32 v10, 0
	ds_read_b64 v[10:11], v10 offset:32
	s_waitcnt lgkmcnt(0)
	v_mul_f64 v[10:11], v[34:35], v[10:11]
.LBB15_31:
	s_or_b32 exec_lo, exec_lo, s4
	s_mov_b32 s4, exec_lo
	s_barrier
	buffer_gl0_inv
	ds_write_b64 v38, v[12:13]
	s_waitcnt lgkmcnt(0)
	s_barrier
	buffer_gl0_inv
	v_cmpx_gt_u32_e32 5, v0
	s_cbranch_execz .LBB15_35
; %bb.32:
	v_mov_b32_e32 v34, 0
	v_mov_b32_e32 v37, v1
	v_lshl_add_u32 v39, v0, 3, 0x80
	v_mov_b32_e32 v35, 0
	v_mov_b32_e32 v36, v0
	s_mov_b32 s5, 0
.LBB15_33:                              ; =>This Inner Loop Header: Depth=1
	v_cmp_eq_u32_e64 s2, 1, v36
	v_cmp_eq_u32_e64 s3, 2, v36
	v_cndmask_b32_e64 v40, v3, v5, s2
	v_cndmask_b32_e64 v41, v2, v4, s2
	v_cmp_eq_u32_e64 s2, 3, v36
	v_cndmask_b32_e64 v40, v40, v7, s3
	v_cndmask_b32_e64 v41, v41, v6, s3
	;; [unrolled: 3-line block ×11, first 2 shown]
	ds_read_b64 v[40:41], v39
	v_cmp_eq_u32_e64 s2, 13, v36
	v_add_nc_u32_e32 v39, 8, v39
	v_cndmask_b32_e64 v42, v42, v27, s3
	v_cndmask_b32_e64 v43, v43, v26, s3
	v_cmp_eq_u32_e64 s3, 14, v36
	v_cndmask_b32_e64 v42, v42, v29, s2
	v_cndmask_b32_e64 v43, v43, v28, s2
	v_cmp_eq_u32_e64 s2, 15, v36
	v_cndmask_b32_e64 v42, v42, v31, s3
	v_cndmask_b32_e64 v44, v43, v30, s3
	;; [unrolled: 1-line block ×4, first 2 shown]
	v_add_co_u32 v36, s2, v36, 1
	v_add_co_ci_u32_e64 v37, null, 0, v37, s2
	s_waitcnt lgkmcnt(0)
	v_fma_f64 v[34:35], v[42:43], v[40:41], v[34:35]
	v_add_nc_u32_e32 v40, -1, v36
	v_cmp_lt_u32_e64 s2, 3, v40
	s_or_b32 s5, s2, s5
	s_andn2_b32 exec_lo, exec_lo, s5
	s_cbranch_execnz .LBB15_33
; %bb.34:
	s_or_b32 exec_lo, exec_lo, s5
	v_mov_b32_e32 v12, 0
	ds_read_b64 v[12:13], v12 offset:40
	s_waitcnt lgkmcnt(0)
	v_mul_f64 v[12:13], v[34:35], v[12:13]
.LBB15_35:
	s_or_b32 exec_lo, exec_lo, s4
	v_cmp_gt_u32_e64 s2, 6, v0
	s_barrier
	buffer_gl0_inv
	ds_write_b64 v38, v[14:15]
	s_waitcnt lgkmcnt(0)
	s_barrier
	buffer_gl0_inv
	s_and_saveexec_b32 s5, s2
	s_cbranch_execz .LBB15_39
; %bb.36:
	v_mov_b32_e32 v34, 0
	v_mov_b32_e32 v37, v1
	v_lshl_add_u32 v39, v0, 3, 0x80
	v_mov_b32_e32 v35, 0
	v_mov_b32_e32 v36, v0
	s_mov_b32 s8, 0
.LBB15_37:                              ; =>This Inner Loop Header: Depth=1
	v_cmp_eq_u32_e64 s3, 1, v36
	v_cmp_eq_u32_e64 s4, 2, v36
	v_cndmask_b32_e64 v40, v3, v5, s3
	v_cndmask_b32_e64 v41, v2, v4, s3
	v_cmp_eq_u32_e64 s3, 3, v36
	v_cndmask_b32_e64 v40, v40, v7, s4
	v_cndmask_b32_e64 v41, v41, v6, s4
	;; [unrolled: 3-line block ×11, first 2 shown]
	ds_read_b64 v[40:41], v39
	v_cmp_eq_u32_e64 s3, 13, v36
	v_add_nc_u32_e32 v39, 8, v39
	v_cndmask_b32_e64 v42, v42, v27, s4
	v_cndmask_b32_e64 v43, v43, v26, s4
	v_cmp_eq_u32_e64 s4, 14, v36
	v_cndmask_b32_e64 v42, v42, v29, s3
	v_cndmask_b32_e64 v43, v43, v28, s3
	v_cmp_eq_u32_e64 s3, 15, v36
	v_cndmask_b32_e64 v42, v42, v31, s4
	v_cndmask_b32_e64 v44, v43, v30, s4
	;; [unrolled: 1-line block ×4, first 2 shown]
	v_add_co_u32 v36, s3, v36, 1
	v_add_co_ci_u32_e64 v37, null, 0, v37, s3
	s_waitcnt lgkmcnt(0)
	v_fma_f64 v[34:35], v[42:43], v[40:41], v[34:35]
	v_add_nc_u32_e32 v40, -1, v36
	v_cmp_lt_u32_e64 s3, 4, v40
	s_or_b32 s8, s3, s8
	s_andn2_b32 exec_lo, exec_lo, s8
	s_cbranch_execnz .LBB15_37
; %bb.38:
	s_or_b32 exec_lo, exec_lo, s8
	v_mov_b32_e32 v14, 0
	ds_read_b64 v[14:15], v14 offset:48
	s_waitcnt lgkmcnt(0)
	v_mul_f64 v[14:15], v[34:35], v[14:15]
.LBB15_39:
	s_or_b32 exec_lo, exec_lo, s5
	s_mov_b32 s5, exec_lo
	s_barrier
	buffer_gl0_inv
	ds_write_b64 v38, v[16:17]
	s_waitcnt lgkmcnt(0)
	s_barrier
	buffer_gl0_inv
	v_cmpx_gt_u32_e32 7, v0
	s_cbranch_execz .LBB15_43
; %bb.40:
	v_mov_b32_e32 v34, 0
	v_mov_b32_e32 v37, v1
	v_lshl_add_u32 v39, v0, 3, 0x80
	v_mov_b32_e32 v35, 0
	v_mov_b32_e32 v36, v0
	s_mov_b32 s8, 0
.LBB15_41:                              ; =>This Inner Loop Header: Depth=1
	v_cmp_eq_u32_e64 s3, 1, v36
	v_cmp_eq_u32_e64 s4, 2, v36
	v_cndmask_b32_e64 v40, v3, v5, s3
	v_cndmask_b32_e64 v41, v2, v4, s3
	v_cmp_eq_u32_e64 s3, 3, v36
	v_cndmask_b32_e64 v40, v40, v7, s4
	v_cndmask_b32_e64 v41, v41, v6, s4
	;; [unrolled: 3-line block ×11, first 2 shown]
	ds_read_b64 v[40:41], v39
	v_cmp_eq_u32_e64 s3, 13, v36
	v_add_nc_u32_e32 v39, 8, v39
	v_cndmask_b32_e64 v42, v42, v27, s4
	v_cndmask_b32_e64 v43, v43, v26, s4
	v_cmp_eq_u32_e64 s4, 14, v36
	v_cndmask_b32_e64 v42, v42, v29, s3
	v_cndmask_b32_e64 v43, v43, v28, s3
	v_cmp_eq_u32_e64 s3, 15, v36
	v_cndmask_b32_e64 v42, v42, v31, s4
	v_cndmask_b32_e64 v44, v43, v30, s4
	;; [unrolled: 1-line block ×4, first 2 shown]
	v_add_co_u32 v36, s3, v36, 1
	v_add_co_ci_u32_e64 v37, null, 0, v37, s3
	s_waitcnt lgkmcnt(0)
	v_fma_f64 v[34:35], v[42:43], v[40:41], v[34:35]
	v_add_nc_u32_e32 v40, -1, v36
	v_cmp_lt_u32_e64 s3, 5, v40
	s_or_b32 s8, s3, s8
	s_andn2_b32 exec_lo, exec_lo, s8
	s_cbranch_execnz .LBB15_41
; %bb.42:
	s_or_b32 exec_lo, exec_lo, s8
	v_mov_b32_e32 v16, 0
	ds_read_b64 v[16:17], v16 offset:56
	s_waitcnt lgkmcnt(0)
	v_mul_f64 v[16:17], v[34:35], v[16:17]
.LBB15_43:
	s_or_b32 exec_lo, exec_lo, s5
	s_mov_b32 s5, exec_lo
	s_barrier
	buffer_gl0_inv
	ds_write_b64 v38, v[18:19]
	s_waitcnt lgkmcnt(0)
	s_barrier
	buffer_gl0_inv
	v_cmpx_gt_u32_e32 8, v0
	s_cbranch_execz .LBB15_59
; %bb.44:
	v_cmp_eq_u32_e64 s3, 1, v0
	v_cmp_eq_u32_e64 s4, 13, v0
	s_mov_b32 s8, exec_lo
	v_cndmask_b32_e64 v34, v3, v5, s3
	v_cndmask_b32_e64 v35, v2, v4, s3
	v_cmp_eq_u32_e64 s3, 2, v0
	v_cndmask_b32_e64 v34, v34, v7, s3
	v_cndmask_b32_e64 v35, v35, v6, s3
	v_cmp_eq_u32_e64 s3, 3, v0
	;; [unrolled: 3-line block ×11, first 2 shown]
	v_cndmask_b32_e64 v36, v34, v27, s3
	v_cndmask_b32_e64 v37, v35, v26, s3
	ds_read_b64 v[34:35], v38
	v_cmp_eq_u32_e64 s3, 14, v0
	v_cndmask_b32_e64 v36, v36, v29, s4
	v_cndmask_b32_e64 v37, v37, v28, s4
	;; [unrolled: 1-line block ×4, first 2 shown]
	v_cmp_eq_u32_e64 s3, 15, v0
	v_cndmask_b32_e64 v37, v36, v33, s3
	v_cndmask_b32_e64 v36, v39, v32, s3
	s_waitcnt lgkmcnt(0)
	v_fma_f64 v[34:35], v[36:37], v[34:35], 0
	v_cmpx_ne_u32_e32 7, v0
	s_cbranch_execz .LBB15_58
; %bb.45:
	v_add_nc_u32_e32 v39, 1, v0
	v_cmp_eq_u32_e64 s3, 1, v39
	v_cmp_eq_u32_e64 s4, 13, v39
	v_cndmask_b32_e64 v36, v3, v5, s3
	v_cndmask_b32_e64 v37, v2, v4, s3
	v_cmp_eq_u32_e64 s3, 2, v39
	v_cndmask_b32_e64 v36, v36, v7, s3
	v_cndmask_b32_e64 v37, v37, v6, s3
	;; [unrolled: 3-line block ×12, first 2 shown]
	ds_read_b64 v[36:37], v38 offset:8
	v_cmp_eq_u32_e64 s3, 14, v39
	v_cndmask_b32_e64 v40, v40, v29, s4
	v_cndmask_b32_e64 v41, v41, v28, s4
	;; [unrolled: 1-line block ×4, first 2 shown]
	v_cmp_eq_u32_e64 s3, 15, v39
	v_cndmask_b32_e64 v40, v40, v33, s3
	v_cndmask_b32_e64 v39, v41, v32, s3
	s_waitcnt lgkmcnt(0)
	v_fma_f64 v[34:35], v[39:40], v[36:37], v[34:35]
	s_and_saveexec_b32 s4, s2
	s_cbranch_execz .LBB15_57
; %bb.46:
	v_add_nc_u32_e32 v39, 2, v0
	s_mov_b32 s9, exec_lo
	v_cmp_eq_u32_e64 s2, 1, v39
	v_cmp_eq_u32_e64 s3, 13, v39
	v_cndmask_b32_e64 v36, v3, v5, s2
	v_cndmask_b32_e64 v37, v2, v4, s2
	v_cmp_eq_u32_e64 s2, 2, v39
	v_cndmask_b32_e64 v36, v36, v7, s2
	v_cndmask_b32_e64 v37, v37, v6, s2
	;; [unrolled: 3-line block ×12, first 2 shown]
	ds_read_b64 v[36:37], v38 offset:16
	v_cmp_eq_u32_e64 s2, 14, v39
	v_cndmask_b32_e64 v40, v40, v29, s3
	v_cndmask_b32_e64 v41, v41, v28, s3
	;; [unrolled: 1-line block ×4, first 2 shown]
	v_cmp_eq_u32_e64 s2, 15, v39
	v_cndmask_b32_e64 v40, v40, v33, s2
	v_cndmask_b32_e64 v39, v41, v32, s2
	s_waitcnt lgkmcnt(0)
	v_fma_f64 v[34:35], v[39:40], v[36:37], v[34:35]
	v_cmpx_ne_u32_e32 5, v0
	s_cbranch_execz .LBB15_56
; %bb.47:
	v_add_nc_u32_e32 v39, 3, v0
	v_cmp_eq_u32_e64 s2, 1, v39
	v_cmp_eq_u32_e64 s3, 13, v39
	v_cndmask_b32_e64 v36, v3, v5, s2
	v_cndmask_b32_e64 v37, v2, v4, s2
	v_cmp_eq_u32_e64 s2, 2, v39
	v_cndmask_b32_e64 v36, v36, v7, s2
	v_cndmask_b32_e64 v37, v37, v6, s2
	;; [unrolled: 3-line block ×12, first 2 shown]
	ds_read_b64 v[36:37], v38 offset:24
	v_cmp_eq_u32_e64 s2, 14, v39
	v_cndmask_b32_e64 v40, v40, v29, s3
	v_cndmask_b32_e64 v41, v41, v28, s3
	;; [unrolled: 1-line block ×4, first 2 shown]
	v_cmp_eq_u32_e64 s2, 15, v39
	v_cndmask_b32_e64 v40, v40, v33, s2
	v_cndmask_b32_e64 v39, v41, v32, s2
	s_waitcnt lgkmcnt(0)
	v_fma_f64 v[34:35], v[39:40], v[36:37], v[34:35]
	s_and_saveexec_b32 s3, s1
	s_cbranch_execz .LBB15_55
; %bb.48:
	v_or_b32_e32 v39, 4, v0
	s_mov_b32 s10, exec_lo
	v_cmp_eq_u32_e64 s1, 1, v39
	v_cmp_eq_u32_e64 s2, 13, v39
	v_cndmask_b32_e64 v36, v3, v5, s1
	v_cndmask_b32_e64 v37, v2, v4, s1
	v_cmp_eq_u32_e64 s1, 2, v39
	v_cndmask_b32_e64 v36, v36, v7, s1
	v_cndmask_b32_e64 v37, v37, v6, s1
	;; [unrolled: 3-line block ×12, first 2 shown]
	ds_read_b64 v[36:37], v38 offset:32
	v_cmp_eq_u32_e64 s1, 14, v39
	v_cndmask_b32_e64 v40, v40, v29, s2
	v_cndmask_b32_e64 v41, v41, v28, s2
	;; [unrolled: 1-line block ×4, first 2 shown]
	v_cmp_eq_u32_e64 s1, 15, v39
	v_cndmask_b32_e64 v40, v40, v33, s1
	v_cndmask_b32_e64 v39, v41, v32, s1
	s_waitcnt lgkmcnt(0)
	v_fma_f64 v[34:35], v[39:40], v[36:37], v[34:35]
	v_cmpx_ne_u32_e32 3, v0
	s_cbranch_execz .LBB15_54
; %bb.49:
	v_add_nc_u32_e32 v39, 5, v0
	v_cmp_eq_u32_e64 s1, 1, v39
	v_cmp_eq_u32_e64 s2, 13, v39
	v_cndmask_b32_e64 v36, v3, v5, s1
	v_cndmask_b32_e64 v37, v2, v4, s1
	v_cmp_eq_u32_e64 s1, 2, v39
	v_cndmask_b32_e64 v36, v36, v7, s1
	v_cndmask_b32_e64 v37, v37, v6, s1
	;; [unrolled: 3-line block ×12, first 2 shown]
	ds_read_b64 v[36:37], v38 offset:40
	v_cmp_eq_u32_e64 s1, 14, v39
	v_cndmask_b32_e64 v40, v40, v29, s2
	v_cndmask_b32_e64 v41, v41, v28, s2
	;; [unrolled: 1-line block ×4, first 2 shown]
	v_cmp_eq_u32_e64 s1, 15, v39
	v_cndmask_b32_e64 v40, v40, v33, s1
	v_cndmask_b32_e64 v39, v41, v32, s1
	s_waitcnt lgkmcnt(0)
	v_fma_f64 v[34:35], v[39:40], v[36:37], v[34:35]
	s_and_saveexec_b32 s2, vcc_lo
	s_cbranch_execz .LBB15_53
; %bb.50:
	v_or_b32_e32 v36, 6, v0
	v_cmp_eq_u32_e32 vcc_lo, 1, v36
	v_cmp_eq_u32_e64 s1, 13, v36
	v_cndmask_b32_e32 v37, v3, v5, vcc_lo
	v_cndmask_b32_e32 v39, v2, v4, vcc_lo
	v_cmp_eq_u32_e32 vcc_lo, 2, v36
	v_cndmask_b32_e32 v37, v37, v7, vcc_lo
	v_cndmask_b32_e32 v39, v39, v6, vcc_lo
	v_cmp_eq_u32_e32 vcc_lo, 3, v36
	;; [unrolled: 3-line block ×11, first 2 shown]
	v_cndmask_b32_e32 v37, v19, v27, vcc_lo
	v_cndmask_b32_e32 v39, v18, v26, vcc_lo
	ds_read_b64 v[18:19], v38 offset:48
	v_cmp_eq_u32_e32 vcc_lo, 14, v36
	v_cndmask_b32_e64 v37, v37, v29, s1
	v_cndmask_b32_e64 v39, v39, v28, s1
	v_cndmask_b32_e32 v37, v37, v31, vcc_lo
	v_cndmask_b32_e32 v39, v39, v30, vcc_lo
	v_cmp_eq_u32_e32 vcc_lo, 15, v36
	v_cndmask_b32_e32 v37, v37, v33, vcc_lo
	v_cndmask_b32_e32 v36, v39, v32, vcc_lo
	s_waitcnt lgkmcnt(0)
	v_fma_f64 v[34:35], v[36:37], v[18:19], v[34:35]
	s_and_saveexec_b32 s1, s0
	s_cbranch_execz .LBB15_52
; %bb.51:
	ds_read_b64 v[18:19], v38 offset:56
	s_waitcnt lgkmcnt(0)
	v_fma_f64 v[34:35], v[16:17], v[18:19], v[34:35]
.LBB15_52:
	s_or_b32 exec_lo, exec_lo, s1
.LBB15_53:
	s_or_b32 exec_lo, exec_lo, s2
.LBB15_54:
	s_or_b32 exec_lo, exec_lo, s10
.LBB15_55:
	s_or_b32 exec_lo, exec_lo, s3
.LBB15_56:
	s_or_b32 exec_lo, exec_lo, s9
.LBB15_57:
	s_or_b32 exec_lo, exec_lo, s4
.LBB15_58:
	s_or_b32 exec_lo, exec_lo, s8
	v_mov_b32_e32 v18, 0
	ds_read_b64 v[18:19], v18 offset:64
	s_waitcnt lgkmcnt(0)
	v_mul_f64 v[18:19], v[34:35], v[18:19]
.LBB15_59:
	s_or_b32 exec_lo, exec_lo, s5
	s_mov_b32 s1, exec_lo
	s_barrier
	buffer_gl0_inv
	ds_write_b64 v38, v[20:21]
	s_waitcnt lgkmcnt(0)
	s_barrier
	buffer_gl0_inv
	v_cmpx_gt_u32_e32 9, v0
	s_cbranch_execz .LBB15_63
; %bb.60:
	v_mov_b32_e32 v34, 0
	v_mov_b32_e32 v37, v1
	v_lshl_add_u32 v39, v0, 3, 0x80
	v_mov_b32_e32 v35, 0
	v_mov_b32_e32 v36, v0
	s_mov_b32 s2, 0
.LBB15_61:                              ; =>This Inner Loop Header: Depth=1
	v_cmp_eq_u32_e32 vcc_lo, 1, v36
	v_cmp_eq_u32_e64 s0, 2, v36
	v_cndmask_b32_e32 v40, v3, v5, vcc_lo
	v_cndmask_b32_e32 v41, v2, v4, vcc_lo
	v_cmp_eq_u32_e32 vcc_lo, 3, v36
	v_cndmask_b32_e64 v40, v40, v7, s0
	v_cndmask_b32_e64 v41, v41, v6, s0
	v_cmp_eq_u32_e64 s0, 4, v36
	v_cndmask_b32_e32 v40, v40, v9, vcc_lo
	v_cndmask_b32_e32 v41, v41, v8, vcc_lo
	v_cmp_eq_u32_e32 vcc_lo, 5, v36
	v_cndmask_b32_e64 v40, v40, v11, s0
	v_cndmask_b32_e64 v41, v41, v10, s0
	;; [unrolled: 6-line block ×5, first 2 shown]
	v_cmp_eq_u32_e64 s0, 12, v36
	v_cndmask_b32_e32 v42, v40, v25, vcc_lo
	v_cndmask_b32_e32 v43, v41, v24, vcc_lo
	ds_read_b64 v[40:41], v39
	v_cmp_eq_u32_e32 vcc_lo, 13, v36
	v_add_nc_u32_e32 v39, 8, v39
	v_cndmask_b32_e64 v42, v42, v27, s0
	v_cndmask_b32_e64 v43, v43, v26, s0
	v_cmp_eq_u32_e64 s0, 14, v36
	v_cndmask_b32_e32 v42, v42, v29, vcc_lo
	v_cndmask_b32_e32 v43, v43, v28, vcc_lo
	v_cmp_eq_u32_e32 vcc_lo, 15, v36
	v_cndmask_b32_e64 v42, v42, v31, s0
	v_cndmask_b32_e64 v44, v43, v30, s0
	v_cndmask_b32_e32 v43, v42, v33, vcc_lo
	v_cndmask_b32_e32 v42, v44, v32, vcc_lo
	v_add_co_u32 v36, vcc_lo, v36, 1
	v_add_co_ci_u32_e64 v37, null, 0, v37, vcc_lo
	s_waitcnt lgkmcnt(0)
	v_fma_f64 v[34:35], v[42:43], v[40:41], v[34:35]
	v_add_nc_u32_e32 v40, -1, v36
	v_cmp_lt_u32_e32 vcc_lo, 7, v40
	s_or_b32 s2, vcc_lo, s2
	s_andn2_b32 exec_lo, exec_lo, s2
	s_cbranch_execnz .LBB15_61
; %bb.62:
	s_or_b32 exec_lo, exec_lo, s2
	v_mov_b32_e32 v20, 0
	ds_read_b64 v[20:21], v20 offset:72
	s_waitcnt lgkmcnt(0)
	v_mul_f64 v[20:21], v[34:35], v[20:21]
.LBB15_63:
	s_or_b32 exec_lo, exec_lo, s1
	s_mov_b32 s1, exec_lo
	s_barrier
	buffer_gl0_inv
	ds_write_b64 v38, v[22:23]
	s_waitcnt lgkmcnt(0)
	s_barrier
	buffer_gl0_inv
	v_cmpx_gt_u32_e32 10, v0
	s_cbranch_execz .LBB15_67
; %bb.64:
	v_mov_b32_e32 v34, 0
	v_mov_b32_e32 v37, v1
	v_lshl_add_u32 v39, v0, 3, 0x80
	v_mov_b32_e32 v35, 0
	v_mov_b32_e32 v36, v0
	s_mov_b32 s2, 0
.LBB15_65:                              ; =>This Inner Loop Header: Depth=1
	v_cmp_eq_u32_e32 vcc_lo, 1, v36
	v_cmp_eq_u32_e64 s0, 2, v36
	v_cndmask_b32_e32 v40, v3, v5, vcc_lo
	v_cndmask_b32_e32 v41, v2, v4, vcc_lo
	v_cmp_eq_u32_e32 vcc_lo, 3, v36
	v_cndmask_b32_e64 v40, v40, v7, s0
	v_cndmask_b32_e64 v41, v41, v6, s0
	v_cmp_eq_u32_e64 s0, 4, v36
	v_cndmask_b32_e32 v40, v40, v9, vcc_lo
	v_cndmask_b32_e32 v41, v41, v8, vcc_lo
	v_cmp_eq_u32_e32 vcc_lo, 5, v36
	v_cndmask_b32_e64 v40, v40, v11, s0
	v_cndmask_b32_e64 v41, v41, v10, s0
	;; [unrolled: 6-line block ×5, first 2 shown]
	v_cmp_eq_u32_e64 s0, 12, v36
	v_cndmask_b32_e32 v42, v40, v25, vcc_lo
	v_cndmask_b32_e32 v43, v41, v24, vcc_lo
	ds_read_b64 v[40:41], v39
	v_cmp_eq_u32_e32 vcc_lo, 13, v36
	v_add_nc_u32_e32 v39, 8, v39
	v_cndmask_b32_e64 v42, v42, v27, s0
	v_cndmask_b32_e64 v43, v43, v26, s0
	v_cmp_eq_u32_e64 s0, 14, v36
	v_cndmask_b32_e32 v42, v42, v29, vcc_lo
	v_cndmask_b32_e32 v43, v43, v28, vcc_lo
	v_cmp_eq_u32_e32 vcc_lo, 15, v36
	v_cndmask_b32_e64 v42, v42, v31, s0
	v_cndmask_b32_e64 v44, v43, v30, s0
	v_cndmask_b32_e32 v43, v42, v33, vcc_lo
	v_cndmask_b32_e32 v42, v44, v32, vcc_lo
	v_add_co_u32 v36, vcc_lo, v36, 1
	v_add_co_ci_u32_e64 v37, null, 0, v37, vcc_lo
	s_waitcnt lgkmcnt(0)
	v_fma_f64 v[34:35], v[42:43], v[40:41], v[34:35]
	v_add_nc_u32_e32 v40, -1, v36
	v_cmp_lt_u32_e32 vcc_lo, 8, v40
	s_or_b32 s2, vcc_lo, s2
	s_andn2_b32 exec_lo, exec_lo, s2
	s_cbranch_execnz .LBB15_65
; %bb.66:
	s_or_b32 exec_lo, exec_lo, s2
	v_mov_b32_e32 v22, 0
	ds_read_b64 v[22:23], v22 offset:80
	s_waitcnt lgkmcnt(0)
	v_mul_f64 v[22:23], v[34:35], v[22:23]
.LBB15_67:
	s_or_b32 exec_lo, exec_lo, s1
	s_mov_b32 s1, exec_lo
	s_barrier
	buffer_gl0_inv
	ds_write_b64 v38, v[24:25]
	s_waitcnt lgkmcnt(0)
	s_barrier
	buffer_gl0_inv
	v_cmpx_gt_u32_e32 11, v0
	s_cbranch_execz .LBB15_71
; %bb.68:
	v_mov_b32_e32 v34, 0
	v_mov_b32_e32 v37, v1
	v_lshl_add_u32 v39, v0, 3, 0x80
	v_mov_b32_e32 v35, 0
	v_mov_b32_e32 v36, v0
	s_mov_b32 s2, 0
.LBB15_69:                              ; =>This Inner Loop Header: Depth=1
	v_cmp_eq_u32_e32 vcc_lo, 1, v36
	v_cmp_eq_u32_e64 s0, 2, v36
	v_cndmask_b32_e32 v40, v3, v5, vcc_lo
	v_cndmask_b32_e32 v41, v2, v4, vcc_lo
	v_cmp_eq_u32_e32 vcc_lo, 3, v36
	v_cndmask_b32_e64 v40, v40, v7, s0
	v_cndmask_b32_e64 v41, v41, v6, s0
	v_cmp_eq_u32_e64 s0, 4, v36
	v_cndmask_b32_e32 v40, v40, v9, vcc_lo
	v_cndmask_b32_e32 v41, v41, v8, vcc_lo
	v_cmp_eq_u32_e32 vcc_lo, 5, v36
	v_cndmask_b32_e64 v40, v40, v11, s0
	v_cndmask_b32_e64 v41, v41, v10, s0
	v_cmp_eq_u32_e64 s0, 6, v36
	v_cndmask_b32_e32 v40, v40, v13, vcc_lo
	v_cndmask_b32_e32 v41, v41, v12, vcc_lo
	v_cmp_eq_u32_e32 vcc_lo, 7, v36
	v_cndmask_b32_e64 v40, v40, v15, s0
	v_cndmask_b32_e64 v41, v41, v14, s0
	v_cmp_eq_u32_e64 s0, 8, v36
	v_cndmask_b32_e32 v40, v40, v17, vcc_lo
	v_cndmask_b32_e32 v41, v41, v16, vcc_lo
	v_cmp_eq_u32_e32 vcc_lo, 9, v36
	v_cndmask_b32_e64 v40, v40, v19, s0
	v_cndmask_b32_e64 v41, v41, v18, s0
	v_cmp_eq_u32_e64 s0, 10, v36
	v_cndmask_b32_e32 v40, v40, v21, vcc_lo
	v_cndmask_b32_e32 v41, v41, v20, vcc_lo
	v_cmp_eq_u32_e32 vcc_lo, 11, v36
	v_cndmask_b32_e64 v40, v40, v23, s0
	v_cndmask_b32_e64 v41, v41, v22, s0
	v_cmp_eq_u32_e64 s0, 12, v36
	v_cndmask_b32_e32 v42, v40, v25, vcc_lo
	v_cndmask_b32_e32 v43, v41, v24, vcc_lo
	ds_read_b64 v[40:41], v39
	v_cmp_eq_u32_e32 vcc_lo, 13, v36
	v_add_nc_u32_e32 v39, 8, v39
	v_cndmask_b32_e64 v42, v42, v27, s0
	v_cndmask_b32_e64 v43, v43, v26, s0
	v_cmp_eq_u32_e64 s0, 14, v36
	v_cndmask_b32_e32 v42, v42, v29, vcc_lo
	v_cndmask_b32_e32 v43, v43, v28, vcc_lo
	v_cmp_eq_u32_e32 vcc_lo, 15, v36
	v_cndmask_b32_e64 v42, v42, v31, s0
	v_cndmask_b32_e64 v44, v43, v30, s0
	v_cndmask_b32_e32 v43, v42, v33, vcc_lo
	v_cndmask_b32_e32 v42, v44, v32, vcc_lo
	v_add_co_u32 v36, vcc_lo, v36, 1
	v_add_co_ci_u32_e64 v37, null, 0, v37, vcc_lo
	s_waitcnt lgkmcnt(0)
	v_fma_f64 v[34:35], v[42:43], v[40:41], v[34:35]
	v_add_nc_u32_e32 v40, -1, v36
	v_cmp_lt_u32_e32 vcc_lo, 9, v40
	s_or_b32 s2, vcc_lo, s2
	s_andn2_b32 exec_lo, exec_lo, s2
	s_cbranch_execnz .LBB15_69
; %bb.70:
	s_or_b32 exec_lo, exec_lo, s2
	v_mov_b32_e32 v24, 0
	ds_read_b64 v[24:25], v24 offset:88
	s_waitcnt lgkmcnt(0)
	v_mul_f64 v[24:25], v[34:35], v[24:25]
.LBB15_71:
	s_or_b32 exec_lo, exec_lo, s1
	s_mov_b32 s1, exec_lo
	s_barrier
	buffer_gl0_inv
	ds_write_b64 v38, v[26:27]
	s_waitcnt lgkmcnt(0)
	s_barrier
	buffer_gl0_inv
	v_cmpx_gt_u32_e32 12, v0
	s_cbranch_execz .LBB15_75
; %bb.72:
	v_mov_b32_e32 v34, 0
	v_mov_b32_e32 v37, v1
	v_lshl_add_u32 v39, v0, 3, 0x80
	v_mov_b32_e32 v35, 0
	v_mov_b32_e32 v36, v0
	s_mov_b32 s2, 0
.LBB15_73:                              ; =>This Inner Loop Header: Depth=1
	v_cmp_eq_u32_e32 vcc_lo, 1, v36
	v_cmp_eq_u32_e64 s0, 2, v36
	v_cndmask_b32_e32 v40, v3, v5, vcc_lo
	v_cndmask_b32_e32 v41, v2, v4, vcc_lo
	v_cmp_eq_u32_e32 vcc_lo, 3, v36
	v_cndmask_b32_e64 v40, v40, v7, s0
	v_cndmask_b32_e64 v41, v41, v6, s0
	v_cmp_eq_u32_e64 s0, 4, v36
	v_cndmask_b32_e32 v40, v40, v9, vcc_lo
	v_cndmask_b32_e32 v41, v41, v8, vcc_lo
	v_cmp_eq_u32_e32 vcc_lo, 5, v36
	v_cndmask_b32_e64 v40, v40, v11, s0
	v_cndmask_b32_e64 v41, v41, v10, s0
	;; [unrolled: 6-line block ×5, first 2 shown]
	v_cmp_eq_u32_e64 s0, 12, v36
	v_cndmask_b32_e32 v42, v40, v25, vcc_lo
	v_cndmask_b32_e32 v43, v41, v24, vcc_lo
	ds_read_b64 v[40:41], v39
	v_cmp_eq_u32_e32 vcc_lo, 13, v36
	v_add_nc_u32_e32 v39, 8, v39
	v_cndmask_b32_e64 v42, v42, v27, s0
	v_cndmask_b32_e64 v43, v43, v26, s0
	v_cmp_eq_u32_e64 s0, 14, v36
	v_cndmask_b32_e32 v42, v42, v29, vcc_lo
	v_cndmask_b32_e32 v43, v43, v28, vcc_lo
	v_cmp_eq_u32_e32 vcc_lo, 15, v36
	v_cndmask_b32_e64 v42, v42, v31, s0
	v_cndmask_b32_e64 v44, v43, v30, s0
	v_cndmask_b32_e32 v43, v42, v33, vcc_lo
	v_cndmask_b32_e32 v42, v44, v32, vcc_lo
	v_add_co_u32 v36, vcc_lo, v36, 1
	v_add_co_ci_u32_e64 v37, null, 0, v37, vcc_lo
	s_waitcnt lgkmcnt(0)
	v_fma_f64 v[34:35], v[42:43], v[40:41], v[34:35]
	v_add_nc_u32_e32 v40, -1, v36
	v_cmp_lt_u32_e32 vcc_lo, 10, v40
	s_or_b32 s2, vcc_lo, s2
	s_andn2_b32 exec_lo, exec_lo, s2
	s_cbranch_execnz .LBB15_73
; %bb.74:
	s_or_b32 exec_lo, exec_lo, s2
	v_mov_b32_e32 v26, 0
	ds_read_b64 v[26:27], v26 offset:96
	s_waitcnt lgkmcnt(0)
	v_mul_f64 v[26:27], v[34:35], v[26:27]
.LBB15_75:
	s_or_b32 exec_lo, exec_lo, s1
	s_mov_b32 s1, exec_lo
	s_barrier
	buffer_gl0_inv
	ds_write_b64 v38, v[28:29]
	s_waitcnt lgkmcnt(0)
	s_barrier
	buffer_gl0_inv
	v_cmpx_gt_u32_e32 13, v0
	s_cbranch_execz .LBB15_79
; %bb.76:
	v_mov_b32_e32 v34, 0
	v_mov_b32_e32 v37, v1
	v_lshl_add_u32 v39, v0, 3, 0x80
	v_mov_b32_e32 v35, 0
	v_mov_b32_e32 v36, v0
	s_mov_b32 s2, 0
.LBB15_77:                              ; =>This Inner Loop Header: Depth=1
	v_cmp_eq_u32_e32 vcc_lo, 1, v36
	v_cmp_eq_u32_e64 s0, 2, v36
	v_cndmask_b32_e32 v40, v3, v5, vcc_lo
	v_cndmask_b32_e32 v41, v2, v4, vcc_lo
	v_cmp_eq_u32_e32 vcc_lo, 3, v36
	v_cndmask_b32_e64 v40, v40, v7, s0
	v_cndmask_b32_e64 v41, v41, v6, s0
	v_cmp_eq_u32_e64 s0, 4, v36
	v_cndmask_b32_e32 v40, v40, v9, vcc_lo
	v_cndmask_b32_e32 v41, v41, v8, vcc_lo
	v_cmp_eq_u32_e32 vcc_lo, 5, v36
	v_cndmask_b32_e64 v40, v40, v11, s0
	v_cndmask_b32_e64 v41, v41, v10, s0
	;; [unrolled: 6-line block ×5, first 2 shown]
	v_cmp_eq_u32_e64 s0, 12, v36
	v_cndmask_b32_e32 v42, v40, v25, vcc_lo
	v_cndmask_b32_e32 v43, v41, v24, vcc_lo
	ds_read_b64 v[40:41], v39
	v_cmp_eq_u32_e32 vcc_lo, 13, v36
	v_add_nc_u32_e32 v39, 8, v39
	v_cndmask_b32_e64 v42, v42, v27, s0
	v_cndmask_b32_e64 v43, v43, v26, s0
	v_cmp_eq_u32_e64 s0, 14, v36
	v_cndmask_b32_e32 v42, v42, v29, vcc_lo
	v_cndmask_b32_e32 v43, v43, v28, vcc_lo
	v_cmp_eq_u32_e32 vcc_lo, 15, v36
	v_cndmask_b32_e64 v42, v42, v31, s0
	v_cndmask_b32_e64 v44, v43, v30, s0
	v_cndmask_b32_e32 v43, v42, v33, vcc_lo
	v_cndmask_b32_e32 v42, v44, v32, vcc_lo
	v_add_co_u32 v36, vcc_lo, v36, 1
	v_add_co_ci_u32_e64 v37, null, 0, v37, vcc_lo
	s_waitcnt lgkmcnt(0)
	v_fma_f64 v[34:35], v[42:43], v[40:41], v[34:35]
	v_add_nc_u32_e32 v40, -1, v36
	v_cmp_lt_u32_e32 vcc_lo, 11, v40
	s_or_b32 s2, vcc_lo, s2
	s_andn2_b32 exec_lo, exec_lo, s2
	s_cbranch_execnz .LBB15_77
; %bb.78:
	s_or_b32 exec_lo, exec_lo, s2
	v_mov_b32_e32 v28, 0
	ds_read_b64 v[28:29], v28 offset:104
	s_waitcnt lgkmcnt(0)
	v_mul_f64 v[28:29], v[34:35], v[28:29]
.LBB15_79:
	s_or_b32 exec_lo, exec_lo, s1
	s_mov_b32 s1, exec_lo
	s_barrier
	buffer_gl0_inv
	ds_write_b64 v38, v[30:31]
	s_waitcnt lgkmcnt(0)
	s_barrier
	buffer_gl0_inv
	v_cmpx_gt_u32_e32 14, v0
	s_cbranch_execz .LBB15_83
; %bb.80:
	v_mov_b32_e32 v34, 0
	v_mov_b32_e32 v37, v1
	v_lshl_add_u32 v39, v0, 3, 0x80
	v_mov_b32_e32 v35, 0
	v_mov_b32_e32 v36, v0
	s_mov_b32 s2, 0
.LBB15_81:                              ; =>This Inner Loop Header: Depth=1
	v_cmp_eq_u32_e32 vcc_lo, 1, v36
	v_cmp_eq_u32_e64 s0, 2, v36
	v_cndmask_b32_e32 v40, v3, v5, vcc_lo
	v_cndmask_b32_e32 v41, v2, v4, vcc_lo
	v_cmp_eq_u32_e32 vcc_lo, 3, v36
	v_cndmask_b32_e64 v40, v40, v7, s0
	v_cndmask_b32_e64 v41, v41, v6, s0
	v_cmp_eq_u32_e64 s0, 4, v36
	v_cndmask_b32_e32 v40, v40, v9, vcc_lo
	v_cndmask_b32_e32 v41, v41, v8, vcc_lo
	v_cmp_eq_u32_e32 vcc_lo, 5, v36
	v_cndmask_b32_e64 v40, v40, v11, s0
	v_cndmask_b32_e64 v41, v41, v10, s0
	;; [unrolled: 6-line block ×5, first 2 shown]
	v_cmp_eq_u32_e64 s0, 12, v36
	v_cndmask_b32_e32 v42, v40, v25, vcc_lo
	v_cndmask_b32_e32 v43, v41, v24, vcc_lo
	ds_read_b64 v[40:41], v39
	v_cmp_eq_u32_e32 vcc_lo, 13, v36
	v_add_nc_u32_e32 v39, 8, v39
	v_cndmask_b32_e64 v42, v42, v27, s0
	v_cndmask_b32_e64 v43, v43, v26, s0
	v_cmp_eq_u32_e64 s0, 14, v36
	v_cndmask_b32_e32 v42, v42, v29, vcc_lo
	v_cndmask_b32_e32 v43, v43, v28, vcc_lo
	v_cmp_eq_u32_e32 vcc_lo, 15, v36
	v_cndmask_b32_e64 v42, v42, v31, s0
	v_cndmask_b32_e64 v44, v43, v30, s0
	v_cndmask_b32_e32 v43, v42, v33, vcc_lo
	v_cndmask_b32_e32 v42, v44, v32, vcc_lo
	v_add_co_u32 v36, vcc_lo, v36, 1
	v_add_co_ci_u32_e64 v37, null, 0, v37, vcc_lo
	s_waitcnt lgkmcnt(0)
	v_fma_f64 v[34:35], v[42:43], v[40:41], v[34:35]
	v_add_nc_u32_e32 v40, -1, v36
	v_cmp_lt_u32_e32 vcc_lo, 12, v40
	s_or_b32 s2, vcc_lo, s2
	s_andn2_b32 exec_lo, exec_lo, s2
	s_cbranch_execnz .LBB15_81
; %bb.82:
	s_or_b32 exec_lo, exec_lo, s2
	v_mov_b32_e32 v30, 0
	ds_read_b64 v[30:31], v30 offset:112
	s_waitcnt lgkmcnt(0)
	v_mul_f64 v[30:31], v[34:35], v[30:31]
.LBB15_83:
	s_or_b32 exec_lo, exec_lo, s1
	s_mov_b32 s1, exec_lo
	s_barrier
	buffer_gl0_inv
	ds_write_b64 v38, v[32:33]
	s_waitcnt lgkmcnt(0)
	s_barrier
	buffer_gl0_inv
	v_cmpx_ne_u32_e32 15, v0
	s_cbranch_execz .LBB15_87
; %bb.84:
	v_mov_b32_e32 v34, 0
	v_mov_b32_e32 v37, v1
	v_lshl_add_u32 v38, v0, 3, 0x80
	v_mov_b32_e32 v35, 0
	v_mov_b32_e32 v36, v0
	s_mov_b32 s2, 0
.LBB15_85:                              ; =>This Inner Loop Header: Depth=1
	v_cmp_eq_u32_e32 vcc_lo, 1, v36
	v_cmp_eq_u32_e64 s0, 2, v36
	v_cndmask_b32_e32 v1, v3, v5, vcc_lo
	v_cndmask_b32_e32 v39, v2, v4, vcc_lo
	v_cmp_eq_u32_e32 vcc_lo, 3, v36
	v_cndmask_b32_e64 v1, v1, v7, s0
	v_cndmask_b32_e64 v39, v39, v6, s0
	v_cmp_eq_u32_e64 s0, 4, v36
	v_cndmask_b32_e32 v1, v1, v9, vcc_lo
	v_cndmask_b32_e32 v39, v39, v8, vcc_lo
	v_cmp_eq_u32_e32 vcc_lo, 5, v36
	v_cndmask_b32_e64 v1, v1, v11, s0
	v_cndmask_b32_e64 v39, v39, v10, s0
	;; [unrolled: 6-line block ×5, first 2 shown]
	v_cmp_eq_u32_e64 s0, 12, v36
	v_cndmask_b32_e32 v1, v1, v25, vcc_lo
	v_cndmask_b32_e32 v41, v39, v24, vcc_lo
	ds_read_b64 v[39:40], v38
	v_cmp_eq_u32_e32 vcc_lo, 13, v36
	v_add_nc_u32_e32 v38, 8, v38
	v_cndmask_b32_e64 v1, v1, v27, s0
	v_cndmask_b32_e64 v41, v41, v26, s0
	v_cmp_eq_u32_e64 s0, 14, v36
	v_cndmask_b32_e32 v1, v1, v29, vcc_lo
	v_cndmask_b32_e32 v41, v41, v28, vcc_lo
	v_cmp_eq_u32_e32 vcc_lo, 15, v36
	v_cndmask_b32_e64 v1, v1, v31, s0
	v_cndmask_b32_e64 v41, v41, v30, s0
	v_cndmask_b32_e32 v42, v1, v33, vcc_lo
	v_cndmask_b32_e32 v41, v41, v32, vcc_lo
	v_add_co_u32 v36, vcc_lo, v36, 1
	v_add_co_ci_u32_e64 v37, null, 0, v37, vcc_lo
	s_waitcnt lgkmcnt(0)
	v_fma_f64 v[34:35], v[41:42], v[39:40], v[34:35]
	v_add_nc_u32_e32 v1, -1, v36
	v_cmp_lt_u32_e32 vcc_lo, 13, v1
	s_or_b32 s2, vcc_lo, s2
	s_andn2_b32 exec_lo, exec_lo, s2
	s_cbranch_execnz .LBB15_85
; %bb.86:
	s_or_b32 exec_lo, exec_lo, s2
	v_mov_b32_e32 v1, 0
	ds_read_b64 v[32:33], v1 offset:120
	s_waitcnt lgkmcnt(0)
	v_mul_f64 v[32:33], v[34:35], v[32:33]
.LBB15_87:
	s_or_b32 exec_lo, exec_lo, s1
	s_barrier
	buffer_gl0_inv
	s_cbranch_execnz .LBB15_15
	s_branch .LBB15_16
.LBB15_88:
	v_lshl_add_u32 v1, v0, 3, 0x80
	s_mov_b32 s0, exec_lo
	v_cmpx_eq_u32_e32 15, v0
	s_cbranch_execz .LBB15_90
; %bb.89:
	s_mov_b32 s1, 0
	v_mov_b32_e32 v63, v33
	v_mov_b32_e32 v62, v32
	;; [unrolled: 1-line block ×34, first 2 shown]
	ds_write_b64 v1, v[30:31]
	v_mov_b32_e32 v2, v32
	v_mov_b32_e32 v3, v33
	;; [unrolled: 1-line block ×32, first 2 shown]
.LBB15_90:
	s_or_b32 exec_lo, exec_lo, s0
	v_mov_b32_e32 v62, 0
	s_waitcnt lgkmcnt(0)
	s_waitcnt_vscnt null, 0x0
	s_barrier
	buffer_gl0_inv
	s_mov_b32 s0, exec_lo
	ds_read_b64 v[34:35], v62 offset:248
	s_waitcnt lgkmcnt(0)
	v_fma_f64 v[34:35], v[32:33], v[34:35], 0
	v_add_f64 v[30:31], v[30:31], -v[34:35]
	v_cmpx_lt_u32_e32 13, v0
	s_cbranch_execz .LBB15_92
; %bb.91:
	s_mov_b32 s1, 0
	v_mov_b32_e32 v61, v33
	v_mov_b32_e32 v60, v32
	;; [unrolled: 1-line block ×34, first 2 shown]
	ds_write_b64 v1, v[28:29]
	v_mov_b32_e32 v2, v30
	v_mov_b32_e32 v3, v31
	v_mov_b32_e32 v4, v32
	v_mov_b32_e32 v5, v33
	v_mov_b32_e32 v6, v34
	v_mov_b32_e32 v7, v35
	v_mov_b32_e32 v8, v36
	v_mov_b32_e32 v9, v37
	v_mov_b32_e32 v10, v38
	v_mov_b32_e32 v11, v39
	v_mov_b32_e32 v12, v40
	v_mov_b32_e32 v13, v41
	v_mov_b32_e32 v14, v42
	v_mov_b32_e32 v15, v43
	v_mov_b32_e32 v16, v44
	v_mov_b32_e32 v17, v45
	v_mov_b32_e32 v18, v46
	v_mov_b32_e32 v19, v47
	v_mov_b32_e32 v20, v48
	v_mov_b32_e32 v21, v49
	v_mov_b32_e32 v22, v50
	v_mov_b32_e32 v23, v51
	v_mov_b32_e32 v24, v52
	v_mov_b32_e32 v25, v53
	v_mov_b32_e32 v26, v54
	v_mov_b32_e32 v27, v55
	v_mov_b32_e32 v28, v56
	v_mov_b32_e32 v29, v57
	v_mov_b32_e32 v30, v58
	v_mov_b32_e32 v31, v59
	v_mov_b32_e32 v32, v60
	v_mov_b32_e32 v33, v61
.LBB15_92:
	s_or_b32 exec_lo, exec_lo, s0
	s_waitcnt lgkmcnt(0)
	s_barrier
	buffer_gl0_inv
	ds_read_b128 v[34:37], v62 offset:240
	s_mov_b32 s0, exec_lo
	s_waitcnt lgkmcnt(0)
	v_fma_f64 v[34:35], v[30:31], v[34:35], 0
	v_fma_f64 v[34:35], v[32:33], v[36:37], v[34:35]
	v_add_f64 v[28:29], v[28:29], -v[34:35]
	v_cmpx_lt_u32_e32 12, v0
	s_cbranch_execz .LBB15_94
; %bb.93:
	s_mov_b32 s1, 0
	v_mov_b32_e32 v59, v33
	v_mov_b32_e32 v58, v32
	;; [unrolled: 1-line block ×34, first 2 shown]
	ds_write_b64 v1, v[26:27]
	v_mov_b32_e32 v2, v28
	v_mov_b32_e32 v3, v29
	;; [unrolled: 1-line block ×32, first 2 shown]
.LBB15_94:
	s_or_b32 exec_lo, exec_lo, s0
	v_mov_b32_e32 v58, 0
	s_waitcnt lgkmcnt(0)
	s_barrier
	buffer_gl0_inv
	s_mov_b32 s0, exec_lo
	ds_read2_b64 v[34:37], v58 offset0:29 offset1:30
	ds_read_b64 v[38:39], v58 offset:248
	s_waitcnt lgkmcnt(1)
	v_fma_f64 v[34:35], v[28:29], v[34:35], 0
	v_fma_f64 v[34:35], v[30:31], v[36:37], v[34:35]
	s_waitcnt lgkmcnt(0)
	v_fma_f64 v[34:35], v[32:33], v[38:39], v[34:35]
	v_add_f64 v[26:27], v[26:27], -v[34:35]
	v_cmpx_lt_u32_e32 11, v0
	s_cbranch_execz .LBB15_96
; %bb.95:
	s_mov_b32 s1, 0
	v_mov_b32_e32 v57, v33
	v_mov_b32_e32 v56, v32
	;; [unrolled: 1-line block ×34, first 2 shown]
	ds_write_b64 v1, v[24:25]
	v_mov_b32_e32 v2, v26
	v_mov_b32_e32 v3, v27
	;; [unrolled: 1-line block ×32, first 2 shown]
.LBB15_96:
	s_or_b32 exec_lo, exec_lo, s0
	s_waitcnt lgkmcnt(0)
	s_barrier
	buffer_gl0_inv
	ds_read_b128 v[34:37], v58 offset:224
	ds_read_b128 v[38:41], v58 offset:240
	s_mov_b32 s0, exec_lo
	s_waitcnt lgkmcnt(1)
	v_fma_f64 v[34:35], v[26:27], v[34:35], 0
	v_fma_f64 v[34:35], v[28:29], v[36:37], v[34:35]
	s_waitcnt lgkmcnt(0)
	v_fma_f64 v[34:35], v[30:31], v[38:39], v[34:35]
	v_fma_f64 v[34:35], v[32:33], v[40:41], v[34:35]
	v_add_f64 v[24:25], v[24:25], -v[34:35]
	v_cmpx_lt_u32_e32 10, v0
	s_cbranch_execz .LBB15_98
; %bb.97:
	s_mov_b32 s1, 0
	v_mov_b32_e32 v55, v33
	v_mov_b32_e32 v54, v32
	v_mov_b32_e32 v53, v31
	v_mov_b32_e32 v52, v30
	v_mov_b32_e32 v51, v29
	v_mov_b32_e32 v50, v28
	v_mov_b32_e32 v49, v27
	v_mov_b32_e32 v48, v26
	v_mov_b32_e32 v47, v25
	v_mov_b32_e32 v46, v24
	v_mov_b32_e32 v45, v23
	v_mov_b32_e32 v44, v22
	v_mov_b32_e32 v43, v21
	v_mov_b32_e32 v42, v20
	v_mov_b32_e32 v41, v19
	v_mov_b32_e32 v40, v18
	v_mov_b32_e32 v39, v17
	v_mov_b32_e32 v38, v16
	v_mov_b32_e32 v37, v15
	v_mov_b32_e32 v36, v14
	v_mov_b32_e32 v35, v13
	v_mov_b32_e32 v34, v12
	v_mov_b32_e32 v33, v11
	v_mov_b32_e32 v32, v10
	v_mov_b32_e32 v31, v9
	v_mov_b32_e32 v30, v8
	v_mov_b32_e32 v29, v7
	v_mov_b32_e32 v28, v6
	v_mov_b32_e32 v27, v5
	v_mov_b32_e32 v26, v4
	v_mov_b32_e32 v25, v3
	v_mov_b32_e32 v24, v2
	v_mov_b32_e32 v44, s1
	v_mov_b32_e32 v45, s1
	ds_write_b64 v1, v[22:23]
	v_mov_b32_e32 v2, v24
	v_mov_b32_e32 v3, v25
	;; [unrolled: 1-line block ×32, first 2 shown]
.LBB15_98:
	s_or_b32 exec_lo, exec_lo, s0
	v_mov_b32_e32 v54, 0
	s_waitcnt lgkmcnt(0)
	s_barrier
	buffer_gl0_inv
	s_mov_b32 s0, exec_lo
	ds_read2_b64 v[34:37], v54 offset0:27 offset1:28
	ds_read2_b64 v[38:41], v54 offset0:29 offset1:30
	s_waitcnt lgkmcnt(1)
	v_fma_f64 v[34:35], v[24:25], v[34:35], 0
	v_fma_f64 v[34:35], v[26:27], v[36:37], v[34:35]
	ds_read_b64 v[36:37], v54 offset:248
	s_waitcnt lgkmcnt(1)
	v_fma_f64 v[34:35], v[28:29], v[38:39], v[34:35]
	v_fma_f64 v[34:35], v[30:31], v[40:41], v[34:35]
	s_waitcnt lgkmcnt(0)
	v_fma_f64 v[34:35], v[32:33], v[36:37], v[34:35]
	v_add_f64 v[22:23], v[22:23], -v[34:35]
	v_cmpx_lt_u32_e32 9, v0
	s_cbranch_execz .LBB15_100
; %bb.99:
	s_mov_b32 s1, 0
	v_mov_b32_e32 v53, v33
	v_mov_b32_e32 v52, v32
	v_mov_b32_e32 v51, v31
	v_mov_b32_e32 v50, v30
	v_mov_b32_e32 v49, v29
	v_mov_b32_e32 v48, v28
	v_mov_b32_e32 v47, v27
	v_mov_b32_e32 v46, v26
	v_mov_b32_e32 v45, v25
	v_mov_b32_e32 v44, v24
	v_mov_b32_e32 v43, v23
	v_mov_b32_e32 v42, v22
	v_mov_b32_e32 v41, v21
	v_mov_b32_e32 v40, v20
	v_mov_b32_e32 v39, v19
	v_mov_b32_e32 v38, v18
	v_mov_b32_e32 v37, v17
	v_mov_b32_e32 v36, v16
	v_mov_b32_e32 v35, v15
	v_mov_b32_e32 v34, v14
	v_mov_b32_e32 v33, v13
	v_mov_b32_e32 v32, v12
	v_mov_b32_e32 v31, v11
	v_mov_b32_e32 v30, v10
	v_mov_b32_e32 v29, v9
	v_mov_b32_e32 v28, v8
	v_mov_b32_e32 v27, v7
	v_mov_b32_e32 v26, v6
	v_mov_b32_e32 v25, v5
	v_mov_b32_e32 v24, v4
	v_mov_b32_e32 v23, v3
	v_mov_b32_e32 v22, v2
	v_mov_b32_e32 v40, s1
	v_mov_b32_e32 v41, s1
	ds_write_b64 v1, v[20:21]
	v_mov_b32_e32 v2, v22
	v_mov_b32_e32 v3, v23
	;; [unrolled: 1-line block ×32, first 2 shown]
.LBB15_100:
	s_or_b32 exec_lo, exec_lo, s0
	s_waitcnt lgkmcnt(0)
	s_barrier
	buffer_gl0_inv
	ds_read_b128 v[34:37], v54 offset:208
	ds_read_b128 v[38:41], v54 offset:224
	s_mov_b32 s0, exec_lo
	s_waitcnt lgkmcnt(1)
	v_fma_f64 v[34:35], v[22:23], v[34:35], 0
	v_fma_f64 v[34:35], v[24:25], v[36:37], v[34:35]
	s_waitcnt lgkmcnt(0)
	v_fma_f64 v[34:35], v[26:27], v[38:39], v[34:35]
	v_fma_f64 v[38:39], v[28:29], v[40:41], v[34:35]
	ds_read_b128 v[34:37], v54 offset:240
	s_waitcnt lgkmcnt(0)
	v_fma_f64 v[34:35], v[30:31], v[34:35], v[38:39]
	v_fma_f64 v[34:35], v[32:33], v[36:37], v[34:35]
	v_add_f64 v[20:21], v[20:21], -v[34:35]
	v_cmpx_lt_u32_e32 8, v0
	s_cbranch_execz .LBB15_102
; %bb.101:
	s_mov_b32 s1, 0
	v_mov_b32_e32 v51, v33
	v_mov_b32_e32 v50, v32
	;; [unrolled: 1-line block ×34, first 2 shown]
	ds_write_b64 v1, v[18:19]
	v_mov_b32_e32 v2, v20
	v_mov_b32_e32 v3, v21
	v_mov_b32_e32 v4, v22
	v_mov_b32_e32 v5, v23
	v_mov_b32_e32 v6, v24
	v_mov_b32_e32 v7, v25
	v_mov_b32_e32 v8, v26
	v_mov_b32_e32 v9, v27
	v_mov_b32_e32 v10, v28
	v_mov_b32_e32 v11, v29
	v_mov_b32_e32 v12, v30
	v_mov_b32_e32 v13, v31
	v_mov_b32_e32 v14, v32
	v_mov_b32_e32 v15, v33
	v_mov_b32_e32 v16, v34
	v_mov_b32_e32 v17, v35
	v_mov_b32_e32 v18, v36
	v_mov_b32_e32 v19, v37
	v_mov_b32_e32 v20, v38
	v_mov_b32_e32 v21, v39
	v_mov_b32_e32 v22, v40
	v_mov_b32_e32 v23, v41
	v_mov_b32_e32 v24, v42
	v_mov_b32_e32 v25, v43
	v_mov_b32_e32 v26, v44
	v_mov_b32_e32 v27, v45
	v_mov_b32_e32 v28, v46
	v_mov_b32_e32 v29, v47
	v_mov_b32_e32 v30, v48
	v_mov_b32_e32 v31, v49
	v_mov_b32_e32 v32, v50
	v_mov_b32_e32 v33, v51
.LBB15_102:
	s_or_b32 exec_lo, exec_lo, s0
	v_mov_b32_e32 v50, 0
	s_waitcnt lgkmcnt(0)
	s_barrier
	buffer_gl0_inv
	s_mov_b32 s0, exec_lo
	ds_read2_b64 v[34:37], v50 offset0:25 offset1:26
	ds_read2_b64 v[38:41], v50 offset0:27 offset1:28
	s_waitcnt lgkmcnt(1)
	v_fma_f64 v[34:35], v[20:21], v[34:35], 0
	v_fma_f64 v[34:35], v[22:23], v[36:37], v[34:35]
	s_waitcnt lgkmcnt(0)
	v_fma_f64 v[34:35], v[24:25], v[38:39], v[34:35]
	v_fma_f64 v[38:39], v[26:27], v[40:41], v[34:35]
	ds_read2_b64 v[34:37], v50 offset0:29 offset1:30
	ds_read_b64 v[40:41], v50 offset:248
	s_waitcnt lgkmcnt(1)
	v_fma_f64 v[34:35], v[28:29], v[34:35], v[38:39]
	v_fma_f64 v[34:35], v[30:31], v[36:37], v[34:35]
	s_waitcnt lgkmcnt(0)
	v_fma_f64 v[34:35], v[32:33], v[40:41], v[34:35]
	v_add_f64 v[18:19], v[18:19], -v[34:35]
	v_cmpx_lt_u32_e32 7, v0
	s_cbranch_execz .LBB15_104
; %bb.103:
	v_mov_b32_e32 v49, v33
	v_mov_b32_e32 v48, v32
	;; [unrolled: 1-line block ×32, first 2 shown]
	s_mov_b32 s1, 0
	ds_write_b64 v1, v[16:17]
	v_mov_b32_e32 v32, s1
	v_mov_b32_e32 v33, s1
	;; [unrolled: 1-line block ×34, first 2 shown]
.LBB15_104:
	s_or_b32 exec_lo, exec_lo, s0
	s_waitcnt lgkmcnt(0)
	s_barrier
	buffer_gl0_inv
	ds_read_b128 v[34:37], v50 offset:192
	ds_read_b128 v[38:41], v50 offset:208
	s_mov_b32 s0, exec_lo
	s_waitcnt lgkmcnt(1)
	v_fma_f64 v[34:35], v[18:19], v[34:35], 0
	v_fma_f64 v[34:35], v[20:21], v[36:37], v[34:35]
	s_waitcnt lgkmcnt(0)
	v_fma_f64 v[34:35], v[22:23], v[38:39], v[34:35]
	v_fma_f64 v[42:43], v[24:25], v[40:41], v[34:35]
	ds_read_b128 v[34:37], v50 offset:224
	ds_read_b128 v[38:41], v50 offset:240
	s_waitcnt lgkmcnt(1)
	v_fma_f64 v[34:35], v[26:27], v[34:35], v[42:43]
	v_fma_f64 v[34:35], v[28:29], v[36:37], v[34:35]
	s_waitcnt lgkmcnt(0)
	v_fma_f64 v[34:35], v[30:31], v[38:39], v[34:35]
	v_fma_f64 v[34:35], v[32:33], v[40:41], v[34:35]
	v_add_f64 v[16:17], v[16:17], -v[34:35]
	v_cmpx_lt_u32_e32 6, v0
	s_cbranch_execz .LBB15_106
; %bb.105:
	v_mov_b32_e32 v47, v33
	v_mov_b32_e32 v46, v32
	;; [unrolled: 1-line block ×32, first 2 shown]
	s_mov_b32 s1, 0
	ds_write_b64 v1, v[14:15]
	v_mov_b32_e32 v28, s1
	v_mov_b32_e32 v29, s1
	;; [unrolled: 1-line block ×34, first 2 shown]
.LBB15_106:
	s_or_b32 exec_lo, exec_lo, s0
	v_mov_b32_e32 v46, 0
	s_waitcnt lgkmcnt(0)
	s_barrier
	buffer_gl0_inv
	s_mov_b32 s0, exec_lo
	ds_read2_b64 v[34:37], v46 offset0:23 offset1:24
	ds_read2_b64 v[38:41], v46 offset0:25 offset1:26
	s_waitcnt lgkmcnt(1)
	v_fma_f64 v[34:35], v[16:17], v[34:35], 0
	v_fma_f64 v[34:35], v[18:19], v[36:37], v[34:35]
	s_waitcnt lgkmcnt(0)
	v_fma_f64 v[34:35], v[20:21], v[38:39], v[34:35]
	v_fma_f64 v[42:43], v[22:23], v[40:41], v[34:35]
	ds_read2_b64 v[34:37], v46 offset0:27 offset1:28
	ds_read2_b64 v[38:41], v46 offset0:29 offset1:30
	s_waitcnt lgkmcnt(1)
	v_fma_f64 v[34:35], v[24:25], v[34:35], v[42:43]
	v_fma_f64 v[34:35], v[26:27], v[36:37], v[34:35]
	ds_read_b64 v[36:37], v46 offset:248
	s_waitcnt lgkmcnt(1)
	v_fma_f64 v[34:35], v[28:29], v[38:39], v[34:35]
	v_fma_f64 v[34:35], v[30:31], v[40:41], v[34:35]
	s_waitcnt lgkmcnt(0)
	v_fma_f64 v[34:35], v[32:33], v[36:37], v[34:35]
	v_add_f64 v[14:15], v[14:15], -v[34:35]
	v_cmpx_lt_u32_e32 5, v0
	s_cbranch_execz .LBB15_108
; %bb.107:
	v_mov_b32_e32 v45, v33
	v_mov_b32_e32 v44, v32
	;; [unrolled: 1-line block ×32, first 2 shown]
	s_mov_b32 s1, 0
	ds_write_b64 v1, v[12:13]
	v_mov_b32_e32 v24, s1
	v_mov_b32_e32 v25, s1
	;; [unrolled: 1-line block ×34, first 2 shown]
.LBB15_108:
	s_or_b32 exec_lo, exec_lo, s0
	s_waitcnt lgkmcnt(0)
	s_barrier
	buffer_gl0_inv
	ds_read_b128 v[34:37], v46 offset:176
	ds_read_b128 v[38:41], v46 offset:192
	s_mov_b32 s0, exec_lo
	s_waitcnt lgkmcnt(1)
	v_fma_f64 v[34:35], v[14:15], v[34:35], 0
	v_fma_f64 v[34:35], v[16:17], v[36:37], v[34:35]
	s_waitcnt lgkmcnt(0)
	v_fma_f64 v[34:35], v[18:19], v[38:39], v[34:35]
	v_fma_f64 v[42:43], v[20:21], v[40:41], v[34:35]
	ds_read_b128 v[34:37], v46 offset:208
	ds_read_b128 v[38:41], v46 offset:224
	s_waitcnt lgkmcnt(1)
	v_fma_f64 v[34:35], v[22:23], v[34:35], v[42:43]
	v_fma_f64 v[34:35], v[24:25], v[36:37], v[34:35]
	s_waitcnt lgkmcnt(0)
	v_fma_f64 v[34:35], v[26:27], v[38:39], v[34:35]
	v_fma_f64 v[38:39], v[28:29], v[40:41], v[34:35]
	ds_read_b128 v[34:37], v46 offset:240
	s_waitcnt lgkmcnt(0)
	v_fma_f64 v[34:35], v[30:31], v[34:35], v[38:39]
	v_fma_f64 v[34:35], v[32:33], v[36:37], v[34:35]
	v_add_f64 v[12:13], v[12:13], -v[34:35]
	v_cmpx_lt_u32_e32 4, v0
	s_cbranch_execz .LBB15_110
; %bb.109:
	v_mov_b32_e32 v43, v33
	v_mov_b32_e32 v42, v32
	;; [unrolled: 1-line block ×32, first 2 shown]
	s_mov_b32 s1, 0
	ds_write_b64 v1, v[10:11]
	v_mov_b32_e32 v20, s1
	v_mov_b32_e32 v21, s1
	;; [unrolled: 1-line block ×34, first 2 shown]
.LBB15_110:
	s_or_b32 exec_lo, exec_lo, s0
	v_mov_b32_e32 v42, 0
	s_waitcnt lgkmcnt(0)
	s_barrier
	buffer_gl0_inv
	s_mov_b32 s0, exec_lo
	ds_read2_b64 v[34:37], v42 offset0:21 offset1:22
	ds_read2_b64 v[38:41], v42 offset0:23 offset1:24
	s_waitcnt lgkmcnt(1)
	v_fma_f64 v[34:35], v[12:13], v[34:35], 0
	v_fma_f64 v[34:35], v[14:15], v[36:37], v[34:35]
	s_waitcnt lgkmcnt(0)
	v_fma_f64 v[34:35], v[16:17], v[38:39], v[34:35]
	v_fma_f64 v[43:44], v[18:19], v[40:41], v[34:35]
	ds_read2_b64 v[34:37], v42 offset0:25 offset1:26
	ds_read2_b64 v[38:41], v42 offset0:27 offset1:28
	s_waitcnt lgkmcnt(1)
	v_fma_f64 v[34:35], v[20:21], v[34:35], v[43:44]
	v_fma_f64 v[34:35], v[22:23], v[36:37], v[34:35]
	s_waitcnt lgkmcnt(0)
	v_fma_f64 v[34:35], v[24:25], v[38:39], v[34:35]
	v_fma_f64 v[38:39], v[26:27], v[40:41], v[34:35]
	ds_read2_b64 v[34:37], v42 offset0:29 offset1:30
	ds_read_b64 v[40:41], v42 offset:248
	s_waitcnt lgkmcnt(1)
	v_fma_f64 v[34:35], v[28:29], v[34:35], v[38:39]
	v_fma_f64 v[34:35], v[30:31], v[36:37], v[34:35]
	s_waitcnt lgkmcnt(0)
	v_fma_f64 v[34:35], v[32:33], v[40:41], v[34:35]
	v_add_f64 v[10:11], v[10:11], -v[34:35]
	v_cmpx_lt_u32_e32 3, v0
	s_cbranch_execz .LBB15_112
; %bb.111:
	v_mov_b32_e32 v41, v33
	v_mov_b32_e32 v40, v32
	v_mov_b32_e32 v39, v31
	v_mov_b32_e32 v38, v30
	v_mov_b32_e32 v37, v29
	v_mov_b32_e32 v36, v28
	v_mov_b32_e32 v35, v27
	v_mov_b32_e32 v34, v26
	v_mov_b32_e32 v33, v25
	v_mov_b32_e32 v32, v24
	v_mov_b32_e32 v31, v23
	v_mov_b32_e32 v30, v22
	v_mov_b32_e32 v29, v21
	v_mov_b32_e32 v28, v20
	v_mov_b32_e32 v27, v19
	v_mov_b32_e32 v26, v18
	v_mov_b32_e32 v25, v17
	v_mov_b32_e32 v24, v16
	v_mov_b32_e32 v23, v15
	v_mov_b32_e32 v22, v14
	v_mov_b32_e32 v21, v13
	v_mov_b32_e32 v20, v12
	v_mov_b32_e32 v19, v11
	v_mov_b32_e32 v18, v10
	v_mov_b32_e32 v17, v9
	v_mov_b32_e32 v16, v8
	v_mov_b32_e32 v15, v7
	v_mov_b32_e32 v14, v6
	v_mov_b32_e32 v13, v5
	v_mov_b32_e32 v12, v4
	v_mov_b32_e32 v11, v3
	v_mov_b32_e32 v10, v2
	s_mov_b32 s1, 0
	ds_write_b64 v1, v[8:9]
	v_mov_b32_e32 v16, s1
	v_mov_b32_e32 v17, s1
	;; [unrolled: 1-line block ×34, first 2 shown]
.LBB15_112:
	s_or_b32 exec_lo, exec_lo, s0
	s_waitcnt lgkmcnt(0)
	s_barrier
	buffer_gl0_inv
	ds_read_b128 v[34:37], v42 offset:160
	ds_read_b128 v[38:41], v42 offset:176
	s_mov_b32 s0, exec_lo
	s_waitcnt lgkmcnt(1)
	v_fma_f64 v[34:35], v[10:11], v[34:35], 0
	v_fma_f64 v[34:35], v[12:13], v[36:37], v[34:35]
	s_waitcnt lgkmcnt(0)
	v_fma_f64 v[34:35], v[14:15], v[38:39], v[34:35]
	v_fma_f64 v[43:44], v[16:17], v[40:41], v[34:35]
	ds_read_b128 v[34:37], v42 offset:192
	ds_read_b128 v[38:41], v42 offset:208
	s_waitcnt lgkmcnt(1)
	v_fma_f64 v[34:35], v[18:19], v[34:35], v[43:44]
	v_fma_f64 v[34:35], v[20:21], v[36:37], v[34:35]
	s_waitcnt lgkmcnt(0)
	v_fma_f64 v[34:35], v[22:23], v[38:39], v[34:35]
	v_fma_f64 v[43:44], v[24:25], v[40:41], v[34:35]
	ds_read_b128 v[34:37], v42 offset:224
	ds_read_b128 v[38:41], v42 offset:240
	s_waitcnt lgkmcnt(1)
	v_fma_f64 v[34:35], v[26:27], v[34:35], v[43:44]
	v_fma_f64 v[34:35], v[28:29], v[36:37], v[34:35]
	s_waitcnt lgkmcnt(0)
	v_fma_f64 v[34:35], v[30:31], v[38:39], v[34:35]
	v_fma_f64 v[34:35], v[32:33], v[40:41], v[34:35]
	v_add_f64 v[8:9], v[8:9], -v[34:35]
	v_cmpx_lt_u32_e32 2, v0
	s_cbranch_execz .LBB15_114
; %bb.113:
	v_mov_b32_e32 v39, v33
	v_mov_b32_e32 v38, v32
	;; [unrolled: 1-line block ×32, first 2 shown]
	s_mov_b32 s1, 0
	ds_write_b64 v1, v[6:7]
	v_mov_b32_e32 v12, s1
	v_mov_b32_e32 v13, s1
	;; [unrolled: 1-line block ×34, first 2 shown]
.LBB15_114:
	s_or_b32 exec_lo, exec_lo, s0
	v_mov_b32_e32 v38, 0
	s_waitcnt lgkmcnt(0)
	s_barrier
	buffer_gl0_inv
	s_mov_b32 s0, exec_lo
	ds_read2_b64 v[34:37], v38 offset0:19 offset1:20
	ds_read2_b64 v[39:42], v38 offset0:21 offset1:22
	s_waitcnt lgkmcnt(1)
	v_fma_f64 v[34:35], v[8:9], v[34:35], 0
	v_fma_f64 v[34:35], v[10:11], v[36:37], v[34:35]
	s_waitcnt lgkmcnt(0)
	v_fma_f64 v[34:35], v[12:13], v[39:40], v[34:35]
	v_fma_f64 v[43:44], v[14:15], v[41:42], v[34:35]
	ds_read2_b64 v[34:37], v38 offset0:23 offset1:24
	ds_read2_b64 v[39:42], v38 offset0:25 offset1:26
	s_waitcnt lgkmcnt(1)
	v_fma_f64 v[34:35], v[16:17], v[34:35], v[43:44]
	v_fma_f64 v[34:35], v[18:19], v[36:37], v[34:35]
	s_waitcnt lgkmcnt(0)
	v_fma_f64 v[34:35], v[20:21], v[39:40], v[34:35]
	v_fma_f64 v[43:44], v[22:23], v[41:42], v[34:35]
	ds_read2_b64 v[34:37], v38 offset0:27 offset1:28
	ds_read2_b64 v[39:42], v38 offset0:29 offset1:30
	s_waitcnt lgkmcnt(1)
	v_fma_f64 v[34:35], v[24:25], v[34:35], v[43:44]
	v_fma_f64 v[34:35], v[26:27], v[36:37], v[34:35]
	ds_read_b64 v[36:37], v38 offset:248
	s_waitcnt lgkmcnt(1)
	v_fma_f64 v[34:35], v[28:29], v[39:40], v[34:35]
	v_fma_f64 v[34:35], v[30:31], v[41:42], v[34:35]
	s_waitcnt lgkmcnt(0)
	v_fma_f64 v[34:35], v[32:33], v[36:37], v[34:35]
	v_add_f64 v[6:7], v[6:7], -v[34:35]
	v_cmpx_lt_u32_e32 1, v0
	s_cbranch_execz .LBB15_116
; %bb.115:
	v_mov_b32_e32 v37, v33
	v_mov_b32_e32 v36, v32
	;; [unrolled: 1-line block ×32, first 2 shown]
	s_mov_b32 s1, 0
	ds_write_b64 v1, v[4:5]
	v_mov_b32_e32 v8, s1
	v_mov_b32_e32 v9, s1
	;; [unrolled: 1-line block ×34, first 2 shown]
.LBB15_116:
	s_or_b32 exec_lo, exec_lo, s0
	s_waitcnt lgkmcnt(0)
	s_barrier
	buffer_gl0_inv
	ds_read_b128 v[34:37], v38 offset:144
	ds_read_b128 v[39:42], v38 offset:160
	s_mov_b32 s1, 0
	s_mov_b32 s0, exec_lo
	s_waitcnt lgkmcnt(1)
	v_fma_f64 v[34:35], v[6:7], v[34:35], 0
	v_fma_f64 v[34:35], v[8:9], v[36:37], v[34:35]
	s_waitcnt lgkmcnt(0)
	v_fma_f64 v[34:35], v[10:11], v[39:40], v[34:35]
	v_fma_f64 v[43:44], v[12:13], v[41:42], v[34:35]
	ds_read_b128 v[34:37], v38 offset:176
	ds_read_b128 v[39:42], v38 offset:192
	s_waitcnt lgkmcnt(1)
	v_fma_f64 v[34:35], v[14:15], v[34:35], v[43:44]
	v_fma_f64 v[34:35], v[16:17], v[36:37], v[34:35]
	s_waitcnt lgkmcnt(0)
	v_fma_f64 v[34:35], v[18:19], v[39:40], v[34:35]
	v_fma_f64 v[43:44], v[20:21], v[41:42], v[34:35]
	ds_read_b128 v[34:37], v38 offset:208
	ds_read_b128 v[39:42], v38 offset:224
	s_waitcnt lgkmcnt(1)
	v_fma_f64 v[34:35], v[22:23], v[34:35], v[43:44]
	v_fma_f64 v[34:35], v[24:25], v[36:37], v[34:35]
	s_waitcnt lgkmcnt(0)
	v_fma_f64 v[34:35], v[26:27], v[39:40], v[34:35]
	v_fma_f64 v[39:40], v[28:29], v[41:42], v[34:35]
	ds_read_b128 v[34:37], v38 offset:240
	s_waitcnt lgkmcnt(0)
	v_fma_f64 v[34:35], v[30:31], v[34:35], v[39:40]
	v_fma_f64 v[34:35], v[32:33], v[36:37], v[34:35]
	v_add_f64 v[4:5], v[4:5], -v[34:35]
	v_cmpx_ne_u32_e32 0, v0
	s_cbranch_execz .LBB15_118
; %bb.117:
	v_mov_b32_e32 v35, v33
	v_mov_b32_e32 v34, v32
	;; [unrolled: 1-line block ×34, first 2 shown]
	ds_write_b64 v1, v[2:3]
	v_mov_b32_e32 v2, v4
	v_mov_b32_e32 v3, v5
	;; [unrolled: 1-line block ×32, first 2 shown]
.LBB15_118:
	s_or_b32 exec_lo, exec_lo, s0
	v_mov_b32_e32 v0, 0
	s_waitcnt lgkmcnt(0)
	s_barrier
	buffer_gl0_inv
	s_and_b32 vcc_lo, exec_lo, s22
	ds_read2_b64 v[34:37], v0 offset0:17 offset1:18
	ds_read2_b64 v[38:41], v0 offset0:19 offset1:20
	s_waitcnt lgkmcnt(1)
	v_fma_f64 v[34:35], v[4:5], v[34:35], 0
	v_fma_f64 v[34:35], v[6:7], v[36:37], v[34:35]
	s_waitcnt lgkmcnt(0)
	v_fma_f64 v[34:35], v[8:9], v[38:39], v[34:35]
	v_fma_f64 v[42:43], v[10:11], v[40:41], v[34:35]
	ds_read2_b64 v[34:37], v0 offset0:21 offset1:22
	ds_read2_b64 v[38:41], v0 offset0:23 offset1:24
	s_waitcnt lgkmcnt(1)
	v_fma_f64 v[34:35], v[12:13], v[34:35], v[42:43]
	v_fma_f64 v[34:35], v[14:15], v[36:37], v[34:35]
	s_waitcnt lgkmcnt(0)
	v_fma_f64 v[34:35], v[16:17], v[38:39], v[34:35]
	v_fma_f64 v[42:43], v[18:19], v[40:41], v[34:35]
	;; [unrolled: 8-line block ×3, first 2 shown]
	ds_read2_b64 v[34:37], v0 offset0:29 offset1:30
	ds_read_b64 v[40:41], v0 offset:248
	s_waitcnt lgkmcnt(1)
	v_fma_f64 v[34:35], v[28:29], v[34:35], v[38:39]
	v_fma_f64 v[34:35], v[30:31], v[36:37], v[34:35]
	s_waitcnt lgkmcnt(0)
	v_fma_f64 v[34:35], v[32:33], v[40:41], v[34:35]
	v_add_f64 v[2:3], v[2:3], -v[34:35]
	s_cbranch_vccz .LBB15_149
; %bb.119:
	global_load_dword v0, v0, s[20:21] offset:56
	s_waitcnt vmcnt(0)
	v_readfirstlane_b32 s0, v0
	s_add_i32 s0, s0, -1
	s_cmp_lg_u32 s0, 14
	s_cbranch_scc0 .LBB15_121
; %bb.120:
	s_lshl_b32 m0, s0, 1
	v_movrels_b32_e32 v0, v2
	v_movrels_b32_e32 v1, v3
	v_mov_b32_e32 v63, v33
	v_mov_b32_e32 v62, v32
	v_mov_b32_e32 v61, v31
	v_mov_b32_e32 v60, v30
	v_mov_b32_e32 v59, v29
	v_mov_b32_e32 v58, v28
	v_mov_b32_e32 v57, v27
	v_mov_b32_e32 v56, v26
	v_mov_b32_e32 v55, v25
	v_mov_b32_e32 v54, v24
	v_mov_b32_e32 v53, v23
	v_mov_b32_e32 v52, v22
	v_mov_b32_e32 v51, v21
	v_mov_b32_e32 v50, v20
	v_mov_b32_e32 v49, v19
	v_mov_b32_e32 v48, v18
	v_mov_b32_e32 v47, v17
	v_mov_b32_e32 v46, v16
	v_mov_b32_e32 v45, v15
	v_mov_b32_e32 v44, v14
	v_mov_b32_e32 v43, v13
	v_mov_b32_e32 v42, v12
	v_mov_b32_e32 v41, v11
	v_mov_b32_e32 v40, v10
	v_mov_b32_e32 v39, v9
	v_mov_b32_e32 v38, v8
	v_mov_b32_e32 v37, v7
	v_mov_b32_e32 v36, v6
	v_mov_b32_e32 v35, v5
	v_mov_b32_e32 v34, v4
	v_mov_b32_e32 v33, v3
	v_mov_b32_e32 v32, v2
	v_mov_b32_e32 v60, v0
	v_mov_b32_e32 v61, v1
	v_movreld_b32_e32 v32, v30
	v_movreld_b32_e32 v33, v31
	v_mov_b32_e32 v2, v32
	v_mov_b32_e32 v3, v33
	;; [unrolled: 1-line block ×32, first 2 shown]
.LBB15_121:
	v_mov_b32_e32 v0, 0
	global_load_dword v1, v0, s[20:21] offset:52
	s_waitcnt vmcnt(0)
	v_readfirstlane_b32 s0, v1
	s_add_i32 s0, s0, -1
	s_cmp_eq_u32 s0, 13
	s_cbranch_scc1 .LBB15_123
; %bb.122:
	s_lshl_b32 m0, s0, 1
	v_movrels_b32_e32 v1, v2
	v_movrels_b32_e32 v62, v3
	v_mov_b32_e32 v61, v33
	v_mov_b32_e32 v60, v32
	;; [unrolled: 1-line block ×34, first 2 shown]
	v_movreld_b32_e32 v30, v28
	v_movreld_b32_e32 v31, v29
	v_mov_b32_e32 v2, v30
	v_mov_b32_e32 v3, v31
	v_mov_b32_e32 v4, v32
	v_mov_b32_e32 v5, v33
	v_mov_b32_e32 v6, v34
	v_mov_b32_e32 v7, v35
	v_mov_b32_e32 v8, v36
	v_mov_b32_e32 v9, v37
	v_mov_b32_e32 v10, v38
	v_mov_b32_e32 v11, v39
	v_mov_b32_e32 v12, v40
	v_mov_b32_e32 v13, v41
	v_mov_b32_e32 v14, v42
	v_mov_b32_e32 v15, v43
	v_mov_b32_e32 v16, v44
	v_mov_b32_e32 v17, v45
	v_mov_b32_e32 v18, v46
	v_mov_b32_e32 v19, v47
	v_mov_b32_e32 v20, v48
	v_mov_b32_e32 v21, v49
	v_mov_b32_e32 v22, v50
	v_mov_b32_e32 v23, v51
	v_mov_b32_e32 v24, v52
	v_mov_b32_e32 v25, v53
	v_mov_b32_e32 v26, v54
	v_mov_b32_e32 v27, v55
	v_mov_b32_e32 v28, v56
	v_mov_b32_e32 v29, v57
	v_mov_b32_e32 v30, v58
	v_mov_b32_e32 v31, v59
	v_mov_b32_e32 v32, v60
	v_mov_b32_e32 v33, v61
.LBB15_123:
	global_load_dword v0, v0, s[20:21] offset:48
	s_waitcnt vmcnt(0)
	v_readfirstlane_b32 s0, v0
	s_add_i32 s0, s0, -1
	s_cmp_eq_u32 s0, 12
	s_cbranch_scc1 .LBB15_125
; %bb.124:
	s_lshl_b32 m0, s0, 1
	v_movrels_b32_e32 v0, v2
	v_movrels_b32_e32 v1, v3
	v_mov_b32_e32 v59, v33
	v_mov_b32_e32 v58, v32
	;; [unrolled: 1-line block ×34, first 2 shown]
	v_movreld_b32_e32 v28, v26
	v_movreld_b32_e32 v29, v27
	v_mov_b32_e32 v2, v28
	v_mov_b32_e32 v3, v29
	;; [unrolled: 1-line block ×32, first 2 shown]
.LBB15_125:
	v_mov_b32_e32 v0, 0
	global_load_dword v1, v0, s[20:21] offset:44
	s_waitcnt vmcnt(0)
	v_readfirstlane_b32 s0, v1
	s_add_i32 s0, s0, -1
	s_cmp_eq_u32 s0, 11
	s_cbranch_scc1 .LBB15_127
; %bb.126:
	s_lshl_b32 m0, s0, 1
	v_movrels_b32_e32 v1, v2
	v_movrels_b32_e32 v58, v3
	v_mov_b32_e32 v57, v33
	v_mov_b32_e32 v56, v32
	;; [unrolled: 1-line block ×34, first 2 shown]
	v_movreld_b32_e32 v26, v24
	v_movreld_b32_e32 v27, v25
	v_mov_b32_e32 v2, v26
	v_mov_b32_e32 v3, v27
	;; [unrolled: 1-line block ×32, first 2 shown]
.LBB15_127:
	global_load_dword v0, v0, s[20:21] offset:40
	s_waitcnt vmcnt(0)
	v_readfirstlane_b32 s0, v0
	s_add_i32 s0, s0, -1
	s_cmp_eq_u32 s0, 10
	s_cbranch_scc1 .LBB15_129
; %bb.128:
	s_lshl_b32 m0, s0, 1
	v_movrels_b32_e32 v0, v2
	v_movrels_b32_e32 v1, v3
	v_mov_b32_e32 v55, v33
	v_mov_b32_e32 v54, v32
	;; [unrolled: 1-line block ×34, first 2 shown]
	v_movreld_b32_e32 v24, v22
	v_movreld_b32_e32 v25, v23
	v_mov_b32_e32 v2, v24
	v_mov_b32_e32 v3, v25
	;; [unrolled: 1-line block ×32, first 2 shown]
.LBB15_129:
	v_mov_b32_e32 v0, 0
	global_load_dword v1, v0, s[20:21] offset:36
	s_waitcnt vmcnt(0)
	v_readfirstlane_b32 s0, v1
	s_add_i32 s0, s0, -1
	s_cmp_eq_u32 s0, 9
	s_cbranch_scc1 .LBB15_131
; %bb.130:
	s_lshl_b32 m0, s0, 1
	v_movrels_b32_e32 v1, v2
	v_movrels_b32_e32 v54, v3
	v_mov_b32_e32 v53, v33
	v_mov_b32_e32 v52, v32
	;; [unrolled: 1-line block ×34, first 2 shown]
	v_movreld_b32_e32 v22, v20
	v_movreld_b32_e32 v23, v21
	v_mov_b32_e32 v2, v22
	v_mov_b32_e32 v3, v23
	;; [unrolled: 1-line block ×32, first 2 shown]
.LBB15_131:
	global_load_dword v0, v0, s[20:21] offset:32
	s_waitcnt vmcnt(0)
	v_readfirstlane_b32 s0, v0
	s_add_i32 s0, s0, -1
	s_cmp_eq_u32 s0, 8
	s_cbranch_scc1 .LBB15_133
; %bb.132:
	s_lshl_b32 m0, s0, 1
	v_movrels_b32_e32 v0, v2
	v_movrels_b32_e32 v1, v3
	v_mov_b32_e32 v51, v33
	v_mov_b32_e32 v50, v32
	;; [unrolled: 1-line block ×34, first 2 shown]
	v_movreld_b32_e32 v20, v18
	v_movreld_b32_e32 v21, v19
	v_mov_b32_e32 v2, v20
	v_mov_b32_e32 v3, v21
	;; [unrolled: 1-line block ×32, first 2 shown]
.LBB15_133:
	v_mov_b32_e32 v0, 0
	global_load_dword v1, v0, s[20:21] offset:28
	s_waitcnt vmcnt(0)
	v_readfirstlane_b32 s0, v1
	s_add_i32 s0, s0, -1
	s_cmp_eq_u32 s0, 7
	s_cbranch_scc1 .LBB15_135
; %bb.134:
	s_lshl_b32 m0, s0, 1
	v_movrels_b32_e32 v1, v2
	v_movrels_b32_e32 v50, v3
	v_mov_b32_e32 v49, v33
	v_mov_b32_e32 v48, v32
	;; [unrolled: 1-line block ×34, first 2 shown]
	v_movreld_b32_e32 v18, v16
	v_movreld_b32_e32 v19, v17
	v_mov_b32_e32 v2, v18
	v_mov_b32_e32 v3, v19
	;; [unrolled: 1-line block ×32, first 2 shown]
.LBB15_135:
	global_load_dword v0, v0, s[20:21] offset:24
	s_waitcnt vmcnt(0)
	v_readfirstlane_b32 s0, v0
	s_add_i32 s0, s0, -1
	s_cmp_eq_u32 s0, 6
	s_cbranch_scc1 .LBB15_137
; %bb.136:
	s_lshl_b32 m0, s0, 1
	v_movrels_b32_e32 v0, v2
	v_movrels_b32_e32 v1, v3
	v_mov_b32_e32 v47, v33
	v_mov_b32_e32 v46, v32
	;; [unrolled: 1-line block ×34, first 2 shown]
	v_movreld_b32_e32 v16, v14
	v_movreld_b32_e32 v17, v15
	v_mov_b32_e32 v2, v16
	v_mov_b32_e32 v3, v17
	;; [unrolled: 1-line block ×32, first 2 shown]
.LBB15_137:
	v_mov_b32_e32 v0, 0
	global_load_dword v1, v0, s[20:21] offset:20
	s_waitcnt vmcnt(0)
	v_readfirstlane_b32 s0, v1
	s_add_i32 s0, s0, -1
	s_cmp_eq_u32 s0, 5
	s_cbranch_scc1 .LBB15_139
; %bb.138:
	s_lshl_b32 m0, s0, 1
	v_movrels_b32_e32 v1, v2
	v_movrels_b32_e32 v46, v3
	v_mov_b32_e32 v45, v33
	v_mov_b32_e32 v44, v32
	;; [unrolled: 1-line block ×34, first 2 shown]
	v_movreld_b32_e32 v14, v12
	v_movreld_b32_e32 v15, v13
	v_mov_b32_e32 v2, v14
	v_mov_b32_e32 v3, v15
	;; [unrolled: 1-line block ×32, first 2 shown]
.LBB15_139:
	global_load_dword v0, v0, s[20:21] offset:16
	s_waitcnt vmcnt(0)
	v_readfirstlane_b32 s0, v0
	s_add_i32 s0, s0, -1
	s_cmp_eq_u32 s0, 4
	s_cbranch_scc1 .LBB15_141
; %bb.140:
	s_lshl_b32 m0, s0, 1
	v_movrels_b32_e32 v0, v2
	v_movrels_b32_e32 v1, v3
	v_mov_b32_e32 v43, v33
	v_mov_b32_e32 v42, v32
	;; [unrolled: 1-line block ×34, first 2 shown]
	v_movreld_b32_e32 v12, v10
	v_movreld_b32_e32 v13, v11
	v_mov_b32_e32 v2, v12
	v_mov_b32_e32 v3, v13
	;; [unrolled: 1-line block ×32, first 2 shown]
.LBB15_141:
	v_mov_b32_e32 v0, 0
	global_load_dword v1, v0, s[20:21] offset:12
	s_waitcnt vmcnt(0)
	v_readfirstlane_b32 s0, v1
	s_add_i32 s0, s0, -1
	s_cmp_eq_u32 s0, 3
	s_cbranch_scc1 .LBB15_143
; %bb.142:
	s_lshl_b32 m0, s0, 1
	v_movrels_b32_e32 v1, v2
	v_movrels_b32_e32 v42, v3
	v_mov_b32_e32 v41, v33
	v_mov_b32_e32 v40, v32
	;; [unrolled: 1-line block ×34, first 2 shown]
	v_movreld_b32_e32 v10, v8
	v_movreld_b32_e32 v11, v9
	v_mov_b32_e32 v2, v10
	v_mov_b32_e32 v3, v11
	;; [unrolled: 1-line block ×32, first 2 shown]
.LBB15_143:
	global_load_dword v0, v0, s[20:21] offset:8
	s_waitcnt vmcnt(0)
	v_readfirstlane_b32 s0, v0
	s_add_i32 s0, s0, -1
	s_cmp_eq_u32 s0, 2
	s_cbranch_scc1 .LBB15_145
; %bb.144:
	s_lshl_b32 m0, s0, 1
	v_movrels_b32_e32 v0, v2
	v_movrels_b32_e32 v1, v3
	v_mov_b32_e32 v39, v33
	v_mov_b32_e32 v38, v32
	;; [unrolled: 1-line block ×34, first 2 shown]
	v_movreld_b32_e32 v8, v6
	v_movreld_b32_e32 v9, v7
	v_mov_b32_e32 v2, v8
	v_mov_b32_e32 v3, v9
	;; [unrolled: 1-line block ×32, first 2 shown]
.LBB15_145:
	v_mov_b32_e32 v0, 0
	global_load_dword v1, v0, s[20:21] offset:4
	s_waitcnt vmcnt(0)
	v_readfirstlane_b32 s0, v1
	s_add_i32 s0, s0, -1
	s_cmp_eq_u32 s0, 1
	s_cbranch_scc1 .LBB15_147
; %bb.146:
	s_lshl_b32 m0, s0, 1
	v_movrels_b32_e32 v1, v2
	v_movrels_b32_e32 v38, v3
	v_mov_b32_e32 v37, v33
	v_mov_b32_e32 v36, v32
	;; [unrolled: 1-line block ×34, first 2 shown]
	v_movreld_b32_e32 v6, v4
	v_movreld_b32_e32 v7, v5
	v_mov_b32_e32 v2, v6
	v_mov_b32_e32 v3, v7
	;; [unrolled: 1-line block ×32, first 2 shown]
.LBB15_147:
	global_load_dword v0, v0, s[20:21]
	s_waitcnt vmcnt(0)
	v_readfirstlane_b32 s0, v0
	s_add_i32 s0, s0, -1
	s_cmp_eq_u32 s0, 0
	s_cbranch_scc1 .LBB15_149
; %bb.148:
	s_lshl_b32 m0, s0, 1
	v_movrels_b32_e32 v0, v2
	v_movrels_b32_e32 v1, v3
	v_mov_b32_e32 v35, v33
	v_mov_b32_e32 v34, v32
	v_mov_b32_e32 v33, v31
	v_mov_b32_e32 v32, v30
	v_mov_b32_e32 v31, v29
	v_mov_b32_e32 v30, v28
	v_mov_b32_e32 v29, v27
	v_mov_b32_e32 v28, v26
	v_mov_b32_e32 v27, v25
	v_mov_b32_e32 v26, v24
	v_mov_b32_e32 v25, v23
	v_mov_b32_e32 v24, v22
	v_mov_b32_e32 v23, v21
	v_mov_b32_e32 v22, v20
	v_mov_b32_e32 v21, v19
	v_mov_b32_e32 v20, v18
	v_mov_b32_e32 v19, v17
	v_mov_b32_e32 v18, v16
	v_mov_b32_e32 v17, v15
	v_mov_b32_e32 v16, v14
	v_mov_b32_e32 v15, v13
	v_mov_b32_e32 v14, v12
	v_mov_b32_e32 v13, v11
	v_mov_b32_e32 v12, v10
	v_mov_b32_e32 v11, v9
	v_mov_b32_e32 v10, v8
	v_mov_b32_e32 v9, v7
	v_mov_b32_e32 v8, v6
	v_mov_b32_e32 v7, v5
	v_mov_b32_e32 v6, v4
	v_mov_b32_e32 v5, v3
	v_mov_b32_e32 v4, v2
	v_mov_b32_e32 v4, v0
	v_mov_b32_e32 v5, v1
	v_movreld_b32_e32 v4, v2
	v_movreld_b32_e32 v5, v3
	v_mov_b32_e32 v2, v4
	v_mov_b32_e32 v3, v5
	;; [unrolled: 1-line block ×32, first 2 shown]
.LBB15_149:
	global_store_dwordx2 v[64:65], v[2:3], off
	global_store_dwordx2 v[66:67], v[4:5], off
	;; [unrolled: 1-line block ×16, first 2 shown]
	s_endpgm
	.section	.rodata,"a",@progbits
	.p2align	6, 0x0
	.amdhsa_kernel _ZN9rocsolver6v33100L18getri_kernel_smallILi16EdPdEEvT1_iilPiilS4_bb
		.amdhsa_group_segment_fixed_size 264
		.amdhsa_private_segment_fixed_size 0
		.amdhsa_kernarg_size 60
		.amdhsa_user_sgpr_count 6
		.amdhsa_user_sgpr_private_segment_buffer 1
		.amdhsa_user_sgpr_dispatch_ptr 0
		.amdhsa_user_sgpr_queue_ptr 0
		.amdhsa_user_sgpr_kernarg_segment_ptr 1
		.amdhsa_user_sgpr_dispatch_id 0
		.amdhsa_user_sgpr_flat_scratch_init 0
		.amdhsa_user_sgpr_private_segment_size 0
		.amdhsa_wavefront_size32 1
		.amdhsa_uses_dynamic_stack 0
		.amdhsa_system_sgpr_private_segment_wavefront_offset 0
		.amdhsa_system_sgpr_workgroup_id_x 1
		.amdhsa_system_sgpr_workgroup_id_y 0
		.amdhsa_system_sgpr_workgroup_id_z 0
		.amdhsa_system_sgpr_workgroup_info 0
		.amdhsa_system_vgpr_workitem_id 0
		.amdhsa_next_free_vgpr 96
		.amdhsa_next_free_sgpr 23
		.amdhsa_reserve_vcc 1
		.amdhsa_reserve_flat_scratch 0
		.amdhsa_float_round_mode_32 0
		.amdhsa_float_round_mode_16_64 0
		.amdhsa_float_denorm_mode_32 3
		.amdhsa_float_denorm_mode_16_64 3
		.amdhsa_dx10_clamp 1
		.amdhsa_ieee_mode 1
		.amdhsa_fp16_overflow 0
		.amdhsa_workgroup_processor_mode 1
		.amdhsa_memory_ordered 1
		.amdhsa_forward_progress 1
		.amdhsa_shared_vgpr_count 0
		.amdhsa_exception_fp_ieee_invalid_op 0
		.amdhsa_exception_fp_denorm_src 0
		.amdhsa_exception_fp_ieee_div_zero 0
		.amdhsa_exception_fp_ieee_overflow 0
		.amdhsa_exception_fp_ieee_underflow 0
		.amdhsa_exception_fp_ieee_inexact 0
		.amdhsa_exception_int_div_zero 0
	.end_amdhsa_kernel
	.section	.text._ZN9rocsolver6v33100L18getri_kernel_smallILi16EdPdEEvT1_iilPiilS4_bb,"axG",@progbits,_ZN9rocsolver6v33100L18getri_kernel_smallILi16EdPdEEvT1_iilPiilS4_bb,comdat
.Lfunc_end15:
	.size	_ZN9rocsolver6v33100L18getri_kernel_smallILi16EdPdEEvT1_iilPiilS4_bb, .Lfunc_end15-_ZN9rocsolver6v33100L18getri_kernel_smallILi16EdPdEEvT1_iilPiilS4_bb
                                        ; -- End function
	.set _ZN9rocsolver6v33100L18getri_kernel_smallILi16EdPdEEvT1_iilPiilS4_bb.num_vgpr, 96
	.set _ZN9rocsolver6v33100L18getri_kernel_smallILi16EdPdEEvT1_iilPiilS4_bb.num_agpr, 0
	.set _ZN9rocsolver6v33100L18getri_kernel_smallILi16EdPdEEvT1_iilPiilS4_bb.numbered_sgpr, 23
	.set _ZN9rocsolver6v33100L18getri_kernel_smallILi16EdPdEEvT1_iilPiilS4_bb.num_named_barrier, 0
	.set _ZN9rocsolver6v33100L18getri_kernel_smallILi16EdPdEEvT1_iilPiilS4_bb.private_seg_size, 0
	.set _ZN9rocsolver6v33100L18getri_kernel_smallILi16EdPdEEvT1_iilPiilS4_bb.uses_vcc, 1
	.set _ZN9rocsolver6v33100L18getri_kernel_smallILi16EdPdEEvT1_iilPiilS4_bb.uses_flat_scratch, 0
	.set _ZN9rocsolver6v33100L18getri_kernel_smallILi16EdPdEEvT1_iilPiilS4_bb.has_dyn_sized_stack, 0
	.set _ZN9rocsolver6v33100L18getri_kernel_smallILi16EdPdEEvT1_iilPiilS4_bb.has_recursion, 0
	.set _ZN9rocsolver6v33100L18getri_kernel_smallILi16EdPdEEvT1_iilPiilS4_bb.has_indirect_call, 0
	.section	.AMDGPU.csdata,"",@progbits
; Kernel info:
; codeLenInByte = 22212
; TotalNumSgprs: 25
; NumVgprs: 96
; ScratchSize: 0
; MemoryBound: 0
; FloatMode: 240
; IeeeMode: 1
; LDSByteSize: 264 bytes/workgroup (compile time only)
; SGPRBlocks: 0
; VGPRBlocks: 11
; NumSGPRsForWavesPerEU: 25
; NumVGPRsForWavesPerEU: 96
; Occupancy: 10
; WaveLimiterHint : 0
; COMPUTE_PGM_RSRC2:SCRATCH_EN: 0
; COMPUTE_PGM_RSRC2:USER_SGPR: 6
; COMPUTE_PGM_RSRC2:TRAP_HANDLER: 0
; COMPUTE_PGM_RSRC2:TGID_X_EN: 1
; COMPUTE_PGM_RSRC2:TGID_Y_EN: 0
; COMPUTE_PGM_RSRC2:TGID_Z_EN: 0
; COMPUTE_PGM_RSRC2:TIDIG_COMP_CNT: 0
	.section	.text._ZN9rocsolver6v33100L18getri_kernel_smallILi17EdPdEEvT1_iilPiilS4_bb,"axG",@progbits,_ZN9rocsolver6v33100L18getri_kernel_smallILi17EdPdEEvT1_iilPiilS4_bb,comdat
	.globl	_ZN9rocsolver6v33100L18getri_kernel_smallILi17EdPdEEvT1_iilPiilS4_bb ; -- Begin function _ZN9rocsolver6v33100L18getri_kernel_smallILi17EdPdEEvT1_iilPiilS4_bb
	.p2align	8
	.type	_ZN9rocsolver6v33100L18getri_kernel_smallILi17EdPdEEvT1_iilPiilS4_bb,@function
_ZN9rocsolver6v33100L18getri_kernel_smallILi17EdPdEEvT1_iilPiilS4_bb: ; @_ZN9rocsolver6v33100L18getri_kernel_smallILi17EdPdEEvT1_iilPiilS4_bb
; %bb.0:
	s_add_u32 s0, s0, s7
	s_addc_u32 s1, s1, 0
	s_mov_b32 s7, exec_lo
	v_cmpx_gt_u32_e32 17, v0
	s_cbranch_execz .LBB16_78
; %bb.1:
	s_clause 0x2
	s_load_dword s7, s[4:5], 0x38
	s_load_dwordx4 s[16:19], s[4:5], 0x10
	s_load_dwordx4 s[8:11], s[4:5], 0x28
                                        ; implicit-def: $sgpr20_sgpr21
	s_waitcnt lgkmcnt(0)
	s_bitcmp1_b32 s7, 8
	s_cselect_b32 s22, -1, 0
	s_bfe_u32 s12, s7, 0x10008
	s_ashr_i32 s7, s6, 31
	s_cmp_eq_u32 s12, 0
	s_cbranch_scc1 .LBB16_3
; %bb.2:
	s_load_dword s12, s[4:5], 0x20
	s_mul_i32 s13, s8, s7
	s_mul_hi_u32 s14, s8, s6
	s_mul_i32 s9, s9, s6
	s_add_i32 s13, s14, s13
	s_mul_i32 s8, s8, s6
	s_add_i32 s9, s13, s9
	s_lshl_b64 s[8:9], s[8:9], 2
	s_waitcnt lgkmcnt(0)
	s_ashr_i32 s13, s12, 31
	s_add_u32 s14, s18, s8
	s_addc_u32 s15, s19, s9
	s_lshl_b64 s[8:9], s[12:13], 2
	s_add_u32 s20, s14, s8
	s_addc_u32 s21, s15, s9
.LBB16_3:
	s_clause 0x1
	s_load_dwordx4 s[12:15], s[4:5], 0x0
	s_load_dword s8, s[4:5], 0x38
	s_mul_i32 s4, s16, s7
	s_mul_hi_u32 s5, s16, s6
	s_mul_i32 s9, s17, s6
	s_add_i32 s5, s5, s4
	s_mul_i32 s4, s16, s6
	s_add_i32 s5, s5, s9
	v_lshlrev_b32_e32 v37, 3, v0
	s_lshl_b64 s[4:5], s[4:5], 3
	s_waitcnt lgkmcnt(0)
	v_add3_u32 v3, s15, s15, v0
	s_ashr_i32 s17, s14, 31
	s_mov_b32 s16, s14
	s_add_u32 s9, s12, s4
	s_addc_u32 s13, s13, s5
	v_add_nc_u32_e32 v5, s15, v3
	s_lshl_b64 s[4:5], s[16:17], 3
	v_ashrrev_i32_e32 v4, 31, v3
	s_add_u32 s4, s9, s4
	s_addc_u32 s5, s13, s5
	v_ashrrev_i32_e32 v6, 31, v5
	v_add_nc_u32_e32 v9, s15, v5
	v_add_co_u32 v1, s9, s4, v37
	s_mov_b32 s12, s15
	s_ashr_i32 s13, s15, 31
	v_lshlrev_b64 v[7:8], 3, v[3:4]
	v_add_co_ci_u32_e64 v2, null, s5, 0, s9
	s_lshl_b64 s[12:13], s[12:13], 3
	v_ashrrev_i32_e32 v10, 31, v9
	v_lshlrev_b64 v[11:12], 3, v[5:6]
	v_add_nc_u32_e32 v15, s15, v9
	v_add_co_u32 v3, vcc_lo, v1, s12
	v_add_co_ci_u32_e64 v4, null, s13, v2, vcc_lo
	v_add_co_u32 v5, vcc_lo, s4, v7
	v_lshlrev_b64 v[13:14], 3, v[9:10]
	v_add_co_ci_u32_e64 v6, null, s5, v8, vcc_lo
	v_add_co_u32 v7, vcc_lo, s4, v11
	v_add_nc_u32_e32 v11, s15, v15
	v_add_co_ci_u32_e64 v8, null, s5, v12, vcc_lo
	v_ashrrev_i32_e32 v16, 31, v15
	v_add_co_u32 v9, vcc_lo, s4, v13
	v_add_nc_u32_e32 v13, s15, v11
	v_ashrrev_i32_e32 v12, 31, v11
	v_lshlrev_b64 v[15:16], 3, v[15:16]
	v_add_co_ci_u32_e64 v10, null, s5, v14, vcc_lo
	v_add_nc_u32_e32 v19, s15, v13
	v_lshlrev_b64 v[17:18], 3, v[11:12]
	v_ashrrev_i32_e32 v14, 31, v13
	v_add_co_u32 v11, vcc_lo, s4, v15
	v_ashrrev_i32_e32 v20, 31, v19
	v_add_nc_u32_e32 v21, s15, v19
	v_add_co_ci_u32_e64 v12, null, s5, v16, vcc_lo
	v_lshlrev_b64 v[15:16], 3, v[13:14]
	v_add_co_u32 v13, vcc_lo, s4, v17
	v_add_co_ci_u32_e64 v14, null, s5, v18, vcc_lo
	v_lshlrev_b64 v[17:18], 3, v[19:20]
	v_add_nc_u32_e32 v19, s15, v21
	v_ashrrev_i32_e32 v22, 31, v21
	v_add_co_u32 v15, vcc_lo, s4, v15
	v_add_co_ci_u32_e64 v16, null, s5, v16, vcc_lo
	v_add_nc_u32_e32 v23, s15, v19
	v_ashrrev_i32_e32 v20, 31, v19
	v_lshlrev_b64 v[21:22], 3, v[21:22]
	v_add_co_u32 v17, vcc_lo, s4, v17
	v_add_nc_u32_e32 v27, s15, v23
	v_lshlrev_b64 v[25:26], 3, v[19:20]
	v_add_co_ci_u32_e64 v18, null, s5, v18, vcc_lo
	v_add_co_u32 v19, vcc_lo, s4, v21
	v_ashrrev_i32_e32 v28, 31, v27
	v_add_nc_u32_e32 v29, s15, v27
	v_add_co_ci_u32_e64 v20, null, s5, v22, vcc_lo
	v_add_co_u32 v21, vcc_lo, s4, v25
	v_add_co_ci_u32_e64 v22, null, s5, v26, vcc_lo
	v_lshlrev_b64 v[25:26], 3, v[27:28]
	v_add_nc_u32_e32 v27, s15, v29
	v_ashrrev_i32_e32 v24, 31, v23
	v_ashrrev_i32_e32 v30, 31, v29
	s_clause 0x4
	global_load_dwordx2 v[35:36], v37, s[4:5]
	global_load_dwordx2 v[38:39], v[3:4], off
	global_load_dwordx2 v[40:41], v[5:6], off
	;; [unrolled: 1-line block ×4, first 2 shown]
	v_add_nc_u32_e32 v31, s15, v27
	v_lshlrev_b64 v[23:24], 3, v[23:24]
	v_ashrrev_i32_e32 v28, 31, v27
	v_lshlrev_b64 v[29:30], 3, v[29:30]
	s_clause 0x3
	global_load_dwordx2 v[46:47], v[11:12], off
	global_load_dwordx2 v[48:49], v[13:14], off
	;; [unrolled: 1-line block ×4, first 2 shown]
	v_add_nc_u32_e32 v54, s15, v31
	v_ashrrev_i32_e32 v32, 31, v31
	v_add_co_u32 v23, vcc_lo, s4, v23
	v_lshlrev_b64 v[33:34], 3, v[27:28]
	v_add_co_ci_u32_e64 v24, null, s5, v24, vcc_lo
	v_add_co_u32 v25, vcc_lo, s4, v25
	v_ashrrev_i32_e32 v55, 31, v54
	v_add_co_ci_u32_e64 v26, null, s5, v26, vcc_lo
	v_add_co_u32 v27, vcc_lo, s4, v29
	v_add_co_ci_u32_e64 v28, null, s5, v30, vcc_lo
	v_lshlrev_b64 v[31:32], 3, v[31:32]
	v_add_co_u32 v29, vcc_lo, s4, v33
	v_add_co_ci_u32_e64 v30, null, s5, v34, vcc_lo
	v_lshlrev_b64 v[33:34], 3, v[54:55]
	v_add_co_u32 v31, vcc_lo, s4, v31
	v_add_co_ci_u32_e64 v32, null, s5, v32, vcc_lo
	global_load_dwordx2 v[54:55], v[19:20], off
	v_add_co_u32 v33, vcc_lo, s4, v33
	v_add_co_ci_u32_e64 v34, null, s5, v34, vcc_lo
	s_clause 0x6
	global_load_dwordx2 v[56:57], v[21:22], off
	global_load_dwordx2 v[58:59], v[23:24], off
	global_load_dwordx2 v[60:61], v[25:26], off
	global_load_dwordx2 v[62:63], v[27:28], off
	global_load_dwordx2 v[64:65], v[29:30], off
	global_load_dwordx2 v[66:67], v[31:32], off
	global_load_dwordx2 v[68:69], v[33:34], off
	s_mov_b32 s5, -1
	s_bitcmp0_b32 s8, 0
	s_waitcnt vmcnt(16)
	buffer_store_dword v36, off, s[0:3], 0 offset:4
	buffer_store_dword v35, off, s[0:3], 0
	s_waitcnt vmcnt(15)
	buffer_store_dword v39, off, s[0:3], 0 offset:12
	buffer_store_dword v38, off, s[0:3], 0 offset:8
	s_waitcnt vmcnt(14)
	buffer_store_dword v41, off, s[0:3], 0 offset:20
	buffer_store_dword v40, off, s[0:3], 0 offset:16
	;; [unrolled: 3-line block ×16, first 2 shown]
	s_cbranch_scc1 .LBB16_76
; %bb.4:
	v_cmp_eq_u32_e64 s4, 0, v0
	s_and_saveexec_b32 s5, s4
; %bb.5:
	v_mov_b32_e32 v35, 0
	ds_write_b32 v35, v35 offset:136
; %bb.6:
	s_or_b32 exec_lo, exec_lo, s5
	v_lshl_add_u32 v35, v0, 3, 0
	s_waitcnt lgkmcnt(0)
	s_waitcnt_vscnt null, 0x0
	s_barrier
	buffer_gl0_inv
	s_mov_b32 s8, exec_lo
	s_clause 0x1
	buffer_load_dword v38, v35, s[0:3], 0 offen
	buffer_load_dword v39, v35, s[0:3], 0 offen offset:4
	s_waitcnt vmcnt(0)
	v_cmpx_eq_f64_e32 0, v[38:39]
	s_cbranch_execz .LBB16_10
; %bb.7:
	v_mov_b32_e32 v36, 0
	s_mov_b32 s9, 0
	ds_read_b32 v38, v36 offset:136
	s_waitcnt lgkmcnt(0)
	v_readfirstlane_b32 s5, v38
	v_add_nc_u32_e32 v38, 1, v0
	s_cmp_eq_u32 s5, 0
	v_cmp_gt_i32_e32 vcc_lo, s5, v38
	s_cselect_b32 s12, -1, 0
	s_or_b32 s12, s12, vcc_lo
	s_and_b32 exec_lo, exec_lo, s12
	s_cbranch_execz .LBB16_10
; %bb.8:
	v_mov_b32_e32 v39, s5
.LBB16_9:                               ; =>This Inner Loop Header: Depth=1
	ds_cmpst_rtn_b32 v39, v36, v39, v38 offset:136
	s_waitcnt lgkmcnt(0)
	v_cmp_ne_u32_e32 vcc_lo, 0, v39
	v_cmp_le_i32_e64 s5, v39, v38
	s_and_b32 s5, vcc_lo, s5
	s_and_b32 s5, exec_lo, s5
	s_or_b32 s9, s5, s9
	s_andn2_b32 exec_lo, exec_lo, s9
	s_cbranch_execnz .LBB16_9
.LBB16_10:
	s_or_b32 exec_lo, exec_lo, s8
	v_mov_b32_e32 v36, 0
	s_barrier
	buffer_gl0_inv
	ds_read_b32 v38, v36 offset:136
	s_and_saveexec_b32 s5, s4
	s_cbranch_execz .LBB16_12
; %bb.11:
	s_lshl_b64 s[8:9], s[6:7], 2
	s_add_u32 s8, s10, s8
	s_addc_u32 s9, s11, s9
	s_waitcnt lgkmcnt(0)
	global_store_dword v36, v38, s[8:9]
.LBB16_12:
	s_or_b32 exec_lo, exec_lo, s5
	s_waitcnt lgkmcnt(0)
	v_cmp_ne_u32_e32 vcc_lo, 0, v38
	s_mov_b32 s5, 0
	s_cbranch_vccnz .LBB16_76
; %bb.13:
	s_clause 0x1
	buffer_load_dword v38, v35, s[0:3], 0 offen
	buffer_load_dword v39, v35, s[0:3], 0 offen offset:4
	s_waitcnt vmcnt(0)
	v_div_scale_f64 v[40:41], null, v[38:39], v[38:39], 1.0
	v_div_scale_f64 v[46:47], vcc_lo, 1.0, v[38:39], 1.0
	v_rcp_f64_e32 v[42:43], v[40:41]
	v_fma_f64 v[44:45], -v[40:41], v[42:43], 1.0
	v_fma_f64 v[42:43], v[42:43], v[44:45], v[42:43]
	v_fma_f64 v[44:45], -v[40:41], v[42:43], 1.0
	v_fma_f64 v[42:43], v[42:43], v[44:45], v[42:43]
	v_mul_f64 v[44:45], v[46:47], v[42:43]
	v_fma_f64 v[40:41], -v[40:41], v[44:45], v[46:47]
	v_div_fmas_f64 v[40:41], v[40:41], v[42:43], v[44:45]
	v_div_fixup_f64 v[39:40], v[40:41], v[38:39], 1.0
	v_add_nc_u32_e32 v38, 0x90, v37
	buffer_store_dword v40, v35, s[0:3], 0 offen offset:4
	buffer_store_dword v39, v35, s[0:3], 0 offen
	s_clause 0x1
	buffer_load_dword v42, off, s[0:3], 0 offset:12
	buffer_load_dword v41, off, s[0:3], 0 offset:8
	v_xor_b32_e32 v40, 0x80000000, v40
	s_waitcnt vmcnt(0)
	ds_write2_b64 v37, v[39:40], v[41:42] offset1:18
	s_waitcnt lgkmcnt(0)
	s_waitcnt_vscnt null, 0x0
	s_barrier
	buffer_gl0_inv
	s_and_saveexec_b32 s5, s4
	s_cbranch_execz .LBB16_15
; %bb.14:
	s_clause 0x1
	buffer_load_dword v39, v35, s[0:3], 0 offen
	buffer_load_dword v40, v35, s[0:3], 0 offen offset:4
	ds_read_b64 v[41:42], v38
	v_mov_b32_e32 v36, 0
	ds_read_b64 v[43:44], v36 offset:8
	s_waitcnt vmcnt(0) lgkmcnt(1)
	v_fma_f64 v[39:40], v[39:40], v[41:42], 0
	s_waitcnt lgkmcnt(0)
	v_mul_f64 v[39:40], v[39:40], v[43:44]
	buffer_store_dword v39, off, s[0:3], 0 offset:8
	buffer_store_dword v40, off, s[0:3], 0 offset:12
.LBB16_15:
	s_or_b32 exec_lo, exec_lo, s5
	s_waitcnt_vscnt null, 0x0
	s_barrier
	buffer_gl0_inv
	s_clause 0x1
	buffer_load_dword v39, off, s[0:3], 0 offset:16
	buffer_load_dword v40, off, s[0:3], 0 offset:20
	s_mov_b32 s5, exec_lo
	s_waitcnt vmcnt(0)
	ds_write_b64 v38, v[39:40]
	s_waitcnt lgkmcnt(0)
	s_barrier
	buffer_gl0_inv
	v_cmpx_gt_u32_e32 2, v0
	s_cbranch_execz .LBB16_19
; %bb.16:
	s_clause 0x1
	buffer_load_dword v39, v35, s[0:3], 0 offen
	buffer_load_dword v40, v35, s[0:3], 0 offen offset:4
	ds_read_b64 v[35:36], v38
	s_waitcnt vmcnt(0) lgkmcnt(0)
	v_fma_f64 v[35:36], v[39:40], v[35:36], 0
	s_and_saveexec_b32 s8, s4
	s_cbranch_execz .LBB16_18
; %bb.17:
	s_clause 0x1
	buffer_load_dword v39, off, s[0:3], 0 offset:8
	buffer_load_dword v40, off, s[0:3], 0 offset:12
	v_mov_b32_e32 v41, 0
	ds_read_b64 v[41:42], v41 offset:152
	s_waitcnt vmcnt(0) lgkmcnt(0)
	v_fma_f64 v[35:36], v[39:40], v[41:42], v[35:36]
.LBB16_18:
	s_or_b32 exec_lo, exec_lo, s8
	v_mov_b32_e32 v39, 0
	ds_read_b64 v[39:40], v39 offset:16
	s_waitcnt lgkmcnt(0)
	v_mul_f64 v[35:36], v[35:36], v[39:40]
	buffer_store_dword v36, off, s[0:3], 0 offset:20
	buffer_store_dword v35, off, s[0:3], 0 offset:16
.LBB16_19:
	s_or_b32 exec_lo, exec_lo, s5
	s_waitcnt_vscnt null, 0x0
	s_barrier
	buffer_gl0_inv
	s_clause 0x1
	buffer_load_dword v35, off, s[0:3], 0 offset:24
	buffer_load_dword v36, off, s[0:3], 0 offset:28
	v_add_nc_u32_e32 v39, -1, v0
	s_mov_b32 s4, exec_lo
	s_waitcnt vmcnt(0)
	ds_write_b64 v38, v[35:36]
	s_waitcnt lgkmcnt(0)
	s_barrier
	buffer_gl0_inv
	v_cmpx_gt_u32_e32 3, v0
	s_cbranch_execz .LBB16_23
; %bb.20:
	v_mov_b32_e32 v35, 0
	v_add_nc_u32_e32 v40, -1, v0
	v_add_nc_u32_e32 v41, 0x90, v37
	v_mov_b32_e32 v36, 0
	v_mov_b32_e32 v42, v37
	s_mov_b32 s5, 0
.LBB16_21:                              ; =>This Inner Loop Header: Depth=1
	s_clause 0x1
	buffer_load_dword v43, v42, s[0:3], 0 offen
	buffer_load_dword v44, v42, s[0:3], 0 offen offset:4
	ds_read_b64 v[45:46], v41
	v_add_nc_u32_e32 v40, 1, v40
	v_add_nc_u32_e32 v41, 8, v41
	v_add_nc_u32_e32 v42, 8, v42
	v_cmp_lt_u32_e32 vcc_lo, 1, v40
	s_or_b32 s5, vcc_lo, s5
	s_waitcnt vmcnt(0) lgkmcnt(0)
	v_fma_f64 v[35:36], v[43:44], v[45:46], v[35:36]
	s_andn2_b32 exec_lo, exec_lo, s5
	s_cbranch_execnz .LBB16_21
; %bb.22:
	s_or_b32 exec_lo, exec_lo, s5
	v_mov_b32_e32 v40, 0
	ds_read_b64 v[40:41], v40 offset:24
	s_waitcnt lgkmcnt(0)
	v_mul_f64 v[35:36], v[35:36], v[40:41]
	buffer_store_dword v36, off, s[0:3], 0 offset:28
	buffer_store_dword v35, off, s[0:3], 0 offset:24
.LBB16_23:
	s_or_b32 exec_lo, exec_lo, s4
	s_waitcnt_vscnt null, 0x0
	s_barrier
	buffer_gl0_inv
	s_clause 0x1
	buffer_load_dword v35, off, s[0:3], 0 offset:32
	buffer_load_dword v36, off, s[0:3], 0 offset:36
	s_mov_b32 s4, exec_lo
	s_waitcnt vmcnt(0)
	ds_write_b64 v38, v[35:36]
	s_waitcnt lgkmcnt(0)
	s_barrier
	buffer_gl0_inv
	v_cmpx_gt_u32_e32 4, v0
	s_cbranch_execz .LBB16_27
; %bb.24:
	v_mov_b32_e32 v35, 0
	v_add_nc_u32_e32 v40, -1, v0
	v_add_nc_u32_e32 v41, 0x90, v37
	v_mov_b32_e32 v36, 0
	v_mov_b32_e32 v42, v37
	s_mov_b32 s5, 0
.LBB16_25:                              ; =>This Inner Loop Header: Depth=1
	s_clause 0x1
	buffer_load_dword v43, v42, s[0:3], 0 offen
	buffer_load_dword v44, v42, s[0:3], 0 offen offset:4
	ds_read_b64 v[45:46], v41
	v_add_nc_u32_e32 v40, 1, v40
	v_add_nc_u32_e32 v41, 8, v41
	v_add_nc_u32_e32 v42, 8, v42
	v_cmp_lt_u32_e32 vcc_lo, 2, v40
	s_or_b32 s5, vcc_lo, s5
	s_waitcnt vmcnt(0) lgkmcnt(0)
	v_fma_f64 v[35:36], v[43:44], v[45:46], v[35:36]
	s_andn2_b32 exec_lo, exec_lo, s5
	s_cbranch_execnz .LBB16_25
; %bb.26:
	s_or_b32 exec_lo, exec_lo, s5
	v_mov_b32_e32 v40, 0
	ds_read_b64 v[40:41], v40 offset:32
	s_waitcnt lgkmcnt(0)
	v_mul_f64 v[35:36], v[35:36], v[40:41]
	buffer_store_dword v36, off, s[0:3], 0 offset:36
	buffer_store_dword v35, off, s[0:3], 0 offset:32
.LBB16_27:
	s_or_b32 exec_lo, exec_lo, s4
	s_waitcnt_vscnt null, 0x0
	s_barrier
	buffer_gl0_inv
	s_clause 0x1
	buffer_load_dword v35, off, s[0:3], 0 offset:40
	buffer_load_dword v36, off, s[0:3], 0 offset:44
	;; [unrolled: 45-line block ×13, first 2 shown]
	s_mov_b32 s4, exec_lo
	s_waitcnt vmcnt(0)
	ds_write_b64 v38, v[35:36]
	s_waitcnt lgkmcnt(0)
	s_barrier
	buffer_gl0_inv
	v_cmpx_ne_u32_e32 16, v0
	s_cbranch_execz .LBB16_75
; %bb.72:
	v_mov_b32_e32 v35, 0
	v_mov_b32_e32 v36, 0
	s_mov_b32 s5, 0
.LBB16_73:                              ; =>This Inner Loop Header: Depth=1
	s_clause 0x1
	buffer_load_dword v40, v37, s[0:3], 0 offen
	buffer_load_dword v41, v37, s[0:3], 0 offen offset:4
	ds_read_b64 v[42:43], v38
	v_add_nc_u32_e32 v39, 1, v39
	v_add_nc_u32_e32 v38, 8, v38
	;; [unrolled: 1-line block ×3, first 2 shown]
	v_cmp_lt_u32_e32 vcc_lo, 14, v39
	s_or_b32 s5, vcc_lo, s5
	s_waitcnt vmcnt(0) lgkmcnt(0)
	v_fma_f64 v[35:36], v[40:41], v[42:43], v[35:36]
	s_andn2_b32 exec_lo, exec_lo, s5
	s_cbranch_execnz .LBB16_73
; %bb.74:
	s_or_b32 exec_lo, exec_lo, s5
	v_mov_b32_e32 v37, 0
	ds_read_b64 v[37:38], v37 offset:128
	s_waitcnt lgkmcnt(0)
	v_mul_f64 v[35:36], v[35:36], v[37:38]
	buffer_store_dword v36, off, s[0:3], 0 offset:132
	buffer_store_dword v35, off, s[0:3], 0 offset:128
.LBB16_75:
	s_or_b32 exec_lo, exec_lo, s4
	s_mov_b32 s5, -1
	s_waitcnt_vscnt null, 0x0
	s_barrier
	buffer_gl0_inv
.LBB16_76:
	s_and_b32 vcc_lo, exec_lo, s5
	s_cbranch_vccz .LBB16_78
; %bb.77:
	s_lshl_b64 s[4:5], s[6:7], 2
	v_mov_b32_e32 v35, 0
	s_add_u32 s4, s10, s4
	s_addc_u32 s5, s11, s5
	global_load_dword v35, v35, s[4:5]
	s_waitcnt vmcnt(0)
	v_cmp_ne_u32_e32 vcc_lo, 0, v35
	s_cbranch_vccz .LBB16_79
.LBB16_78:
	s_endpgm
.LBB16_79:
	v_lshl_add_u32 v35, v0, 3, 0x90
	s_mov_b32 s4, exec_lo
	v_cmpx_eq_u32_e32 16, v0
	s_cbranch_execz .LBB16_81
; %bb.80:
	s_clause 0x1
	buffer_load_dword v36, off, s[0:3], 0 offset:120
	buffer_load_dword v37, off, s[0:3], 0 offset:124
	v_mov_b32_e32 v38, 0
	buffer_store_dword v38, off, s[0:3], 0 offset:120
	buffer_store_dword v38, off, s[0:3], 0 offset:124
	s_waitcnt vmcnt(0)
	ds_write_b64 v35, v[36:37]
.LBB16_81:
	s_or_b32 exec_lo, exec_lo, s4
	s_waitcnt lgkmcnt(0)
	s_waitcnt_vscnt null, 0x0
	s_barrier
	buffer_gl0_inv
	s_clause 0x3
	buffer_load_dword v37, off, s[0:3], 0 offset:128
	buffer_load_dword v38, off, s[0:3], 0 offset:132
	;; [unrolled: 1-line block ×4, first 2 shown]
	v_mov_b32_e32 v36, 0
	s_mov_b32 s4, exec_lo
	ds_read_b64 v[41:42], v36 offset:272
	s_waitcnt vmcnt(2) lgkmcnt(0)
	v_fma_f64 v[37:38], v[37:38], v[41:42], 0
	s_waitcnt vmcnt(0)
	v_add_f64 v[37:38], v[39:40], -v[37:38]
	buffer_store_dword v37, off, s[0:3], 0 offset:120
	buffer_store_dword v38, off, s[0:3], 0 offset:124
	v_cmpx_lt_u32_e32 14, v0
	s_cbranch_execz .LBB16_83
; %bb.82:
	s_clause 0x1
	buffer_load_dword v37, off, s[0:3], 0 offset:112
	buffer_load_dword v38, off, s[0:3], 0 offset:116
	buffer_store_dword v36, off, s[0:3], 0 offset:112
	buffer_store_dword v36, off, s[0:3], 0 offset:116
	s_waitcnt vmcnt(0)
	ds_write_b64 v35, v[37:38]
.LBB16_83:
	s_or_b32 exec_lo, exec_lo, s4
	s_waitcnt lgkmcnt(0)
	s_waitcnt_vscnt null, 0x0
	s_barrier
	buffer_gl0_inv
	s_clause 0x5
	buffer_load_dword v40, off, s[0:3], 0 offset:120
	buffer_load_dword v41, off, s[0:3], 0 offset:124
	;; [unrolled: 1-line block ×6, first 2 shown]
	ds_read2_b64 v[36:39], v36 offset0:33 offset1:34
	s_mov_b32 s4, exec_lo
	s_waitcnt vmcnt(4) lgkmcnt(0)
	v_fma_f64 v[36:37], v[40:41], v[36:37], 0
	s_waitcnt vmcnt(2)
	v_fma_f64 v[36:37], v[42:43], v[38:39], v[36:37]
	s_waitcnt vmcnt(0)
	v_add_f64 v[36:37], v[44:45], -v[36:37]
	buffer_store_dword v36, off, s[0:3], 0 offset:112
	buffer_store_dword v37, off, s[0:3], 0 offset:116
	v_cmpx_lt_u32_e32 13, v0
	s_cbranch_execz .LBB16_85
; %bb.84:
	s_clause 0x1
	buffer_load_dword v36, off, s[0:3], 0 offset:104
	buffer_load_dword v37, off, s[0:3], 0 offset:108
	v_mov_b32_e32 v38, 0
	buffer_store_dword v38, off, s[0:3], 0 offset:104
	buffer_store_dword v38, off, s[0:3], 0 offset:108
	s_waitcnt vmcnt(0)
	ds_write_b64 v35, v[36:37]
.LBB16_85:
	s_or_b32 exec_lo, exec_lo, s4
	s_waitcnt lgkmcnt(0)
	s_waitcnt_vscnt null, 0x0
	s_barrier
	buffer_gl0_inv
	s_clause 0x7
	buffer_load_dword v41, off, s[0:3], 0 offset:112
	buffer_load_dword v42, off, s[0:3], 0 offset:116
	;; [unrolled: 1-line block ×8, first 2 shown]
	v_mov_b32_e32 v36, 0
	ds_read_b128 v[37:40], v36 offset:256
	ds_read_b64 v[49:50], v36 offset:272
	s_mov_b32 s4, exec_lo
	s_waitcnt vmcnt(6) lgkmcnt(1)
	v_fma_f64 v[37:38], v[41:42], v[37:38], 0
	s_waitcnt vmcnt(4)
	v_fma_f64 v[37:38], v[43:44], v[39:40], v[37:38]
	s_waitcnt vmcnt(2) lgkmcnt(0)
	v_fma_f64 v[37:38], v[45:46], v[49:50], v[37:38]
	s_waitcnt vmcnt(0)
	v_add_f64 v[37:38], v[47:48], -v[37:38]
	buffer_store_dword v37, off, s[0:3], 0 offset:104
	buffer_store_dword v38, off, s[0:3], 0 offset:108
	v_cmpx_lt_u32_e32 12, v0
	s_cbranch_execz .LBB16_87
; %bb.86:
	s_clause 0x1
	buffer_load_dword v37, off, s[0:3], 0 offset:96
	buffer_load_dword v38, off, s[0:3], 0 offset:100
	buffer_store_dword v36, off, s[0:3], 0 offset:96
	buffer_store_dword v36, off, s[0:3], 0 offset:100
	s_waitcnt vmcnt(0)
	ds_write_b64 v35, v[37:38]
.LBB16_87:
	s_or_b32 exec_lo, exec_lo, s4
	s_waitcnt lgkmcnt(0)
	s_waitcnt_vscnt null, 0x0
	s_barrier
	buffer_gl0_inv
	s_clause 0x9
	buffer_load_dword v45, off, s[0:3], 0 offset:104
	buffer_load_dword v46, off, s[0:3], 0 offset:108
	buffer_load_dword v47, off, s[0:3], 0 offset:112
	buffer_load_dword v48, off, s[0:3], 0 offset:116
	buffer_load_dword v49, off, s[0:3], 0 offset:120
	buffer_load_dword v50, off, s[0:3], 0 offset:124
	buffer_load_dword v51, off, s[0:3], 0 offset:128
	buffer_load_dword v52, off, s[0:3], 0 offset:132
	buffer_load_dword v53, off, s[0:3], 0 offset:96
	buffer_load_dword v54, off, s[0:3], 0 offset:100
	ds_read2_b64 v[37:40], v36 offset0:31 offset1:32
	ds_read2_b64 v[41:44], v36 offset0:33 offset1:34
	s_mov_b32 s4, exec_lo
	s_waitcnt vmcnt(8) lgkmcnt(1)
	v_fma_f64 v[36:37], v[45:46], v[37:38], 0
	s_waitcnt vmcnt(6)
	v_fma_f64 v[36:37], v[47:48], v[39:40], v[36:37]
	s_waitcnt vmcnt(4) lgkmcnt(0)
	v_fma_f64 v[36:37], v[49:50], v[41:42], v[36:37]
	s_waitcnt vmcnt(2)
	v_fma_f64 v[36:37], v[51:52], v[43:44], v[36:37]
	s_waitcnt vmcnt(0)
	v_add_f64 v[36:37], v[53:54], -v[36:37]
	buffer_store_dword v36, off, s[0:3], 0 offset:96
	buffer_store_dword v37, off, s[0:3], 0 offset:100
	v_cmpx_lt_u32_e32 11, v0
	s_cbranch_execz .LBB16_89
; %bb.88:
	s_clause 0x1
	buffer_load_dword v36, off, s[0:3], 0 offset:88
	buffer_load_dword v37, off, s[0:3], 0 offset:92
	v_mov_b32_e32 v38, 0
	buffer_store_dword v38, off, s[0:3], 0 offset:88
	buffer_store_dword v38, off, s[0:3], 0 offset:92
	s_waitcnt vmcnt(0)
	ds_write_b64 v35, v[36:37]
.LBB16_89:
	s_or_b32 exec_lo, exec_lo, s4
	s_waitcnt lgkmcnt(0)
	s_waitcnt_vscnt null, 0x0
	s_barrier
	buffer_gl0_inv
	s_clause 0xb
	buffer_load_dword v45, off, s[0:3], 0 offset:96
	buffer_load_dword v46, off, s[0:3], 0 offset:100
	;; [unrolled: 1-line block ×12, first 2 shown]
	v_mov_b32_e32 v36, 0
	ds_read_b128 v[37:40], v36 offset:240
	ds_read_b128 v[41:44], v36 offset:256
	s_mov_b32 s4, exec_lo
	s_waitcnt vmcnt(10) lgkmcnt(1)
	v_fma_f64 v[37:38], v[45:46], v[37:38], 0
	s_waitcnt vmcnt(8)
	v_fma_f64 v[37:38], v[47:48], v[39:40], v[37:38]
	ds_read_b64 v[39:40], v36 offset:272
	s_waitcnt vmcnt(6) lgkmcnt(1)
	v_fma_f64 v[37:38], v[49:50], v[41:42], v[37:38]
	s_waitcnt vmcnt(4)
	v_fma_f64 v[37:38], v[51:52], v[43:44], v[37:38]
	s_waitcnt vmcnt(2) lgkmcnt(0)
	v_fma_f64 v[37:38], v[53:54], v[39:40], v[37:38]
	s_waitcnt vmcnt(0)
	v_add_f64 v[37:38], v[55:56], -v[37:38]
	buffer_store_dword v37, off, s[0:3], 0 offset:88
	buffer_store_dword v38, off, s[0:3], 0 offset:92
	v_cmpx_lt_u32_e32 10, v0
	s_cbranch_execz .LBB16_91
; %bb.90:
	s_clause 0x1
	buffer_load_dword v37, off, s[0:3], 0 offset:80
	buffer_load_dword v38, off, s[0:3], 0 offset:84
	buffer_store_dword v36, off, s[0:3], 0 offset:80
	buffer_store_dword v36, off, s[0:3], 0 offset:84
	s_waitcnt vmcnt(0)
	ds_write_b64 v35, v[37:38]
.LBB16_91:
	s_or_b32 exec_lo, exec_lo, s4
	s_waitcnt lgkmcnt(0)
	s_waitcnt_vscnt null, 0x0
	s_barrier
	buffer_gl0_inv
	s_clause 0xd
	buffer_load_dword v45, off, s[0:3], 0 offset:88
	buffer_load_dword v46, off, s[0:3], 0 offset:92
	;; [unrolled: 1-line block ×14, first 2 shown]
	ds_read2_b64 v[37:40], v36 offset0:29 offset1:30
	ds_read2_b64 v[41:44], v36 offset0:31 offset1:32
	s_mov_b32 s4, exec_lo
	s_waitcnt vmcnt(12) lgkmcnt(1)
	v_fma_f64 v[37:38], v[45:46], v[37:38], 0
	s_waitcnt vmcnt(10)
	v_fma_f64 v[37:38], v[47:48], v[39:40], v[37:38]
	s_waitcnt vmcnt(8) lgkmcnt(0)
	v_fma_f64 v[37:38], v[49:50], v[41:42], v[37:38]
	s_waitcnt vmcnt(6)
	v_fma_f64 v[40:41], v[51:52], v[43:44], v[37:38]
	ds_read2_b64 v[36:39], v36 offset0:33 offset1:34
	s_waitcnt vmcnt(4) lgkmcnt(0)
	v_fma_f64 v[36:37], v[53:54], v[36:37], v[40:41]
	s_waitcnt vmcnt(2)
	v_fma_f64 v[36:37], v[55:56], v[38:39], v[36:37]
	s_waitcnt vmcnt(0)
	v_add_f64 v[36:37], v[57:58], -v[36:37]
	buffer_store_dword v36, off, s[0:3], 0 offset:80
	buffer_store_dword v37, off, s[0:3], 0 offset:84
	v_cmpx_lt_u32_e32 9, v0
	s_cbranch_execz .LBB16_93
; %bb.92:
	s_clause 0x1
	buffer_load_dword v36, off, s[0:3], 0 offset:72
	buffer_load_dword v37, off, s[0:3], 0 offset:76
	v_mov_b32_e32 v38, 0
	buffer_store_dword v38, off, s[0:3], 0 offset:72
	buffer_store_dword v38, off, s[0:3], 0 offset:76
	s_waitcnt vmcnt(0)
	ds_write_b64 v35, v[36:37]
.LBB16_93:
	s_or_b32 exec_lo, exec_lo, s4
	s_waitcnt lgkmcnt(0)
	s_waitcnt_vscnt null, 0x0
	s_barrier
	buffer_gl0_inv
	s_clause 0xf
	buffer_load_dword v45, off, s[0:3], 0 offset:80
	buffer_load_dword v46, off, s[0:3], 0 offset:84
	buffer_load_dword v47, off, s[0:3], 0 offset:88
	buffer_load_dword v48, off, s[0:3], 0 offset:92
	buffer_load_dword v49, off, s[0:3], 0 offset:96
	buffer_load_dword v50, off, s[0:3], 0 offset:100
	buffer_load_dword v51, off, s[0:3], 0 offset:104
	buffer_load_dword v52, off, s[0:3], 0 offset:108
	buffer_load_dword v53, off, s[0:3], 0 offset:112
	buffer_load_dword v54, off, s[0:3], 0 offset:116
	buffer_load_dword v55, off, s[0:3], 0 offset:120
	buffer_load_dword v56, off, s[0:3], 0 offset:124
	buffer_load_dword v57, off, s[0:3], 0 offset:128
	buffer_load_dword v58, off, s[0:3], 0 offset:132
	buffer_load_dword v59, off, s[0:3], 0 offset:72
	buffer_load_dword v60, off, s[0:3], 0 offset:76
	v_mov_b32_e32 v36, 0
	ds_read_b128 v[37:40], v36 offset:224
	ds_read_b128 v[41:44], v36 offset:240
	s_mov_b32 s4, exec_lo
	s_waitcnt vmcnt(14) lgkmcnt(1)
	v_fma_f64 v[37:38], v[45:46], v[37:38], 0
	s_waitcnt vmcnt(12)
	v_fma_f64 v[37:38], v[47:48], v[39:40], v[37:38]
	s_waitcnt vmcnt(10) lgkmcnt(0)
	v_fma_f64 v[37:38], v[49:50], v[41:42], v[37:38]
	s_waitcnt vmcnt(8)
	v_fma_f64 v[41:42], v[51:52], v[43:44], v[37:38]
	ds_read_b128 v[37:40], v36 offset:256
	ds_read_b64 v[43:44], v36 offset:272
	s_waitcnt vmcnt(6) lgkmcnt(1)
	v_fma_f64 v[37:38], v[53:54], v[37:38], v[41:42]
	s_waitcnt vmcnt(4)
	v_fma_f64 v[37:38], v[55:56], v[39:40], v[37:38]
	s_waitcnt vmcnt(2) lgkmcnt(0)
	v_fma_f64 v[37:38], v[57:58], v[43:44], v[37:38]
	s_waitcnt vmcnt(0)
	v_add_f64 v[37:38], v[59:60], -v[37:38]
	buffer_store_dword v37, off, s[0:3], 0 offset:72
	buffer_store_dword v38, off, s[0:3], 0 offset:76
	v_cmpx_lt_u32_e32 8, v0
	s_cbranch_execz .LBB16_95
; %bb.94:
	s_clause 0x1
	buffer_load_dword v37, off, s[0:3], 0 offset:64
	buffer_load_dword v38, off, s[0:3], 0 offset:68
	buffer_store_dword v36, off, s[0:3], 0 offset:64
	buffer_store_dword v36, off, s[0:3], 0 offset:68
	s_waitcnt vmcnt(0)
	ds_write_b64 v35, v[37:38]
.LBB16_95:
	s_or_b32 exec_lo, exec_lo, s4
	s_waitcnt lgkmcnt(0)
	s_waitcnt_vscnt null, 0x0
	s_barrier
	buffer_gl0_inv
	s_clause 0x11
	buffer_load_dword v41, off, s[0:3], 0 offset:72
	buffer_load_dword v42, off, s[0:3], 0 offset:76
	;; [unrolled: 1-line block ×18, first 2 shown]
	ds_read2_b64 v[37:40], v36 offset0:27 offset1:28
	s_mov_b32 s4, exec_lo
	s_waitcnt vmcnt(16) lgkmcnt(0)
	v_fma_f64 v[37:38], v[41:42], v[37:38], 0
	s_waitcnt vmcnt(14)
	v_fma_f64 v[41:42], v[43:44], v[39:40], v[37:38]
	ds_read2_b64 v[37:40], v36 offset0:29 offset1:30
	s_waitcnt vmcnt(12) lgkmcnt(0)
	v_fma_f64 v[37:38], v[45:46], v[37:38], v[41:42]
	s_waitcnt vmcnt(10)
	v_fma_f64 v[41:42], v[47:48], v[39:40], v[37:38]
	ds_read2_b64 v[37:40], v36 offset0:31 offset1:32
	s_waitcnt vmcnt(8) lgkmcnt(0)
	v_fma_f64 v[37:38], v[49:50], v[37:38], v[41:42]
	s_waitcnt vmcnt(6)
	v_fma_f64 v[40:41], v[51:52], v[39:40], v[37:38]
	ds_read2_b64 v[36:39], v36 offset0:33 offset1:34
	s_waitcnt vmcnt(4) lgkmcnt(0)
	v_fma_f64 v[36:37], v[53:54], v[36:37], v[40:41]
	s_waitcnt vmcnt(2)
	v_fma_f64 v[36:37], v[55:56], v[38:39], v[36:37]
	s_waitcnt vmcnt(0)
	v_add_f64 v[36:37], v[57:58], -v[36:37]
	buffer_store_dword v36, off, s[0:3], 0 offset:64
	buffer_store_dword v37, off, s[0:3], 0 offset:68
	v_cmpx_lt_u32_e32 7, v0
	s_cbranch_execz .LBB16_97
; %bb.96:
	s_clause 0x1
	buffer_load_dword v36, off, s[0:3], 0 offset:56
	buffer_load_dword v37, off, s[0:3], 0 offset:60
	v_mov_b32_e32 v38, 0
	buffer_store_dword v38, off, s[0:3], 0 offset:56
	buffer_store_dword v38, off, s[0:3], 0 offset:60
	s_waitcnt vmcnt(0)
	ds_write_b64 v35, v[36:37]
.LBB16_97:
	s_or_b32 exec_lo, exec_lo, s4
	s_waitcnt lgkmcnt(0)
	s_waitcnt_vscnt null, 0x0
	s_barrier
	buffer_gl0_inv
	s_clause 0x13
	buffer_load_dword v41, off, s[0:3], 0 offset:64
	buffer_load_dword v42, off, s[0:3], 0 offset:68
	;; [unrolled: 1-line block ×20, first 2 shown]
	v_mov_b32_e32 v36, 0
	s_mov_b32 s4, exec_lo
	ds_read_b128 v[37:40], v36 offset:208
	s_waitcnt vmcnt(18) lgkmcnt(0)
	v_fma_f64 v[37:38], v[41:42], v[37:38], 0
	s_waitcnt vmcnt(16)
	v_fma_f64 v[41:42], v[43:44], v[39:40], v[37:38]
	ds_read_b128 v[37:40], v36 offset:224
	s_waitcnt vmcnt(14) lgkmcnt(0)
	v_fma_f64 v[37:38], v[45:46], v[37:38], v[41:42]
	s_waitcnt vmcnt(12)
	v_fma_f64 v[41:42], v[47:48], v[39:40], v[37:38]
	;; [unrolled: 5-line block ×4, first 2 shown]
	ds_read_b64 v[39:40], v36 offset:272
	s_waitcnt vmcnt(2) lgkmcnt(0)
	v_fma_f64 v[37:38], v[57:58], v[39:40], v[37:38]
	s_waitcnt vmcnt(0)
	v_add_f64 v[37:38], v[59:60], -v[37:38]
	buffer_store_dword v37, off, s[0:3], 0 offset:56
	buffer_store_dword v38, off, s[0:3], 0 offset:60
	v_cmpx_lt_u32_e32 6, v0
	s_cbranch_execz .LBB16_99
; %bb.98:
	s_clause 0x1
	buffer_load_dword v37, off, s[0:3], 0 offset:48
	buffer_load_dword v38, off, s[0:3], 0 offset:52
	buffer_store_dword v36, off, s[0:3], 0 offset:48
	buffer_store_dword v36, off, s[0:3], 0 offset:52
	s_waitcnt vmcnt(0)
	ds_write_b64 v35, v[37:38]
.LBB16_99:
	s_or_b32 exec_lo, exec_lo, s4
	s_waitcnt lgkmcnt(0)
	s_waitcnt_vscnt null, 0x0
	s_barrier
	buffer_gl0_inv
	s_clause 0x15
	buffer_load_dword v41, off, s[0:3], 0 offset:56
	buffer_load_dword v42, off, s[0:3], 0 offset:60
	;; [unrolled: 1-line block ×22, first 2 shown]
	ds_read2_b64 v[37:40], v36 offset0:25 offset1:26
	s_mov_b32 s4, exec_lo
	s_waitcnt vmcnt(20) lgkmcnt(0)
	v_fma_f64 v[37:38], v[41:42], v[37:38], 0
	s_waitcnt vmcnt(18)
	v_fma_f64 v[41:42], v[43:44], v[39:40], v[37:38]
	ds_read2_b64 v[37:40], v36 offset0:27 offset1:28
	s_waitcnt vmcnt(16) lgkmcnt(0)
	v_fma_f64 v[37:38], v[45:46], v[37:38], v[41:42]
	s_waitcnt vmcnt(14)
	v_fma_f64 v[41:42], v[47:48], v[39:40], v[37:38]
	ds_read2_b64 v[37:40], v36 offset0:29 offset1:30
	;; [unrolled: 5-line block ×4, first 2 shown]
	s_waitcnt vmcnt(4) lgkmcnt(0)
	v_fma_f64 v[36:37], v[57:58], v[36:37], v[40:41]
	s_waitcnt vmcnt(2)
	v_fma_f64 v[36:37], v[59:60], v[38:39], v[36:37]
	s_waitcnt vmcnt(0)
	v_add_f64 v[36:37], v[61:62], -v[36:37]
	buffer_store_dword v36, off, s[0:3], 0 offset:48
	buffer_store_dword v37, off, s[0:3], 0 offset:52
	v_cmpx_lt_u32_e32 5, v0
	s_cbranch_execz .LBB16_101
; %bb.100:
	s_clause 0x1
	buffer_load_dword v36, off, s[0:3], 0 offset:40
	buffer_load_dword v37, off, s[0:3], 0 offset:44
	v_mov_b32_e32 v38, 0
	buffer_store_dword v38, off, s[0:3], 0 offset:40
	buffer_store_dword v38, off, s[0:3], 0 offset:44
	s_waitcnt vmcnt(0)
	ds_write_b64 v35, v[36:37]
.LBB16_101:
	s_or_b32 exec_lo, exec_lo, s4
	s_waitcnt lgkmcnt(0)
	s_waitcnt_vscnt null, 0x0
	s_barrier
	buffer_gl0_inv
	s_clause 0x17
	buffer_load_dword v45, off, s[0:3], 0 offset:48
	buffer_load_dword v46, off, s[0:3], 0 offset:52
	;; [unrolled: 1-line block ×24, first 2 shown]
	v_mov_b32_e32 v36, 0
	ds_read_b128 v[37:40], v36 offset:192
	ds_read_b128 v[41:44], v36 offset:208
	s_mov_b32 s4, exec_lo
	s_waitcnt vmcnt(22) lgkmcnt(1)
	v_fma_f64 v[37:38], v[45:46], v[37:38], 0
	s_waitcnt vmcnt(20)
	v_fma_f64 v[37:38], v[47:48], v[39:40], v[37:38]
	s_waitcnt vmcnt(18) lgkmcnt(0)
	v_fma_f64 v[37:38], v[49:50], v[41:42], v[37:38]
	s_waitcnt vmcnt(16)
	v_fma_f64 v[45:46], v[51:52], v[43:44], v[37:38]
	ds_read_b128 v[37:40], v36 offset:224
	ds_read_b128 v[41:44], v36 offset:240
	s_waitcnt vmcnt(14) lgkmcnt(1)
	v_fma_f64 v[37:38], v[53:54], v[37:38], v[45:46]
	s_waitcnt vmcnt(12)
	v_fma_f64 v[37:38], v[55:56], v[39:40], v[37:38]
	s_waitcnt vmcnt(10) lgkmcnt(0)
	v_fma_f64 v[37:38], v[57:58], v[41:42], v[37:38]
	s_waitcnt vmcnt(5)
	v_fma_f64 v[41:42], v[59:60], v[43:44], v[37:38]
	ds_read_b128 v[37:40], v36 offset:256
	ds_read_b64 v[43:44], v36 offset:272
	s_waitcnt vmcnt(4) lgkmcnt(1)
	v_fma_f64 v[37:38], v[65:66], v[37:38], v[41:42]
	s_waitcnt vmcnt(3)
	v_fma_f64 v[37:38], v[63:64], v[39:40], v[37:38]
	s_waitcnt vmcnt(2) lgkmcnt(0)
	v_fma_f64 v[37:38], v[61:62], v[43:44], v[37:38]
	s_waitcnt vmcnt(0)
	v_add_f64 v[37:38], v[67:68], -v[37:38]
	buffer_store_dword v38, off, s[0:3], 0 offset:44
	buffer_store_dword v37, off, s[0:3], 0 offset:40
	v_cmpx_lt_u32_e32 4, v0
	s_cbranch_execz .LBB16_103
; %bb.102:
	s_clause 0x1
	buffer_load_dword v37, off, s[0:3], 0 offset:32
	buffer_load_dword v38, off, s[0:3], 0 offset:36
	buffer_store_dword v36, off, s[0:3], 0 offset:32
	buffer_store_dword v36, off, s[0:3], 0 offset:36
	s_waitcnt vmcnt(0)
	ds_write_b64 v35, v[37:38]
.LBB16_103:
	s_or_b32 exec_lo, exec_lo, s4
	s_waitcnt lgkmcnt(0)
	s_waitcnt_vscnt null, 0x0
	s_barrier
	buffer_gl0_inv
	s_clause 0x19
	buffer_load_dword v45, off, s[0:3], 0 offset:40
	buffer_load_dword v46, off, s[0:3], 0 offset:44
	;; [unrolled: 1-line block ×26, first 2 shown]
	ds_read2_b64 v[37:40], v36 offset0:23 offset1:24
	ds_read2_b64 v[41:44], v36 offset0:25 offset1:26
	s_mov_b32 s4, exec_lo
	s_waitcnt vmcnt(24) lgkmcnt(1)
	v_fma_f64 v[37:38], v[45:46], v[37:38], 0
	s_waitcnt vmcnt(22)
	v_fma_f64 v[37:38], v[47:48], v[39:40], v[37:38]
	s_waitcnt vmcnt(20) lgkmcnt(0)
	v_fma_f64 v[37:38], v[49:50], v[41:42], v[37:38]
	s_waitcnt vmcnt(18)
	v_fma_f64 v[45:46], v[51:52], v[43:44], v[37:38]
	ds_read2_b64 v[37:40], v36 offset0:27 offset1:28
	ds_read2_b64 v[41:44], v36 offset0:29 offset1:30
	s_waitcnt vmcnt(16) lgkmcnt(1)
	v_fma_f64 v[37:38], v[53:54], v[37:38], v[45:46]
	s_waitcnt vmcnt(14)
	v_fma_f64 v[37:38], v[55:56], v[39:40], v[37:38]
	s_waitcnt vmcnt(12) lgkmcnt(0)
	v_fma_f64 v[37:38], v[57:58], v[41:42], v[37:38]
	s_waitcnt vmcnt(7)
	v_fma_f64 v[45:46], v[59:60], v[43:44], v[37:38]
	ds_read2_b64 v[37:40], v36 offset0:31 offset1:32
	ds_read2_b64 v[41:44], v36 offset0:33 offset1:34
	s_waitcnt vmcnt(6) lgkmcnt(1)
	v_fma_f64 v[36:37], v[65:66], v[37:38], v[45:46]
	s_waitcnt vmcnt(5)
	v_fma_f64 v[36:37], v[63:64], v[39:40], v[36:37]
	s_waitcnt vmcnt(4) lgkmcnt(0)
	v_fma_f64 v[36:37], v[61:62], v[41:42], v[36:37]
	s_waitcnt vmcnt(2)
	v_fma_f64 v[36:37], v[67:68], v[43:44], v[36:37]
	s_waitcnt vmcnt(0)
	v_add_f64 v[36:37], v[69:70], -v[36:37]
	buffer_store_dword v37, off, s[0:3], 0 offset:36
	buffer_store_dword v36, off, s[0:3], 0 offset:32
	v_cmpx_lt_u32_e32 3, v0
	s_cbranch_execz .LBB16_105
; %bb.104:
	s_clause 0x1
	buffer_load_dword v36, off, s[0:3], 0 offset:24
	buffer_load_dword v37, off, s[0:3], 0 offset:28
	v_mov_b32_e32 v38, 0
	buffer_store_dword v38, off, s[0:3], 0 offset:24
	buffer_store_dword v38, off, s[0:3], 0 offset:28
	s_waitcnt vmcnt(0)
	ds_write_b64 v35, v[36:37]
.LBB16_105:
	s_or_b32 exec_lo, exec_lo, s4
	s_waitcnt lgkmcnt(0)
	s_waitcnt_vscnt null, 0x0
	s_barrier
	buffer_gl0_inv
	s_clause 0x1b
	buffer_load_dword v45, off, s[0:3], 0 offset:32
	buffer_load_dword v46, off, s[0:3], 0 offset:36
	;; [unrolled: 1-line block ×28, first 2 shown]
	v_mov_b32_e32 v36, 0
	ds_read_b128 v[37:40], v36 offset:176
	ds_read_b128 v[41:44], v36 offset:192
	s_mov_b32 s4, exec_lo
	s_waitcnt vmcnt(26) lgkmcnt(1)
	v_fma_f64 v[37:38], v[45:46], v[37:38], 0
	s_waitcnt vmcnt(24)
	v_fma_f64 v[37:38], v[47:48], v[39:40], v[37:38]
	s_waitcnt vmcnt(22) lgkmcnt(0)
	v_fma_f64 v[37:38], v[49:50], v[41:42], v[37:38]
	s_waitcnt vmcnt(20)
	v_fma_f64 v[45:46], v[51:52], v[43:44], v[37:38]
	ds_read_b128 v[37:40], v36 offset:208
	ds_read_b128 v[41:44], v36 offset:224
	s_waitcnt vmcnt(18) lgkmcnt(1)
	v_fma_f64 v[37:38], v[53:54], v[37:38], v[45:46]
	s_waitcnt vmcnt(16)
	v_fma_f64 v[37:38], v[55:56], v[39:40], v[37:38]
	s_waitcnt vmcnt(14) lgkmcnt(0)
	v_fma_f64 v[37:38], v[57:58], v[41:42], v[37:38]
	s_waitcnt vmcnt(9)
	v_fma_f64 v[45:46], v[59:60], v[43:44], v[37:38]
	ds_read_b128 v[37:40], v36 offset:240
	ds_read_b128 v[41:44], v36 offset:256
	s_waitcnt vmcnt(8) lgkmcnt(1)
	v_fma_f64 v[37:38], v[65:66], v[37:38], v[45:46]
	s_waitcnt vmcnt(7)
	v_fma_f64 v[37:38], v[63:64], v[39:40], v[37:38]
	ds_read_b64 v[39:40], v36 offset:272
	s_waitcnt vmcnt(6) lgkmcnt(1)
	v_fma_f64 v[37:38], v[61:62], v[41:42], v[37:38]
	s_waitcnt vmcnt(3)
	v_fma_f64 v[37:38], v[67:68], v[43:44], v[37:38]
	s_waitcnt vmcnt(2) lgkmcnt(0)
	v_fma_f64 v[37:38], v[69:70], v[39:40], v[37:38]
	s_waitcnt vmcnt(0)
	v_add_f64 v[37:38], v[71:72], -v[37:38]
	buffer_store_dword v38, off, s[0:3], 0 offset:28
	buffer_store_dword v37, off, s[0:3], 0 offset:24
	v_cmpx_lt_u32_e32 2, v0
	s_cbranch_execz .LBB16_107
; %bb.106:
	s_clause 0x1
	buffer_load_dword v37, off, s[0:3], 0 offset:16
	buffer_load_dword v38, off, s[0:3], 0 offset:20
	buffer_store_dword v36, off, s[0:3], 0 offset:16
	buffer_store_dword v36, off, s[0:3], 0 offset:20
	s_waitcnt vmcnt(0)
	ds_write_b64 v35, v[37:38]
.LBB16_107:
	s_or_b32 exec_lo, exec_lo, s4
	s_waitcnt lgkmcnt(0)
	s_waitcnt_vscnt null, 0x0
	s_barrier
	buffer_gl0_inv
	s_clause 0x1b
	buffer_load_dword v45, off, s[0:3], 0 offset:24
	buffer_load_dword v46, off, s[0:3], 0 offset:28
	;; [unrolled: 1-line block ×28, first 2 shown]
	ds_read2_b64 v[37:40], v36 offset0:21 offset1:22
	s_clause 0x1
	buffer_load_dword v73, off, s[0:3], 0 offset:16
	buffer_load_dword v74, off, s[0:3], 0 offset:20
	ds_read2_b64 v[41:44], v36 offset0:23 offset1:24
	s_mov_b32 s4, exec_lo
	s_waitcnt vmcnt(28) lgkmcnt(1)
	v_fma_f64 v[37:38], v[45:46], v[37:38], 0
	s_waitcnt vmcnt(26)
	v_fma_f64 v[37:38], v[47:48], v[39:40], v[37:38]
	s_waitcnt vmcnt(24) lgkmcnt(0)
	v_fma_f64 v[37:38], v[49:50], v[41:42], v[37:38]
	s_waitcnt vmcnt(22)
	v_fma_f64 v[45:46], v[51:52], v[43:44], v[37:38]
	ds_read2_b64 v[37:40], v36 offset0:25 offset1:26
	ds_read2_b64 v[41:44], v36 offset0:27 offset1:28
	s_waitcnt vmcnt(20) lgkmcnt(1)
	v_fma_f64 v[37:38], v[53:54], v[37:38], v[45:46]
	s_waitcnt vmcnt(18)
	v_fma_f64 v[37:38], v[55:56], v[39:40], v[37:38]
	s_waitcnt vmcnt(16) lgkmcnt(0)
	v_fma_f64 v[37:38], v[57:58], v[41:42], v[37:38]
	s_waitcnt vmcnt(11)
	v_fma_f64 v[45:46], v[59:60], v[43:44], v[37:38]
	ds_read2_b64 v[37:40], v36 offset0:29 offset1:30
	ds_read2_b64 v[41:44], v36 offset0:31 offset1:32
	s_waitcnt vmcnt(10) lgkmcnt(1)
	v_fma_f64 v[37:38], v[65:66], v[37:38], v[45:46]
	s_waitcnt vmcnt(9)
	v_fma_f64 v[37:38], v[63:64], v[39:40], v[37:38]
	s_waitcnt vmcnt(8) lgkmcnt(0)
	v_fma_f64 v[37:38], v[61:62], v[41:42], v[37:38]
	s_waitcnt vmcnt(4)
	v_fma_f64 v[40:41], v[67:68], v[43:44], v[37:38]
	ds_read2_b64 v[36:39], v36 offset0:33 offset1:34
	s_waitcnt vmcnt(3) lgkmcnt(0)
	v_fma_f64 v[36:37], v[71:72], v[36:37], v[40:41]
	s_waitcnt vmcnt(2)
	v_fma_f64 v[36:37], v[69:70], v[38:39], v[36:37]
	s_waitcnt vmcnt(0)
	v_add_f64 v[36:37], v[73:74], -v[36:37]
	buffer_store_dword v37, off, s[0:3], 0 offset:20
	buffer_store_dword v36, off, s[0:3], 0 offset:16
	v_cmpx_lt_u32_e32 1, v0
	s_cbranch_execz .LBB16_109
; %bb.108:
	s_clause 0x1
	buffer_load_dword v36, off, s[0:3], 0 offset:8
	buffer_load_dword v37, off, s[0:3], 0 offset:12
	v_mov_b32_e32 v38, 0
	buffer_store_dword v38, off, s[0:3], 0 offset:8
	buffer_store_dword v38, off, s[0:3], 0 offset:12
	s_waitcnt vmcnt(0)
	ds_write_b64 v35, v[36:37]
.LBB16_109:
	s_or_b32 exec_lo, exec_lo, s4
	s_waitcnt lgkmcnt(0)
	s_waitcnt_vscnt null, 0x0
	s_barrier
	buffer_gl0_inv
	s_clause 0x1c
	buffer_load_dword v45, off, s[0:3], 0 offset:16
	buffer_load_dword v46, off, s[0:3], 0 offset:20
	;; [unrolled: 1-line block ×29, first 2 shown]
	v_mov_b32_e32 v36, 0
	buffer_load_dword v70, off, s[0:3], 0 offset:132
	s_mov_b32 s4, exec_lo
	ds_read_b128 v[37:40], v36 offset:160
	ds_read_b128 v[41:44], v36 offset:176
	s_waitcnt vmcnt(28) lgkmcnt(1)
	v_fma_f64 v[37:38], v[45:46], v[37:38], 0
	s_clause 0x1
	buffer_load_dword v45, off, s[0:3], 0 offset:8
	buffer_load_dword v46, off, s[0:3], 0 offset:12
	s_waitcnt vmcnt(28)
	v_fma_f64 v[37:38], v[47:48], v[39:40], v[37:38]
	s_waitcnt vmcnt(26) lgkmcnt(0)
	v_fma_f64 v[37:38], v[49:50], v[41:42], v[37:38]
	s_waitcnt vmcnt(24)
	v_fma_f64 v[47:48], v[51:52], v[43:44], v[37:38]
	ds_read_b128 v[37:40], v36 offset:192
	ds_read_b128 v[41:44], v36 offset:208
	s_waitcnt vmcnt(22) lgkmcnt(1)
	v_fma_f64 v[37:38], v[53:54], v[37:38], v[47:48]
	s_waitcnt vmcnt(20)
	v_fma_f64 v[37:38], v[55:56], v[39:40], v[37:38]
	s_waitcnt vmcnt(18) lgkmcnt(0)
	v_fma_f64 v[37:38], v[57:58], v[41:42], v[37:38]
	s_waitcnt vmcnt(13)
	v_fma_f64 v[47:48], v[59:60], v[43:44], v[37:38]
	ds_read_b128 v[37:40], v36 offset:224
	ds_read_b128 v[41:44], v36 offset:240
	s_waitcnt vmcnt(12) lgkmcnt(1)
	v_fma_f64 v[37:38], v[65:66], v[37:38], v[47:48]
	s_waitcnt vmcnt(11)
	v_fma_f64 v[37:38], v[63:64], v[39:40], v[37:38]
	s_waitcnt vmcnt(10) lgkmcnt(0)
	v_fma_f64 v[37:38], v[61:62], v[41:42], v[37:38]
	s_waitcnt vmcnt(5)
	v_fma_f64 v[41:42], v[67:68], v[43:44], v[37:38]
	ds_read_b128 v[37:40], v36 offset:256
	ds_read_b64 v[43:44], v36 offset:272
	s_waitcnt vmcnt(4) lgkmcnt(1)
	v_fma_f64 v[37:38], v[73:74], v[37:38], v[41:42]
	s_waitcnt vmcnt(3)
	v_fma_f64 v[37:38], v[71:72], v[39:40], v[37:38]
	s_waitcnt vmcnt(2) lgkmcnt(0)
	v_fma_f64 v[37:38], v[69:70], v[43:44], v[37:38]
	s_waitcnt vmcnt(0)
	v_add_f64 v[37:38], v[45:46], -v[37:38]
	buffer_store_dword v38, off, s[0:3], 0 offset:12
	buffer_store_dword v37, off, s[0:3], 0 offset:8
	v_cmpx_ne_u32_e32 0, v0
	s_cbranch_execz .LBB16_111
; %bb.110:
	s_clause 0x1
	buffer_load_dword v37, off, s[0:3], 0
	buffer_load_dword v38, off, s[0:3], 0 offset:4
	buffer_store_dword v36, off, s[0:3], 0
	buffer_store_dword v36, off, s[0:3], 0 offset:4
	s_waitcnt vmcnt(0)
	ds_write_b64 v35, v[37:38]
.LBB16_111:
	s_or_b32 exec_lo, exec_lo, s4
	s_waitcnt lgkmcnt(0)
	s_waitcnt_vscnt null, 0x0
	s_barrier
	buffer_gl0_inv
	s_clause 0x1c
	buffer_load_dword v47, off, s[0:3], 0 offset:8
	buffer_load_dword v48, off, s[0:3], 0 offset:12
	;; [unrolled: 1-line block ×29, first 2 shown]
	ds_read2_b64 v[39:42], v36 offset0:19 offset1:20
	ds_read2_b64 v[43:46], v36 offset0:21 offset1:22
	buffer_load_dword v38, off, s[0:3], 0 offset:124
	s_and_b32 vcc_lo, exec_lo, s22
	s_waitcnt vmcnt(28) lgkmcnt(1)
	v_fma_f64 v[39:40], v[47:48], v[39:40], 0
	s_clause 0x1
	buffer_load_dword v48, off, s[0:3], 0 offset:132
	buffer_load_dword v47, off, s[0:3], 0 offset:128
	s_waitcnt vmcnt(28)
	v_fma_f64 v[39:40], v[49:50], v[41:42], v[39:40]
	s_clause 0x1
	buffer_load_dword v49, off, s[0:3], 0
	buffer_load_dword v50, off, s[0:3], 0 offset:4
	s_waitcnt vmcnt(28) lgkmcnt(0)
	v_fma_f64 v[39:40], v[51:52], v[43:44], v[39:40]
	s_waitcnt vmcnt(26)
	v_fma_f64 v[51:52], v[53:54], v[45:46], v[39:40]
	ds_read2_b64 v[39:42], v36 offset0:23 offset1:24
	ds_read2_b64 v[43:46], v36 offset0:25 offset1:26
	s_waitcnt vmcnt(24) lgkmcnt(1)
	v_fma_f64 v[39:40], v[55:56], v[39:40], v[51:52]
	s_waitcnt vmcnt(22)
	v_fma_f64 v[39:40], v[57:58], v[41:42], v[39:40]
	s_waitcnt vmcnt(20) lgkmcnt(0)
	v_fma_f64 v[39:40], v[59:60], v[43:44], v[39:40]
	s_waitcnt vmcnt(15)
	v_fma_f64 v[51:52], v[61:62], v[45:46], v[39:40]
	ds_read2_b64 v[39:42], v36 offset0:27 offset1:28
	ds_read2_b64 v[43:46], v36 offset0:29 offset1:30
	s_waitcnt vmcnt(14) lgkmcnt(1)
	v_fma_f64 v[39:40], v[67:68], v[39:40], v[51:52]
	s_waitcnt vmcnt(13)
	v_fma_f64 v[39:40], v[65:66], v[41:42], v[39:40]
	s_waitcnt vmcnt(12) lgkmcnt(0)
	v_fma_f64 v[39:40], v[63:64], v[43:44], v[39:40]
	s_waitcnt vmcnt(7)
	v_fma_f64 v[51:52], v[69:70], v[45:46], v[39:40]
	ds_read2_b64 v[39:42], v36 offset0:31 offset1:32
	ds_read2_b64 v[43:46], v36 offset0:33 offset1:34
	s_waitcnt vmcnt(6) lgkmcnt(1)
	v_fma_f64 v[35:36], v[73:74], v[39:40], v[51:52]
	s_waitcnt vmcnt(5)
	v_fma_f64 v[35:36], v[71:72], v[41:42], v[35:36]
	s_waitcnt vmcnt(4) lgkmcnt(0)
	v_fma_f64 v[35:36], v[37:38], v[43:44], v[35:36]
	s_waitcnt vmcnt(2)
	v_fma_f64 v[35:36], v[47:48], v[45:46], v[35:36]
	s_waitcnt vmcnt(0)
	v_add_f64 v[35:36], v[49:50], -v[35:36]
	buffer_store_dword v36, off, s[0:3], 0 offset:4
	buffer_store_dword v35, off, s[0:3], 0
	s_cbranch_vccz .LBB16_144
; %bb.112:
	v_mov_b32_e32 v0, 0
	global_load_dword v35, v0, s[20:21] offset:60
	s_waitcnt vmcnt(0)
	v_add_nc_u32_e32 v35, -1, v35
	v_cmp_ne_u32_e32 vcc_lo, 15, v35
	s_cbranch_vccz .LBB16_114
; %bb.113:
	v_lshlrev_b32_e32 v35, 3, v35
	s_clause 0x1
	buffer_load_dword v36, v35, s[0:3], 0 offen
	buffer_load_dword v39, v35, s[0:3], 0 offen offset:4
	s_waitcnt vmcnt(1)
	buffer_store_dword v36, off, s[0:3], 0 offset:120
	s_waitcnt vmcnt(0)
	buffer_store_dword v39, off, s[0:3], 0 offset:124
	buffer_store_dword v37, v35, s[0:3], 0 offen
	buffer_store_dword v38, v35, s[0:3], 0 offen offset:4
.LBB16_114:
	global_load_dword v0, v0, s[20:21] offset:56
	s_waitcnt vmcnt(0)
	v_add_nc_u32_e32 v0, -1, v0
	v_cmp_eq_u32_e32 vcc_lo, 14, v0
	s_cbranch_vccnz .LBB16_116
; %bb.115:
	v_lshlrev_b32_e32 v0, 3, v0
	s_clause 0x3
	buffer_load_dword v35, v0, s[0:3], 0 offen
	buffer_load_dword v36, v0, s[0:3], 0 offen offset:4
	buffer_load_dword v37, off, s[0:3], 0 offset:116
	buffer_load_dword v38, off, s[0:3], 0 offset:112
	s_waitcnt vmcnt(3)
	buffer_store_dword v35, off, s[0:3], 0 offset:112
	s_waitcnt vmcnt(2)
	buffer_store_dword v36, off, s[0:3], 0 offset:116
	s_waitcnt vmcnt(1)
	buffer_store_dword v37, v0, s[0:3], 0 offen offset:4
	s_waitcnt vmcnt(0)
	buffer_store_dword v38, v0, s[0:3], 0 offen
.LBB16_116:
	v_mov_b32_e32 v0, 0
	global_load_dword v35, v0, s[20:21] offset:52
	s_waitcnt vmcnt(0)
	v_add_nc_u32_e32 v35, -1, v35
	v_cmp_eq_u32_e32 vcc_lo, 13, v35
	s_cbranch_vccnz .LBB16_118
; %bb.117:
	v_lshlrev_b32_e32 v35, 3, v35
	s_clause 0x3
	buffer_load_dword v36, v35, s[0:3], 0 offen
	buffer_load_dword v37, v35, s[0:3], 0 offen offset:4
	buffer_load_dword v38, off, s[0:3], 0 offset:104
	buffer_load_dword v39, off, s[0:3], 0 offset:108
	s_waitcnt vmcnt(3)
	buffer_store_dword v36, off, s[0:3], 0 offset:104
	s_waitcnt vmcnt(2)
	buffer_store_dword v37, off, s[0:3], 0 offset:108
	s_waitcnt vmcnt(1)
	buffer_store_dword v38, v35, s[0:3], 0 offen
	s_waitcnt vmcnt(0)
	buffer_store_dword v39, v35, s[0:3], 0 offen offset:4
.LBB16_118:
	global_load_dword v0, v0, s[20:21] offset:48
	s_waitcnt vmcnt(0)
	v_add_nc_u32_e32 v0, -1, v0
	v_cmp_eq_u32_e32 vcc_lo, 12, v0
	s_cbranch_vccnz .LBB16_120
; %bb.119:
	v_lshlrev_b32_e32 v0, 3, v0
	s_clause 0x3
	buffer_load_dword v35, v0, s[0:3], 0 offen
	buffer_load_dword v36, v0, s[0:3], 0 offen offset:4
	buffer_load_dword v37, off, s[0:3], 0 offset:100
	buffer_load_dword v38, off, s[0:3], 0 offset:96
	s_waitcnt vmcnt(3)
	buffer_store_dword v35, off, s[0:3], 0 offset:96
	s_waitcnt vmcnt(2)
	buffer_store_dword v36, off, s[0:3], 0 offset:100
	s_waitcnt vmcnt(1)
	buffer_store_dword v37, v0, s[0:3], 0 offen offset:4
	s_waitcnt vmcnt(0)
	buffer_store_dword v38, v0, s[0:3], 0 offen
.LBB16_120:
	v_mov_b32_e32 v0, 0
	global_load_dword v35, v0, s[20:21] offset:44
	s_waitcnt vmcnt(0)
	v_add_nc_u32_e32 v35, -1, v35
	v_cmp_eq_u32_e32 vcc_lo, 11, v35
	s_cbranch_vccnz .LBB16_122
; %bb.121:
	v_lshlrev_b32_e32 v35, 3, v35
	s_clause 0x3
	buffer_load_dword v36, v35, s[0:3], 0 offen
	buffer_load_dword v37, v35, s[0:3], 0 offen offset:4
	buffer_load_dword v38, off, s[0:3], 0 offset:88
	buffer_load_dword v39, off, s[0:3], 0 offset:92
	s_waitcnt vmcnt(3)
	buffer_store_dword v36, off, s[0:3], 0 offset:88
	s_waitcnt vmcnt(2)
	buffer_store_dword v37, off, s[0:3], 0 offset:92
	s_waitcnt vmcnt(1)
	buffer_store_dword v38, v35, s[0:3], 0 offen
	s_waitcnt vmcnt(0)
	buffer_store_dword v39, v35, s[0:3], 0 offen offset:4
.LBB16_122:
	;; [unrolled: 43-line block ×7, first 2 shown]
	global_load_dword v0, v0, s[20:21]
	s_clause 0x1
	buffer_load_dword v35, off, s[0:3], 0
	buffer_load_dword v36, off, s[0:3], 0 offset:4
	s_waitcnt vmcnt(2)
	v_add_nc_u32_e32 v0, -1, v0
	v_cmp_eq_u32_e32 vcc_lo, 0, v0
	s_cbranch_vccnz .LBB16_144
; %bb.143:
	v_lshlrev_b32_e32 v0, 3, v0
	s_clause 0x1
	buffer_load_dword v37, v0, s[0:3], 0 offen offset:4
	buffer_load_dword v38, v0, s[0:3], 0 offen
	s_waitcnt vmcnt(1)
	buffer_store_dword v37, off, s[0:3], 0 offset:4
	s_waitcnt vmcnt(0)
	buffer_store_dword v38, off, s[0:3], 0
	buffer_store_dword v36, v0, s[0:3], 0 offen offset:4
	buffer_store_dword v35, v0, s[0:3], 0 offen
	s_clause 0x1
	buffer_load_dword v35, off, s[0:3], 0
	buffer_load_dword v36, off, s[0:3], 0 offset:4
.LBB16_144:
	s_clause 0x1f
	buffer_load_dword v37, off, s[0:3], 0 offset:8
	buffer_load_dword v38, off, s[0:3], 0 offset:12
	;; [unrolled: 1-line block ×32, first 2 shown]
	s_waitcnt vmcnt(32)
	global_store_dwordx2 v[1:2], v[35:36], off
	s_waitcnt vmcnt(30)
	global_store_dwordx2 v[3:4], v[37:38], off
	;; [unrolled: 2-line block ×17, first 2 shown]
	s_endpgm
	.section	.rodata,"a",@progbits
	.p2align	6, 0x0
	.amdhsa_kernel _ZN9rocsolver6v33100L18getri_kernel_smallILi17EdPdEEvT1_iilPiilS4_bb
		.amdhsa_group_segment_fixed_size 280
		.amdhsa_private_segment_fixed_size 144
		.amdhsa_kernarg_size 60
		.amdhsa_user_sgpr_count 6
		.amdhsa_user_sgpr_private_segment_buffer 1
		.amdhsa_user_sgpr_dispatch_ptr 0
		.amdhsa_user_sgpr_queue_ptr 0
		.amdhsa_user_sgpr_kernarg_segment_ptr 1
		.amdhsa_user_sgpr_dispatch_id 0
		.amdhsa_user_sgpr_flat_scratch_init 0
		.amdhsa_user_sgpr_private_segment_size 0
		.amdhsa_wavefront_size32 1
		.amdhsa_uses_dynamic_stack 0
		.amdhsa_system_sgpr_private_segment_wavefront_offset 1
		.amdhsa_system_sgpr_workgroup_id_x 1
		.amdhsa_system_sgpr_workgroup_id_y 0
		.amdhsa_system_sgpr_workgroup_id_z 0
		.amdhsa_system_sgpr_workgroup_info 0
		.amdhsa_system_vgpr_workitem_id 0
		.amdhsa_next_free_vgpr 75
		.amdhsa_next_free_sgpr 23
		.amdhsa_reserve_vcc 1
		.amdhsa_reserve_flat_scratch 0
		.amdhsa_float_round_mode_32 0
		.amdhsa_float_round_mode_16_64 0
		.amdhsa_float_denorm_mode_32 3
		.amdhsa_float_denorm_mode_16_64 3
		.amdhsa_dx10_clamp 1
		.amdhsa_ieee_mode 1
		.amdhsa_fp16_overflow 0
		.amdhsa_workgroup_processor_mode 1
		.amdhsa_memory_ordered 1
		.amdhsa_forward_progress 1
		.amdhsa_shared_vgpr_count 0
		.amdhsa_exception_fp_ieee_invalid_op 0
		.amdhsa_exception_fp_denorm_src 0
		.amdhsa_exception_fp_ieee_div_zero 0
		.amdhsa_exception_fp_ieee_overflow 0
		.amdhsa_exception_fp_ieee_underflow 0
		.amdhsa_exception_fp_ieee_inexact 0
		.amdhsa_exception_int_div_zero 0
	.end_amdhsa_kernel
	.section	.text._ZN9rocsolver6v33100L18getri_kernel_smallILi17EdPdEEvT1_iilPiilS4_bb,"axG",@progbits,_ZN9rocsolver6v33100L18getri_kernel_smallILi17EdPdEEvT1_iilPiilS4_bb,comdat
.Lfunc_end16:
	.size	_ZN9rocsolver6v33100L18getri_kernel_smallILi17EdPdEEvT1_iilPiilS4_bb, .Lfunc_end16-_ZN9rocsolver6v33100L18getri_kernel_smallILi17EdPdEEvT1_iilPiilS4_bb
                                        ; -- End function
	.set _ZN9rocsolver6v33100L18getri_kernel_smallILi17EdPdEEvT1_iilPiilS4_bb.num_vgpr, 75
	.set _ZN9rocsolver6v33100L18getri_kernel_smallILi17EdPdEEvT1_iilPiilS4_bb.num_agpr, 0
	.set _ZN9rocsolver6v33100L18getri_kernel_smallILi17EdPdEEvT1_iilPiilS4_bb.numbered_sgpr, 23
	.set _ZN9rocsolver6v33100L18getri_kernel_smallILi17EdPdEEvT1_iilPiilS4_bb.num_named_barrier, 0
	.set _ZN9rocsolver6v33100L18getri_kernel_smallILi17EdPdEEvT1_iilPiilS4_bb.private_seg_size, 144
	.set _ZN9rocsolver6v33100L18getri_kernel_smallILi17EdPdEEvT1_iilPiilS4_bb.uses_vcc, 1
	.set _ZN9rocsolver6v33100L18getri_kernel_smallILi17EdPdEEvT1_iilPiilS4_bb.uses_flat_scratch, 0
	.set _ZN9rocsolver6v33100L18getri_kernel_smallILi17EdPdEEvT1_iilPiilS4_bb.has_dyn_sized_stack, 0
	.set _ZN9rocsolver6v33100L18getri_kernel_smallILi17EdPdEEvT1_iilPiilS4_bb.has_recursion, 0
	.set _ZN9rocsolver6v33100L18getri_kernel_smallILi17EdPdEEvT1_iilPiilS4_bb.has_indirect_call, 0
	.section	.AMDGPU.csdata,"",@progbits
; Kernel info:
; codeLenInByte = 14044
; TotalNumSgprs: 25
; NumVgprs: 75
; ScratchSize: 144
; MemoryBound: 0
; FloatMode: 240
; IeeeMode: 1
; LDSByteSize: 280 bytes/workgroup (compile time only)
; SGPRBlocks: 0
; VGPRBlocks: 9
; NumSGPRsForWavesPerEU: 25
; NumVGPRsForWavesPerEU: 75
; Occupancy: 12
; WaveLimiterHint : 1
; COMPUTE_PGM_RSRC2:SCRATCH_EN: 1
; COMPUTE_PGM_RSRC2:USER_SGPR: 6
; COMPUTE_PGM_RSRC2:TRAP_HANDLER: 0
; COMPUTE_PGM_RSRC2:TGID_X_EN: 1
; COMPUTE_PGM_RSRC2:TGID_Y_EN: 0
; COMPUTE_PGM_RSRC2:TGID_Z_EN: 0
; COMPUTE_PGM_RSRC2:TIDIG_COMP_CNT: 0
	.section	.text._ZN9rocsolver6v33100L18getri_kernel_smallILi18EdPdEEvT1_iilPiilS4_bb,"axG",@progbits,_ZN9rocsolver6v33100L18getri_kernel_smallILi18EdPdEEvT1_iilPiilS4_bb,comdat
	.globl	_ZN9rocsolver6v33100L18getri_kernel_smallILi18EdPdEEvT1_iilPiilS4_bb ; -- Begin function _ZN9rocsolver6v33100L18getri_kernel_smallILi18EdPdEEvT1_iilPiilS4_bb
	.p2align	8
	.type	_ZN9rocsolver6v33100L18getri_kernel_smallILi18EdPdEEvT1_iilPiilS4_bb,@function
_ZN9rocsolver6v33100L18getri_kernel_smallILi18EdPdEEvT1_iilPiilS4_bb: ; @_ZN9rocsolver6v33100L18getri_kernel_smallILi18EdPdEEvT1_iilPiilS4_bb
; %bb.0:
	s_add_u32 s0, s0, s7
	s_addc_u32 s1, s1, 0
	s_mov_b32 s7, exec_lo
	v_cmpx_gt_u32_e32 18, v0
	s_cbranch_execz .LBB17_82
; %bb.1:
	s_clause 0x2
	s_load_dword s7, s[4:5], 0x38
	s_load_dwordx4 s[16:19], s[4:5], 0x10
	s_load_dwordx4 s[8:11], s[4:5], 0x28
                                        ; implicit-def: $sgpr20_sgpr21
	s_waitcnt lgkmcnt(0)
	s_bitcmp1_b32 s7, 8
	s_cselect_b32 s22, -1, 0
	s_bfe_u32 s12, s7, 0x10008
	s_ashr_i32 s7, s6, 31
	s_cmp_eq_u32 s12, 0
	s_cbranch_scc1 .LBB17_3
; %bb.2:
	s_load_dword s12, s[4:5], 0x20
	s_mul_i32 s13, s8, s7
	s_mul_hi_u32 s14, s8, s6
	s_mul_i32 s9, s9, s6
	s_add_i32 s13, s14, s13
	s_mul_i32 s8, s8, s6
	s_add_i32 s9, s13, s9
	s_lshl_b64 s[8:9], s[8:9], 2
	s_waitcnt lgkmcnt(0)
	s_ashr_i32 s13, s12, 31
	s_add_u32 s14, s18, s8
	s_addc_u32 s15, s19, s9
	s_lshl_b64 s[8:9], s[12:13], 2
	s_add_u32 s20, s14, s8
	s_addc_u32 s21, s15, s9
.LBB17_3:
	s_clause 0x1
	s_load_dwordx4 s[12:15], s[4:5], 0x0
	s_load_dword s8, s[4:5], 0x38
	s_mul_i32 s4, s16, s7
	s_mul_hi_u32 s5, s16, s6
	s_mul_i32 s9, s17, s6
	s_add_i32 s5, s5, s4
	s_mul_i32 s4, s16, s6
	s_add_i32 s5, s5, s9
	v_lshlrev_b32_e32 v39, 3, v0
	s_lshl_b64 s[4:5], s[4:5], 3
	s_waitcnt lgkmcnt(0)
	v_add3_u32 v3, s15, s15, v0
	s_ashr_i32 s17, s14, 31
	s_mov_b32 s16, s14
	s_add_u32 s9, s12, s4
	s_addc_u32 s13, s13, s5
	v_add_nc_u32_e32 v5, s15, v3
	s_lshl_b64 s[4:5], s[16:17], 3
	v_ashrrev_i32_e32 v4, 31, v3
	s_add_u32 s4, s9, s4
	s_addc_u32 s5, s13, s5
	v_ashrrev_i32_e32 v6, 31, v5
	v_add_nc_u32_e32 v7, s15, v5
	v_add_co_u32 v1, s9, s4, v39
	s_mov_b32 s12, s15
	s_ashr_i32 s13, s15, 31
	v_lshlrev_b64 v[9:10], 3, v[3:4]
	v_add_co_ci_u32_e64 v2, null, s5, 0, s9
	s_lshl_b64 s[12:13], s[12:13], 3
	v_lshlrev_b64 v[11:12], 3, v[5:6]
	v_ashrrev_i32_e32 v8, 31, v7
	v_add_nc_u32_e32 v13, s15, v7
	v_add_co_u32 v3, vcc_lo, v1, s12
	v_add_co_ci_u32_e64 v4, null, s13, v2, vcc_lo
	v_add_co_u32 v5, vcc_lo, s4, v9
	v_add_co_ci_u32_e64 v6, null, s5, v10, vcc_lo
	v_lshlrev_b64 v[9:10], 3, v[7:8]
	v_add_co_u32 v7, vcc_lo, s4, v11
	v_add_nc_u32_e32 v11, s15, v13
	v_ashrrev_i32_e32 v14, 31, v13
	v_add_co_ci_u32_e64 v8, null, s5, v12, vcc_lo
	v_add_co_u32 v9, vcc_lo, s4, v9
	v_add_nc_u32_e32 v15, s15, v11
	v_ashrrev_i32_e32 v12, 31, v11
	v_lshlrev_b64 v[13:14], 3, v[13:14]
	v_add_co_ci_u32_e64 v10, null, s5, v10, vcc_lo
	v_add_nc_u32_e32 v19, s15, v15
	v_lshlrev_b64 v[17:18], 3, v[11:12]
	v_ashrrev_i32_e32 v16, 31, v15
	v_add_co_u32 v11, vcc_lo, s4, v13
	v_ashrrev_i32_e32 v20, 31, v19
	v_add_nc_u32_e32 v21, s15, v19
	v_add_co_ci_u32_e64 v12, null, s5, v14, vcc_lo
	v_add_co_u32 v13, vcc_lo, s4, v17
	v_add_co_ci_u32_e64 v14, null, s5, v18, vcc_lo
	v_lshlrev_b64 v[17:18], 3, v[19:20]
	v_add_nc_u32_e32 v19, s15, v21
	v_ashrrev_i32_e32 v22, 31, v21
	v_lshlrev_b64 v[15:16], 3, v[15:16]
	s_clause 0x4
	global_load_dwordx2 v[37:38], v39, s[4:5]
	global_load_dwordx2 v[40:41], v[3:4], off
	global_load_dwordx2 v[42:43], v[5:6], off
	;; [unrolled: 1-line block ×4, first 2 shown]
	v_add_nc_u32_e32 v23, s15, v19
	v_ashrrev_i32_e32 v20, 31, v19
	v_lshlrev_b64 v[21:22], 3, v[21:22]
	v_add_co_u32 v15, vcc_lo, s4, v15
	v_add_nc_u32_e32 v27, s15, v23
	v_lshlrev_b64 v[25:26], 3, v[19:20]
	v_add_co_ci_u32_e64 v16, null, s5, v16, vcc_lo
	v_add_co_u32 v17, vcc_lo, s4, v17
	v_ashrrev_i32_e32 v28, 31, v27
	v_add_nc_u32_e32 v29, s15, v27
	v_add_co_ci_u32_e64 v18, null, s5, v18, vcc_lo
	v_add_co_u32 v19, vcc_lo, s4, v21
	v_add_co_ci_u32_e64 v20, null, s5, v22, vcc_lo
	v_add_co_u32 v21, vcc_lo, s4, v25
	v_add_co_ci_u32_e64 v22, null, s5, v26, vcc_lo
	v_lshlrev_b64 v[25:26], 3, v[27:28]
	v_add_nc_u32_e32 v27, s15, v29
	v_ashrrev_i32_e32 v24, 31, v23
	v_ashrrev_i32_e32 v30, 31, v29
	s_clause 0x3
	global_load_dwordx2 v[48:49], v[11:12], off
	global_load_dwordx2 v[50:51], v[13:14], off
	global_load_dwordx2 v[52:53], v[15:16], off
	global_load_dwordx2 v[54:55], v[17:18], off
	s_bitcmp0_b32 s8, 0
	v_add_nc_u32_e32 v31, s15, v27
	v_lshlrev_b64 v[23:24], 3, v[23:24]
	v_ashrrev_i32_e32 v28, 31, v27
	v_lshlrev_b64 v[29:30], 3, v[29:30]
	v_add_nc_u32_e32 v35, s15, v31
	v_ashrrev_i32_e32 v32, 31, v31
	v_add_co_u32 v23, vcc_lo, s4, v23
	v_lshlrev_b64 v[33:34], 3, v[27:28]
	v_add_nc_u32_e32 v56, s15, v35
	v_add_co_ci_u32_e64 v24, null, s5, v24, vcc_lo
	v_add_co_u32 v25, vcc_lo, s4, v25
	v_ashrrev_i32_e32 v36, 31, v35
	v_add_co_ci_u32_e64 v26, null, s5, v26, vcc_lo
	v_add_co_u32 v27, vcc_lo, s4, v29
	v_ashrrev_i32_e32 v57, 31, v56
	v_add_co_ci_u32_e64 v28, null, s5, v30, vcc_lo
	v_lshlrev_b64 v[31:32], 3, v[31:32]
	v_add_co_u32 v29, vcc_lo, s4, v33
	v_add_co_ci_u32_e64 v30, null, s5, v34, vcc_lo
	v_lshlrev_b64 v[33:34], 3, v[35:36]
	v_lshlrev_b64 v[35:36], 3, v[56:57]
	v_add_co_u32 v31, vcc_lo, s4, v31
	v_add_co_ci_u32_e64 v32, null, s5, v32, vcc_lo
	v_add_co_u32 v33, vcc_lo, s4, v33
	v_add_co_ci_u32_e64 v34, null, s5, v34, vcc_lo
	;; [unrolled: 2-line block ×3, first 2 shown]
	s_clause 0x8
	global_load_dwordx2 v[56:57], v[19:20], off
	global_load_dwordx2 v[58:59], v[21:22], off
	;; [unrolled: 1-line block ×9, first 2 shown]
	s_mov_b32 s5, -1
	s_waitcnt vmcnt(17)
	buffer_store_dword v38, off, s[0:3], 0 offset:4
	buffer_store_dword v37, off, s[0:3], 0
	s_waitcnt vmcnt(16)
	buffer_store_dword v41, off, s[0:3], 0 offset:12
	buffer_store_dword v40, off, s[0:3], 0 offset:8
	s_waitcnt vmcnt(15)
	buffer_store_dword v43, off, s[0:3], 0 offset:20
	buffer_store_dword v42, off, s[0:3], 0 offset:16
	;; [unrolled: 3-line block ×17, first 2 shown]
	s_cbranch_scc1 .LBB17_80
; %bb.4:
	v_cmp_eq_u32_e64 s4, 0, v0
	s_and_saveexec_b32 s5, s4
; %bb.5:
	v_mov_b32_e32 v37, 0
	ds_write_b32 v37, v37 offset:288
; %bb.6:
	s_or_b32 exec_lo, exec_lo, s5
	v_lshl_add_u32 v37, v0, 3, 0
	s_waitcnt lgkmcnt(0)
	s_waitcnt_vscnt null, 0x0
	s_barrier
	buffer_gl0_inv
	s_mov_b32 s8, exec_lo
	s_clause 0x1
	buffer_load_dword v40, v37, s[0:3], 0 offen
	buffer_load_dword v41, v37, s[0:3], 0 offen offset:4
	s_waitcnt vmcnt(0)
	v_cmpx_eq_f64_e32 0, v[40:41]
	s_cbranch_execz .LBB17_10
; %bb.7:
	v_mov_b32_e32 v38, 0
	s_mov_b32 s9, 0
	ds_read_b32 v40, v38 offset:288
	s_waitcnt lgkmcnt(0)
	v_readfirstlane_b32 s5, v40
	v_add_nc_u32_e32 v40, 1, v0
	s_cmp_eq_u32 s5, 0
	v_cmp_gt_i32_e32 vcc_lo, s5, v40
	s_cselect_b32 s12, -1, 0
	s_or_b32 s12, s12, vcc_lo
	s_and_b32 exec_lo, exec_lo, s12
	s_cbranch_execz .LBB17_10
; %bb.8:
	v_mov_b32_e32 v41, s5
.LBB17_9:                               ; =>This Inner Loop Header: Depth=1
	ds_cmpst_rtn_b32 v41, v38, v41, v40 offset:288
	s_waitcnt lgkmcnt(0)
	v_cmp_ne_u32_e32 vcc_lo, 0, v41
	v_cmp_le_i32_e64 s5, v41, v40
	s_and_b32 s5, vcc_lo, s5
	s_and_b32 s5, exec_lo, s5
	s_or_b32 s9, s5, s9
	s_andn2_b32 exec_lo, exec_lo, s9
	s_cbranch_execnz .LBB17_9
.LBB17_10:
	s_or_b32 exec_lo, exec_lo, s8
	v_mov_b32_e32 v38, 0
	s_barrier
	buffer_gl0_inv
	ds_read_b32 v40, v38 offset:288
	s_and_saveexec_b32 s5, s4
	s_cbranch_execz .LBB17_12
; %bb.11:
	s_lshl_b64 s[8:9], s[6:7], 2
	s_add_u32 s8, s10, s8
	s_addc_u32 s9, s11, s9
	s_waitcnt lgkmcnt(0)
	global_store_dword v38, v40, s[8:9]
.LBB17_12:
	s_or_b32 exec_lo, exec_lo, s5
	s_waitcnt lgkmcnt(0)
	v_cmp_ne_u32_e32 vcc_lo, 0, v40
	s_mov_b32 s5, 0
	s_cbranch_vccnz .LBB17_80
; %bb.13:
	s_clause 0x1
	buffer_load_dword v40, v37, s[0:3], 0 offen
	buffer_load_dword v41, v37, s[0:3], 0 offen offset:4
	s_waitcnt vmcnt(0)
	v_div_scale_f64 v[42:43], null, v[40:41], v[40:41], 1.0
	v_div_scale_f64 v[48:49], vcc_lo, 1.0, v[40:41], 1.0
	v_rcp_f64_e32 v[44:45], v[42:43]
	v_fma_f64 v[46:47], -v[42:43], v[44:45], 1.0
	v_fma_f64 v[44:45], v[44:45], v[46:47], v[44:45]
	v_fma_f64 v[46:47], -v[42:43], v[44:45], 1.0
	v_fma_f64 v[44:45], v[44:45], v[46:47], v[44:45]
	v_mul_f64 v[46:47], v[48:49], v[44:45]
	v_fma_f64 v[42:43], -v[42:43], v[46:47], v[48:49]
	v_div_fmas_f64 v[42:43], v[42:43], v[44:45], v[46:47]
	v_div_fixup_f64 v[41:42], v[42:43], v[40:41], 1.0
	v_add_nc_u32_e32 v40, 0x90, v39
	buffer_store_dword v42, v37, s[0:3], 0 offen offset:4
	buffer_store_dword v41, v37, s[0:3], 0 offen
	s_clause 0x1
	buffer_load_dword v44, off, s[0:3], 0 offset:12
	buffer_load_dword v43, off, s[0:3], 0 offset:8
	v_xor_b32_e32 v42, 0x80000000, v42
	s_waitcnt vmcnt(0)
	ds_write2_b64 v39, v[41:42], v[43:44] offset1:18
	s_waitcnt lgkmcnt(0)
	s_waitcnt_vscnt null, 0x0
	s_barrier
	buffer_gl0_inv
	s_and_saveexec_b32 s5, s4
	s_cbranch_execz .LBB17_15
; %bb.14:
	s_clause 0x1
	buffer_load_dword v41, v37, s[0:3], 0 offen
	buffer_load_dword v42, v37, s[0:3], 0 offen offset:4
	ds_read_b64 v[43:44], v40
	v_mov_b32_e32 v38, 0
	ds_read_b64 v[45:46], v38 offset:8
	s_waitcnt vmcnt(0) lgkmcnt(1)
	v_fma_f64 v[41:42], v[41:42], v[43:44], 0
	s_waitcnt lgkmcnt(0)
	v_mul_f64 v[41:42], v[41:42], v[45:46]
	buffer_store_dword v41, off, s[0:3], 0 offset:8
	buffer_store_dword v42, off, s[0:3], 0 offset:12
.LBB17_15:
	s_or_b32 exec_lo, exec_lo, s5
	s_waitcnt_vscnt null, 0x0
	s_barrier
	buffer_gl0_inv
	s_clause 0x1
	buffer_load_dword v41, off, s[0:3], 0 offset:16
	buffer_load_dword v42, off, s[0:3], 0 offset:20
	s_mov_b32 s5, exec_lo
	s_waitcnt vmcnt(0)
	ds_write_b64 v40, v[41:42]
	s_waitcnt lgkmcnt(0)
	s_barrier
	buffer_gl0_inv
	v_cmpx_gt_u32_e32 2, v0
	s_cbranch_execz .LBB17_19
; %bb.16:
	s_clause 0x1
	buffer_load_dword v41, v37, s[0:3], 0 offen
	buffer_load_dword v42, v37, s[0:3], 0 offen offset:4
	ds_read_b64 v[37:38], v40
	s_waitcnt vmcnt(0) lgkmcnt(0)
	v_fma_f64 v[37:38], v[41:42], v[37:38], 0
	s_and_saveexec_b32 s8, s4
	s_cbranch_execz .LBB17_18
; %bb.17:
	s_clause 0x1
	buffer_load_dword v41, off, s[0:3], 0 offset:8
	buffer_load_dword v42, off, s[0:3], 0 offset:12
	v_mov_b32_e32 v43, 0
	ds_read_b64 v[43:44], v43 offset:152
	s_waitcnt vmcnt(0) lgkmcnt(0)
	v_fma_f64 v[37:38], v[41:42], v[43:44], v[37:38]
.LBB17_18:
	s_or_b32 exec_lo, exec_lo, s8
	v_mov_b32_e32 v41, 0
	ds_read_b64 v[41:42], v41 offset:16
	s_waitcnt lgkmcnt(0)
	v_mul_f64 v[37:38], v[37:38], v[41:42]
	buffer_store_dword v38, off, s[0:3], 0 offset:20
	buffer_store_dword v37, off, s[0:3], 0 offset:16
.LBB17_19:
	s_or_b32 exec_lo, exec_lo, s5
	s_waitcnt_vscnt null, 0x0
	s_barrier
	buffer_gl0_inv
	s_clause 0x1
	buffer_load_dword v37, off, s[0:3], 0 offset:24
	buffer_load_dword v38, off, s[0:3], 0 offset:28
	v_add_nc_u32_e32 v41, -1, v0
	s_mov_b32 s4, exec_lo
	s_waitcnt vmcnt(0)
	ds_write_b64 v40, v[37:38]
	s_waitcnt lgkmcnt(0)
	s_barrier
	buffer_gl0_inv
	v_cmpx_gt_u32_e32 3, v0
	s_cbranch_execz .LBB17_23
; %bb.20:
	v_mov_b32_e32 v37, 0
	v_add_nc_u32_e32 v42, -1, v0
	v_add_nc_u32_e32 v43, 0x90, v39
	v_mov_b32_e32 v38, 0
	v_mov_b32_e32 v44, v39
	s_mov_b32 s5, 0
.LBB17_21:                              ; =>This Inner Loop Header: Depth=1
	s_clause 0x1
	buffer_load_dword v45, v44, s[0:3], 0 offen
	buffer_load_dword v46, v44, s[0:3], 0 offen offset:4
	ds_read_b64 v[47:48], v43
	v_add_nc_u32_e32 v42, 1, v42
	v_add_nc_u32_e32 v43, 8, v43
	v_add_nc_u32_e32 v44, 8, v44
	v_cmp_lt_u32_e32 vcc_lo, 1, v42
	s_or_b32 s5, vcc_lo, s5
	s_waitcnt vmcnt(0) lgkmcnt(0)
	v_fma_f64 v[37:38], v[45:46], v[47:48], v[37:38]
	s_andn2_b32 exec_lo, exec_lo, s5
	s_cbranch_execnz .LBB17_21
; %bb.22:
	s_or_b32 exec_lo, exec_lo, s5
	v_mov_b32_e32 v42, 0
	ds_read_b64 v[42:43], v42 offset:24
	s_waitcnt lgkmcnt(0)
	v_mul_f64 v[37:38], v[37:38], v[42:43]
	buffer_store_dword v38, off, s[0:3], 0 offset:28
	buffer_store_dword v37, off, s[0:3], 0 offset:24
.LBB17_23:
	s_or_b32 exec_lo, exec_lo, s4
	s_waitcnt_vscnt null, 0x0
	s_barrier
	buffer_gl0_inv
	s_clause 0x1
	buffer_load_dword v37, off, s[0:3], 0 offset:32
	buffer_load_dword v38, off, s[0:3], 0 offset:36
	s_mov_b32 s4, exec_lo
	s_waitcnt vmcnt(0)
	ds_write_b64 v40, v[37:38]
	s_waitcnt lgkmcnt(0)
	s_barrier
	buffer_gl0_inv
	v_cmpx_gt_u32_e32 4, v0
	s_cbranch_execz .LBB17_27
; %bb.24:
	v_mov_b32_e32 v37, 0
	v_add_nc_u32_e32 v42, -1, v0
	v_add_nc_u32_e32 v43, 0x90, v39
	v_mov_b32_e32 v38, 0
	v_mov_b32_e32 v44, v39
	s_mov_b32 s5, 0
.LBB17_25:                              ; =>This Inner Loop Header: Depth=1
	s_clause 0x1
	buffer_load_dword v45, v44, s[0:3], 0 offen
	buffer_load_dword v46, v44, s[0:3], 0 offen offset:4
	ds_read_b64 v[47:48], v43
	v_add_nc_u32_e32 v42, 1, v42
	v_add_nc_u32_e32 v43, 8, v43
	v_add_nc_u32_e32 v44, 8, v44
	v_cmp_lt_u32_e32 vcc_lo, 2, v42
	s_or_b32 s5, vcc_lo, s5
	s_waitcnt vmcnt(0) lgkmcnt(0)
	v_fma_f64 v[37:38], v[45:46], v[47:48], v[37:38]
	s_andn2_b32 exec_lo, exec_lo, s5
	s_cbranch_execnz .LBB17_25
; %bb.26:
	s_or_b32 exec_lo, exec_lo, s5
	v_mov_b32_e32 v42, 0
	ds_read_b64 v[42:43], v42 offset:32
	s_waitcnt lgkmcnt(0)
	v_mul_f64 v[37:38], v[37:38], v[42:43]
	buffer_store_dword v38, off, s[0:3], 0 offset:36
	buffer_store_dword v37, off, s[0:3], 0 offset:32
.LBB17_27:
	s_or_b32 exec_lo, exec_lo, s4
	s_waitcnt_vscnt null, 0x0
	s_barrier
	buffer_gl0_inv
	s_clause 0x1
	buffer_load_dword v37, off, s[0:3], 0 offset:40
	buffer_load_dword v38, off, s[0:3], 0 offset:44
	;; [unrolled: 45-line block ×14, first 2 shown]
	s_mov_b32 s4, exec_lo
	s_waitcnt vmcnt(0)
	ds_write_b64 v40, v[37:38]
	s_waitcnt lgkmcnt(0)
	s_barrier
	buffer_gl0_inv
	v_cmpx_ne_u32_e32 17, v0
	s_cbranch_execz .LBB17_79
; %bb.76:
	v_mov_b32_e32 v37, 0
	v_mov_b32_e32 v38, 0
	s_mov_b32 s5, 0
.LBB17_77:                              ; =>This Inner Loop Header: Depth=1
	s_clause 0x1
	buffer_load_dword v42, v39, s[0:3], 0 offen
	buffer_load_dword v43, v39, s[0:3], 0 offen offset:4
	ds_read_b64 v[44:45], v40
	v_add_nc_u32_e32 v41, 1, v41
	v_add_nc_u32_e32 v40, 8, v40
	;; [unrolled: 1-line block ×3, first 2 shown]
	v_cmp_lt_u32_e32 vcc_lo, 15, v41
	s_or_b32 s5, vcc_lo, s5
	s_waitcnt vmcnt(0) lgkmcnt(0)
	v_fma_f64 v[37:38], v[42:43], v[44:45], v[37:38]
	s_andn2_b32 exec_lo, exec_lo, s5
	s_cbranch_execnz .LBB17_77
; %bb.78:
	s_or_b32 exec_lo, exec_lo, s5
	v_mov_b32_e32 v39, 0
	ds_read_b64 v[39:40], v39 offset:136
	s_waitcnt lgkmcnt(0)
	v_mul_f64 v[37:38], v[37:38], v[39:40]
	buffer_store_dword v38, off, s[0:3], 0 offset:140
	buffer_store_dword v37, off, s[0:3], 0 offset:136
.LBB17_79:
	s_or_b32 exec_lo, exec_lo, s4
	s_mov_b32 s5, -1
	s_waitcnt_vscnt null, 0x0
	s_barrier
	buffer_gl0_inv
.LBB17_80:
	s_and_b32 vcc_lo, exec_lo, s5
	s_cbranch_vccz .LBB17_82
; %bb.81:
	s_lshl_b64 s[4:5], s[6:7], 2
	v_mov_b32_e32 v37, 0
	s_add_u32 s4, s10, s4
	s_addc_u32 s5, s11, s5
	global_load_dword v37, v37, s[4:5]
	s_waitcnt vmcnt(0)
	v_cmp_ne_u32_e32 vcc_lo, 0, v37
	s_cbranch_vccz .LBB17_83
.LBB17_82:
	s_endpgm
.LBB17_83:
	v_lshl_add_u32 v37, v0, 3, 0x90
	s_mov_b32 s4, exec_lo
	v_cmpx_eq_u32_e32 17, v0
	s_cbranch_execz .LBB17_85
; %bb.84:
	s_clause 0x1
	buffer_load_dword v38, off, s[0:3], 0 offset:128
	buffer_load_dword v39, off, s[0:3], 0 offset:132
	v_mov_b32_e32 v40, 0
	buffer_store_dword v40, off, s[0:3], 0 offset:128
	buffer_store_dword v40, off, s[0:3], 0 offset:132
	s_waitcnt vmcnt(0)
	ds_write_b64 v37, v[38:39]
.LBB17_85:
	s_or_b32 exec_lo, exec_lo, s4
	s_waitcnt lgkmcnt(0)
	s_waitcnt_vscnt null, 0x0
	s_barrier
	buffer_gl0_inv
	s_clause 0x3
	buffer_load_dword v39, off, s[0:3], 0 offset:136
	buffer_load_dword v40, off, s[0:3], 0 offset:140
	;; [unrolled: 1-line block ×4, first 2 shown]
	v_mov_b32_e32 v38, 0
	s_mov_b32 s4, exec_lo
	ds_read_b64 v[43:44], v38 offset:280
	s_waitcnt vmcnt(2) lgkmcnt(0)
	v_fma_f64 v[39:40], v[39:40], v[43:44], 0
	s_waitcnt vmcnt(0)
	v_add_f64 v[39:40], v[41:42], -v[39:40]
	buffer_store_dword v39, off, s[0:3], 0 offset:128
	buffer_store_dword v40, off, s[0:3], 0 offset:132
	v_cmpx_lt_u32_e32 15, v0
	s_cbranch_execz .LBB17_87
; %bb.86:
	s_clause 0x1
	buffer_load_dword v39, off, s[0:3], 0 offset:120
	buffer_load_dword v40, off, s[0:3], 0 offset:124
	buffer_store_dword v38, off, s[0:3], 0 offset:120
	buffer_store_dword v38, off, s[0:3], 0 offset:124
	s_waitcnt vmcnt(0)
	ds_write_b64 v37, v[39:40]
.LBB17_87:
	s_or_b32 exec_lo, exec_lo, s4
	s_waitcnt lgkmcnt(0)
	s_waitcnt_vscnt null, 0x0
	s_barrier
	buffer_gl0_inv
	s_clause 0x5
	buffer_load_dword v42, off, s[0:3], 0 offset:128
	buffer_load_dword v43, off, s[0:3], 0 offset:132
	;; [unrolled: 1-line block ×6, first 2 shown]
	ds_read_b128 v[38:41], v38 offset:272
	s_mov_b32 s4, exec_lo
	s_waitcnt vmcnt(4) lgkmcnt(0)
	v_fma_f64 v[38:39], v[42:43], v[38:39], 0
	s_waitcnt vmcnt(2)
	v_fma_f64 v[38:39], v[44:45], v[40:41], v[38:39]
	s_waitcnt vmcnt(0)
	v_add_f64 v[38:39], v[46:47], -v[38:39]
	buffer_store_dword v38, off, s[0:3], 0 offset:120
	buffer_store_dword v39, off, s[0:3], 0 offset:124
	v_cmpx_lt_u32_e32 14, v0
	s_cbranch_execz .LBB17_89
; %bb.88:
	s_clause 0x1
	buffer_load_dword v38, off, s[0:3], 0 offset:112
	buffer_load_dword v39, off, s[0:3], 0 offset:116
	v_mov_b32_e32 v40, 0
	buffer_store_dword v40, off, s[0:3], 0 offset:112
	buffer_store_dword v40, off, s[0:3], 0 offset:116
	s_waitcnt vmcnt(0)
	ds_write_b64 v37, v[38:39]
.LBB17_89:
	s_or_b32 exec_lo, exec_lo, s4
	s_waitcnt lgkmcnt(0)
	s_waitcnt_vscnt null, 0x0
	s_barrier
	buffer_gl0_inv
	s_clause 0x7
	buffer_load_dword v43, off, s[0:3], 0 offset:120
	buffer_load_dword v44, off, s[0:3], 0 offset:124
	;; [unrolled: 1-line block ×8, first 2 shown]
	v_mov_b32_e32 v38, 0
	ds_read2_b64 v[39:42], v38 offset0:33 offset1:34
	ds_read_b64 v[51:52], v38 offset:280
	s_mov_b32 s4, exec_lo
	s_waitcnt vmcnt(6) lgkmcnt(1)
	v_fma_f64 v[39:40], v[43:44], v[39:40], 0
	s_waitcnt vmcnt(4)
	v_fma_f64 v[39:40], v[45:46], v[41:42], v[39:40]
	s_waitcnt vmcnt(2) lgkmcnt(0)
	v_fma_f64 v[39:40], v[47:48], v[51:52], v[39:40]
	s_waitcnt vmcnt(0)
	v_add_f64 v[39:40], v[49:50], -v[39:40]
	buffer_store_dword v39, off, s[0:3], 0 offset:112
	buffer_store_dword v40, off, s[0:3], 0 offset:116
	v_cmpx_lt_u32_e32 13, v0
	s_cbranch_execz .LBB17_91
; %bb.90:
	s_clause 0x1
	buffer_load_dword v39, off, s[0:3], 0 offset:104
	buffer_load_dword v40, off, s[0:3], 0 offset:108
	buffer_store_dword v38, off, s[0:3], 0 offset:104
	buffer_store_dword v38, off, s[0:3], 0 offset:108
	s_waitcnt vmcnt(0)
	ds_write_b64 v37, v[39:40]
.LBB17_91:
	s_or_b32 exec_lo, exec_lo, s4
	s_waitcnt lgkmcnt(0)
	s_waitcnt_vscnt null, 0x0
	s_barrier
	buffer_gl0_inv
	s_clause 0x9
	buffer_load_dword v47, off, s[0:3], 0 offset:112
	buffer_load_dword v48, off, s[0:3], 0 offset:116
	;; [unrolled: 1-line block ×10, first 2 shown]
	ds_read_b128 v[39:42], v38 offset:256
	ds_read_b128 v[43:46], v38 offset:272
	s_mov_b32 s4, exec_lo
	s_waitcnt vmcnt(8) lgkmcnt(1)
	v_fma_f64 v[38:39], v[47:48], v[39:40], 0
	s_waitcnt vmcnt(6)
	v_fma_f64 v[38:39], v[49:50], v[41:42], v[38:39]
	s_waitcnt vmcnt(4) lgkmcnt(0)
	v_fma_f64 v[38:39], v[51:52], v[43:44], v[38:39]
	s_waitcnt vmcnt(2)
	v_fma_f64 v[38:39], v[53:54], v[45:46], v[38:39]
	s_waitcnt vmcnt(0)
	v_add_f64 v[38:39], v[55:56], -v[38:39]
	buffer_store_dword v38, off, s[0:3], 0 offset:104
	buffer_store_dword v39, off, s[0:3], 0 offset:108
	v_cmpx_lt_u32_e32 12, v0
	s_cbranch_execz .LBB17_93
; %bb.92:
	s_clause 0x1
	buffer_load_dword v38, off, s[0:3], 0 offset:96
	buffer_load_dword v39, off, s[0:3], 0 offset:100
	v_mov_b32_e32 v40, 0
	buffer_store_dword v40, off, s[0:3], 0 offset:96
	buffer_store_dword v40, off, s[0:3], 0 offset:100
	s_waitcnt vmcnt(0)
	ds_write_b64 v37, v[38:39]
.LBB17_93:
	s_or_b32 exec_lo, exec_lo, s4
	s_waitcnt lgkmcnt(0)
	s_waitcnt_vscnt null, 0x0
	s_barrier
	buffer_gl0_inv
	s_clause 0xb
	buffer_load_dword v47, off, s[0:3], 0 offset:104
	buffer_load_dword v48, off, s[0:3], 0 offset:108
	;; [unrolled: 1-line block ×12, first 2 shown]
	v_mov_b32_e32 v38, 0
	ds_read2_b64 v[39:42], v38 offset0:31 offset1:32
	ds_read2_b64 v[43:46], v38 offset0:33 offset1:34
	s_mov_b32 s4, exec_lo
	s_waitcnt vmcnt(10) lgkmcnt(1)
	v_fma_f64 v[39:40], v[47:48], v[39:40], 0
	s_waitcnt vmcnt(8)
	v_fma_f64 v[39:40], v[49:50], v[41:42], v[39:40]
	ds_read_b64 v[41:42], v38 offset:280
	s_waitcnt vmcnt(6) lgkmcnt(1)
	v_fma_f64 v[39:40], v[51:52], v[43:44], v[39:40]
	s_waitcnt vmcnt(4)
	v_fma_f64 v[39:40], v[53:54], v[45:46], v[39:40]
	s_waitcnt vmcnt(2) lgkmcnt(0)
	v_fma_f64 v[39:40], v[55:56], v[41:42], v[39:40]
	s_waitcnt vmcnt(0)
	v_add_f64 v[39:40], v[57:58], -v[39:40]
	buffer_store_dword v39, off, s[0:3], 0 offset:96
	buffer_store_dword v40, off, s[0:3], 0 offset:100
	v_cmpx_lt_u32_e32 11, v0
	s_cbranch_execz .LBB17_95
; %bb.94:
	s_clause 0x1
	buffer_load_dword v39, off, s[0:3], 0 offset:88
	buffer_load_dword v40, off, s[0:3], 0 offset:92
	buffer_store_dword v38, off, s[0:3], 0 offset:88
	buffer_store_dword v38, off, s[0:3], 0 offset:92
	s_waitcnt vmcnt(0)
	ds_write_b64 v37, v[39:40]
.LBB17_95:
	s_or_b32 exec_lo, exec_lo, s4
	s_waitcnt lgkmcnt(0)
	s_waitcnt_vscnt null, 0x0
	s_barrier
	buffer_gl0_inv
	s_clause 0xd
	buffer_load_dword v47, off, s[0:3], 0 offset:96
	buffer_load_dword v48, off, s[0:3], 0 offset:100
	;; [unrolled: 1-line block ×14, first 2 shown]
	ds_read_b128 v[39:42], v38 offset:240
	ds_read_b128 v[43:46], v38 offset:256
	s_mov_b32 s4, exec_lo
	s_waitcnt vmcnt(12) lgkmcnt(1)
	v_fma_f64 v[39:40], v[47:48], v[39:40], 0
	s_waitcnt vmcnt(10)
	v_fma_f64 v[39:40], v[49:50], v[41:42], v[39:40]
	s_waitcnt vmcnt(8) lgkmcnt(0)
	v_fma_f64 v[39:40], v[51:52], v[43:44], v[39:40]
	s_waitcnt vmcnt(6)
	v_fma_f64 v[42:43], v[53:54], v[45:46], v[39:40]
	ds_read_b128 v[38:41], v38 offset:272
	s_waitcnt vmcnt(4) lgkmcnt(0)
	v_fma_f64 v[38:39], v[55:56], v[38:39], v[42:43]
	s_waitcnt vmcnt(2)
	v_fma_f64 v[38:39], v[57:58], v[40:41], v[38:39]
	s_waitcnt vmcnt(0)
	v_add_f64 v[38:39], v[59:60], -v[38:39]
	buffer_store_dword v38, off, s[0:3], 0 offset:88
	buffer_store_dword v39, off, s[0:3], 0 offset:92
	v_cmpx_lt_u32_e32 10, v0
	s_cbranch_execz .LBB17_97
; %bb.96:
	s_clause 0x1
	buffer_load_dword v38, off, s[0:3], 0 offset:80
	buffer_load_dword v39, off, s[0:3], 0 offset:84
	v_mov_b32_e32 v40, 0
	buffer_store_dword v40, off, s[0:3], 0 offset:80
	buffer_store_dword v40, off, s[0:3], 0 offset:84
	s_waitcnt vmcnt(0)
	ds_write_b64 v37, v[38:39]
.LBB17_97:
	s_or_b32 exec_lo, exec_lo, s4
	s_waitcnt lgkmcnt(0)
	s_waitcnt_vscnt null, 0x0
	s_barrier
	buffer_gl0_inv
	s_clause 0xf
	buffer_load_dword v43, off, s[0:3], 0 offset:88
	buffer_load_dword v44, off, s[0:3], 0 offset:92
	;; [unrolled: 1-line block ×16, first 2 shown]
	v_mov_b32_e32 v38, 0
	s_mov_b32 s4, exec_lo
	ds_read2_b64 v[39:42], v38 offset0:29 offset1:30
	s_waitcnt vmcnt(14) lgkmcnt(0)
	v_fma_f64 v[39:40], v[43:44], v[39:40], 0
	s_waitcnt vmcnt(12)
	v_fma_f64 v[43:44], v[45:46], v[41:42], v[39:40]
	ds_read2_b64 v[39:42], v38 offset0:31 offset1:32
	s_waitcnt vmcnt(10) lgkmcnt(0)
	v_fma_f64 v[39:40], v[47:48], v[39:40], v[43:44]
	s_waitcnt vmcnt(8)
	v_fma_f64 v[43:44], v[49:50], v[41:42], v[39:40]
	;; [unrolled: 5-line block ×3, first 2 shown]
	ds_read_b64 v[41:42], v38 offset:280
	s_waitcnt vmcnt(2) lgkmcnt(0)
	v_fma_f64 v[39:40], v[55:56], v[41:42], v[39:40]
	s_waitcnt vmcnt(0)
	v_add_f64 v[39:40], v[57:58], -v[39:40]
	buffer_store_dword v39, off, s[0:3], 0 offset:80
	buffer_store_dword v40, off, s[0:3], 0 offset:84
	v_cmpx_lt_u32_e32 9, v0
	s_cbranch_execz .LBB17_99
; %bb.98:
	s_clause 0x1
	buffer_load_dword v39, off, s[0:3], 0 offset:72
	buffer_load_dword v40, off, s[0:3], 0 offset:76
	buffer_store_dword v38, off, s[0:3], 0 offset:72
	buffer_store_dword v38, off, s[0:3], 0 offset:76
	s_waitcnt vmcnt(0)
	ds_write_b64 v37, v[39:40]
.LBB17_99:
	s_or_b32 exec_lo, exec_lo, s4
	s_waitcnt lgkmcnt(0)
	s_waitcnt_vscnt null, 0x0
	s_barrier
	buffer_gl0_inv
	s_clause 0x11
	buffer_load_dword v43, off, s[0:3], 0 offset:80
	buffer_load_dword v44, off, s[0:3], 0 offset:84
	;; [unrolled: 1-line block ×18, first 2 shown]
	ds_read_b128 v[39:42], v38 offset:224
	s_mov_b32 s4, exec_lo
	s_waitcnt vmcnt(16) lgkmcnt(0)
	v_fma_f64 v[39:40], v[43:44], v[39:40], 0
	s_waitcnt vmcnt(14)
	v_fma_f64 v[43:44], v[45:46], v[41:42], v[39:40]
	ds_read_b128 v[39:42], v38 offset:240
	s_waitcnt vmcnt(12) lgkmcnt(0)
	v_fma_f64 v[39:40], v[47:48], v[39:40], v[43:44]
	s_waitcnt vmcnt(10)
	v_fma_f64 v[43:44], v[49:50], v[41:42], v[39:40]
	ds_read_b128 v[39:42], v38 offset:256
	;; [unrolled: 5-line block ×3, first 2 shown]
	s_waitcnt vmcnt(4) lgkmcnt(0)
	v_fma_f64 v[38:39], v[55:56], v[38:39], v[42:43]
	s_waitcnt vmcnt(2)
	v_fma_f64 v[38:39], v[57:58], v[40:41], v[38:39]
	s_waitcnt vmcnt(0)
	v_add_f64 v[38:39], v[59:60], -v[38:39]
	buffer_store_dword v38, off, s[0:3], 0 offset:72
	buffer_store_dword v39, off, s[0:3], 0 offset:76
	v_cmpx_lt_u32_e32 8, v0
	s_cbranch_execz .LBB17_101
; %bb.100:
	s_clause 0x1
	buffer_load_dword v38, off, s[0:3], 0 offset:64
	buffer_load_dword v39, off, s[0:3], 0 offset:68
	v_mov_b32_e32 v40, 0
	buffer_store_dword v40, off, s[0:3], 0 offset:64
	buffer_store_dword v40, off, s[0:3], 0 offset:68
	s_waitcnt vmcnt(0)
	ds_write_b64 v37, v[38:39]
.LBB17_101:
	s_or_b32 exec_lo, exec_lo, s4
	s_waitcnt lgkmcnt(0)
	s_waitcnt_vscnt null, 0x0
	s_barrier
	buffer_gl0_inv
	s_clause 0x13
	buffer_load_dword v43, off, s[0:3], 0 offset:72
	buffer_load_dword v44, off, s[0:3], 0 offset:76
	;; [unrolled: 1-line block ×20, first 2 shown]
	v_mov_b32_e32 v38, 0
	s_mov_b32 s4, exec_lo
	ds_read2_b64 v[39:42], v38 offset0:27 offset1:28
	s_waitcnt vmcnt(18) lgkmcnt(0)
	v_fma_f64 v[39:40], v[43:44], v[39:40], 0
	s_waitcnt vmcnt(16)
	v_fma_f64 v[43:44], v[45:46], v[41:42], v[39:40]
	ds_read2_b64 v[39:42], v38 offset0:29 offset1:30
	s_waitcnt vmcnt(14) lgkmcnt(0)
	v_fma_f64 v[39:40], v[47:48], v[39:40], v[43:44]
	s_waitcnt vmcnt(12)
	v_fma_f64 v[43:44], v[49:50], v[41:42], v[39:40]
	;; [unrolled: 5-line block ×4, first 2 shown]
	ds_read_b64 v[41:42], v38 offset:280
	s_waitcnt vmcnt(2) lgkmcnt(0)
	v_fma_f64 v[39:40], v[59:60], v[41:42], v[39:40]
	s_waitcnt vmcnt(0)
	v_add_f64 v[39:40], v[61:62], -v[39:40]
	buffer_store_dword v39, off, s[0:3], 0 offset:64
	buffer_store_dword v40, off, s[0:3], 0 offset:68
	v_cmpx_lt_u32_e32 7, v0
	s_cbranch_execz .LBB17_103
; %bb.102:
	s_clause 0x1
	buffer_load_dword v39, off, s[0:3], 0 offset:56
	buffer_load_dword v40, off, s[0:3], 0 offset:60
	buffer_store_dword v38, off, s[0:3], 0 offset:56
	buffer_store_dword v38, off, s[0:3], 0 offset:60
	s_waitcnt vmcnt(0)
	ds_write_b64 v37, v[39:40]
.LBB17_103:
	s_or_b32 exec_lo, exec_lo, s4
	s_waitcnt lgkmcnt(0)
	s_waitcnt_vscnt null, 0x0
	s_barrier
	buffer_gl0_inv
	s_clause 0x15
	buffer_load_dword v47, off, s[0:3], 0 offset:64
	buffer_load_dword v48, off, s[0:3], 0 offset:68
	;; [unrolled: 1-line block ×22, first 2 shown]
	ds_read_b128 v[39:42], v38 offset:208
	ds_read_b128 v[43:46], v38 offset:224
	s_mov_b32 s4, exec_lo
	s_waitcnt vmcnt(20) lgkmcnt(1)
	v_fma_f64 v[39:40], v[47:48], v[39:40], 0
	s_waitcnt vmcnt(18)
	v_fma_f64 v[39:40], v[49:50], v[41:42], v[39:40]
	s_waitcnt vmcnt(16) lgkmcnt(0)
	v_fma_f64 v[39:40], v[51:52], v[43:44], v[39:40]
	s_waitcnt vmcnt(14)
	v_fma_f64 v[47:48], v[53:54], v[45:46], v[39:40]
	ds_read_b128 v[39:42], v38 offset:240
	ds_read_b128 v[43:46], v38 offset:256
	s_waitcnt vmcnt(12) lgkmcnt(1)
	v_fma_f64 v[39:40], v[55:56], v[39:40], v[47:48]
	s_waitcnt vmcnt(10)
	v_fma_f64 v[39:40], v[57:58], v[41:42], v[39:40]
	s_waitcnt vmcnt(8) lgkmcnt(0)
	v_fma_f64 v[39:40], v[59:60], v[43:44], v[39:40]
	s_waitcnt vmcnt(4)
	v_fma_f64 v[42:43], v[61:62], v[45:46], v[39:40]
	ds_read_b128 v[38:41], v38 offset:272
	s_waitcnt vmcnt(3) lgkmcnt(0)
	v_fma_f64 v[38:39], v[65:66], v[38:39], v[42:43]
	s_waitcnt vmcnt(2)
	v_fma_f64 v[38:39], v[63:64], v[40:41], v[38:39]
	s_waitcnt vmcnt(0)
	v_add_f64 v[38:39], v[67:68], -v[38:39]
	buffer_store_dword v38, off, s[0:3], 0 offset:56
	buffer_store_dword v39, off, s[0:3], 0 offset:60
	v_cmpx_lt_u32_e32 6, v0
	s_cbranch_execz .LBB17_105
; %bb.104:
	s_clause 0x1
	buffer_load_dword v38, off, s[0:3], 0 offset:48
	buffer_load_dword v39, off, s[0:3], 0 offset:52
	v_mov_b32_e32 v40, 0
	buffer_store_dword v40, off, s[0:3], 0 offset:48
	buffer_store_dword v40, off, s[0:3], 0 offset:52
	s_waitcnt vmcnt(0)
	ds_write_b64 v37, v[38:39]
.LBB17_105:
	s_or_b32 exec_lo, exec_lo, s4
	s_waitcnt lgkmcnt(0)
	s_waitcnt_vscnt null, 0x0
	s_barrier
	buffer_gl0_inv
	s_clause 0x17
	buffer_load_dword v47, off, s[0:3], 0 offset:56
	buffer_load_dword v48, off, s[0:3], 0 offset:60
	buffer_load_dword v49, off, s[0:3], 0 offset:64
	buffer_load_dword v50, off, s[0:3], 0 offset:68
	buffer_load_dword v51, off, s[0:3], 0 offset:72
	buffer_load_dword v52, off, s[0:3], 0 offset:76
	buffer_load_dword v53, off, s[0:3], 0 offset:80
	buffer_load_dword v54, off, s[0:3], 0 offset:84
	buffer_load_dword v55, off, s[0:3], 0 offset:88
	buffer_load_dword v56, off, s[0:3], 0 offset:92
	buffer_load_dword v57, off, s[0:3], 0 offset:96
	buffer_load_dword v58, off, s[0:3], 0 offset:100
	buffer_load_dword v59, off, s[0:3], 0 offset:104
	buffer_load_dword v60, off, s[0:3], 0 offset:108
	buffer_load_dword v62, off, s[0:3], 0 offset:116
	buffer_load_dword v63, off, s[0:3], 0 offset:136
	buffer_load_dword v65, off, s[0:3], 0 offset:128
	buffer_load_dword v67, off, s[0:3], 0 offset:120
	buffer_load_dword v61, off, s[0:3], 0 offset:112
	buffer_load_dword v68, off, s[0:3], 0 offset:124
	buffer_load_dword v66, off, s[0:3], 0 offset:132
	buffer_load_dword v64, off, s[0:3], 0 offset:140
	buffer_load_dword v69, off, s[0:3], 0 offset:48
	buffer_load_dword v70, off, s[0:3], 0 offset:52
	v_mov_b32_e32 v38, 0
	ds_read2_b64 v[39:42], v38 offset0:25 offset1:26
	ds_read2_b64 v[43:46], v38 offset0:27 offset1:28
	s_mov_b32 s4, exec_lo
	s_waitcnt vmcnt(22) lgkmcnt(1)
	v_fma_f64 v[39:40], v[47:48], v[39:40], 0
	s_waitcnt vmcnt(20)
	v_fma_f64 v[39:40], v[49:50], v[41:42], v[39:40]
	s_waitcnt vmcnt(18) lgkmcnt(0)
	v_fma_f64 v[39:40], v[51:52], v[43:44], v[39:40]
	s_waitcnt vmcnt(16)
	v_fma_f64 v[47:48], v[53:54], v[45:46], v[39:40]
	ds_read2_b64 v[39:42], v38 offset0:29 offset1:30
	ds_read2_b64 v[43:46], v38 offset0:31 offset1:32
	s_waitcnt vmcnt(14) lgkmcnt(1)
	v_fma_f64 v[39:40], v[55:56], v[39:40], v[47:48]
	s_waitcnt vmcnt(12)
	v_fma_f64 v[39:40], v[57:58], v[41:42], v[39:40]
	s_waitcnt vmcnt(10) lgkmcnt(0)
	v_fma_f64 v[39:40], v[59:60], v[43:44], v[39:40]
	s_waitcnt vmcnt(5)
	v_fma_f64 v[43:44], v[61:62], v[45:46], v[39:40]
	ds_read2_b64 v[39:42], v38 offset0:33 offset1:34
	ds_read_b64 v[45:46], v38 offset:280
	s_waitcnt vmcnt(4) lgkmcnt(1)
	v_fma_f64 v[39:40], v[67:68], v[39:40], v[43:44]
	s_waitcnt vmcnt(3)
	v_fma_f64 v[39:40], v[65:66], v[41:42], v[39:40]
	s_waitcnt vmcnt(2) lgkmcnt(0)
	v_fma_f64 v[39:40], v[63:64], v[45:46], v[39:40]
	s_waitcnt vmcnt(0)
	v_add_f64 v[39:40], v[69:70], -v[39:40]
	buffer_store_dword v40, off, s[0:3], 0 offset:52
	buffer_store_dword v39, off, s[0:3], 0 offset:48
	v_cmpx_lt_u32_e32 5, v0
	s_cbranch_execz .LBB17_107
; %bb.106:
	s_clause 0x1
	buffer_load_dword v39, off, s[0:3], 0 offset:40
	buffer_load_dword v40, off, s[0:3], 0 offset:44
	buffer_store_dword v38, off, s[0:3], 0 offset:40
	buffer_store_dword v38, off, s[0:3], 0 offset:44
	s_waitcnt vmcnt(0)
	ds_write_b64 v37, v[39:40]
.LBB17_107:
	s_or_b32 exec_lo, exec_lo, s4
	s_waitcnt lgkmcnt(0)
	s_waitcnt_vscnt null, 0x0
	s_barrier
	buffer_gl0_inv
	s_clause 0x19
	buffer_load_dword v47, off, s[0:3], 0 offset:48
	buffer_load_dword v48, off, s[0:3], 0 offset:52
	;; [unrolled: 1-line block ×26, first 2 shown]
	ds_read_b128 v[39:42], v38 offset:192
	ds_read_b128 v[43:46], v38 offset:208
	s_mov_b32 s4, exec_lo
	s_waitcnt vmcnt(24) lgkmcnt(1)
	v_fma_f64 v[39:40], v[47:48], v[39:40], 0
	s_waitcnt vmcnt(22)
	v_fma_f64 v[39:40], v[49:50], v[41:42], v[39:40]
	s_waitcnt vmcnt(20) lgkmcnt(0)
	v_fma_f64 v[39:40], v[51:52], v[43:44], v[39:40]
	s_waitcnt vmcnt(18)
	v_fma_f64 v[47:48], v[53:54], v[45:46], v[39:40]
	ds_read_b128 v[39:42], v38 offset:224
	ds_read_b128 v[43:46], v38 offset:240
	s_waitcnt vmcnt(16) lgkmcnt(1)
	v_fma_f64 v[39:40], v[55:56], v[39:40], v[47:48]
	s_waitcnt vmcnt(14)
	v_fma_f64 v[39:40], v[57:58], v[41:42], v[39:40]
	s_waitcnt vmcnt(12) lgkmcnt(0)
	v_fma_f64 v[39:40], v[59:60], v[43:44], v[39:40]
	s_waitcnt vmcnt(7)
	v_fma_f64 v[47:48], v[61:62], v[45:46], v[39:40]
	ds_read_b128 v[39:42], v38 offset:256
	ds_read_b128 v[43:46], v38 offset:272
	s_waitcnt vmcnt(6) lgkmcnt(1)
	v_fma_f64 v[38:39], v[67:68], v[39:40], v[47:48]
	s_waitcnt vmcnt(5)
	v_fma_f64 v[38:39], v[65:66], v[41:42], v[38:39]
	s_waitcnt vmcnt(4) lgkmcnt(0)
	v_fma_f64 v[38:39], v[63:64], v[43:44], v[38:39]
	s_waitcnt vmcnt(2)
	v_fma_f64 v[38:39], v[69:70], v[45:46], v[38:39]
	s_waitcnt vmcnt(0)
	v_add_f64 v[38:39], v[71:72], -v[38:39]
	buffer_store_dword v39, off, s[0:3], 0 offset:44
	buffer_store_dword v38, off, s[0:3], 0 offset:40
	v_cmpx_lt_u32_e32 4, v0
	s_cbranch_execz .LBB17_109
; %bb.108:
	s_clause 0x1
	buffer_load_dword v38, off, s[0:3], 0 offset:32
	buffer_load_dword v39, off, s[0:3], 0 offset:36
	v_mov_b32_e32 v40, 0
	buffer_store_dword v40, off, s[0:3], 0 offset:32
	buffer_store_dword v40, off, s[0:3], 0 offset:36
	s_waitcnt vmcnt(0)
	ds_write_b64 v37, v[38:39]
.LBB17_109:
	s_or_b32 exec_lo, exec_lo, s4
	s_waitcnt lgkmcnt(0)
	s_waitcnt_vscnt null, 0x0
	s_barrier
	buffer_gl0_inv
	s_clause 0x1b
	buffer_load_dword v47, off, s[0:3], 0 offset:40
	buffer_load_dword v48, off, s[0:3], 0 offset:44
	buffer_load_dword v49, off, s[0:3], 0 offset:48
	buffer_load_dword v50, off, s[0:3], 0 offset:52
	buffer_load_dword v51, off, s[0:3], 0 offset:56
	buffer_load_dword v52, off, s[0:3], 0 offset:60
	buffer_load_dword v53, off, s[0:3], 0 offset:64
	buffer_load_dword v54, off, s[0:3], 0 offset:68
	buffer_load_dword v55, off, s[0:3], 0 offset:72
	buffer_load_dword v56, off, s[0:3], 0 offset:76
	buffer_load_dword v57, off, s[0:3], 0 offset:80
	buffer_load_dword v58, off, s[0:3], 0 offset:84
	buffer_load_dword v59, off, s[0:3], 0 offset:88
	buffer_load_dword v60, off, s[0:3], 0 offset:92
	buffer_load_dword v62, off, s[0:3], 0 offset:100
	buffer_load_dword v63, off, s[0:3], 0 offset:120
	buffer_load_dword v65, off, s[0:3], 0 offset:112
	buffer_load_dword v67, off, s[0:3], 0 offset:104
	buffer_load_dword v61, off, s[0:3], 0 offset:96
	buffer_load_dword v68, off, s[0:3], 0 offset:108
	buffer_load_dword v66, off, s[0:3], 0 offset:116
	buffer_load_dword v64, off, s[0:3], 0 offset:124
	buffer_load_dword v70, off, s[0:3], 0 offset:132
	buffer_load_dword v71, off, s[0:3], 0 offset:136
	buffer_load_dword v69, off, s[0:3], 0 offset:128
	buffer_load_dword v72, off, s[0:3], 0 offset:140
	buffer_load_dword v73, off, s[0:3], 0 offset:32
	buffer_load_dword v74, off, s[0:3], 0 offset:36
	v_mov_b32_e32 v38, 0
	ds_read2_b64 v[39:42], v38 offset0:23 offset1:24
	ds_read2_b64 v[43:46], v38 offset0:25 offset1:26
	s_mov_b32 s4, exec_lo
	s_waitcnt vmcnt(26) lgkmcnt(1)
	v_fma_f64 v[39:40], v[47:48], v[39:40], 0
	s_waitcnt vmcnt(24)
	v_fma_f64 v[39:40], v[49:50], v[41:42], v[39:40]
	s_waitcnt vmcnt(22) lgkmcnt(0)
	v_fma_f64 v[39:40], v[51:52], v[43:44], v[39:40]
	s_waitcnt vmcnt(20)
	v_fma_f64 v[47:48], v[53:54], v[45:46], v[39:40]
	ds_read2_b64 v[39:42], v38 offset0:27 offset1:28
	ds_read2_b64 v[43:46], v38 offset0:29 offset1:30
	s_waitcnt vmcnt(18) lgkmcnt(1)
	v_fma_f64 v[39:40], v[55:56], v[39:40], v[47:48]
	s_waitcnt vmcnt(16)
	v_fma_f64 v[39:40], v[57:58], v[41:42], v[39:40]
	s_waitcnt vmcnt(14) lgkmcnt(0)
	v_fma_f64 v[39:40], v[59:60], v[43:44], v[39:40]
	s_waitcnt vmcnt(9)
	v_fma_f64 v[47:48], v[61:62], v[45:46], v[39:40]
	ds_read2_b64 v[39:42], v38 offset0:31 offset1:32
	ds_read2_b64 v[43:46], v38 offset0:33 offset1:34
	s_waitcnt vmcnt(8) lgkmcnt(1)
	v_fma_f64 v[39:40], v[67:68], v[39:40], v[47:48]
	s_waitcnt vmcnt(7)
	v_fma_f64 v[39:40], v[65:66], v[41:42], v[39:40]
	ds_read_b64 v[41:42], v38 offset:280
	s_waitcnt vmcnt(6) lgkmcnt(1)
	v_fma_f64 v[39:40], v[63:64], v[43:44], v[39:40]
	s_waitcnt vmcnt(3)
	v_fma_f64 v[39:40], v[69:70], v[45:46], v[39:40]
	s_waitcnt vmcnt(2) lgkmcnt(0)
	v_fma_f64 v[39:40], v[71:72], v[41:42], v[39:40]
	s_waitcnt vmcnt(0)
	v_add_f64 v[39:40], v[73:74], -v[39:40]
	buffer_store_dword v40, off, s[0:3], 0 offset:36
	buffer_store_dword v39, off, s[0:3], 0 offset:32
	v_cmpx_lt_u32_e32 3, v0
	s_cbranch_execz .LBB17_111
; %bb.110:
	s_clause 0x1
	buffer_load_dword v39, off, s[0:3], 0 offset:24
	buffer_load_dword v40, off, s[0:3], 0 offset:28
	buffer_store_dword v38, off, s[0:3], 0 offset:24
	buffer_store_dword v38, off, s[0:3], 0 offset:28
	s_waitcnt vmcnt(0)
	ds_write_b64 v37, v[39:40]
.LBB17_111:
	s_or_b32 exec_lo, exec_lo, s4
	s_waitcnt lgkmcnt(0)
	s_waitcnt_vscnt null, 0x0
	s_barrier
	buffer_gl0_inv
	s_clause 0x1b
	buffer_load_dword v47, off, s[0:3], 0 offset:32
	buffer_load_dword v48, off, s[0:3], 0 offset:36
	;; [unrolled: 1-line block ×28, first 2 shown]
	ds_read_b128 v[39:42], v38 offset:176
	s_clause 0x1
	buffer_load_dword v75, off, s[0:3], 0 offset:24
	buffer_load_dword v76, off, s[0:3], 0 offset:28
	ds_read_b128 v[43:46], v38 offset:192
	s_mov_b32 s4, exec_lo
	s_waitcnt vmcnt(28) lgkmcnt(1)
	v_fma_f64 v[39:40], v[47:48], v[39:40], 0
	s_waitcnt vmcnt(26)
	v_fma_f64 v[39:40], v[49:50], v[41:42], v[39:40]
	s_waitcnt vmcnt(24) lgkmcnt(0)
	v_fma_f64 v[39:40], v[51:52], v[43:44], v[39:40]
	s_waitcnt vmcnt(22)
	v_fma_f64 v[47:48], v[53:54], v[45:46], v[39:40]
	ds_read_b128 v[39:42], v38 offset:208
	ds_read_b128 v[43:46], v38 offset:224
	s_waitcnt vmcnt(20) lgkmcnt(1)
	v_fma_f64 v[39:40], v[55:56], v[39:40], v[47:48]
	s_waitcnt vmcnt(18)
	v_fma_f64 v[39:40], v[57:58], v[41:42], v[39:40]
	s_waitcnt vmcnt(16) lgkmcnt(0)
	v_fma_f64 v[39:40], v[59:60], v[43:44], v[39:40]
	s_waitcnt vmcnt(11)
	v_fma_f64 v[47:48], v[61:62], v[45:46], v[39:40]
	ds_read_b128 v[39:42], v38 offset:240
	ds_read_b128 v[43:46], v38 offset:256
	s_waitcnt vmcnt(10) lgkmcnt(1)
	v_fma_f64 v[39:40], v[67:68], v[39:40], v[47:48]
	s_waitcnt vmcnt(9)
	v_fma_f64 v[39:40], v[65:66], v[41:42], v[39:40]
	s_waitcnt vmcnt(8) lgkmcnt(0)
	v_fma_f64 v[39:40], v[63:64], v[43:44], v[39:40]
	s_waitcnt vmcnt(4)
	v_fma_f64 v[42:43], v[69:70], v[45:46], v[39:40]
	ds_read_b128 v[38:41], v38 offset:272
	s_waitcnt vmcnt(3) lgkmcnt(0)
	v_fma_f64 v[38:39], v[73:74], v[38:39], v[42:43]
	s_waitcnt vmcnt(2)
	v_fma_f64 v[38:39], v[71:72], v[40:41], v[38:39]
	s_waitcnt vmcnt(0)
	v_add_f64 v[38:39], v[75:76], -v[38:39]
	buffer_store_dword v39, off, s[0:3], 0 offset:28
	buffer_store_dword v38, off, s[0:3], 0 offset:24
	v_cmpx_lt_u32_e32 2, v0
	s_cbranch_execz .LBB17_113
; %bb.112:
	s_clause 0x1
	buffer_load_dword v38, off, s[0:3], 0 offset:16
	buffer_load_dword v39, off, s[0:3], 0 offset:20
	v_mov_b32_e32 v40, 0
	buffer_store_dword v40, off, s[0:3], 0 offset:16
	buffer_store_dword v40, off, s[0:3], 0 offset:20
	s_waitcnt vmcnt(0)
	ds_write_b64 v37, v[38:39]
.LBB17_113:
	s_or_b32 exec_lo, exec_lo, s4
	s_waitcnt lgkmcnt(0)
	s_waitcnt_vscnt null, 0x0
	s_barrier
	buffer_gl0_inv
	s_clause 0x1c
	buffer_load_dword v47, off, s[0:3], 0 offset:24
	buffer_load_dword v48, off, s[0:3], 0 offset:28
	;; [unrolled: 1-line block ×29, first 2 shown]
	v_mov_b32_e32 v38, 0
	buffer_load_dword v72, off, s[0:3], 0 offset:140
	s_mov_b32 s4, exec_lo
	ds_read2_b64 v[39:42], v38 offset0:21 offset1:22
	ds_read2_b64 v[43:46], v38 offset0:23 offset1:24
	s_waitcnt vmcnt(28) lgkmcnt(1)
	v_fma_f64 v[39:40], v[47:48], v[39:40], 0
	s_clause 0x1
	buffer_load_dword v47, off, s[0:3], 0 offset:16
	buffer_load_dword v48, off, s[0:3], 0 offset:20
	s_waitcnt vmcnt(28)
	v_fma_f64 v[39:40], v[49:50], v[41:42], v[39:40]
	s_waitcnt vmcnt(26) lgkmcnt(0)
	v_fma_f64 v[39:40], v[51:52], v[43:44], v[39:40]
	s_waitcnt vmcnt(24)
	v_fma_f64 v[49:50], v[53:54], v[45:46], v[39:40]
	ds_read2_b64 v[39:42], v38 offset0:25 offset1:26
	ds_read2_b64 v[43:46], v38 offset0:27 offset1:28
	s_waitcnt vmcnt(22) lgkmcnt(1)
	v_fma_f64 v[39:40], v[55:56], v[39:40], v[49:50]
	s_waitcnt vmcnt(20)
	v_fma_f64 v[39:40], v[57:58], v[41:42], v[39:40]
	s_waitcnt vmcnt(18) lgkmcnt(0)
	v_fma_f64 v[39:40], v[59:60], v[43:44], v[39:40]
	s_waitcnt vmcnt(13)
	v_fma_f64 v[49:50], v[61:62], v[45:46], v[39:40]
	ds_read2_b64 v[39:42], v38 offset0:29 offset1:30
	ds_read2_b64 v[43:46], v38 offset0:31 offset1:32
	s_waitcnt vmcnt(12) lgkmcnt(1)
	v_fma_f64 v[39:40], v[67:68], v[39:40], v[49:50]
	s_waitcnt vmcnt(11)
	v_fma_f64 v[39:40], v[65:66], v[41:42], v[39:40]
	s_waitcnt vmcnt(10) lgkmcnt(0)
	v_fma_f64 v[39:40], v[63:64], v[43:44], v[39:40]
	s_waitcnt vmcnt(5)
	v_fma_f64 v[43:44], v[69:70], v[45:46], v[39:40]
	ds_read2_b64 v[39:42], v38 offset0:33 offset1:34
	ds_read_b64 v[45:46], v38 offset:280
	s_waitcnt vmcnt(4) lgkmcnt(1)
	v_fma_f64 v[39:40], v[75:76], v[39:40], v[43:44]
	s_waitcnt vmcnt(3)
	v_fma_f64 v[39:40], v[73:74], v[41:42], v[39:40]
	s_waitcnt vmcnt(2) lgkmcnt(0)
	v_fma_f64 v[39:40], v[71:72], v[45:46], v[39:40]
	s_waitcnt vmcnt(0)
	v_add_f64 v[39:40], v[47:48], -v[39:40]
	buffer_store_dword v40, off, s[0:3], 0 offset:20
	buffer_store_dword v39, off, s[0:3], 0 offset:16
	v_cmpx_lt_u32_e32 1, v0
	s_cbranch_execz .LBB17_115
; %bb.114:
	s_clause 0x1
	buffer_load_dword v39, off, s[0:3], 0 offset:8
	buffer_load_dword v40, off, s[0:3], 0 offset:12
	buffer_store_dword v38, off, s[0:3], 0 offset:8
	buffer_store_dword v38, off, s[0:3], 0 offset:12
	s_waitcnt vmcnt(0)
	ds_write_b64 v37, v[39:40]
.LBB17_115:
	s_or_b32 exec_lo, exec_lo, s4
	s_waitcnt lgkmcnt(0)
	s_waitcnt_vscnt null, 0x0
	s_barrier
	buffer_gl0_inv
	s_clause 0x1c
	buffer_load_dword v47, off, s[0:3], 0 offset:16
	buffer_load_dword v48, off, s[0:3], 0 offset:20
	;; [unrolled: 1-line block ×29, first 2 shown]
	ds_read_b128 v[39:42], v38 offset:160
	ds_read_b128 v[43:46], v38 offset:176
	buffer_load_dword v72, off, s[0:3], 0 offset:132
	s_mov_b32 s4, exec_lo
	s_waitcnt vmcnt(28) lgkmcnt(1)
	v_fma_f64 v[39:40], v[47:48], v[39:40], 0
	s_clause 0x1
	buffer_load_dword v48, off, s[0:3], 0 offset:140
	buffer_load_dword v47, off, s[0:3], 0 offset:136
	s_waitcnt vmcnt(28)
	v_fma_f64 v[39:40], v[49:50], v[41:42], v[39:40]
	s_clause 0x1
	buffer_load_dword v49, off, s[0:3], 0 offset:8
	buffer_load_dword v50, off, s[0:3], 0 offset:12
	s_waitcnt vmcnt(28) lgkmcnt(0)
	v_fma_f64 v[39:40], v[51:52], v[43:44], v[39:40]
	s_waitcnt vmcnt(26)
	v_fma_f64 v[51:52], v[53:54], v[45:46], v[39:40]
	ds_read_b128 v[39:42], v38 offset:192
	ds_read_b128 v[43:46], v38 offset:208
	s_waitcnt vmcnt(24) lgkmcnt(1)
	v_fma_f64 v[39:40], v[55:56], v[39:40], v[51:52]
	s_waitcnt vmcnt(22)
	v_fma_f64 v[39:40], v[57:58], v[41:42], v[39:40]
	s_waitcnt vmcnt(20) lgkmcnt(0)
	v_fma_f64 v[39:40], v[59:60], v[43:44], v[39:40]
	s_waitcnt vmcnt(15)
	v_fma_f64 v[51:52], v[61:62], v[45:46], v[39:40]
	ds_read_b128 v[39:42], v38 offset:224
	ds_read_b128 v[43:46], v38 offset:240
	s_waitcnt vmcnt(14) lgkmcnt(1)
	v_fma_f64 v[39:40], v[67:68], v[39:40], v[51:52]
	s_waitcnt vmcnt(13)
	v_fma_f64 v[39:40], v[65:66], v[41:42], v[39:40]
	;; [unrolled: 10-line block ×3, first 2 shown]
	s_waitcnt vmcnt(4) lgkmcnt(0)
	v_fma_f64 v[38:39], v[71:72], v[43:44], v[38:39]
	s_waitcnt vmcnt(2)
	v_fma_f64 v[38:39], v[47:48], v[45:46], v[38:39]
	s_waitcnt vmcnt(0)
	v_add_f64 v[38:39], v[49:50], -v[38:39]
	buffer_store_dword v39, off, s[0:3], 0 offset:12
	buffer_store_dword v38, off, s[0:3], 0 offset:8
	v_cmpx_ne_u32_e32 0, v0
	s_cbranch_execz .LBB17_117
; %bb.116:
	s_clause 0x1
	buffer_load_dword v38, off, s[0:3], 0
	buffer_load_dword v39, off, s[0:3], 0 offset:4
	v_mov_b32_e32 v0, 0
	buffer_store_dword v0, off, s[0:3], 0
	buffer_store_dword v0, off, s[0:3], 0 offset:4
	s_waitcnt vmcnt(0)
	ds_write_b64 v37, v[38:39]
.LBB17_117:
	s_or_b32 exec_lo, exec_lo, s4
	s_waitcnt lgkmcnt(0)
	s_waitcnt_vscnt null, 0x0
	s_barrier
	buffer_gl0_inv
	s_clause 0x1c
	buffer_load_dword v37, off, s[0:3], 0 offset:8
	buffer_load_dword v38, off, s[0:3], 0 offset:12
	;; [unrolled: 1-line block ×29, first 2 shown]
	v_mov_b32_e32 v0, 0
	buffer_load_dword v70, off, s[0:3], 0 offset:124
	s_and_b32 vcc_lo, exec_lo, s22
	ds_read2_b64 v[39:42], v0 offset0:19 offset1:20
	ds_read2_b64 v[43:46], v0 offset0:21 offset1:22
	s_waitcnt vmcnt(28) lgkmcnt(1)
	v_fma_f64 v[37:38], v[37:38], v[39:40], 0
	s_clause 0x3
	buffer_load_dword v40, off, s[0:3], 0 offset:132
	buffer_load_dword v75, off, s[0:3], 0 offset:136
	;; [unrolled: 1-line block ×4, first 2 shown]
	s_waitcnt vmcnt(30)
	v_fma_f64 v[37:38], v[47:48], v[41:42], v[37:38]
	s_waitcnt vmcnt(28) lgkmcnt(0)
	v_fma_f64 v[37:38], v[49:50], v[43:44], v[37:38]
	s_clause 0x1
	buffer_load_dword v49, off, s[0:3], 0
	buffer_load_dword v50, off, s[0:3], 0 offset:4
	s_waitcnt vmcnt(28)
	v_fma_f64 v[37:38], v[51:52], v[45:46], v[37:38]
	ds_read2_b64 v[41:44], v0 offset0:23 offset1:24
	ds_read2_b64 v[45:48], v0 offset0:25 offset1:26
	s_waitcnt vmcnt(26) lgkmcnt(1)
	v_fma_f64 v[37:38], v[53:54], v[41:42], v[37:38]
	s_waitcnt vmcnt(24)
	v_fma_f64 v[37:38], v[55:56], v[43:44], v[37:38]
	s_waitcnt vmcnt(22) lgkmcnt(0)
	v_fma_f64 v[37:38], v[57:58], v[45:46], v[37:38]
	s_waitcnt vmcnt(17)
	v_fma_f64 v[37:38], v[59:60], v[47:48], v[37:38]
	ds_read2_b64 v[41:44], v0 offset0:27 offset1:28
	ds_read2_b64 v[45:48], v0 offset0:29 offset1:30
	s_waitcnt vmcnt(16) lgkmcnt(1)
	v_fma_f64 v[37:38], v[65:66], v[41:42], v[37:38]
	s_waitcnt vmcnt(15)
	v_fma_f64 v[37:38], v[63:64], v[43:44], v[37:38]
	s_waitcnt vmcnt(14) lgkmcnt(0)
	v_fma_f64 v[37:38], v[61:62], v[45:46], v[37:38]
	s_waitcnt vmcnt(9)
	v_fma_f64 v[37:38], v[67:68], v[47:48], v[37:38]
	ds_read2_b64 v[41:44], v0 offset0:31 offset1:32
	ds_read2_b64 v[45:48], v0 offset0:33 offset1:34
	s_waitcnt vmcnt(8) lgkmcnt(1)
	v_fma_f64 v[37:38], v[73:74], v[41:42], v[37:38]
	ds_read_b64 v[41:42], v0 offset:280
	s_waitcnt vmcnt(7)
	v_fma_f64 v[37:38], v[71:72], v[43:44], v[37:38]
	s_waitcnt vmcnt(6) lgkmcnt(1)
	v_fma_f64 v[37:38], v[69:70], v[45:46], v[37:38]
	s_waitcnt vmcnt(3)
	v_fma_f64 v[37:38], v[39:40], v[47:48], v[37:38]
	s_waitcnt vmcnt(2) lgkmcnt(0)
	v_fma_f64 v[37:38], v[75:76], v[41:42], v[37:38]
	s_waitcnt vmcnt(0)
	v_add_f64 v[37:38], v[49:50], -v[37:38]
	buffer_store_dword v38, off, s[0:3], 0 offset:4
	buffer_store_dword v37, off, s[0:3], 0
	s_cbranch_vccz .LBB17_152
; %bb.118:
	global_load_dword v0, v0, s[20:21] offset:64
	s_waitcnt vmcnt(0)
	v_add_nc_u32_e32 v0, -1, v0
	v_cmp_ne_u32_e32 vcc_lo, 16, v0
	s_cbranch_vccz .LBB17_120
; %bb.119:
	v_lshlrev_b32_e32 v0, 3, v0
	s_clause 0x1
	buffer_load_dword v37, v0, s[0:3], 0 offen offset:4
	buffer_load_dword v38, v0, s[0:3], 0 offen
	s_waitcnt vmcnt(1)
	buffer_store_dword v37, off, s[0:3], 0 offset:132
	s_waitcnt vmcnt(0)
	buffer_store_dword v38, off, s[0:3], 0 offset:128
	buffer_store_dword v40, v0, s[0:3], 0 offen offset:4
	buffer_store_dword v39, v0, s[0:3], 0 offen
.LBB17_120:
	v_mov_b32_e32 v0, 0
	global_load_dword v37, v0, s[20:21] offset:60
	s_waitcnt vmcnt(0)
	v_add_nc_u32_e32 v37, -1, v37
	v_cmp_eq_u32_e32 vcc_lo, 15, v37
	s_cbranch_vccnz .LBB17_122
; %bb.121:
	v_lshlrev_b32_e32 v37, 3, v37
	s_clause 0x3
	buffer_load_dword v38, v37, s[0:3], 0 offen
	buffer_load_dword v39, v37, s[0:3], 0 offen offset:4
	buffer_load_dword v40, off, s[0:3], 0 offset:120
	buffer_load_dword v41, off, s[0:3], 0 offset:124
	s_waitcnt vmcnt(3)
	buffer_store_dword v38, off, s[0:3], 0 offset:120
	s_waitcnt vmcnt(2)
	buffer_store_dword v39, off, s[0:3], 0 offset:124
	s_waitcnt vmcnt(1)
	buffer_store_dword v40, v37, s[0:3], 0 offen
	s_waitcnt vmcnt(0)
	buffer_store_dword v41, v37, s[0:3], 0 offen offset:4
.LBB17_122:
	global_load_dword v0, v0, s[20:21] offset:56
	s_waitcnt vmcnt(0)
	v_add_nc_u32_e32 v0, -1, v0
	v_cmp_eq_u32_e32 vcc_lo, 14, v0
	s_cbranch_vccnz .LBB17_124
; %bb.123:
	v_lshlrev_b32_e32 v0, 3, v0
	s_clause 0x3
	buffer_load_dword v37, v0, s[0:3], 0 offen
	buffer_load_dword v38, v0, s[0:3], 0 offen offset:4
	buffer_load_dword v39, off, s[0:3], 0 offset:116
	buffer_load_dword v40, off, s[0:3], 0 offset:112
	s_waitcnt vmcnt(3)
	buffer_store_dword v37, off, s[0:3], 0 offset:112
	s_waitcnt vmcnt(2)
	buffer_store_dword v38, off, s[0:3], 0 offset:116
	s_waitcnt vmcnt(1)
	buffer_store_dword v39, v0, s[0:3], 0 offen offset:4
	s_waitcnt vmcnt(0)
	buffer_store_dword v40, v0, s[0:3], 0 offen
.LBB17_124:
	v_mov_b32_e32 v0, 0
	global_load_dword v37, v0, s[20:21] offset:52
	s_waitcnt vmcnt(0)
	v_add_nc_u32_e32 v37, -1, v37
	v_cmp_eq_u32_e32 vcc_lo, 13, v37
	s_cbranch_vccnz .LBB17_126
; %bb.125:
	v_lshlrev_b32_e32 v37, 3, v37
	s_clause 0x3
	buffer_load_dword v38, v37, s[0:3], 0 offen
	buffer_load_dword v39, v37, s[0:3], 0 offen offset:4
	buffer_load_dword v40, off, s[0:3], 0 offset:104
	buffer_load_dword v41, off, s[0:3], 0 offset:108
	s_waitcnt vmcnt(3)
	buffer_store_dword v38, off, s[0:3], 0 offset:104
	s_waitcnt vmcnt(2)
	buffer_store_dword v39, off, s[0:3], 0 offset:108
	s_waitcnt vmcnt(1)
	buffer_store_dword v40, v37, s[0:3], 0 offen
	s_waitcnt vmcnt(0)
	buffer_store_dword v41, v37, s[0:3], 0 offen offset:4
.LBB17_126:
	global_load_dword v0, v0, s[20:21] offset:48
	s_waitcnt vmcnt(0)
	v_add_nc_u32_e32 v0, -1, v0
	v_cmp_eq_u32_e32 vcc_lo, 12, v0
	s_cbranch_vccnz .LBB17_128
; %bb.127:
	v_lshlrev_b32_e32 v0, 3, v0
	s_clause 0x3
	buffer_load_dword v37, v0, s[0:3], 0 offen
	buffer_load_dword v38, v0, s[0:3], 0 offen offset:4
	buffer_load_dword v39, off, s[0:3], 0 offset:100
	buffer_load_dword v40, off, s[0:3], 0 offset:96
	s_waitcnt vmcnt(3)
	buffer_store_dword v37, off, s[0:3], 0 offset:96
	s_waitcnt vmcnt(2)
	buffer_store_dword v38, off, s[0:3], 0 offset:100
	s_waitcnt vmcnt(1)
	buffer_store_dword v39, v0, s[0:3], 0 offen offset:4
	s_waitcnt vmcnt(0)
	buffer_store_dword v40, v0, s[0:3], 0 offen
.LBB17_128:
	v_mov_b32_e32 v0, 0
	global_load_dword v37, v0, s[20:21] offset:44
	s_waitcnt vmcnt(0)
	v_add_nc_u32_e32 v37, -1, v37
	v_cmp_eq_u32_e32 vcc_lo, 11, v37
	s_cbranch_vccnz .LBB17_130
; %bb.129:
	v_lshlrev_b32_e32 v37, 3, v37
	s_clause 0x3
	buffer_load_dword v38, v37, s[0:3], 0 offen
	buffer_load_dword v39, v37, s[0:3], 0 offen offset:4
	buffer_load_dword v40, off, s[0:3], 0 offset:88
	buffer_load_dword v41, off, s[0:3], 0 offset:92
	s_waitcnt vmcnt(3)
	buffer_store_dword v38, off, s[0:3], 0 offset:88
	s_waitcnt vmcnt(2)
	buffer_store_dword v39, off, s[0:3], 0 offset:92
	s_waitcnt vmcnt(1)
	buffer_store_dword v40, v37, s[0:3], 0 offen
	s_waitcnt vmcnt(0)
	buffer_store_dword v41, v37, s[0:3], 0 offen offset:4
.LBB17_130:
	global_load_dword v0, v0, s[20:21] offset:40
	s_waitcnt vmcnt(0)
	v_add_nc_u32_e32 v0, -1, v0
	v_cmp_eq_u32_e32 vcc_lo, 10, v0
	s_cbranch_vccnz .LBB17_132
; %bb.131:
	v_lshlrev_b32_e32 v0, 3, v0
	s_clause 0x3
	buffer_load_dword v37, v0, s[0:3], 0 offen
	buffer_load_dword v38, v0, s[0:3], 0 offen offset:4
	buffer_load_dword v39, off, s[0:3], 0 offset:84
	buffer_load_dword v40, off, s[0:3], 0 offset:80
	s_waitcnt vmcnt(3)
	buffer_store_dword v37, off, s[0:3], 0 offset:80
	s_waitcnt vmcnt(2)
	buffer_store_dword v38, off, s[0:3], 0 offset:84
	s_waitcnt vmcnt(1)
	buffer_store_dword v39, v0, s[0:3], 0 offen offset:4
	s_waitcnt vmcnt(0)
	buffer_store_dword v40, v0, s[0:3], 0 offen
.LBB17_132:
	v_mov_b32_e32 v0, 0
	global_load_dword v37, v0, s[20:21] offset:36
	s_waitcnt vmcnt(0)
	v_add_nc_u32_e32 v37, -1, v37
	v_cmp_eq_u32_e32 vcc_lo, 9, v37
	s_cbranch_vccnz .LBB17_134
; %bb.133:
	v_lshlrev_b32_e32 v37, 3, v37
	s_clause 0x3
	buffer_load_dword v38, v37, s[0:3], 0 offen
	buffer_load_dword v39, v37, s[0:3], 0 offen offset:4
	buffer_load_dword v40, off, s[0:3], 0 offset:72
	buffer_load_dword v41, off, s[0:3], 0 offset:76
	s_waitcnt vmcnt(3)
	buffer_store_dword v38, off, s[0:3], 0 offset:72
	s_waitcnt vmcnt(2)
	buffer_store_dword v39, off, s[0:3], 0 offset:76
	s_waitcnt vmcnt(1)
	buffer_store_dword v40, v37, s[0:3], 0 offen
	s_waitcnt vmcnt(0)
	buffer_store_dword v41, v37, s[0:3], 0 offen offset:4
.LBB17_134:
	global_load_dword v0, v0, s[20:21] offset:32
	s_waitcnt vmcnt(0)
	v_add_nc_u32_e32 v0, -1, v0
	v_cmp_eq_u32_e32 vcc_lo, 8, v0
	s_cbranch_vccnz .LBB17_136
; %bb.135:
	v_lshlrev_b32_e32 v0, 3, v0
	s_clause 0x3
	buffer_load_dword v37, v0, s[0:3], 0 offen
	buffer_load_dword v38, v0, s[0:3], 0 offen offset:4
	buffer_load_dword v39, off, s[0:3], 0 offset:68
	buffer_load_dword v40, off, s[0:3], 0 offset:64
	s_waitcnt vmcnt(3)
	buffer_store_dword v37, off, s[0:3], 0 offset:64
	s_waitcnt vmcnt(2)
	buffer_store_dword v38, off, s[0:3], 0 offset:68
	s_waitcnt vmcnt(1)
	buffer_store_dword v39, v0, s[0:3], 0 offen offset:4
	s_waitcnt vmcnt(0)
	buffer_store_dword v40, v0, s[0:3], 0 offen
.LBB17_136:
	v_mov_b32_e32 v0, 0
	global_load_dword v37, v0, s[20:21] offset:28
	s_waitcnt vmcnt(0)
	v_add_nc_u32_e32 v37, -1, v37
	v_cmp_eq_u32_e32 vcc_lo, 7, v37
	s_cbranch_vccnz .LBB17_138
; %bb.137:
	v_lshlrev_b32_e32 v37, 3, v37
	s_clause 0x3
	buffer_load_dword v38, v37, s[0:3], 0 offen
	buffer_load_dword v39, v37, s[0:3], 0 offen offset:4
	buffer_load_dword v40, off, s[0:3], 0 offset:56
	buffer_load_dword v41, off, s[0:3], 0 offset:60
	s_waitcnt vmcnt(3)
	buffer_store_dword v38, off, s[0:3], 0 offset:56
	s_waitcnt vmcnt(2)
	buffer_store_dword v39, off, s[0:3], 0 offset:60
	s_waitcnt vmcnt(1)
	buffer_store_dword v40, v37, s[0:3], 0 offen
	s_waitcnt vmcnt(0)
	buffer_store_dword v41, v37, s[0:3], 0 offen offset:4
.LBB17_138:
	global_load_dword v0, v0, s[20:21] offset:24
	s_waitcnt vmcnt(0)
	v_add_nc_u32_e32 v0, -1, v0
	v_cmp_eq_u32_e32 vcc_lo, 6, v0
	s_cbranch_vccnz .LBB17_140
; %bb.139:
	v_lshlrev_b32_e32 v0, 3, v0
	s_clause 0x3
	buffer_load_dword v37, v0, s[0:3], 0 offen
	buffer_load_dword v38, v0, s[0:3], 0 offen offset:4
	buffer_load_dword v39, off, s[0:3], 0 offset:52
	buffer_load_dword v40, off, s[0:3], 0 offset:48
	s_waitcnt vmcnt(3)
	buffer_store_dword v37, off, s[0:3], 0 offset:48
	s_waitcnt vmcnt(2)
	buffer_store_dword v38, off, s[0:3], 0 offset:52
	s_waitcnt vmcnt(1)
	buffer_store_dword v39, v0, s[0:3], 0 offen offset:4
	s_waitcnt vmcnt(0)
	buffer_store_dword v40, v0, s[0:3], 0 offen
.LBB17_140:
	v_mov_b32_e32 v0, 0
	global_load_dword v37, v0, s[20:21] offset:20
	s_waitcnt vmcnt(0)
	v_add_nc_u32_e32 v37, -1, v37
	v_cmp_eq_u32_e32 vcc_lo, 5, v37
	s_cbranch_vccnz .LBB17_142
; %bb.141:
	v_lshlrev_b32_e32 v37, 3, v37
	s_clause 0x3
	buffer_load_dword v38, v37, s[0:3], 0 offen
	buffer_load_dword v39, v37, s[0:3], 0 offen offset:4
	buffer_load_dword v40, off, s[0:3], 0 offset:40
	buffer_load_dword v41, off, s[0:3], 0 offset:44
	s_waitcnt vmcnt(3)
	buffer_store_dword v38, off, s[0:3], 0 offset:40
	s_waitcnt vmcnt(2)
	buffer_store_dword v39, off, s[0:3], 0 offset:44
	s_waitcnt vmcnt(1)
	buffer_store_dword v40, v37, s[0:3], 0 offen
	s_waitcnt vmcnt(0)
	buffer_store_dword v41, v37, s[0:3], 0 offen offset:4
.LBB17_142:
	global_load_dword v0, v0, s[20:21] offset:16
	s_waitcnt vmcnt(0)
	v_add_nc_u32_e32 v0, -1, v0
	v_cmp_eq_u32_e32 vcc_lo, 4, v0
	s_cbranch_vccnz .LBB17_144
; %bb.143:
	v_lshlrev_b32_e32 v0, 3, v0
	s_clause 0x3
	buffer_load_dword v37, v0, s[0:3], 0 offen
	buffer_load_dword v38, v0, s[0:3], 0 offen offset:4
	buffer_load_dword v39, off, s[0:3], 0 offset:36
	buffer_load_dword v40, off, s[0:3], 0 offset:32
	s_waitcnt vmcnt(3)
	buffer_store_dword v37, off, s[0:3], 0 offset:32
	s_waitcnt vmcnt(2)
	buffer_store_dword v38, off, s[0:3], 0 offset:36
	s_waitcnt vmcnt(1)
	buffer_store_dword v39, v0, s[0:3], 0 offen offset:4
	s_waitcnt vmcnt(0)
	buffer_store_dword v40, v0, s[0:3], 0 offen
.LBB17_144:
	v_mov_b32_e32 v0, 0
	global_load_dword v37, v0, s[20:21] offset:12
	s_waitcnt vmcnt(0)
	v_add_nc_u32_e32 v37, -1, v37
	v_cmp_eq_u32_e32 vcc_lo, 3, v37
	s_cbranch_vccnz .LBB17_146
; %bb.145:
	v_lshlrev_b32_e32 v37, 3, v37
	s_clause 0x3
	buffer_load_dword v38, v37, s[0:3], 0 offen
	buffer_load_dword v39, v37, s[0:3], 0 offen offset:4
	buffer_load_dword v40, off, s[0:3], 0 offset:24
	buffer_load_dword v41, off, s[0:3], 0 offset:28
	s_waitcnt vmcnt(3)
	buffer_store_dword v38, off, s[0:3], 0 offset:24
	s_waitcnt vmcnt(2)
	buffer_store_dword v39, off, s[0:3], 0 offset:28
	s_waitcnt vmcnt(1)
	buffer_store_dword v40, v37, s[0:3], 0 offen
	s_waitcnt vmcnt(0)
	buffer_store_dword v41, v37, s[0:3], 0 offen offset:4
.LBB17_146:
	global_load_dword v0, v0, s[20:21] offset:8
	s_waitcnt vmcnt(0)
	v_add_nc_u32_e32 v0, -1, v0
	v_cmp_eq_u32_e32 vcc_lo, 2, v0
	s_cbranch_vccnz .LBB17_148
; %bb.147:
	v_lshlrev_b32_e32 v0, 3, v0
	s_clause 0x3
	buffer_load_dword v37, v0, s[0:3], 0 offen
	buffer_load_dword v38, v0, s[0:3], 0 offen offset:4
	buffer_load_dword v39, off, s[0:3], 0 offset:20
	buffer_load_dword v40, off, s[0:3], 0 offset:16
	s_waitcnt vmcnt(3)
	buffer_store_dword v37, off, s[0:3], 0 offset:16
	s_waitcnt vmcnt(2)
	buffer_store_dword v38, off, s[0:3], 0 offset:20
	s_waitcnt vmcnt(1)
	buffer_store_dword v39, v0, s[0:3], 0 offen offset:4
	s_waitcnt vmcnt(0)
	buffer_store_dword v40, v0, s[0:3], 0 offen
.LBB17_148:
	v_mov_b32_e32 v0, 0
	global_load_dword v37, v0, s[20:21] offset:4
	s_waitcnt vmcnt(0)
	v_add_nc_u32_e32 v37, -1, v37
	v_cmp_eq_u32_e32 vcc_lo, 1, v37
	s_cbranch_vccnz .LBB17_150
; %bb.149:
	v_lshlrev_b32_e32 v37, 3, v37
	s_clause 0x3
	buffer_load_dword v38, v37, s[0:3], 0 offen
	buffer_load_dword v39, v37, s[0:3], 0 offen offset:4
	buffer_load_dword v40, off, s[0:3], 0 offset:8
	buffer_load_dword v41, off, s[0:3], 0 offset:12
	s_waitcnt vmcnt(3)
	buffer_store_dword v38, off, s[0:3], 0 offset:8
	s_waitcnt vmcnt(2)
	buffer_store_dword v39, off, s[0:3], 0 offset:12
	s_waitcnt vmcnt(1)
	buffer_store_dword v40, v37, s[0:3], 0 offen
	s_waitcnt vmcnt(0)
	buffer_store_dword v41, v37, s[0:3], 0 offen offset:4
.LBB17_150:
	global_load_dword v0, v0, s[20:21]
	s_clause 0x1
	buffer_load_dword v37, off, s[0:3], 0
	buffer_load_dword v38, off, s[0:3], 0 offset:4
	s_waitcnt vmcnt(2)
	v_add_nc_u32_e32 v0, -1, v0
	v_cmp_eq_u32_e32 vcc_lo, 0, v0
	s_cbranch_vccnz .LBB17_152
; %bb.151:
	v_lshlrev_b32_e32 v0, 3, v0
	s_clause 0x1
	buffer_load_dword v39, v0, s[0:3], 0 offen offset:4
	buffer_load_dword v40, v0, s[0:3], 0 offen
	s_waitcnt vmcnt(1)
	buffer_store_dword v39, off, s[0:3], 0 offset:4
	s_waitcnt vmcnt(0)
	buffer_store_dword v40, off, s[0:3], 0
	buffer_store_dword v38, v0, s[0:3], 0 offen offset:4
	buffer_store_dword v37, v0, s[0:3], 0 offen
	s_clause 0x1
	buffer_load_dword v37, off, s[0:3], 0
	buffer_load_dword v38, off, s[0:3], 0 offset:4
.LBB17_152:
	s_clause 0x21
	buffer_load_dword v39, off, s[0:3], 0 offset:8
	buffer_load_dword v40, off, s[0:3], 0 offset:12
	;; [unrolled: 1-line block ×34, first 2 shown]
	s_waitcnt vmcnt(34)
	global_store_dwordx2 v[1:2], v[37:38], off
	s_waitcnt vmcnt(32)
	global_store_dwordx2 v[3:4], v[39:40], off
	;; [unrolled: 2-line block ×18, first 2 shown]
	s_endpgm
	.section	.rodata,"a",@progbits
	.p2align	6, 0x0
	.amdhsa_kernel _ZN9rocsolver6v33100L18getri_kernel_smallILi18EdPdEEvT1_iilPiilS4_bb
		.amdhsa_group_segment_fixed_size 296
		.amdhsa_private_segment_fixed_size 160
		.amdhsa_kernarg_size 60
		.amdhsa_user_sgpr_count 6
		.amdhsa_user_sgpr_private_segment_buffer 1
		.amdhsa_user_sgpr_dispatch_ptr 0
		.amdhsa_user_sgpr_queue_ptr 0
		.amdhsa_user_sgpr_kernarg_segment_ptr 1
		.amdhsa_user_sgpr_dispatch_id 0
		.amdhsa_user_sgpr_flat_scratch_init 0
		.amdhsa_user_sgpr_private_segment_size 0
		.amdhsa_wavefront_size32 1
		.amdhsa_uses_dynamic_stack 0
		.amdhsa_system_sgpr_private_segment_wavefront_offset 1
		.amdhsa_system_sgpr_workgroup_id_x 1
		.amdhsa_system_sgpr_workgroup_id_y 0
		.amdhsa_system_sgpr_workgroup_id_z 0
		.amdhsa_system_sgpr_workgroup_info 0
		.amdhsa_system_vgpr_workitem_id 0
		.amdhsa_next_free_vgpr 77
		.amdhsa_next_free_sgpr 23
		.amdhsa_reserve_vcc 1
		.amdhsa_reserve_flat_scratch 0
		.amdhsa_float_round_mode_32 0
		.amdhsa_float_round_mode_16_64 0
		.amdhsa_float_denorm_mode_32 3
		.amdhsa_float_denorm_mode_16_64 3
		.amdhsa_dx10_clamp 1
		.amdhsa_ieee_mode 1
		.amdhsa_fp16_overflow 0
		.amdhsa_workgroup_processor_mode 1
		.amdhsa_memory_ordered 1
		.amdhsa_forward_progress 1
		.amdhsa_shared_vgpr_count 0
		.amdhsa_exception_fp_ieee_invalid_op 0
		.amdhsa_exception_fp_denorm_src 0
		.amdhsa_exception_fp_ieee_div_zero 0
		.amdhsa_exception_fp_ieee_overflow 0
		.amdhsa_exception_fp_ieee_underflow 0
		.amdhsa_exception_fp_ieee_inexact 0
		.amdhsa_exception_int_div_zero 0
	.end_amdhsa_kernel
	.section	.text._ZN9rocsolver6v33100L18getri_kernel_smallILi18EdPdEEvT1_iilPiilS4_bb,"axG",@progbits,_ZN9rocsolver6v33100L18getri_kernel_smallILi18EdPdEEvT1_iilPiilS4_bb,comdat
.Lfunc_end17:
	.size	_ZN9rocsolver6v33100L18getri_kernel_smallILi18EdPdEEvT1_iilPiilS4_bb, .Lfunc_end17-_ZN9rocsolver6v33100L18getri_kernel_smallILi18EdPdEEvT1_iilPiilS4_bb
                                        ; -- End function
	.set _ZN9rocsolver6v33100L18getri_kernel_smallILi18EdPdEEvT1_iilPiilS4_bb.num_vgpr, 77
	.set _ZN9rocsolver6v33100L18getri_kernel_smallILi18EdPdEEvT1_iilPiilS4_bb.num_agpr, 0
	.set _ZN9rocsolver6v33100L18getri_kernel_smallILi18EdPdEEvT1_iilPiilS4_bb.numbered_sgpr, 23
	.set _ZN9rocsolver6v33100L18getri_kernel_smallILi18EdPdEEvT1_iilPiilS4_bb.num_named_barrier, 0
	.set _ZN9rocsolver6v33100L18getri_kernel_smallILi18EdPdEEvT1_iilPiilS4_bb.private_seg_size, 160
	.set _ZN9rocsolver6v33100L18getri_kernel_smallILi18EdPdEEvT1_iilPiilS4_bb.uses_vcc, 1
	.set _ZN9rocsolver6v33100L18getri_kernel_smallILi18EdPdEEvT1_iilPiilS4_bb.uses_flat_scratch, 0
	.set _ZN9rocsolver6v33100L18getri_kernel_smallILi18EdPdEEvT1_iilPiilS4_bb.has_dyn_sized_stack, 0
	.set _ZN9rocsolver6v33100L18getri_kernel_smallILi18EdPdEEvT1_iilPiilS4_bb.has_recursion, 0
	.set _ZN9rocsolver6v33100L18getri_kernel_smallILi18EdPdEEvT1_iilPiilS4_bb.has_indirect_call, 0
	.section	.AMDGPU.csdata,"",@progbits
; Kernel info:
; codeLenInByte = 15160
; TotalNumSgprs: 25
; NumVgprs: 77
; ScratchSize: 160
; MemoryBound: 0
; FloatMode: 240
; IeeeMode: 1
; LDSByteSize: 296 bytes/workgroup (compile time only)
; SGPRBlocks: 0
; VGPRBlocks: 9
; NumSGPRsForWavesPerEU: 25
; NumVGPRsForWavesPerEU: 77
; Occupancy: 12
; WaveLimiterHint : 1
; COMPUTE_PGM_RSRC2:SCRATCH_EN: 1
; COMPUTE_PGM_RSRC2:USER_SGPR: 6
; COMPUTE_PGM_RSRC2:TRAP_HANDLER: 0
; COMPUTE_PGM_RSRC2:TGID_X_EN: 1
; COMPUTE_PGM_RSRC2:TGID_Y_EN: 0
; COMPUTE_PGM_RSRC2:TGID_Z_EN: 0
; COMPUTE_PGM_RSRC2:TIDIG_COMP_CNT: 0
	.section	.text._ZN9rocsolver6v33100L18getri_kernel_smallILi19EdPdEEvT1_iilPiilS4_bb,"axG",@progbits,_ZN9rocsolver6v33100L18getri_kernel_smallILi19EdPdEEvT1_iilPiilS4_bb,comdat
	.globl	_ZN9rocsolver6v33100L18getri_kernel_smallILi19EdPdEEvT1_iilPiilS4_bb ; -- Begin function _ZN9rocsolver6v33100L18getri_kernel_smallILi19EdPdEEvT1_iilPiilS4_bb
	.p2align	8
	.type	_ZN9rocsolver6v33100L18getri_kernel_smallILi19EdPdEEvT1_iilPiilS4_bb,@function
_ZN9rocsolver6v33100L18getri_kernel_smallILi19EdPdEEvT1_iilPiilS4_bb: ; @_ZN9rocsolver6v33100L18getri_kernel_smallILi19EdPdEEvT1_iilPiilS4_bb
; %bb.0:
	s_add_u32 s0, s0, s7
	s_addc_u32 s1, s1, 0
	s_mov_b32 s7, exec_lo
	v_cmpx_gt_u32_e32 19, v0
	s_cbranch_execz .LBB18_86
; %bb.1:
	s_clause 0x2
	s_load_dword s7, s[4:5], 0x38
	s_load_dwordx4 s[16:19], s[4:5], 0x10
	s_load_dwordx4 s[8:11], s[4:5], 0x28
                                        ; implicit-def: $sgpr20_sgpr21
	s_waitcnt lgkmcnt(0)
	s_bitcmp1_b32 s7, 8
	s_cselect_b32 s22, -1, 0
	s_bfe_u32 s12, s7, 0x10008
	s_ashr_i32 s7, s6, 31
	s_cmp_eq_u32 s12, 0
	s_cbranch_scc1 .LBB18_3
; %bb.2:
	s_load_dword s12, s[4:5], 0x20
	s_mul_i32 s13, s8, s7
	s_mul_hi_u32 s14, s8, s6
	s_mul_i32 s9, s9, s6
	s_add_i32 s13, s14, s13
	s_mul_i32 s8, s8, s6
	s_add_i32 s9, s13, s9
	s_lshl_b64 s[8:9], s[8:9], 2
	s_waitcnt lgkmcnt(0)
	s_ashr_i32 s13, s12, 31
	s_add_u32 s14, s18, s8
	s_addc_u32 s15, s19, s9
	s_lshl_b64 s[8:9], s[12:13], 2
	s_add_u32 s20, s14, s8
	s_addc_u32 s21, s15, s9
.LBB18_3:
	s_clause 0x1
	s_load_dwordx4 s[12:15], s[4:5], 0x0
	s_load_dword s8, s[4:5], 0x38
	s_mul_i32 s4, s16, s7
	s_mul_hi_u32 s5, s16, s6
	s_mul_i32 s9, s17, s6
	s_add_i32 s5, s5, s4
	s_mul_i32 s4, s16, s6
	s_add_i32 s5, s5, s9
	v_lshlrev_b32_e32 v41, 3, v0
	s_lshl_b64 s[4:5], s[4:5], 3
	s_waitcnt lgkmcnt(0)
	s_ashr_i32 s17, s14, 31
	s_mov_b32 s16, s14
	s_add_u32 s9, s12, s4
	s_addc_u32 s12, s13, s5
	s_lshl_b64 s[4:5], s[16:17], 3
	v_add3_u32 v3, s15, s15, v0
	s_add_u32 s4, s9, s4
	s_addc_u32 s5, s12, s5
	v_add_co_u32 v1, s9, s4, v41
	global_load_dwordx2 v[39:40], v41, s[4:5]
	v_add_nc_u32_e32 v5, s15, v3
	v_ashrrev_i32_e32 v4, 31, v3
	s_mov_b32 s12, s15
	s_ashr_i32 s13, s15, 31
	v_add_co_ci_u32_e64 v2, null, s5, 0, s9
	v_add_nc_u32_e32 v9, s15, v5
	v_ashrrev_i32_e32 v6, 31, v5
	v_lshlrev_b64 v[7:8], 3, v[3:4]
	s_lshl_b64 s[12:13], s[12:13], 3
	s_bitcmp0_b32 s8, 0
	v_add_nc_u32_e32 v11, s15, v9
	v_lshlrev_b64 v[13:14], 3, v[5:6]
	v_add_co_u32 v3, vcc_lo, v1, s12
	v_add_co_ci_u32_e64 v4, null, s13, v2, vcc_lo
	v_add_nc_u32_e32 v15, s15, v11
	v_add_co_u32 v5, vcc_lo, s4, v7
	v_add_co_ci_u32_e64 v6, null, s5, v8, vcc_lo
	v_add_co_u32 v7, vcc_lo, s4, v13
	v_add_nc_u32_e32 v13, s15, v15
	v_ashrrev_i32_e32 v10, 31, v9
	v_ashrrev_i32_e32 v12, 31, v11
	;; [unrolled: 1-line block ×3, first 2 shown]
	v_add_co_ci_u32_e64 v8, null, s5, v14, vcc_lo
	v_add_nc_u32_e32 v17, s15, v13
	v_lshlrev_b64 v[9:10], 3, v[9:10]
	v_ashrrev_i32_e32 v14, 31, v13
	v_lshlrev_b64 v[11:12], 3, v[11:12]
	v_lshlrev_b64 v[15:16], 3, v[15:16]
	v_add_nc_u32_e32 v21, s15, v17
	v_ashrrev_i32_e32 v18, 31, v17
	v_add_co_u32 v9, vcc_lo, s4, v9
	v_lshlrev_b64 v[19:20], 3, v[13:14]
	v_add_nc_u32_e32 v23, s15, v21
	v_add_co_ci_u32_e64 v10, null, s5, v10, vcc_lo
	v_add_co_u32 v11, vcc_lo, s4, v11
	v_ashrrev_i32_e32 v22, 31, v21
	v_ashrrev_i32_e32 v24, 31, v23
	v_add_nc_u32_e32 v25, s15, v23
	v_add_co_ci_u32_e64 v12, null, s5, v12, vcc_lo
	v_add_co_u32 v13, vcc_lo, s4, v15
	v_add_co_ci_u32_e64 v14, null, s5, v16, vcc_lo
	v_add_co_u32 v15, vcc_lo, s4, v19
	v_add_co_ci_u32_e64 v16, null, s5, v20, vcc_lo
	v_lshlrev_b64 v[19:20], 3, v[21:22]
	v_lshlrev_b64 v[21:22], 3, v[23:24]
	v_add_nc_u32_e32 v23, s15, v25
	v_lshlrev_b64 v[17:18], 3, v[17:18]
	v_ashrrev_i32_e32 v26, 31, v25
	s_clause 0x3
	global_load_dwordx2 v[42:43], v[3:4], off
	global_load_dwordx2 v[44:45], v[5:6], off
	;; [unrolled: 1-line block ×4, first 2 shown]
	v_add_nc_u32_e32 v27, s15, v23
	v_ashrrev_i32_e32 v24, 31, v23
	v_add_co_u32 v17, vcc_lo, s4, v17
	v_lshlrev_b64 v[25:26], 3, v[25:26]
	v_add_nc_u32_e32 v31, s15, v27
	v_add_co_ci_u32_e64 v18, null, s5, v18, vcc_lo
	v_add_co_u32 v19, vcc_lo, s4, v19
	v_lshlrev_b64 v[29:30], 3, v[23:24]
	v_add_co_ci_u32_e64 v20, null, s5, v20, vcc_lo
	v_add_co_u32 v21, vcc_lo, s4, v21
	v_ashrrev_i32_e32 v32, 31, v31
	v_add_nc_u32_e32 v33, s15, v31
	v_add_co_ci_u32_e64 v22, null, s5, v22, vcc_lo
	v_add_co_u32 v23, vcc_lo, s4, v25
	v_add_co_ci_u32_e64 v24, null, s5, v26, vcc_lo
	v_add_co_u32 v25, vcc_lo, s4, v29
	v_add_co_ci_u32_e64 v26, null, s5, v30, vcc_lo
	v_lshlrev_b64 v[29:30], 3, v[31:32]
	v_add_nc_u32_e32 v31, s15, v33
	v_ashrrev_i32_e32 v28, 31, v27
	v_ashrrev_i32_e32 v34, 31, v33
	s_clause 0x7
	global_load_dwordx2 v[50:51], v[11:12], off
	global_load_dwordx2 v[52:53], v[13:14], off
	;; [unrolled: 1-line block ×8, first 2 shown]
	v_add_nc_u32_e32 v35, s15, v31
	v_lshlrev_b64 v[27:28], 3, v[27:28]
	v_ashrrev_i32_e32 v32, 31, v31
	v_lshlrev_b64 v[33:34], 3, v[33:34]
	v_add_nc_u32_e32 v66, s15, v35
	v_ashrrev_i32_e32 v36, 31, v35
	v_add_co_u32 v27, vcc_lo, s4, v27
	v_lshlrev_b64 v[37:38], 3, v[31:32]
	v_ashrrev_i32_e32 v67, 31, v66
	v_add_co_ci_u32_e64 v28, null, s5, v28, vcc_lo
	v_add_co_u32 v29, vcc_lo, s4, v29
	v_lshlrev_b64 v[35:36], 3, v[35:36]
	v_add_co_ci_u32_e64 v30, null, s5, v30, vcc_lo
	v_add_co_u32 v31, vcc_lo, s4, v33
	v_add_co_ci_u32_e64 v32, null, s5, v34, vcc_lo
	v_add_co_u32 v33, vcc_lo, s4, v37
	v_lshlrev_b64 v[66:67], 3, v[66:67]
	v_add_co_ci_u32_e64 v34, null, s5, v38, vcc_lo
	v_add_co_u32 v37, vcc_lo, s4, v35
	v_add_co_ci_u32_e64 v38, null, s5, v36, vcc_lo
	v_add_co_u32 v35, vcc_lo, s4, v66
	s_clause 0x2
	global_load_dwordx2 v[68:69], v[27:28], off
	global_load_dwordx2 v[70:71], v[29:30], off
	;; [unrolled: 1-line block ×3, first 2 shown]
	v_add_co_ci_u32_e64 v36, null, s5, v67, vcc_lo
	s_clause 0x1
	global_load_dwordx2 v[66:67], v[33:34], off
	global_load_dwordx2 v[74:75], v[37:38], off
	s_mov_b32 s5, -1
	s_waitcnt vmcnt(17)
	buffer_store_dword v40, off, s[0:3], 0 offset:4
	buffer_store_dword v39, off, s[0:3], 0
	global_load_dwordx2 v[39:40], v[35:36], off
	s_waitcnt vmcnt(17)
	buffer_store_dword v43, off, s[0:3], 0 offset:12
	buffer_store_dword v42, off, s[0:3], 0 offset:8
	s_waitcnt vmcnt(16)
	buffer_store_dword v45, off, s[0:3], 0 offset:20
	buffer_store_dword v44, off, s[0:3], 0 offset:16
	;; [unrolled: 3-line block ×18, first 2 shown]
	s_cbranch_scc1 .LBB18_84
; %bb.4:
	v_cmp_eq_u32_e64 s4, 0, v0
	s_and_saveexec_b32 s5, s4
; %bb.5:
	v_mov_b32_e32 v39, 0
	ds_write_b32 v39, v39 offset:152
; %bb.6:
	s_or_b32 exec_lo, exec_lo, s5
	v_lshl_add_u32 v39, v0, 3, 0
	s_waitcnt lgkmcnt(0)
	s_waitcnt_vscnt null, 0x0
	s_barrier
	buffer_gl0_inv
	s_mov_b32 s8, exec_lo
	s_clause 0x1
	buffer_load_dword v42, v39, s[0:3], 0 offen
	buffer_load_dword v43, v39, s[0:3], 0 offen offset:4
	s_waitcnt vmcnt(0)
	v_cmpx_eq_f64_e32 0, v[42:43]
	s_cbranch_execz .LBB18_10
; %bb.7:
	v_mov_b32_e32 v40, 0
	s_mov_b32 s9, 0
	ds_read_b32 v42, v40 offset:152
	s_waitcnt lgkmcnt(0)
	v_readfirstlane_b32 s5, v42
	v_add_nc_u32_e32 v42, 1, v0
	s_cmp_eq_u32 s5, 0
	v_cmp_gt_i32_e32 vcc_lo, s5, v42
	s_cselect_b32 s12, -1, 0
	s_or_b32 s12, s12, vcc_lo
	s_and_b32 exec_lo, exec_lo, s12
	s_cbranch_execz .LBB18_10
; %bb.8:
	v_mov_b32_e32 v43, s5
.LBB18_9:                               ; =>This Inner Loop Header: Depth=1
	ds_cmpst_rtn_b32 v43, v40, v43, v42 offset:152
	s_waitcnt lgkmcnt(0)
	v_cmp_ne_u32_e32 vcc_lo, 0, v43
	v_cmp_le_i32_e64 s5, v43, v42
	s_and_b32 s5, vcc_lo, s5
	s_and_b32 s5, exec_lo, s5
	s_or_b32 s9, s5, s9
	s_andn2_b32 exec_lo, exec_lo, s9
	s_cbranch_execnz .LBB18_9
.LBB18_10:
	s_or_b32 exec_lo, exec_lo, s8
	v_mov_b32_e32 v40, 0
	s_barrier
	buffer_gl0_inv
	ds_read_b32 v42, v40 offset:152
	s_and_saveexec_b32 s5, s4
	s_cbranch_execz .LBB18_12
; %bb.11:
	s_lshl_b64 s[8:9], s[6:7], 2
	s_add_u32 s8, s10, s8
	s_addc_u32 s9, s11, s9
	s_waitcnt lgkmcnt(0)
	global_store_dword v40, v42, s[8:9]
.LBB18_12:
	s_or_b32 exec_lo, exec_lo, s5
	s_waitcnt lgkmcnt(0)
	v_cmp_ne_u32_e32 vcc_lo, 0, v42
	s_mov_b32 s5, 0
	s_cbranch_vccnz .LBB18_84
; %bb.13:
	s_clause 0x1
	buffer_load_dword v42, v39, s[0:3], 0 offen
	buffer_load_dword v43, v39, s[0:3], 0 offen offset:4
	s_waitcnt vmcnt(0)
	v_div_scale_f64 v[44:45], null, v[42:43], v[42:43], 1.0
	v_div_scale_f64 v[50:51], vcc_lo, 1.0, v[42:43], 1.0
	v_rcp_f64_e32 v[46:47], v[44:45]
	v_fma_f64 v[48:49], -v[44:45], v[46:47], 1.0
	v_fma_f64 v[46:47], v[46:47], v[48:49], v[46:47]
	v_fma_f64 v[48:49], -v[44:45], v[46:47], 1.0
	v_fma_f64 v[46:47], v[46:47], v[48:49], v[46:47]
	v_mul_f64 v[48:49], v[50:51], v[46:47]
	v_fma_f64 v[44:45], -v[44:45], v[48:49], v[50:51]
	v_div_fmas_f64 v[44:45], v[44:45], v[46:47], v[48:49]
	v_div_fixup_f64 v[43:44], v[44:45], v[42:43], 1.0
	v_add_nc_u32_e32 v42, 0xa0, v41
	buffer_store_dword v44, v39, s[0:3], 0 offen offset:4
	buffer_store_dword v43, v39, s[0:3], 0 offen
	s_clause 0x1
	buffer_load_dword v46, off, s[0:3], 0 offset:12
	buffer_load_dword v45, off, s[0:3], 0 offset:8
	v_xor_b32_e32 v44, 0x80000000, v44
	s_waitcnt vmcnt(0)
	ds_write2_b64 v41, v[43:44], v[45:46] offset1:20
	s_waitcnt lgkmcnt(0)
	s_waitcnt_vscnt null, 0x0
	s_barrier
	buffer_gl0_inv
	s_and_saveexec_b32 s5, s4
	s_cbranch_execz .LBB18_15
; %bb.14:
	s_clause 0x1
	buffer_load_dword v43, v39, s[0:3], 0 offen
	buffer_load_dword v44, v39, s[0:3], 0 offen offset:4
	ds_read_b64 v[45:46], v42
	v_mov_b32_e32 v40, 0
	ds_read_b64 v[47:48], v40 offset:8
	s_waitcnt vmcnt(0) lgkmcnt(1)
	v_fma_f64 v[43:44], v[43:44], v[45:46], 0
	s_waitcnt lgkmcnt(0)
	v_mul_f64 v[43:44], v[43:44], v[47:48]
	buffer_store_dword v43, off, s[0:3], 0 offset:8
	buffer_store_dword v44, off, s[0:3], 0 offset:12
.LBB18_15:
	s_or_b32 exec_lo, exec_lo, s5
	s_waitcnt_vscnt null, 0x0
	s_barrier
	buffer_gl0_inv
	s_clause 0x1
	buffer_load_dword v43, off, s[0:3], 0 offset:16
	buffer_load_dword v44, off, s[0:3], 0 offset:20
	s_mov_b32 s5, exec_lo
	s_waitcnt vmcnt(0)
	ds_write_b64 v42, v[43:44]
	s_waitcnt lgkmcnt(0)
	s_barrier
	buffer_gl0_inv
	v_cmpx_gt_u32_e32 2, v0
	s_cbranch_execz .LBB18_19
; %bb.16:
	s_clause 0x1
	buffer_load_dword v43, v39, s[0:3], 0 offen
	buffer_load_dword v44, v39, s[0:3], 0 offen offset:4
	ds_read_b64 v[39:40], v42
	s_waitcnt vmcnt(0) lgkmcnt(0)
	v_fma_f64 v[39:40], v[43:44], v[39:40], 0
	s_and_saveexec_b32 s8, s4
	s_cbranch_execz .LBB18_18
; %bb.17:
	s_clause 0x1
	buffer_load_dword v43, off, s[0:3], 0 offset:8
	buffer_load_dword v44, off, s[0:3], 0 offset:12
	v_mov_b32_e32 v45, 0
	ds_read_b64 v[45:46], v45 offset:168
	s_waitcnt vmcnt(0) lgkmcnt(0)
	v_fma_f64 v[39:40], v[43:44], v[45:46], v[39:40]
.LBB18_18:
	s_or_b32 exec_lo, exec_lo, s8
	v_mov_b32_e32 v43, 0
	ds_read_b64 v[43:44], v43 offset:16
	s_waitcnt lgkmcnt(0)
	v_mul_f64 v[39:40], v[39:40], v[43:44]
	buffer_store_dword v40, off, s[0:3], 0 offset:20
	buffer_store_dword v39, off, s[0:3], 0 offset:16
.LBB18_19:
	s_or_b32 exec_lo, exec_lo, s5
	s_waitcnt_vscnt null, 0x0
	s_barrier
	buffer_gl0_inv
	s_clause 0x1
	buffer_load_dword v39, off, s[0:3], 0 offset:24
	buffer_load_dword v40, off, s[0:3], 0 offset:28
	v_add_nc_u32_e32 v43, -1, v0
	s_mov_b32 s4, exec_lo
	s_waitcnt vmcnt(0)
	ds_write_b64 v42, v[39:40]
	s_waitcnt lgkmcnt(0)
	s_barrier
	buffer_gl0_inv
	v_cmpx_gt_u32_e32 3, v0
	s_cbranch_execz .LBB18_23
; %bb.20:
	v_mov_b32_e32 v39, 0
	v_add_nc_u32_e32 v44, -1, v0
	v_add_nc_u32_e32 v45, 0xa0, v41
	v_mov_b32_e32 v40, 0
	v_mov_b32_e32 v46, v41
	s_mov_b32 s5, 0
.LBB18_21:                              ; =>This Inner Loop Header: Depth=1
	s_clause 0x1
	buffer_load_dword v47, v46, s[0:3], 0 offen
	buffer_load_dword v48, v46, s[0:3], 0 offen offset:4
	ds_read_b64 v[49:50], v45
	v_add_nc_u32_e32 v44, 1, v44
	v_add_nc_u32_e32 v45, 8, v45
	v_add_nc_u32_e32 v46, 8, v46
	v_cmp_lt_u32_e32 vcc_lo, 1, v44
	s_or_b32 s5, vcc_lo, s5
	s_waitcnt vmcnt(0) lgkmcnt(0)
	v_fma_f64 v[39:40], v[47:48], v[49:50], v[39:40]
	s_andn2_b32 exec_lo, exec_lo, s5
	s_cbranch_execnz .LBB18_21
; %bb.22:
	s_or_b32 exec_lo, exec_lo, s5
	v_mov_b32_e32 v44, 0
	ds_read_b64 v[44:45], v44 offset:24
	s_waitcnt lgkmcnt(0)
	v_mul_f64 v[39:40], v[39:40], v[44:45]
	buffer_store_dword v40, off, s[0:3], 0 offset:28
	buffer_store_dword v39, off, s[0:3], 0 offset:24
.LBB18_23:
	s_or_b32 exec_lo, exec_lo, s4
	s_waitcnt_vscnt null, 0x0
	s_barrier
	buffer_gl0_inv
	s_clause 0x1
	buffer_load_dword v39, off, s[0:3], 0 offset:32
	buffer_load_dword v40, off, s[0:3], 0 offset:36
	s_mov_b32 s4, exec_lo
	s_waitcnt vmcnt(0)
	ds_write_b64 v42, v[39:40]
	s_waitcnt lgkmcnt(0)
	s_barrier
	buffer_gl0_inv
	v_cmpx_gt_u32_e32 4, v0
	s_cbranch_execz .LBB18_27
; %bb.24:
	v_mov_b32_e32 v39, 0
	v_add_nc_u32_e32 v44, -1, v0
	v_add_nc_u32_e32 v45, 0xa0, v41
	v_mov_b32_e32 v40, 0
	v_mov_b32_e32 v46, v41
	s_mov_b32 s5, 0
.LBB18_25:                              ; =>This Inner Loop Header: Depth=1
	s_clause 0x1
	buffer_load_dword v47, v46, s[0:3], 0 offen
	buffer_load_dword v48, v46, s[0:3], 0 offen offset:4
	ds_read_b64 v[49:50], v45
	v_add_nc_u32_e32 v44, 1, v44
	v_add_nc_u32_e32 v45, 8, v45
	v_add_nc_u32_e32 v46, 8, v46
	v_cmp_lt_u32_e32 vcc_lo, 2, v44
	s_or_b32 s5, vcc_lo, s5
	s_waitcnt vmcnt(0) lgkmcnt(0)
	v_fma_f64 v[39:40], v[47:48], v[49:50], v[39:40]
	s_andn2_b32 exec_lo, exec_lo, s5
	s_cbranch_execnz .LBB18_25
; %bb.26:
	s_or_b32 exec_lo, exec_lo, s5
	v_mov_b32_e32 v44, 0
	ds_read_b64 v[44:45], v44 offset:32
	s_waitcnt lgkmcnt(0)
	v_mul_f64 v[39:40], v[39:40], v[44:45]
	buffer_store_dword v40, off, s[0:3], 0 offset:36
	buffer_store_dword v39, off, s[0:3], 0 offset:32
.LBB18_27:
	s_or_b32 exec_lo, exec_lo, s4
	s_waitcnt_vscnt null, 0x0
	s_barrier
	buffer_gl0_inv
	s_clause 0x1
	buffer_load_dword v39, off, s[0:3], 0 offset:40
	buffer_load_dword v40, off, s[0:3], 0 offset:44
	;; [unrolled: 45-line block ×15, first 2 shown]
	s_mov_b32 s4, exec_lo
	s_waitcnt vmcnt(0)
	ds_write_b64 v42, v[39:40]
	s_waitcnt lgkmcnt(0)
	s_barrier
	buffer_gl0_inv
	v_cmpx_ne_u32_e32 18, v0
	s_cbranch_execz .LBB18_83
; %bb.80:
	v_mov_b32_e32 v39, 0
	v_mov_b32_e32 v40, 0
	s_mov_b32 s5, 0
.LBB18_81:                              ; =>This Inner Loop Header: Depth=1
	s_clause 0x1
	buffer_load_dword v44, v41, s[0:3], 0 offen
	buffer_load_dword v45, v41, s[0:3], 0 offen offset:4
	ds_read_b64 v[46:47], v42
	v_add_nc_u32_e32 v43, 1, v43
	v_add_nc_u32_e32 v42, 8, v42
	;; [unrolled: 1-line block ×3, first 2 shown]
	v_cmp_lt_u32_e32 vcc_lo, 16, v43
	s_or_b32 s5, vcc_lo, s5
	s_waitcnt vmcnt(0) lgkmcnt(0)
	v_fma_f64 v[39:40], v[44:45], v[46:47], v[39:40]
	s_andn2_b32 exec_lo, exec_lo, s5
	s_cbranch_execnz .LBB18_81
; %bb.82:
	s_or_b32 exec_lo, exec_lo, s5
	v_mov_b32_e32 v41, 0
	ds_read_b64 v[41:42], v41 offset:144
	s_waitcnt lgkmcnt(0)
	v_mul_f64 v[39:40], v[39:40], v[41:42]
	buffer_store_dword v40, off, s[0:3], 0 offset:148
	buffer_store_dword v39, off, s[0:3], 0 offset:144
.LBB18_83:
	s_or_b32 exec_lo, exec_lo, s4
	s_mov_b32 s5, -1
	s_waitcnt_vscnt null, 0x0
	s_barrier
	buffer_gl0_inv
.LBB18_84:
	s_and_b32 vcc_lo, exec_lo, s5
	s_cbranch_vccz .LBB18_86
; %bb.85:
	s_lshl_b64 s[4:5], s[6:7], 2
	v_mov_b32_e32 v39, 0
	s_add_u32 s4, s10, s4
	s_addc_u32 s5, s11, s5
	global_load_dword v39, v39, s[4:5]
	s_waitcnt vmcnt(0)
	v_cmp_ne_u32_e32 vcc_lo, 0, v39
	s_cbranch_vccz .LBB18_87
.LBB18_86:
	s_endpgm
.LBB18_87:
	v_lshl_add_u32 v39, v0, 3, 0xa0
	s_mov_b32 s4, exec_lo
	v_cmpx_eq_u32_e32 18, v0
	s_cbranch_execz .LBB18_89
; %bb.88:
	s_clause 0x1
	buffer_load_dword v40, off, s[0:3], 0 offset:136
	buffer_load_dword v41, off, s[0:3], 0 offset:140
	v_mov_b32_e32 v42, 0
	buffer_store_dword v42, off, s[0:3], 0 offset:136
	buffer_store_dword v42, off, s[0:3], 0 offset:140
	s_waitcnt vmcnt(0)
	ds_write_b64 v39, v[40:41]
.LBB18_89:
	s_or_b32 exec_lo, exec_lo, s4
	s_waitcnt lgkmcnt(0)
	s_waitcnt_vscnt null, 0x0
	s_barrier
	buffer_gl0_inv
	s_clause 0x3
	buffer_load_dword v41, off, s[0:3], 0 offset:144
	buffer_load_dword v42, off, s[0:3], 0 offset:148
	buffer_load_dword v43, off, s[0:3], 0 offset:136
	buffer_load_dword v44, off, s[0:3], 0 offset:140
	v_mov_b32_e32 v40, 0
	s_mov_b32 s4, exec_lo
	ds_read_b64 v[45:46], v40 offset:304
	s_waitcnt vmcnt(2) lgkmcnt(0)
	v_fma_f64 v[41:42], v[41:42], v[45:46], 0
	s_waitcnt vmcnt(0)
	v_add_f64 v[41:42], v[43:44], -v[41:42]
	buffer_store_dword v41, off, s[0:3], 0 offset:136
	buffer_store_dword v42, off, s[0:3], 0 offset:140
	v_cmpx_lt_u32_e32 16, v0
	s_cbranch_execz .LBB18_91
; %bb.90:
	s_clause 0x1
	buffer_load_dword v41, off, s[0:3], 0 offset:128
	buffer_load_dword v42, off, s[0:3], 0 offset:132
	buffer_store_dword v40, off, s[0:3], 0 offset:128
	buffer_store_dword v40, off, s[0:3], 0 offset:132
	s_waitcnt vmcnt(0)
	ds_write_b64 v39, v[41:42]
.LBB18_91:
	s_or_b32 exec_lo, exec_lo, s4
	s_waitcnt lgkmcnt(0)
	s_waitcnt_vscnt null, 0x0
	s_barrier
	buffer_gl0_inv
	s_clause 0x5
	buffer_load_dword v44, off, s[0:3], 0 offset:136
	buffer_load_dword v45, off, s[0:3], 0 offset:140
	;; [unrolled: 1-line block ×6, first 2 shown]
	ds_read2_b64 v[40:43], v40 offset0:37 offset1:38
	s_mov_b32 s4, exec_lo
	s_waitcnt vmcnt(4) lgkmcnt(0)
	v_fma_f64 v[40:41], v[44:45], v[40:41], 0
	s_waitcnt vmcnt(2)
	v_fma_f64 v[40:41], v[46:47], v[42:43], v[40:41]
	s_waitcnt vmcnt(0)
	v_add_f64 v[40:41], v[48:49], -v[40:41]
	buffer_store_dword v40, off, s[0:3], 0 offset:128
	buffer_store_dword v41, off, s[0:3], 0 offset:132
	v_cmpx_lt_u32_e32 15, v0
	s_cbranch_execz .LBB18_93
; %bb.92:
	s_clause 0x1
	buffer_load_dword v40, off, s[0:3], 0 offset:120
	buffer_load_dword v41, off, s[0:3], 0 offset:124
	v_mov_b32_e32 v42, 0
	buffer_store_dword v42, off, s[0:3], 0 offset:120
	buffer_store_dword v42, off, s[0:3], 0 offset:124
	s_waitcnt vmcnt(0)
	ds_write_b64 v39, v[40:41]
.LBB18_93:
	s_or_b32 exec_lo, exec_lo, s4
	s_waitcnt lgkmcnt(0)
	s_waitcnt_vscnt null, 0x0
	s_barrier
	buffer_gl0_inv
	s_clause 0x7
	buffer_load_dword v45, off, s[0:3], 0 offset:128
	buffer_load_dword v46, off, s[0:3], 0 offset:132
	buffer_load_dword v47, off, s[0:3], 0 offset:136
	buffer_load_dword v48, off, s[0:3], 0 offset:140
	buffer_load_dword v49, off, s[0:3], 0 offset:144
	buffer_load_dword v50, off, s[0:3], 0 offset:148
	buffer_load_dword v51, off, s[0:3], 0 offset:120
	buffer_load_dword v52, off, s[0:3], 0 offset:124
	v_mov_b32_e32 v40, 0
	ds_read_b128 v[41:44], v40 offset:288
	ds_read_b64 v[53:54], v40 offset:304
	s_mov_b32 s4, exec_lo
	s_waitcnt vmcnt(6) lgkmcnt(1)
	v_fma_f64 v[41:42], v[45:46], v[41:42], 0
	s_waitcnt vmcnt(4)
	v_fma_f64 v[41:42], v[47:48], v[43:44], v[41:42]
	s_waitcnt vmcnt(2) lgkmcnt(0)
	v_fma_f64 v[41:42], v[49:50], v[53:54], v[41:42]
	s_waitcnt vmcnt(0)
	v_add_f64 v[41:42], v[51:52], -v[41:42]
	buffer_store_dword v41, off, s[0:3], 0 offset:120
	buffer_store_dword v42, off, s[0:3], 0 offset:124
	v_cmpx_lt_u32_e32 14, v0
	s_cbranch_execz .LBB18_95
; %bb.94:
	s_clause 0x1
	buffer_load_dword v41, off, s[0:3], 0 offset:112
	buffer_load_dword v42, off, s[0:3], 0 offset:116
	buffer_store_dword v40, off, s[0:3], 0 offset:112
	buffer_store_dword v40, off, s[0:3], 0 offset:116
	s_waitcnt vmcnt(0)
	ds_write_b64 v39, v[41:42]
.LBB18_95:
	s_or_b32 exec_lo, exec_lo, s4
	s_waitcnt lgkmcnt(0)
	s_waitcnt_vscnt null, 0x0
	s_barrier
	buffer_gl0_inv
	s_clause 0x9
	buffer_load_dword v49, off, s[0:3], 0 offset:120
	buffer_load_dword v50, off, s[0:3], 0 offset:124
	;; [unrolled: 1-line block ×10, first 2 shown]
	ds_read2_b64 v[41:44], v40 offset0:35 offset1:36
	ds_read2_b64 v[45:48], v40 offset0:37 offset1:38
	s_mov_b32 s4, exec_lo
	s_waitcnt vmcnt(8) lgkmcnt(1)
	v_fma_f64 v[40:41], v[49:50], v[41:42], 0
	s_waitcnt vmcnt(6)
	v_fma_f64 v[40:41], v[51:52], v[43:44], v[40:41]
	s_waitcnt vmcnt(4) lgkmcnt(0)
	v_fma_f64 v[40:41], v[53:54], v[45:46], v[40:41]
	s_waitcnt vmcnt(2)
	v_fma_f64 v[40:41], v[55:56], v[47:48], v[40:41]
	s_waitcnt vmcnt(0)
	v_add_f64 v[40:41], v[57:58], -v[40:41]
	buffer_store_dword v40, off, s[0:3], 0 offset:112
	buffer_store_dword v41, off, s[0:3], 0 offset:116
	v_cmpx_lt_u32_e32 13, v0
	s_cbranch_execz .LBB18_97
; %bb.96:
	s_clause 0x1
	buffer_load_dword v40, off, s[0:3], 0 offset:104
	buffer_load_dword v41, off, s[0:3], 0 offset:108
	v_mov_b32_e32 v42, 0
	buffer_store_dword v42, off, s[0:3], 0 offset:104
	buffer_store_dword v42, off, s[0:3], 0 offset:108
	s_waitcnt vmcnt(0)
	ds_write_b64 v39, v[40:41]
.LBB18_97:
	s_or_b32 exec_lo, exec_lo, s4
	s_waitcnt lgkmcnt(0)
	s_waitcnt_vscnt null, 0x0
	s_barrier
	buffer_gl0_inv
	s_clause 0xb
	buffer_load_dword v49, off, s[0:3], 0 offset:112
	buffer_load_dword v50, off, s[0:3], 0 offset:116
	;; [unrolled: 1-line block ×12, first 2 shown]
	v_mov_b32_e32 v40, 0
	ds_read_b128 v[41:44], v40 offset:272
	ds_read_b128 v[45:48], v40 offset:288
	s_mov_b32 s4, exec_lo
	s_waitcnt vmcnt(10) lgkmcnt(1)
	v_fma_f64 v[41:42], v[49:50], v[41:42], 0
	s_waitcnt vmcnt(8)
	v_fma_f64 v[41:42], v[51:52], v[43:44], v[41:42]
	ds_read_b64 v[43:44], v40 offset:304
	s_waitcnt vmcnt(6) lgkmcnt(1)
	v_fma_f64 v[41:42], v[53:54], v[45:46], v[41:42]
	s_waitcnt vmcnt(4)
	v_fma_f64 v[41:42], v[55:56], v[47:48], v[41:42]
	s_waitcnt vmcnt(2) lgkmcnt(0)
	v_fma_f64 v[41:42], v[57:58], v[43:44], v[41:42]
	s_waitcnt vmcnt(0)
	v_add_f64 v[41:42], v[59:60], -v[41:42]
	buffer_store_dword v41, off, s[0:3], 0 offset:104
	buffer_store_dword v42, off, s[0:3], 0 offset:108
	v_cmpx_lt_u32_e32 12, v0
	s_cbranch_execz .LBB18_99
; %bb.98:
	s_clause 0x1
	buffer_load_dword v41, off, s[0:3], 0 offset:96
	buffer_load_dword v42, off, s[0:3], 0 offset:100
	buffer_store_dword v40, off, s[0:3], 0 offset:96
	buffer_store_dword v40, off, s[0:3], 0 offset:100
	s_waitcnt vmcnt(0)
	ds_write_b64 v39, v[41:42]
.LBB18_99:
	s_or_b32 exec_lo, exec_lo, s4
	s_waitcnt lgkmcnt(0)
	s_waitcnt_vscnt null, 0x0
	s_barrier
	buffer_gl0_inv
	s_clause 0xd
	buffer_load_dword v49, off, s[0:3], 0 offset:104
	buffer_load_dword v50, off, s[0:3], 0 offset:108
	;; [unrolled: 1-line block ×14, first 2 shown]
	ds_read2_b64 v[41:44], v40 offset0:33 offset1:34
	ds_read2_b64 v[45:48], v40 offset0:35 offset1:36
	s_mov_b32 s4, exec_lo
	s_waitcnt vmcnt(12) lgkmcnt(1)
	v_fma_f64 v[41:42], v[49:50], v[41:42], 0
	s_waitcnt vmcnt(10)
	v_fma_f64 v[41:42], v[51:52], v[43:44], v[41:42]
	s_waitcnt vmcnt(8) lgkmcnt(0)
	v_fma_f64 v[41:42], v[53:54], v[45:46], v[41:42]
	s_waitcnt vmcnt(6)
	v_fma_f64 v[44:45], v[55:56], v[47:48], v[41:42]
	ds_read2_b64 v[40:43], v40 offset0:37 offset1:38
	s_waitcnt vmcnt(4) lgkmcnt(0)
	v_fma_f64 v[40:41], v[57:58], v[40:41], v[44:45]
	s_waitcnt vmcnt(2)
	v_fma_f64 v[40:41], v[59:60], v[42:43], v[40:41]
	s_waitcnt vmcnt(0)
	v_add_f64 v[40:41], v[61:62], -v[40:41]
	buffer_store_dword v40, off, s[0:3], 0 offset:96
	buffer_store_dword v41, off, s[0:3], 0 offset:100
	v_cmpx_lt_u32_e32 11, v0
	s_cbranch_execz .LBB18_101
; %bb.100:
	s_clause 0x1
	buffer_load_dword v40, off, s[0:3], 0 offset:88
	buffer_load_dword v41, off, s[0:3], 0 offset:92
	v_mov_b32_e32 v42, 0
	buffer_store_dword v42, off, s[0:3], 0 offset:88
	buffer_store_dword v42, off, s[0:3], 0 offset:92
	s_waitcnt vmcnt(0)
	ds_write_b64 v39, v[40:41]
.LBB18_101:
	s_or_b32 exec_lo, exec_lo, s4
	s_waitcnt lgkmcnt(0)
	s_waitcnt_vscnt null, 0x0
	s_barrier
	buffer_gl0_inv
	s_clause 0xf
	buffer_load_dword v49, off, s[0:3], 0 offset:96
	buffer_load_dword v50, off, s[0:3], 0 offset:100
	;; [unrolled: 1-line block ×16, first 2 shown]
	v_mov_b32_e32 v40, 0
	ds_read_b128 v[41:44], v40 offset:256
	ds_read_b128 v[45:48], v40 offset:272
	s_mov_b32 s4, exec_lo
	s_waitcnt vmcnt(14) lgkmcnt(1)
	v_fma_f64 v[41:42], v[49:50], v[41:42], 0
	s_waitcnt vmcnt(12)
	v_fma_f64 v[41:42], v[51:52], v[43:44], v[41:42]
	s_waitcnt vmcnt(10) lgkmcnt(0)
	v_fma_f64 v[41:42], v[53:54], v[45:46], v[41:42]
	s_waitcnt vmcnt(8)
	v_fma_f64 v[45:46], v[55:56], v[47:48], v[41:42]
	ds_read_b128 v[41:44], v40 offset:288
	ds_read_b64 v[47:48], v40 offset:304
	s_waitcnt vmcnt(6) lgkmcnt(1)
	v_fma_f64 v[41:42], v[57:58], v[41:42], v[45:46]
	s_waitcnt vmcnt(4)
	v_fma_f64 v[41:42], v[59:60], v[43:44], v[41:42]
	s_waitcnt vmcnt(2) lgkmcnt(0)
	v_fma_f64 v[41:42], v[61:62], v[47:48], v[41:42]
	s_waitcnt vmcnt(0)
	v_add_f64 v[41:42], v[63:64], -v[41:42]
	buffer_store_dword v41, off, s[0:3], 0 offset:88
	buffer_store_dword v42, off, s[0:3], 0 offset:92
	v_cmpx_lt_u32_e32 10, v0
	s_cbranch_execz .LBB18_103
; %bb.102:
	s_clause 0x1
	buffer_load_dword v41, off, s[0:3], 0 offset:80
	buffer_load_dword v42, off, s[0:3], 0 offset:84
	buffer_store_dword v40, off, s[0:3], 0 offset:80
	buffer_store_dword v40, off, s[0:3], 0 offset:84
	s_waitcnt vmcnt(0)
	ds_write_b64 v39, v[41:42]
.LBB18_103:
	s_or_b32 exec_lo, exec_lo, s4
	s_waitcnt lgkmcnt(0)
	s_waitcnt_vscnt null, 0x0
	s_barrier
	buffer_gl0_inv
	s_clause 0x11
	buffer_load_dword v49, off, s[0:3], 0 offset:88
	buffer_load_dword v50, off, s[0:3], 0 offset:92
	buffer_load_dword v51, off, s[0:3], 0 offset:96
	buffer_load_dword v52, off, s[0:3], 0 offset:100
	buffer_load_dword v53, off, s[0:3], 0 offset:104
	buffer_load_dword v54, off, s[0:3], 0 offset:108
	buffer_load_dword v55, off, s[0:3], 0 offset:112
	buffer_load_dword v56, off, s[0:3], 0 offset:116
	buffer_load_dword v57, off, s[0:3], 0 offset:120
	buffer_load_dword v58, off, s[0:3], 0 offset:124
	buffer_load_dword v59, off, s[0:3], 0 offset:128
	buffer_load_dword v60, off, s[0:3], 0 offset:132
	buffer_load_dword v61, off, s[0:3], 0 offset:136
	buffer_load_dword v62, off, s[0:3], 0 offset:140
	buffer_load_dword v64, off, s[0:3], 0 offset:148
	buffer_load_dword v63, off, s[0:3], 0 offset:144
	buffer_load_dword v65, off, s[0:3], 0 offset:80
	buffer_load_dword v66, off, s[0:3], 0 offset:84
	ds_read2_b64 v[41:44], v40 offset0:31 offset1:32
	ds_read2_b64 v[45:48], v40 offset0:33 offset1:34
	s_mov_b32 s4, exec_lo
	s_waitcnt vmcnt(16) lgkmcnt(1)
	v_fma_f64 v[41:42], v[49:50], v[41:42], 0
	s_waitcnt vmcnt(14)
	v_fma_f64 v[41:42], v[51:52], v[43:44], v[41:42]
	s_waitcnt vmcnt(12) lgkmcnt(0)
	v_fma_f64 v[41:42], v[53:54], v[45:46], v[41:42]
	s_waitcnt vmcnt(10)
	v_fma_f64 v[49:50], v[55:56], v[47:48], v[41:42]
	ds_read2_b64 v[41:44], v40 offset0:35 offset1:36
	ds_read2_b64 v[45:48], v40 offset0:37 offset1:38
	s_waitcnt vmcnt(8) lgkmcnt(1)
	v_fma_f64 v[40:41], v[57:58], v[41:42], v[49:50]
	s_waitcnt vmcnt(6)
	v_fma_f64 v[40:41], v[59:60], v[43:44], v[40:41]
	s_waitcnt vmcnt(4) lgkmcnt(0)
	v_fma_f64 v[40:41], v[61:62], v[45:46], v[40:41]
	s_waitcnt vmcnt(2)
	v_fma_f64 v[40:41], v[63:64], v[47:48], v[40:41]
	s_waitcnt vmcnt(0)
	v_add_f64 v[40:41], v[65:66], -v[40:41]
	buffer_store_dword v40, off, s[0:3], 0 offset:80
	buffer_store_dword v41, off, s[0:3], 0 offset:84
	v_cmpx_lt_u32_e32 9, v0
	s_cbranch_execz .LBB18_105
; %bb.104:
	s_clause 0x1
	buffer_load_dword v40, off, s[0:3], 0 offset:72
	buffer_load_dword v41, off, s[0:3], 0 offset:76
	v_mov_b32_e32 v42, 0
	buffer_store_dword v42, off, s[0:3], 0 offset:72
	buffer_store_dword v42, off, s[0:3], 0 offset:76
	s_waitcnt vmcnt(0)
	ds_write_b64 v39, v[40:41]
.LBB18_105:
	s_or_b32 exec_lo, exec_lo, s4
	s_waitcnt lgkmcnt(0)
	s_waitcnt_vscnt null, 0x0
	s_barrier
	buffer_gl0_inv
	s_clause 0x13
	buffer_load_dword v49, off, s[0:3], 0 offset:80
	buffer_load_dword v50, off, s[0:3], 0 offset:84
	;; [unrolled: 1-line block ×20, first 2 shown]
	v_mov_b32_e32 v40, 0
	ds_read_b128 v[41:44], v40 offset:240
	ds_read_b128 v[45:48], v40 offset:256
	s_mov_b32 s4, exec_lo
	s_waitcnt vmcnt(18) lgkmcnt(1)
	v_fma_f64 v[41:42], v[49:50], v[41:42], 0
	s_waitcnt vmcnt(16)
	v_fma_f64 v[41:42], v[51:52], v[43:44], v[41:42]
	s_waitcnt vmcnt(14) lgkmcnt(0)
	v_fma_f64 v[41:42], v[53:54], v[45:46], v[41:42]
	s_waitcnt vmcnt(12)
	v_fma_f64 v[49:50], v[55:56], v[47:48], v[41:42]
	ds_read_b128 v[41:44], v40 offset:272
	ds_read_b128 v[45:48], v40 offset:288
	s_waitcnt vmcnt(10) lgkmcnt(1)
	v_fma_f64 v[41:42], v[57:58], v[41:42], v[49:50]
	s_waitcnt vmcnt(8)
	v_fma_f64 v[41:42], v[59:60], v[43:44], v[41:42]
	ds_read_b64 v[43:44], v40 offset:304
	s_waitcnt vmcnt(6) lgkmcnt(1)
	v_fma_f64 v[41:42], v[61:62], v[45:46], v[41:42]
	s_waitcnt vmcnt(3)
	v_fma_f64 v[41:42], v[63:64], v[47:48], v[41:42]
	s_waitcnt vmcnt(2) lgkmcnt(0)
	v_fma_f64 v[41:42], v[65:66], v[43:44], v[41:42]
	s_waitcnt vmcnt(0)
	v_add_f64 v[41:42], v[67:68], -v[41:42]
	buffer_store_dword v41, off, s[0:3], 0 offset:72
	buffer_store_dword v42, off, s[0:3], 0 offset:76
	v_cmpx_lt_u32_e32 8, v0
	s_cbranch_execz .LBB18_107
; %bb.106:
	s_clause 0x1
	buffer_load_dword v41, off, s[0:3], 0 offset:64
	buffer_load_dword v42, off, s[0:3], 0 offset:68
	buffer_store_dword v40, off, s[0:3], 0 offset:64
	buffer_store_dword v40, off, s[0:3], 0 offset:68
	s_waitcnt vmcnt(0)
	ds_write_b64 v39, v[41:42]
.LBB18_107:
	s_or_b32 exec_lo, exec_lo, s4
	s_waitcnt lgkmcnt(0)
	s_waitcnt_vscnt null, 0x0
	s_barrier
	buffer_gl0_inv
	s_clause 0x15
	buffer_load_dword v49, off, s[0:3], 0 offset:72
	buffer_load_dword v50, off, s[0:3], 0 offset:76
	;; [unrolled: 1-line block ×22, first 2 shown]
	ds_read2_b64 v[41:44], v40 offset0:29 offset1:30
	ds_read2_b64 v[45:48], v40 offset0:31 offset1:32
	s_mov_b32 s4, exec_lo
	s_waitcnt vmcnt(20) lgkmcnt(1)
	v_fma_f64 v[41:42], v[49:50], v[41:42], 0
	s_waitcnt vmcnt(18)
	v_fma_f64 v[41:42], v[51:52], v[43:44], v[41:42]
	s_waitcnt vmcnt(16) lgkmcnt(0)
	v_fma_f64 v[41:42], v[53:54], v[45:46], v[41:42]
	s_waitcnt vmcnt(14)
	v_fma_f64 v[49:50], v[55:56], v[47:48], v[41:42]
	ds_read2_b64 v[41:44], v40 offset0:33 offset1:34
	ds_read2_b64 v[45:48], v40 offset0:35 offset1:36
	s_waitcnt vmcnt(12) lgkmcnt(1)
	v_fma_f64 v[41:42], v[57:58], v[41:42], v[49:50]
	s_waitcnt vmcnt(10)
	v_fma_f64 v[41:42], v[59:60], v[43:44], v[41:42]
	s_waitcnt vmcnt(8) lgkmcnt(0)
	v_fma_f64 v[41:42], v[61:62], v[45:46], v[41:42]
	s_waitcnt vmcnt(4)
	v_fma_f64 v[44:45], v[63:64], v[47:48], v[41:42]
	ds_read2_b64 v[40:43], v40 offset0:37 offset1:38
	s_waitcnt vmcnt(3) lgkmcnt(0)
	v_fma_f64 v[40:41], v[67:68], v[40:41], v[44:45]
	s_waitcnt vmcnt(2)
	v_fma_f64 v[40:41], v[65:66], v[42:43], v[40:41]
	s_waitcnt vmcnt(0)
	v_add_f64 v[40:41], v[69:70], -v[40:41]
	buffer_store_dword v40, off, s[0:3], 0 offset:64
	buffer_store_dword v41, off, s[0:3], 0 offset:68
	v_cmpx_lt_u32_e32 7, v0
	s_cbranch_execz .LBB18_109
; %bb.108:
	s_clause 0x1
	buffer_load_dword v40, off, s[0:3], 0 offset:56
	buffer_load_dword v41, off, s[0:3], 0 offset:60
	v_mov_b32_e32 v42, 0
	buffer_store_dword v42, off, s[0:3], 0 offset:56
	buffer_store_dword v42, off, s[0:3], 0 offset:60
	s_waitcnt vmcnt(0)
	ds_write_b64 v39, v[40:41]
.LBB18_109:
	s_or_b32 exec_lo, exec_lo, s4
	s_waitcnt lgkmcnt(0)
	s_waitcnt_vscnt null, 0x0
	s_barrier
	buffer_gl0_inv
	s_clause 0x17
	buffer_load_dword v49, off, s[0:3], 0 offset:64
	buffer_load_dword v50, off, s[0:3], 0 offset:68
	buffer_load_dword v51, off, s[0:3], 0 offset:72
	buffer_load_dword v52, off, s[0:3], 0 offset:76
	buffer_load_dword v53, off, s[0:3], 0 offset:80
	buffer_load_dword v54, off, s[0:3], 0 offset:84
	buffer_load_dword v55, off, s[0:3], 0 offset:88
	buffer_load_dword v56, off, s[0:3], 0 offset:92
	buffer_load_dword v57, off, s[0:3], 0 offset:96
	buffer_load_dword v58, off, s[0:3], 0 offset:100
	buffer_load_dword v59, off, s[0:3], 0 offset:104
	buffer_load_dword v60, off, s[0:3], 0 offset:108
	buffer_load_dword v61, off, s[0:3], 0 offset:112
	buffer_load_dword v62, off, s[0:3], 0 offset:116
	buffer_load_dword v64, off, s[0:3], 0 offset:124
	buffer_load_dword v65, off, s[0:3], 0 offset:144
	buffer_load_dword v67, off, s[0:3], 0 offset:136
	buffer_load_dword v69, off, s[0:3], 0 offset:128
	buffer_load_dword v63, off, s[0:3], 0 offset:120
	buffer_load_dword v70, off, s[0:3], 0 offset:132
	buffer_load_dword v68, off, s[0:3], 0 offset:140
	buffer_load_dword v66, off, s[0:3], 0 offset:148
	buffer_load_dword v71, off, s[0:3], 0 offset:56
	buffer_load_dword v72, off, s[0:3], 0 offset:60
	v_mov_b32_e32 v40, 0
	ds_read_b128 v[41:44], v40 offset:224
	ds_read_b128 v[45:48], v40 offset:240
	s_mov_b32 s4, exec_lo
	s_waitcnt vmcnt(22) lgkmcnt(1)
	v_fma_f64 v[41:42], v[49:50], v[41:42], 0
	s_waitcnt vmcnt(20)
	v_fma_f64 v[41:42], v[51:52], v[43:44], v[41:42]
	s_waitcnt vmcnt(18) lgkmcnt(0)
	v_fma_f64 v[41:42], v[53:54], v[45:46], v[41:42]
	s_waitcnt vmcnt(16)
	v_fma_f64 v[49:50], v[55:56], v[47:48], v[41:42]
	ds_read_b128 v[41:44], v40 offset:256
	ds_read_b128 v[45:48], v40 offset:272
	s_waitcnt vmcnt(14) lgkmcnt(1)
	v_fma_f64 v[41:42], v[57:58], v[41:42], v[49:50]
	s_waitcnt vmcnt(12)
	v_fma_f64 v[41:42], v[59:60], v[43:44], v[41:42]
	s_waitcnt vmcnt(10) lgkmcnt(0)
	v_fma_f64 v[41:42], v[61:62], v[45:46], v[41:42]
	s_waitcnt vmcnt(5)
	v_fma_f64 v[45:46], v[63:64], v[47:48], v[41:42]
	ds_read_b128 v[41:44], v40 offset:288
	ds_read_b64 v[47:48], v40 offset:304
	s_waitcnt vmcnt(4) lgkmcnt(1)
	v_fma_f64 v[41:42], v[69:70], v[41:42], v[45:46]
	s_waitcnt vmcnt(3)
	v_fma_f64 v[41:42], v[67:68], v[43:44], v[41:42]
	s_waitcnt vmcnt(2) lgkmcnt(0)
	v_fma_f64 v[41:42], v[65:66], v[47:48], v[41:42]
	s_waitcnt vmcnt(0)
	v_add_f64 v[41:42], v[71:72], -v[41:42]
	buffer_store_dword v42, off, s[0:3], 0 offset:60
	buffer_store_dword v41, off, s[0:3], 0 offset:56
	v_cmpx_lt_u32_e32 6, v0
	s_cbranch_execz .LBB18_111
; %bb.110:
	s_clause 0x1
	buffer_load_dword v41, off, s[0:3], 0 offset:48
	buffer_load_dword v42, off, s[0:3], 0 offset:52
	buffer_store_dword v40, off, s[0:3], 0 offset:48
	buffer_store_dword v40, off, s[0:3], 0 offset:52
	s_waitcnt vmcnt(0)
	ds_write_b64 v39, v[41:42]
.LBB18_111:
	s_or_b32 exec_lo, exec_lo, s4
	s_waitcnt lgkmcnt(0)
	s_waitcnt_vscnt null, 0x0
	s_barrier
	buffer_gl0_inv
	s_clause 0x19
	buffer_load_dword v49, off, s[0:3], 0 offset:56
	buffer_load_dword v50, off, s[0:3], 0 offset:60
	;; [unrolled: 1-line block ×26, first 2 shown]
	ds_read2_b64 v[41:44], v40 offset0:27 offset1:28
	ds_read2_b64 v[45:48], v40 offset0:29 offset1:30
	s_mov_b32 s4, exec_lo
	s_waitcnt vmcnt(24) lgkmcnt(1)
	v_fma_f64 v[41:42], v[49:50], v[41:42], 0
	s_waitcnt vmcnt(22)
	v_fma_f64 v[41:42], v[51:52], v[43:44], v[41:42]
	s_waitcnt vmcnt(20) lgkmcnt(0)
	v_fma_f64 v[41:42], v[53:54], v[45:46], v[41:42]
	s_waitcnt vmcnt(18)
	v_fma_f64 v[49:50], v[55:56], v[47:48], v[41:42]
	ds_read2_b64 v[41:44], v40 offset0:31 offset1:32
	ds_read2_b64 v[45:48], v40 offset0:33 offset1:34
	s_waitcnt vmcnt(16) lgkmcnt(1)
	v_fma_f64 v[41:42], v[57:58], v[41:42], v[49:50]
	s_waitcnt vmcnt(14)
	v_fma_f64 v[41:42], v[59:60], v[43:44], v[41:42]
	s_waitcnt vmcnt(12) lgkmcnt(0)
	v_fma_f64 v[41:42], v[61:62], v[45:46], v[41:42]
	s_waitcnt vmcnt(7)
	v_fma_f64 v[49:50], v[63:64], v[47:48], v[41:42]
	ds_read2_b64 v[41:44], v40 offset0:35 offset1:36
	ds_read2_b64 v[45:48], v40 offset0:37 offset1:38
	s_waitcnt vmcnt(6) lgkmcnt(1)
	v_fma_f64 v[40:41], v[69:70], v[41:42], v[49:50]
	s_waitcnt vmcnt(5)
	v_fma_f64 v[40:41], v[67:68], v[43:44], v[40:41]
	s_waitcnt vmcnt(4) lgkmcnt(0)
	v_fma_f64 v[40:41], v[65:66], v[45:46], v[40:41]
	s_waitcnt vmcnt(2)
	v_fma_f64 v[40:41], v[71:72], v[47:48], v[40:41]
	s_waitcnt vmcnt(0)
	v_add_f64 v[40:41], v[73:74], -v[40:41]
	buffer_store_dword v41, off, s[0:3], 0 offset:52
	buffer_store_dword v40, off, s[0:3], 0 offset:48
	v_cmpx_lt_u32_e32 5, v0
	s_cbranch_execz .LBB18_113
; %bb.112:
	s_clause 0x1
	buffer_load_dword v40, off, s[0:3], 0 offset:40
	buffer_load_dword v41, off, s[0:3], 0 offset:44
	v_mov_b32_e32 v42, 0
	buffer_store_dword v42, off, s[0:3], 0 offset:40
	buffer_store_dword v42, off, s[0:3], 0 offset:44
	s_waitcnt vmcnt(0)
	ds_write_b64 v39, v[40:41]
.LBB18_113:
	s_or_b32 exec_lo, exec_lo, s4
	s_waitcnt lgkmcnt(0)
	s_waitcnt_vscnt null, 0x0
	s_barrier
	buffer_gl0_inv
	s_clause 0x1b
	buffer_load_dword v49, off, s[0:3], 0 offset:48
	buffer_load_dword v50, off, s[0:3], 0 offset:52
	;; [unrolled: 1-line block ×28, first 2 shown]
	v_mov_b32_e32 v40, 0
	ds_read_b128 v[41:44], v40 offset:208
	ds_read_b128 v[45:48], v40 offset:224
	s_mov_b32 s4, exec_lo
	s_waitcnt vmcnt(26) lgkmcnt(1)
	v_fma_f64 v[41:42], v[49:50], v[41:42], 0
	s_waitcnt vmcnt(24)
	v_fma_f64 v[41:42], v[51:52], v[43:44], v[41:42]
	s_waitcnt vmcnt(22) lgkmcnt(0)
	v_fma_f64 v[41:42], v[53:54], v[45:46], v[41:42]
	s_waitcnt vmcnt(20)
	v_fma_f64 v[49:50], v[55:56], v[47:48], v[41:42]
	ds_read_b128 v[41:44], v40 offset:240
	ds_read_b128 v[45:48], v40 offset:256
	s_waitcnt vmcnt(18) lgkmcnt(1)
	v_fma_f64 v[41:42], v[57:58], v[41:42], v[49:50]
	s_waitcnt vmcnt(16)
	v_fma_f64 v[41:42], v[59:60], v[43:44], v[41:42]
	s_waitcnt vmcnt(14) lgkmcnt(0)
	v_fma_f64 v[41:42], v[61:62], v[45:46], v[41:42]
	s_waitcnt vmcnt(9)
	v_fma_f64 v[49:50], v[63:64], v[47:48], v[41:42]
	ds_read_b128 v[41:44], v40 offset:272
	ds_read_b128 v[45:48], v40 offset:288
	s_waitcnt vmcnt(8) lgkmcnt(1)
	v_fma_f64 v[41:42], v[69:70], v[41:42], v[49:50]
	s_waitcnt vmcnt(7)
	v_fma_f64 v[41:42], v[67:68], v[43:44], v[41:42]
	ds_read_b64 v[43:44], v40 offset:304
	s_waitcnt vmcnt(6) lgkmcnt(1)
	v_fma_f64 v[41:42], v[65:66], v[45:46], v[41:42]
	s_waitcnt vmcnt(3)
	v_fma_f64 v[41:42], v[71:72], v[47:48], v[41:42]
	s_waitcnt vmcnt(2) lgkmcnt(0)
	v_fma_f64 v[41:42], v[73:74], v[43:44], v[41:42]
	s_waitcnt vmcnt(0)
	v_add_f64 v[41:42], v[75:76], -v[41:42]
	buffer_store_dword v42, off, s[0:3], 0 offset:44
	buffer_store_dword v41, off, s[0:3], 0 offset:40
	v_cmpx_lt_u32_e32 4, v0
	s_cbranch_execz .LBB18_115
; %bb.114:
	s_clause 0x1
	buffer_load_dword v41, off, s[0:3], 0 offset:32
	buffer_load_dword v42, off, s[0:3], 0 offset:36
	buffer_store_dword v40, off, s[0:3], 0 offset:32
	buffer_store_dword v40, off, s[0:3], 0 offset:36
	s_waitcnt vmcnt(0)
	ds_write_b64 v39, v[41:42]
.LBB18_115:
	s_or_b32 exec_lo, exec_lo, s4
	s_waitcnt lgkmcnt(0)
	s_waitcnt_vscnt null, 0x0
	s_barrier
	buffer_gl0_inv
	s_clause 0x1b
	buffer_load_dword v45, off, s[0:3], 0 offset:40
	buffer_load_dword v46, off, s[0:3], 0 offset:44
	;; [unrolled: 1-line block ×28, first 2 shown]
	ds_read2_b64 v[41:44], v40 offset0:25 offset1:26
	s_clause 0x1
	buffer_load_dword v73, off, s[0:3], 0 offset:32
	buffer_load_dword v74, off, s[0:3], 0 offset:36
	s_mov_b32 s4, exec_lo
	s_waitcnt vmcnt(28) lgkmcnt(0)
	v_fma_f64 v[41:42], v[45:46], v[41:42], 0
	s_waitcnt vmcnt(26)
	v_fma_f64 v[45:46], v[47:48], v[43:44], v[41:42]
	ds_read2_b64 v[41:44], v40 offset0:27 offset1:28
	s_waitcnt vmcnt(24) lgkmcnt(0)
	v_fma_f64 v[41:42], v[49:50], v[41:42], v[45:46]
	s_waitcnt vmcnt(22)
	v_fma_f64 v[45:46], v[51:52], v[43:44], v[41:42]
	ds_read2_b64 v[41:44], v40 offset0:29 offset1:30
	;; [unrolled: 5-line block ×6, first 2 shown]
	s_waitcnt vmcnt(4) lgkmcnt(0)
	v_fma_f64 v[40:41], v[69:70], v[40:41], v[44:45]
	s_waitcnt vmcnt(2)
	v_fma_f64 v[40:41], v[71:72], v[42:43], v[40:41]
	s_waitcnt vmcnt(0)
	v_add_f64 v[40:41], v[73:74], -v[40:41]
	buffer_store_dword v41, off, s[0:3], 0 offset:36
	buffer_store_dword v40, off, s[0:3], 0 offset:32
	v_cmpx_lt_u32_e32 3, v0
	s_cbranch_execz .LBB18_117
; %bb.116:
	s_clause 0x1
	buffer_load_dword v40, off, s[0:3], 0 offset:24
	buffer_load_dword v41, off, s[0:3], 0 offset:28
	v_mov_b32_e32 v42, 0
	buffer_store_dword v42, off, s[0:3], 0 offset:24
	buffer_store_dword v42, off, s[0:3], 0 offset:28
	s_waitcnt vmcnt(0)
	ds_write_b64 v39, v[40:41]
.LBB18_117:
	s_or_b32 exec_lo, exec_lo, s4
	s_waitcnt lgkmcnt(0)
	s_waitcnt_vscnt null, 0x0
	s_barrier
	buffer_gl0_inv
	s_clause 0x1b
	buffer_load_dword v45, off, s[0:3], 0 offset:32
	buffer_load_dword v46, off, s[0:3], 0 offset:36
	;; [unrolled: 1-line block ×28, first 2 shown]
	v_mov_b32_e32 v40, 0
	s_mov_b32 s4, exec_lo
	ds_read_b128 v[41:44], v40 offset:192
	s_clause 0x1
	buffer_load_dword v73, off, s[0:3], 0 offset:144
	buffer_load_dword v74, off, s[0:3], 0 offset:148
	s_waitcnt vmcnt(28) lgkmcnt(0)
	v_fma_f64 v[41:42], v[45:46], v[41:42], 0
	s_clause 0x1
	buffer_load_dword v45, off, s[0:3], 0 offset:24
	buffer_load_dword v46, off, s[0:3], 0 offset:28
	s_waitcnt vmcnt(28)
	v_fma_f64 v[47:48], v[47:48], v[43:44], v[41:42]
	ds_read_b128 v[41:44], v40 offset:208
	s_waitcnt vmcnt(26) lgkmcnt(0)
	v_fma_f64 v[41:42], v[49:50], v[41:42], v[47:48]
	s_waitcnt vmcnt(24)
	v_fma_f64 v[47:48], v[51:52], v[43:44], v[41:42]
	ds_read_b128 v[41:44], v40 offset:224
	s_waitcnt vmcnt(22) lgkmcnt(0)
	v_fma_f64 v[41:42], v[53:54], v[41:42], v[47:48]
	;; [unrolled: 5-line block ×6, first 2 shown]
	s_waitcnt vmcnt(4)
	v_fma_f64 v[41:42], v[71:72], v[43:44], v[41:42]
	ds_read_b64 v[43:44], v40 offset:304
	s_waitcnt vmcnt(2) lgkmcnt(0)
	v_fma_f64 v[41:42], v[73:74], v[43:44], v[41:42]
	s_waitcnt vmcnt(0)
	v_add_f64 v[41:42], v[45:46], -v[41:42]
	buffer_store_dword v42, off, s[0:3], 0 offset:28
	buffer_store_dword v41, off, s[0:3], 0 offset:24
	v_cmpx_lt_u32_e32 2, v0
	s_cbranch_execz .LBB18_119
; %bb.118:
	s_clause 0x1
	buffer_load_dword v41, off, s[0:3], 0 offset:16
	buffer_load_dword v42, off, s[0:3], 0 offset:20
	buffer_store_dword v40, off, s[0:3], 0 offset:16
	buffer_store_dword v40, off, s[0:3], 0 offset:20
	s_waitcnt vmcnt(0)
	ds_write_b64 v39, v[41:42]
.LBB18_119:
	s_or_b32 exec_lo, exec_lo, s4
	s_waitcnt lgkmcnt(0)
	s_waitcnt_vscnt null, 0x0
	s_barrier
	buffer_gl0_inv
	s_clause 0x1b
	buffer_load_dword v45, off, s[0:3], 0 offset:24
	buffer_load_dword v46, off, s[0:3], 0 offset:28
	;; [unrolled: 1-line block ×28, first 2 shown]
	ds_read2_b64 v[41:44], v40 offset0:23 offset1:24
	s_clause 0x1
	buffer_load_dword v73, off, s[0:3], 0 offset:136
	buffer_load_dword v74, off, s[0:3], 0 offset:140
	s_mov_b32 s4, exec_lo
	s_waitcnt vmcnt(28) lgkmcnt(0)
	v_fma_f64 v[41:42], v[45:46], v[41:42], 0
	s_clause 0x1
	buffer_load_dword v46, off, s[0:3], 0 offset:148
	buffer_load_dword v45, off, s[0:3], 0 offset:144
	s_waitcnt vmcnt(28)
	v_fma_f64 v[47:48], v[47:48], v[43:44], v[41:42]
	ds_read2_b64 v[41:44], v40 offset0:25 offset1:26
	s_clause 0x1
	buffer_load_dword v75, off, s[0:3], 0 offset:16
	buffer_load_dword v76, off, s[0:3], 0 offset:20
	s_waitcnt vmcnt(28) lgkmcnt(0)
	v_fma_f64 v[41:42], v[49:50], v[41:42], v[47:48]
	s_waitcnt vmcnt(26)
	v_fma_f64 v[47:48], v[51:52], v[43:44], v[41:42]
	ds_read2_b64 v[41:44], v40 offset0:27 offset1:28
	s_waitcnt vmcnt(24) lgkmcnt(0)
	v_fma_f64 v[41:42], v[53:54], v[41:42], v[47:48]
	s_waitcnt vmcnt(22)
	v_fma_f64 v[47:48], v[55:56], v[43:44], v[41:42]
	ds_read2_b64 v[41:44], v40 offset0:29 offset1:30
	;; [unrolled: 5-line block ×6, first 2 shown]
	s_waitcnt vmcnt(4) lgkmcnt(0)
	v_fma_f64 v[40:41], v[73:74], v[40:41], v[47:48]
	s_waitcnt vmcnt(2)
	v_fma_f64 v[40:41], v[45:46], v[42:43], v[40:41]
	s_waitcnt vmcnt(0)
	v_add_f64 v[40:41], v[75:76], -v[40:41]
	buffer_store_dword v41, off, s[0:3], 0 offset:20
	buffer_store_dword v40, off, s[0:3], 0 offset:16
	v_cmpx_lt_u32_e32 1, v0
	s_cbranch_execz .LBB18_121
; %bb.120:
	s_clause 0x1
	buffer_load_dword v40, off, s[0:3], 0 offset:8
	buffer_load_dword v41, off, s[0:3], 0 offset:12
	v_mov_b32_e32 v42, 0
	buffer_store_dword v42, off, s[0:3], 0 offset:8
	buffer_store_dword v42, off, s[0:3], 0 offset:12
	s_waitcnt vmcnt(0)
	ds_write_b64 v39, v[40:41]
.LBB18_121:
	s_or_b32 exec_lo, exec_lo, s4
	s_waitcnt lgkmcnt(0)
	s_waitcnt_vscnt null, 0x0
	s_barrier
	buffer_gl0_inv
	s_clause 0x1b
	buffer_load_dword v45, off, s[0:3], 0 offset:16
	buffer_load_dword v46, off, s[0:3], 0 offset:20
	;; [unrolled: 1-line block ×28, first 2 shown]
	v_mov_b32_e32 v40, 0
	s_mov_b32 s4, exec_lo
	ds_read_b128 v[41:44], v40 offset:176
	s_clause 0x1
	buffer_load_dword v73, off, s[0:3], 0 offset:128
	buffer_load_dword v74, off, s[0:3], 0 offset:132
	s_waitcnt vmcnt(28) lgkmcnt(0)
	v_fma_f64 v[41:42], v[45:46], v[41:42], 0
	s_clause 0x1
	buffer_load_dword v46, off, s[0:3], 0 offset:140
	buffer_load_dword v45, off, s[0:3], 0 offset:136
	s_waitcnt vmcnt(28)
	v_fma_f64 v[47:48], v[47:48], v[43:44], v[41:42]
	ds_read_b128 v[41:44], v40 offset:192
	s_clause 0x1
	buffer_load_dword v75, off, s[0:3], 0 offset:144
	buffer_load_dword v76, off, s[0:3], 0 offset:148
	s_waitcnt vmcnt(28) lgkmcnt(0)
	v_fma_f64 v[41:42], v[49:50], v[41:42], v[47:48]
	s_clause 0x1
	buffer_load_dword v47, off, s[0:3], 0 offset:8
	buffer_load_dword v48, off, s[0:3], 0 offset:12
	s_waitcnt vmcnt(28)
	v_fma_f64 v[49:50], v[51:52], v[43:44], v[41:42]
	ds_read_b128 v[41:44], v40 offset:208
	s_waitcnt vmcnt(26) lgkmcnt(0)
	v_fma_f64 v[41:42], v[53:54], v[41:42], v[49:50]
	s_waitcnt vmcnt(24)
	v_fma_f64 v[49:50], v[55:56], v[43:44], v[41:42]
	ds_read_b128 v[41:44], v40 offset:224
	s_waitcnt vmcnt(22) lgkmcnt(0)
	v_fma_f64 v[41:42], v[57:58], v[41:42], v[49:50]
	s_waitcnt vmcnt(20)
	v_fma_f64 v[49:50], v[59:60], v[43:44], v[41:42]
	ds_read_b128 v[41:44], v40 offset:240
	s_waitcnt vmcnt(18) lgkmcnt(0)
	v_fma_f64 v[41:42], v[61:62], v[41:42], v[49:50]
	s_waitcnt vmcnt(16)
	v_fma_f64 v[49:50], v[63:64], v[43:44], v[41:42]
	ds_read_b128 v[41:44], v40 offset:256
	s_waitcnt vmcnt(14) lgkmcnt(0)
	v_fma_f64 v[41:42], v[65:66], v[41:42], v[49:50]
	s_waitcnt vmcnt(12)
	v_fma_f64 v[49:50], v[67:68], v[43:44], v[41:42]
	ds_read_b128 v[41:44], v40 offset:272
	s_waitcnt vmcnt(10) lgkmcnt(0)
	v_fma_f64 v[41:42], v[69:70], v[41:42], v[49:50]
	s_waitcnt vmcnt(8)
	v_fma_f64 v[49:50], v[71:72], v[43:44], v[41:42]
	ds_read_b128 v[41:44], v40 offset:288
	s_waitcnt vmcnt(6) lgkmcnt(0)
	v_fma_f64 v[41:42], v[73:74], v[41:42], v[49:50]
	s_waitcnt vmcnt(4)
	v_fma_f64 v[41:42], v[45:46], v[43:44], v[41:42]
	ds_read_b64 v[43:44], v40 offset:304
	s_waitcnt vmcnt(2) lgkmcnt(0)
	v_fma_f64 v[41:42], v[75:76], v[43:44], v[41:42]
	s_waitcnt vmcnt(0)
	v_add_f64 v[41:42], v[47:48], -v[41:42]
	buffer_store_dword v42, off, s[0:3], 0 offset:12
	buffer_store_dword v41, off, s[0:3], 0 offset:8
	v_cmpx_ne_u32_e32 0, v0
	s_cbranch_execz .LBB18_123
; %bb.122:
	s_clause 0x1
	buffer_load_dword v41, off, s[0:3], 0
	buffer_load_dword v42, off, s[0:3], 0 offset:4
	buffer_store_dword v40, off, s[0:3], 0
	buffer_store_dword v40, off, s[0:3], 0 offset:4
	s_waitcnt vmcnt(0)
	ds_write_b64 v39, v[41:42]
.LBB18_123:
	s_or_b32 exec_lo, exec_lo, s4
	s_waitcnt lgkmcnt(0)
	s_waitcnt_vscnt null, 0x0
	s_barrier
	buffer_gl0_inv
	s_clause 0x1b
	buffer_load_dword v45, off, s[0:3], 0 offset:8
	buffer_load_dword v46, off, s[0:3], 0 offset:12
	;; [unrolled: 1-line block ×28, first 2 shown]
	ds_read2_b64 v[41:44], v40 offset0:21 offset1:22
	s_clause 0x3
	buffer_load_dword v73, off, s[0:3], 0 offset:120
	buffer_load_dword v74, off, s[0:3], 0 offset:124
	;; [unrolled: 1-line block ×4, first 2 shown]
	s_and_b32 vcc_lo, exec_lo, s22
	s_waitcnt vmcnt(30) lgkmcnt(0)
	v_fma_f64 v[41:42], v[45:46], v[41:42], 0
	s_waitcnt vmcnt(28)
	v_fma_f64 v[47:48], v[47:48], v[43:44], v[41:42]
	ds_read2_b64 v[43:46], v40 offset0:23 offset1:24
	s_clause 0x1
	buffer_load_dword v41, off, s[0:3], 0 offset:136
	buffer_load_dword v42, off, s[0:3], 0 offset:140
	s_waitcnt vmcnt(28) lgkmcnt(0)
	v_fma_f64 v[43:44], v[49:50], v[43:44], v[47:48]
	s_clause 0x1
	buffer_load_dword v47, off, s[0:3], 0 offset:144
	buffer_load_dword v48, off, s[0:3], 0 offset:148
	s_waitcnt vmcnt(28)
	v_fma_f64 v[49:50], v[51:52], v[45:46], v[43:44]
	ds_read2_b64 v[43:46], v40 offset0:25 offset1:26
	s_clause 0x1
	buffer_load_dword v51, off, s[0:3], 0
	buffer_load_dword v52, off, s[0:3], 0 offset:4
	s_waitcnt vmcnt(28) lgkmcnt(0)
	v_fma_f64 v[43:44], v[53:54], v[43:44], v[49:50]
	s_waitcnt vmcnt(26)
	v_fma_f64 v[49:50], v[55:56], v[45:46], v[43:44]
	ds_read2_b64 v[43:46], v40 offset0:27 offset1:28
	s_waitcnt vmcnt(24) lgkmcnt(0)
	v_fma_f64 v[43:44], v[57:58], v[43:44], v[49:50]
	s_waitcnt vmcnt(22)
	v_fma_f64 v[49:50], v[59:60], v[45:46], v[43:44]
	ds_read2_b64 v[43:46], v40 offset0:29 offset1:30
	;; [unrolled: 5-line block ×6, first 2 shown]
	s_waitcnt vmcnt(4) lgkmcnt(0)
	v_fma_f64 v[39:40], v[41:42], v[43:44], v[49:50]
	s_waitcnt vmcnt(2)
	v_fma_f64 v[39:40], v[47:48], v[45:46], v[39:40]
	s_waitcnt vmcnt(0)
	v_add_f64 v[39:40], v[51:52], -v[39:40]
	buffer_store_dword v40, off, s[0:3], 0 offset:4
	buffer_store_dword v39, off, s[0:3], 0
	s_cbranch_vccz .LBB18_160
; %bb.124:
	v_mov_b32_e32 v0, 0
	global_load_dword v39, v0, s[20:21] offset:68
	s_waitcnt vmcnt(0)
	v_add_nc_u32_e32 v39, -1, v39
	v_cmp_ne_u32_e32 vcc_lo, 17, v39
	s_cbranch_vccz .LBB18_126
; %bb.125:
	v_lshlrev_b32_e32 v39, 3, v39
	s_clause 0x1
	buffer_load_dword v40, v39, s[0:3], 0 offen
	buffer_load_dword v43, v39, s[0:3], 0 offen offset:4
	s_waitcnt vmcnt(1)
	buffer_store_dword v40, off, s[0:3], 0 offset:136
	s_waitcnt vmcnt(0)
	buffer_store_dword v43, off, s[0:3], 0 offset:140
	buffer_store_dword v41, v39, s[0:3], 0 offen
	buffer_store_dword v42, v39, s[0:3], 0 offen offset:4
.LBB18_126:
	global_load_dword v0, v0, s[20:21] offset:64
	s_waitcnt vmcnt(0)
	v_add_nc_u32_e32 v0, -1, v0
	v_cmp_eq_u32_e32 vcc_lo, 16, v0
	s_cbranch_vccnz .LBB18_128
; %bb.127:
	v_lshlrev_b32_e32 v0, 3, v0
	s_clause 0x3
	buffer_load_dword v39, v0, s[0:3], 0 offen
	buffer_load_dword v40, v0, s[0:3], 0 offen offset:4
	buffer_load_dword v41, off, s[0:3], 0 offset:132
	buffer_load_dword v42, off, s[0:3], 0 offset:128
	s_waitcnt vmcnt(3)
	buffer_store_dword v39, off, s[0:3], 0 offset:128
	s_waitcnt vmcnt(2)
	buffer_store_dword v40, off, s[0:3], 0 offset:132
	s_waitcnt vmcnt(1)
	buffer_store_dword v41, v0, s[0:3], 0 offen offset:4
	s_waitcnt vmcnt(0)
	buffer_store_dword v42, v0, s[0:3], 0 offen
.LBB18_128:
	v_mov_b32_e32 v0, 0
	global_load_dword v39, v0, s[20:21] offset:60
	s_waitcnt vmcnt(0)
	v_add_nc_u32_e32 v39, -1, v39
	v_cmp_eq_u32_e32 vcc_lo, 15, v39
	s_cbranch_vccnz .LBB18_130
; %bb.129:
	v_lshlrev_b32_e32 v39, 3, v39
	s_clause 0x3
	buffer_load_dword v40, v39, s[0:3], 0 offen
	buffer_load_dword v41, v39, s[0:3], 0 offen offset:4
	buffer_load_dword v42, off, s[0:3], 0 offset:120
	buffer_load_dword v43, off, s[0:3], 0 offset:124
	s_waitcnt vmcnt(3)
	buffer_store_dword v40, off, s[0:3], 0 offset:120
	s_waitcnt vmcnt(2)
	buffer_store_dword v41, off, s[0:3], 0 offset:124
	s_waitcnt vmcnt(1)
	buffer_store_dword v42, v39, s[0:3], 0 offen
	s_waitcnt vmcnt(0)
	buffer_store_dword v43, v39, s[0:3], 0 offen offset:4
.LBB18_130:
	global_load_dword v0, v0, s[20:21] offset:56
	s_waitcnt vmcnt(0)
	v_add_nc_u32_e32 v0, -1, v0
	v_cmp_eq_u32_e32 vcc_lo, 14, v0
	s_cbranch_vccnz .LBB18_132
; %bb.131:
	v_lshlrev_b32_e32 v0, 3, v0
	s_clause 0x3
	buffer_load_dword v39, v0, s[0:3], 0 offen
	buffer_load_dword v40, v0, s[0:3], 0 offen offset:4
	buffer_load_dword v41, off, s[0:3], 0 offset:116
	buffer_load_dword v42, off, s[0:3], 0 offset:112
	s_waitcnt vmcnt(3)
	buffer_store_dword v39, off, s[0:3], 0 offset:112
	s_waitcnt vmcnt(2)
	buffer_store_dword v40, off, s[0:3], 0 offset:116
	s_waitcnt vmcnt(1)
	buffer_store_dword v41, v0, s[0:3], 0 offen offset:4
	s_waitcnt vmcnt(0)
	buffer_store_dword v42, v0, s[0:3], 0 offen
.LBB18_132:
	v_mov_b32_e32 v0, 0
	global_load_dword v39, v0, s[20:21] offset:52
	s_waitcnt vmcnt(0)
	v_add_nc_u32_e32 v39, -1, v39
	v_cmp_eq_u32_e32 vcc_lo, 13, v39
	s_cbranch_vccnz .LBB18_134
; %bb.133:
	v_lshlrev_b32_e32 v39, 3, v39
	s_clause 0x3
	buffer_load_dword v40, v39, s[0:3], 0 offen
	buffer_load_dword v41, v39, s[0:3], 0 offen offset:4
	buffer_load_dword v42, off, s[0:3], 0 offset:104
	buffer_load_dword v43, off, s[0:3], 0 offset:108
	s_waitcnt vmcnt(3)
	buffer_store_dword v40, off, s[0:3], 0 offset:104
	s_waitcnt vmcnt(2)
	buffer_store_dword v41, off, s[0:3], 0 offset:108
	s_waitcnt vmcnt(1)
	buffer_store_dword v42, v39, s[0:3], 0 offen
	s_waitcnt vmcnt(0)
	buffer_store_dword v43, v39, s[0:3], 0 offen offset:4
.LBB18_134:
	global_load_dword v0, v0, s[20:21] offset:48
	s_waitcnt vmcnt(0)
	v_add_nc_u32_e32 v0, -1, v0
	v_cmp_eq_u32_e32 vcc_lo, 12, v0
	s_cbranch_vccnz .LBB18_136
; %bb.135:
	v_lshlrev_b32_e32 v0, 3, v0
	s_clause 0x3
	buffer_load_dword v39, v0, s[0:3], 0 offen
	buffer_load_dword v40, v0, s[0:3], 0 offen offset:4
	buffer_load_dword v41, off, s[0:3], 0 offset:100
	buffer_load_dword v42, off, s[0:3], 0 offset:96
	s_waitcnt vmcnt(3)
	buffer_store_dword v39, off, s[0:3], 0 offset:96
	s_waitcnt vmcnt(2)
	buffer_store_dword v40, off, s[0:3], 0 offset:100
	s_waitcnt vmcnt(1)
	buffer_store_dword v41, v0, s[0:3], 0 offen offset:4
	s_waitcnt vmcnt(0)
	buffer_store_dword v42, v0, s[0:3], 0 offen
.LBB18_136:
	v_mov_b32_e32 v0, 0
	global_load_dword v39, v0, s[20:21] offset:44
	s_waitcnt vmcnt(0)
	v_add_nc_u32_e32 v39, -1, v39
	v_cmp_eq_u32_e32 vcc_lo, 11, v39
	s_cbranch_vccnz .LBB18_138
; %bb.137:
	v_lshlrev_b32_e32 v39, 3, v39
	s_clause 0x3
	buffer_load_dword v40, v39, s[0:3], 0 offen
	buffer_load_dword v41, v39, s[0:3], 0 offen offset:4
	buffer_load_dword v42, off, s[0:3], 0 offset:88
	buffer_load_dword v43, off, s[0:3], 0 offset:92
	s_waitcnt vmcnt(3)
	buffer_store_dword v40, off, s[0:3], 0 offset:88
	s_waitcnt vmcnt(2)
	buffer_store_dword v41, off, s[0:3], 0 offset:92
	s_waitcnt vmcnt(1)
	buffer_store_dword v42, v39, s[0:3], 0 offen
	s_waitcnt vmcnt(0)
	buffer_store_dword v43, v39, s[0:3], 0 offen offset:4
.LBB18_138:
	global_load_dword v0, v0, s[20:21] offset:40
	s_waitcnt vmcnt(0)
	v_add_nc_u32_e32 v0, -1, v0
	v_cmp_eq_u32_e32 vcc_lo, 10, v0
	s_cbranch_vccnz .LBB18_140
; %bb.139:
	v_lshlrev_b32_e32 v0, 3, v0
	s_clause 0x3
	buffer_load_dword v39, v0, s[0:3], 0 offen
	buffer_load_dword v40, v0, s[0:3], 0 offen offset:4
	buffer_load_dword v41, off, s[0:3], 0 offset:84
	buffer_load_dword v42, off, s[0:3], 0 offset:80
	s_waitcnt vmcnt(3)
	buffer_store_dword v39, off, s[0:3], 0 offset:80
	s_waitcnt vmcnt(2)
	buffer_store_dword v40, off, s[0:3], 0 offset:84
	s_waitcnt vmcnt(1)
	buffer_store_dword v41, v0, s[0:3], 0 offen offset:4
	s_waitcnt vmcnt(0)
	buffer_store_dword v42, v0, s[0:3], 0 offen
.LBB18_140:
	v_mov_b32_e32 v0, 0
	global_load_dword v39, v0, s[20:21] offset:36
	s_waitcnt vmcnt(0)
	v_add_nc_u32_e32 v39, -1, v39
	v_cmp_eq_u32_e32 vcc_lo, 9, v39
	s_cbranch_vccnz .LBB18_142
; %bb.141:
	v_lshlrev_b32_e32 v39, 3, v39
	s_clause 0x3
	buffer_load_dword v40, v39, s[0:3], 0 offen
	buffer_load_dword v41, v39, s[0:3], 0 offen offset:4
	buffer_load_dword v42, off, s[0:3], 0 offset:72
	buffer_load_dword v43, off, s[0:3], 0 offset:76
	s_waitcnt vmcnt(3)
	buffer_store_dword v40, off, s[0:3], 0 offset:72
	s_waitcnt vmcnt(2)
	buffer_store_dword v41, off, s[0:3], 0 offset:76
	s_waitcnt vmcnt(1)
	buffer_store_dword v42, v39, s[0:3], 0 offen
	s_waitcnt vmcnt(0)
	buffer_store_dword v43, v39, s[0:3], 0 offen offset:4
.LBB18_142:
	global_load_dword v0, v0, s[20:21] offset:32
	s_waitcnt vmcnt(0)
	v_add_nc_u32_e32 v0, -1, v0
	v_cmp_eq_u32_e32 vcc_lo, 8, v0
	s_cbranch_vccnz .LBB18_144
; %bb.143:
	v_lshlrev_b32_e32 v0, 3, v0
	s_clause 0x3
	buffer_load_dword v39, v0, s[0:3], 0 offen
	buffer_load_dword v40, v0, s[0:3], 0 offen offset:4
	buffer_load_dword v41, off, s[0:3], 0 offset:68
	buffer_load_dword v42, off, s[0:3], 0 offset:64
	s_waitcnt vmcnt(3)
	buffer_store_dword v39, off, s[0:3], 0 offset:64
	s_waitcnt vmcnt(2)
	buffer_store_dword v40, off, s[0:3], 0 offset:68
	s_waitcnt vmcnt(1)
	buffer_store_dword v41, v0, s[0:3], 0 offen offset:4
	s_waitcnt vmcnt(0)
	buffer_store_dword v42, v0, s[0:3], 0 offen
.LBB18_144:
	v_mov_b32_e32 v0, 0
	global_load_dword v39, v0, s[20:21] offset:28
	s_waitcnt vmcnt(0)
	v_add_nc_u32_e32 v39, -1, v39
	v_cmp_eq_u32_e32 vcc_lo, 7, v39
	s_cbranch_vccnz .LBB18_146
; %bb.145:
	v_lshlrev_b32_e32 v39, 3, v39
	s_clause 0x3
	buffer_load_dword v40, v39, s[0:3], 0 offen
	buffer_load_dword v41, v39, s[0:3], 0 offen offset:4
	buffer_load_dword v42, off, s[0:3], 0 offset:56
	buffer_load_dword v43, off, s[0:3], 0 offset:60
	s_waitcnt vmcnt(3)
	buffer_store_dword v40, off, s[0:3], 0 offset:56
	s_waitcnt vmcnt(2)
	buffer_store_dword v41, off, s[0:3], 0 offset:60
	s_waitcnt vmcnt(1)
	buffer_store_dword v42, v39, s[0:3], 0 offen
	s_waitcnt vmcnt(0)
	buffer_store_dword v43, v39, s[0:3], 0 offen offset:4
.LBB18_146:
	global_load_dword v0, v0, s[20:21] offset:24
	s_waitcnt vmcnt(0)
	v_add_nc_u32_e32 v0, -1, v0
	v_cmp_eq_u32_e32 vcc_lo, 6, v0
	s_cbranch_vccnz .LBB18_148
; %bb.147:
	v_lshlrev_b32_e32 v0, 3, v0
	s_clause 0x3
	buffer_load_dword v39, v0, s[0:3], 0 offen
	buffer_load_dword v40, v0, s[0:3], 0 offen offset:4
	buffer_load_dword v41, off, s[0:3], 0 offset:52
	buffer_load_dword v42, off, s[0:3], 0 offset:48
	s_waitcnt vmcnt(3)
	buffer_store_dword v39, off, s[0:3], 0 offset:48
	s_waitcnt vmcnt(2)
	buffer_store_dword v40, off, s[0:3], 0 offset:52
	s_waitcnt vmcnt(1)
	buffer_store_dword v41, v0, s[0:3], 0 offen offset:4
	s_waitcnt vmcnt(0)
	buffer_store_dword v42, v0, s[0:3], 0 offen
.LBB18_148:
	v_mov_b32_e32 v0, 0
	global_load_dword v39, v0, s[20:21] offset:20
	s_waitcnt vmcnt(0)
	v_add_nc_u32_e32 v39, -1, v39
	v_cmp_eq_u32_e32 vcc_lo, 5, v39
	s_cbranch_vccnz .LBB18_150
; %bb.149:
	v_lshlrev_b32_e32 v39, 3, v39
	s_clause 0x3
	buffer_load_dword v40, v39, s[0:3], 0 offen
	buffer_load_dword v41, v39, s[0:3], 0 offen offset:4
	buffer_load_dword v42, off, s[0:3], 0 offset:40
	buffer_load_dword v43, off, s[0:3], 0 offset:44
	s_waitcnt vmcnt(3)
	buffer_store_dword v40, off, s[0:3], 0 offset:40
	s_waitcnt vmcnt(2)
	buffer_store_dword v41, off, s[0:3], 0 offset:44
	s_waitcnt vmcnt(1)
	buffer_store_dword v42, v39, s[0:3], 0 offen
	s_waitcnt vmcnt(0)
	buffer_store_dword v43, v39, s[0:3], 0 offen offset:4
.LBB18_150:
	global_load_dword v0, v0, s[20:21] offset:16
	s_waitcnt vmcnt(0)
	v_add_nc_u32_e32 v0, -1, v0
	v_cmp_eq_u32_e32 vcc_lo, 4, v0
	s_cbranch_vccnz .LBB18_152
; %bb.151:
	v_lshlrev_b32_e32 v0, 3, v0
	s_clause 0x3
	buffer_load_dword v39, v0, s[0:3], 0 offen
	buffer_load_dword v40, v0, s[0:3], 0 offen offset:4
	buffer_load_dword v41, off, s[0:3], 0 offset:36
	buffer_load_dword v42, off, s[0:3], 0 offset:32
	s_waitcnt vmcnt(3)
	buffer_store_dword v39, off, s[0:3], 0 offset:32
	s_waitcnt vmcnt(2)
	buffer_store_dword v40, off, s[0:3], 0 offset:36
	s_waitcnt vmcnt(1)
	buffer_store_dword v41, v0, s[0:3], 0 offen offset:4
	s_waitcnt vmcnt(0)
	buffer_store_dword v42, v0, s[0:3], 0 offen
.LBB18_152:
	v_mov_b32_e32 v0, 0
	global_load_dword v39, v0, s[20:21] offset:12
	s_waitcnt vmcnt(0)
	v_add_nc_u32_e32 v39, -1, v39
	v_cmp_eq_u32_e32 vcc_lo, 3, v39
	s_cbranch_vccnz .LBB18_154
; %bb.153:
	v_lshlrev_b32_e32 v39, 3, v39
	s_clause 0x3
	buffer_load_dword v40, v39, s[0:3], 0 offen
	buffer_load_dword v41, v39, s[0:3], 0 offen offset:4
	buffer_load_dword v42, off, s[0:3], 0 offset:24
	buffer_load_dword v43, off, s[0:3], 0 offset:28
	s_waitcnt vmcnt(3)
	buffer_store_dword v40, off, s[0:3], 0 offset:24
	s_waitcnt vmcnt(2)
	buffer_store_dword v41, off, s[0:3], 0 offset:28
	s_waitcnt vmcnt(1)
	buffer_store_dword v42, v39, s[0:3], 0 offen
	s_waitcnt vmcnt(0)
	buffer_store_dword v43, v39, s[0:3], 0 offen offset:4
.LBB18_154:
	global_load_dword v0, v0, s[20:21] offset:8
	s_waitcnt vmcnt(0)
	v_add_nc_u32_e32 v0, -1, v0
	v_cmp_eq_u32_e32 vcc_lo, 2, v0
	s_cbranch_vccnz .LBB18_156
; %bb.155:
	v_lshlrev_b32_e32 v0, 3, v0
	s_clause 0x3
	buffer_load_dword v39, v0, s[0:3], 0 offen
	buffer_load_dword v40, v0, s[0:3], 0 offen offset:4
	buffer_load_dword v41, off, s[0:3], 0 offset:20
	buffer_load_dword v42, off, s[0:3], 0 offset:16
	s_waitcnt vmcnt(3)
	buffer_store_dword v39, off, s[0:3], 0 offset:16
	s_waitcnt vmcnt(2)
	buffer_store_dword v40, off, s[0:3], 0 offset:20
	s_waitcnt vmcnt(1)
	buffer_store_dword v41, v0, s[0:3], 0 offen offset:4
	s_waitcnt vmcnt(0)
	buffer_store_dword v42, v0, s[0:3], 0 offen
.LBB18_156:
	v_mov_b32_e32 v0, 0
	global_load_dword v39, v0, s[20:21] offset:4
	s_waitcnt vmcnt(0)
	v_add_nc_u32_e32 v39, -1, v39
	v_cmp_eq_u32_e32 vcc_lo, 1, v39
	s_cbranch_vccnz .LBB18_158
; %bb.157:
	v_lshlrev_b32_e32 v39, 3, v39
	s_clause 0x3
	buffer_load_dword v40, v39, s[0:3], 0 offen
	buffer_load_dword v41, v39, s[0:3], 0 offen offset:4
	buffer_load_dword v42, off, s[0:3], 0 offset:8
	buffer_load_dword v43, off, s[0:3], 0 offset:12
	s_waitcnt vmcnt(3)
	buffer_store_dword v40, off, s[0:3], 0 offset:8
	s_waitcnt vmcnt(2)
	buffer_store_dword v41, off, s[0:3], 0 offset:12
	s_waitcnt vmcnt(1)
	buffer_store_dword v42, v39, s[0:3], 0 offen
	s_waitcnt vmcnt(0)
	buffer_store_dword v43, v39, s[0:3], 0 offen offset:4
.LBB18_158:
	global_load_dword v0, v0, s[20:21]
	s_clause 0x1
	buffer_load_dword v39, off, s[0:3], 0
	buffer_load_dword v40, off, s[0:3], 0 offset:4
	s_waitcnt vmcnt(2)
	v_add_nc_u32_e32 v0, -1, v0
	v_cmp_eq_u32_e32 vcc_lo, 0, v0
	s_cbranch_vccnz .LBB18_160
; %bb.159:
	v_lshlrev_b32_e32 v0, 3, v0
	s_clause 0x1
	buffer_load_dword v41, v0, s[0:3], 0 offen offset:4
	buffer_load_dword v42, v0, s[0:3], 0 offen
	s_waitcnt vmcnt(1)
	buffer_store_dword v41, off, s[0:3], 0 offset:4
	s_waitcnt vmcnt(0)
	buffer_store_dword v42, off, s[0:3], 0
	buffer_store_dword v40, v0, s[0:3], 0 offen offset:4
	buffer_store_dword v39, v0, s[0:3], 0 offen
	s_clause 0x1
	buffer_load_dword v39, off, s[0:3], 0
	buffer_load_dword v40, off, s[0:3], 0 offset:4
.LBB18_160:
	s_clause 0x23
	buffer_load_dword v41, off, s[0:3], 0 offset:8
	buffer_load_dword v42, off, s[0:3], 0 offset:12
	buffer_load_dword v43, off, s[0:3], 0 offset:16
	buffer_load_dword v44, off, s[0:3], 0 offset:20
	buffer_load_dword v45, off, s[0:3], 0 offset:24
	buffer_load_dword v46, off, s[0:3], 0 offset:28
	buffer_load_dword v47, off, s[0:3], 0 offset:32
	buffer_load_dword v48, off, s[0:3], 0 offset:36
	buffer_load_dword v49, off, s[0:3], 0 offset:40
	buffer_load_dword v50, off, s[0:3], 0 offset:44
	buffer_load_dword v51, off, s[0:3], 0 offset:48
	buffer_load_dword v52, off, s[0:3], 0 offset:52
	buffer_load_dword v53, off, s[0:3], 0 offset:56
	buffer_load_dword v54, off, s[0:3], 0 offset:60
	buffer_load_dword v55, off, s[0:3], 0 offset:64
	buffer_load_dword v56, off, s[0:3], 0 offset:68
	buffer_load_dword v57, off, s[0:3], 0 offset:72
	buffer_load_dword v58, off, s[0:3], 0 offset:76
	buffer_load_dword v59, off, s[0:3], 0 offset:80
	buffer_load_dword v60, off, s[0:3], 0 offset:84
	buffer_load_dword v61, off, s[0:3], 0 offset:88
	buffer_load_dword v62, off, s[0:3], 0 offset:92
	buffer_load_dword v63, off, s[0:3], 0 offset:96
	buffer_load_dword v64, off, s[0:3], 0 offset:100
	buffer_load_dword v65, off, s[0:3], 0 offset:104
	buffer_load_dword v66, off, s[0:3], 0 offset:108
	buffer_load_dword v67, off, s[0:3], 0 offset:112
	buffer_load_dword v68, off, s[0:3], 0 offset:116
	buffer_load_dword v69, off, s[0:3], 0 offset:120
	buffer_load_dword v70, off, s[0:3], 0 offset:124
	buffer_load_dword v71, off, s[0:3], 0 offset:128
	buffer_load_dword v72, off, s[0:3], 0 offset:132
	buffer_load_dword v73, off, s[0:3], 0 offset:136
	buffer_load_dword v74, off, s[0:3], 0 offset:140
	buffer_load_dword v75, off, s[0:3], 0 offset:144
	buffer_load_dword v76, off, s[0:3], 0 offset:148
	s_waitcnt vmcnt(36)
	global_store_dwordx2 v[1:2], v[39:40], off
	s_waitcnt vmcnt(34)
	global_store_dwordx2 v[3:4], v[41:42], off
	;; [unrolled: 2-line block ×19, first 2 shown]
	s_endpgm
	.section	.rodata,"a",@progbits
	.p2align	6, 0x0
	.amdhsa_kernel _ZN9rocsolver6v33100L18getri_kernel_smallILi19EdPdEEvT1_iilPiilS4_bb
		.amdhsa_group_segment_fixed_size 312
		.amdhsa_private_segment_fixed_size 160
		.amdhsa_kernarg_size 60
		.amdhsa_user_sgpr_count 6
		.amdhsa_user_sgpr_private_segment_buffer 1
		.amdhsa_user_sgpr_dispatch_ptr 0
		.amdhsa_user_sgpr_queue_ptr 0
		.amdhsa_user_sgpr_kernarg_segment_ptr 1
		.amdhsa_user_sgpr_dispatch_id 0
		.amdhsa_user_sgpr_flat_scratch_init 0
		.amdhsa_user_sgpr_private_segment_size 0
		.amdhsa_wavefront_size32 1
		.amdhsa_uses_dynamic_stack 0
		.amdhsa_system_sgpr_private_segment_wavefront_offset 1
		.amdhsa_system_sgpr_workgroup_id_x 1
		.amdhsa_system_sgpr_workgroup_id_y 0
		.amdhsa_system_sgpr_workgroup_id_z 0
		.amdhsa_system_sgpr_workgroup_info 0
		.amdhsa_system_vgpr_workitem_id 0
		.amdhsa_next_free_vgpr 77
		.amdhsa_next_free_sgpr 23
		.amdhsa_reserve_vcc 1
		.amdhsa_reserve_flat_scratch 0
		.amdhsa_float_round_mode_32 0
		.amdhsa_float_round_mode_16_64 0
		.amdhsa_float_denorm_mode_32 3
		.amdhsa_float_denorm_mode_16_64 3
		.amdhsa_dx10_clamp 1
		.amdhsa_ieee_mode 1
		.amdhsa_fp16_overflow 0
		.amdhsa_workgroup_processor_mode 1
		.amdhsa_memory_ordered 1
		.amdhsa_forward_progress 1
		.amdhsa_shared_vgpr_count 0
		.amdhsa_exception_fp_ieee_invalid_op 0
		.amdhsa_exception_fp_denorm_src 0
		.amdhsa_exception_fp_ieee_div_zero 0
		.amdhsa_exception_fp_ieee_overflow 0
		.amdhsa_exception_fp_ieee_underflow 0
		.amdhsa_exception_fp_ieee_inexact 0
		.amdhsa_exception_int_div_zero 0
	.end_amdhsa_kernel
	.section	.text._ZN9rocsolver6v33100L18getri_kernel_smallILi19EdPdEEvT1_iilPiilS4_bb,"axG",@progbits,_ZN9rocsolver6v33100L18getri_kernel_smallILi19EdPdEEvT1_iilPiilS4_bb,comdat
.Lfunc_end18:
	.size	_ZN9rocsolver6v33100L18getri_kernel_smallILi19EdPdEEvT1_iilPiilS4_bb, .Lfunc_end18-_ZN9rocsolver6v33100L18getri_kernel_smallILi19EdPdEEvT1_iilPiilS4_bb
                                        ; -- End function
	.set _ZN9rocsolver6v33100L18getri_kernel_smallILi19EdPdEEvT1_iilPiilS4_bb.num_vgpr, 77
	.set _ZN9rocsolver6v33100L18getri_kernel_smallILi19EdPdEEvT1_iilPiilS4_bb.num_agpr, 0
	.set _ZN9rocsolver6v33100L18getri_kernel_smallILi19EdPdEEvT1_iilPiilS4_bb.numbered_sgpr, 23
	.set _ZN9rocsolver6v33100L18getri_kernel_smallILi19EdPdEEvT1_iilPiilS4_bb.num_named_barrier, 0
	.set _ZN9rocsolver6v33100L18getri_kernel_smallILi19EdPdEEvT1_iilPiilS4_bb.private_seg_size, 160
	.set _ZN9rocsolver6v33100L18getri_kernel_smallILi19EdPdEEvT1_iilPiilS4_bb.uses_vcc, 1
	.set _ZN9rocsolver6v33100L18getri_kernel_smallILi19EdPdEEvT1_iilPiilS4_bb.uses_flat_scratch, 0
	.set _ZN9rocsolver6v33100L18getri_kernel_smallILi19EdPdEEvT1_iilPiilS4_bb.has_dyn_sized_stack, 0
	.set _ZN9rocsolver6v33100L18getri_kernel_smallILi19EdPdEEvT1_iilPiilS4_bb.has_recursion, 0
	.set _ZN9rocsolver6v33100L18getri_kernel_smallILi19EdPdEEvT1_iilPiilS4_bb.has_indirect_call, 0
	.section	.AMDGPU.csdata,"",@progbits
; Kernel info:
; codeLenInByte = 16328
; TotalNumSgprs: 25
; NumVgprs: 77
; ScratchSize: 160
; MemoryBound: 0
; FloatMode: 240
; IeeeMode: 1
; LDSByteSize: 312 bytes/workgroup (compile time only)
; SGPRBlocks: 0
; VGPRBlocks: 9
; NumSGPRsForWavesPerEU: 25
; NumVGPRsForWavesPerEU: 77
; Occupancy: 12
; WaveLimiterHint : 1
; COMPUTE_PGM_RSRC2:SCRATCH_EN: 1
; COMPUTE_PGM_RSRC2:USER_SGPR: 6
; COMPUTE_PGM_RSRC2:TRAP_HANDLER: 0
; COMPUTE_PGM_RSRC2:TGID_X_EN: 1
; COMPUTE_PGM_RSRC2:TGID_Y_EN: 0
; COMPUTE_PGM_RSRC2:TGID_Z_EN: 0
; COMPUTE_PGM_RSRC2:TIDIG_COMP_CNT: 0
	.section	.text._ZN9rocsolver6v33100L18getri_kernel_smallILi20EdPdEEvT1_iilPiilS4_bb,"axG",@progbits,_ZN9rocsolver6v33100L18getri_kernel_smallILi20EdPdEEvT1_iilPiilS4_bb,comdat
	.globl	_ZN9rocsolver6v33100L18getri_kernel_smallILi20EdPdEEvT1_iilPiilS4_bb ; -- Begin function _ZN9rocsolver6v33100L18getri_kernel_smallILi20EdPdEEvT1_iilPiilS4_bb
	.p2align	8
	.type	_ZN9rocsolver6v33100L18getri_kernel_smallILi20EdPdEEvT1_iilPiilS4_bb,@function
_ZN9rocsolver6v33100L18getri_kernel_smallILi20EdPdEEvT1_iilPiilS4_bb: ; @_ZN9rocsolver6v33100L18getri_kernel_smallILi20EdPdEEvT1_iilPiilS4_bb
; %bb.0:
	s_add_u32 s0, s0, s7
	s_addc_u32 s1, s1, 0
	s_mov_b32 s7, exec_lo
	v_cmpx_gt_u32_e32 20, v0
	s_cbranch_execz .LBB19_90
; %bb.1:
	s_clause 0x2
	s_load_dword s7, s[4:5], 0x38
	s_load_dwordx4 s[16:19], s[4:5], 0x10
	s_load_dwordx4 s[8:11], s[4:5], 0x28
                                        ; implicit-def: $sgpr20_sgpr21
	s_waitcnt lgkmcnt(0)
	s_bitcmp1_b32 s7, 8
	s_cselect_b32 s22, -1, 0
	s_bfe_u32 s12, s7, 0x10008
	s_ashr_i32 s7, s6, 31
	s_cmp_eq_u32 s12, 0
	s_cbranch_scc1 .LBB19_3
; %bb.2:
	s_load_dword s12, s[4:5], 0x20
	s_mul_i32 s13, s8, s7
	s_mul_hi_u32 s14, s8, s6
	s_mul_i32 s9, s9, s6
	s_add_i32 s13, s14, s13
	s_mul_i32 s8, s8, s6
	s_add_i32 s9, s13, s9
	s_lshl_b64 s[8:9], s[8:9], 2
	s_waitcnt lgkmcnt(0)
	s_ashr_i32 s13, s12, 31
	s_add_u32 s14, s18, s8
	s_addc_u32 s15, s19, s9
	s_lshl_b64 s[8:9], s[12:13], 2
	s_add_u32 s20, s14, s8
	s_addc_u32 s21, s15, s9
.LBB19_3:
	s_clause 0x1
	s_load_dwordx4 s[12:15], s[4:5], 0x0
	s_load_dword s8, s[4:5], 0x38
	s_mul_i32 s4, s16, s7
	s_mul_hi_u32 s5, s16, s6
	s_mul_i32 s9, s17, s6
	s_add_i32 s5, s5, s4
	s_mul_i32 s4, s16, s6
	s_add_i32 s5, s5, s9
	v_lshlrev_b32_e32 v43, 3, v0
	s_lshl_b64 s[4:5], s[4:5], 3
	s_waitcnt lgkmcnt(0)
	v_add3_u32 v3, s15, s15, v0
	s_ashr_i32 s17, s14, 31
	s_mov_b32 s16, s14
	s_add_u32 s9, s12, s4
	s_addc_u32 s13, s13, s5
	v_add_nc_u32_e32 v5, s15, v3
	s_lshl_b64 s[4:5], s[16:17], 3
	v_ashrrev_i32_e32 v4, 31, v3
	s_add_u32 s4, s9, s4
	s_addc_u32 s5, s13, s5
	v_add_nc_u32_e32 v7, s15, v5
	v_ashrrev_i32_e32 v6, 31, v5
	v_add_co_u32 v1, s9, s4, v43
	s_mov_b32 s12, s15
	s_ashr_i32 s13, s15, 31
	v_lshlrev_b64 v[9:10], 3, v[3:4]
	v_add_nc_u32_e32 v13, s15, v7
	v_add_co_ci_u32_e64 v2, null, s5, 0, s9
	s_lshl_b64 s[12:13], s[12:13], 3
	v_lshlrev_b64 v[11:12], 3, v[5:6]
	v_ashrrev_i32_e32 v8, 31, v7
	v_add_co_u32 v3, vcc_lo, v1, s12
	v_ashrrev_i32_e32 v14, 31, v13
	v_add_nc_u32_e32 v15, s15, v13
	v_add_co_ci_u32_e64 v4, null, s13, v2, vcc_lo
	v_add_co_u32 v5, vcc_lo, s4, v9
	v_add_co_ci_u32_e64 v6, null, s5, v10, vcc_lo
	v_lshlrev_b64 v[9:10], 3, v[7:8]
	v_add_co_u32 v7, vcc_lo, s4, v11
	v_add_co_ci_u32_e64 v8, null, s5, v12, vcc_lo
	v_lshlrev_b64 v[11:12], 3, v[13:14]
	v_add_nc_u32_e32 v13, s15, v15
	v_ashrrev_i32_e32 v16, 31, v15
	v_add_co_u32 v9, vcc_lo, s4, v9
	v_add_co_ci_u32_e64 v10, null, s5, v10, vcc_lo
	v_add_nc_u32_e32 v17, s15, v13
	v_ashrrev_i32_e32 v14, 31, v13
	v_lshlrev_b64 v[15:16], 3, v[15:16]
	v_add_co_u32 v11, vcc_lo, s4, v11
	v_add_nc_u32_e32 v21, s15, v17
	v_lshlrev_b64 v[19:20], 3, v[13:14]
	v_add_co_ci_u32_e64 v12, null, s5, v12, vcc_lo
	v_add_co_u32 v13, vcc_lo, s4, v15
	v_ashrrev_i32_e32 v22, 31, v21
	v_add_nc_u32_e32 v23, s15, v21
	v_add_co_ci_u32_e64 v14, null, s5, v16, vcc_lo
	v_add_co_u32 v15, vcc_lo, s4, v19
	v_add_co_ci_u32_e64 v16, null, s5, v20, vcc_lo
	v_lshlrev_b64 v[19:20], 3, v[21:22]
	v_add_nc_u32_e32 v21, s15, v23
	v_ashrrev_i32_e32 v18, 31, v17
	v_ashrrev_i32_e32 v24, 31, v23
	s_clause 0x4
	global_load_dwordx2 v[41:42], v43, s[4:5]
	global_load_dwordx2 v[44:45], v[3:4], off
	global_load_dwordx2 v[46:47], v[5:6], off
	;; [unrolled: 1-line block ×4, first 2 shown]
	v_add_nc_u32_e32 v25, s15, v21
	v_lshlrev_b64 v[17:18], 3, v[17:18]
	v_ashrrev_i32_e32 v22, 31, v21
	v_lshlrev_b64 v[23:24], 3, v[23:24]
	s_clause 0x2
	global_load_dwordx2 v[52:53], v[11:12], off
	global_load_dwordx2 v[54:55], v[13:14], off
	;; [unrolled: 1-line block ×3, first 2 shown]
	v_add_nc_u32_e32 v29, s15, v25
	v_ashrrev_i32_e32 v26, 31, v25
	v_add_co_u32 v17, vcc_lo, s4, v17
	v_lshlrev_b64 v[27:28], 3, v[21:22]
	v_add_co_ci_u32_e64 v18, null, s5, v18, vcc_lo
	v_add_co_u32 v19, vcc_lo, s4, v19
	v_ashrrev_i32_e32 v30, 31, v29
	v_add_nc_u32_e32 v31, s15, v29
	v_add_co_ci_u32_e64 v20, null, s5, v20, vcc_lo
	v_add_co_u32 v21, vcc_lo, s4, v23
	v_add_co_ci_u32_e64 v22, null, s5, v24, vcc_lo
	v_add_co_u32 v23, vcc_lo, s4, v27
	v_add_co_ci_u32_e64 v24, null, s5, v28, vcc_lo
	v_lshlrev_b64 v[27:28], 3, v[29:30]
	v_add_nc_u32_e32 v29, s15, v31
	v_ashrrev_i32_e32 v32, 31, v31
	v_lshlrev_b64 v[25:26], 3, v[25:26]
	global_load_dwordx2 v[58:59], v[17:18], off
	s_bitcmp0_b32 s8, 0
	v_add_nc_u32_e32 v33, s15, v29
	v_ashrrev_i32_e32 v30, 31, v29
	v_lshlrev_b64 v[31:32], 3, v[31:32]
	v_add_co_u32 v25, vcc_lo, s4, v25
	v_add_nc_u32_e32 v37, s15, v33
	v_lshlrev_b64 v[35:36], 3, v[29:30]
	v_add_co_ci_u32_e64 v26, null, s5, v26, vcc_lo
	v_add_co_u32 v27, vcc_lo, s4, v27
	v_ashrrev_i32_e32 v38, 31, v37
	v_add_nc_u32_e32 v39, s15, v37
	v_add_co_ci_u32_e64 v28, null, s5, v28, vcc_lo
	v_add_co_u32 v29, vcc_lo, s4, v31
	v_add_co_ci_u32_e64 v30, null, s5, v32, vcc_lo
	v_add_co_u32 v31, vcc_lo, s4, v35
	v_ashrrev_i32_e32 v34, 31, v33
	v_add_co_ci_u32_e64 v32, null, s5, v36, vcc_lo
	v_lshlrev_b64 v[35:36], 3, v[37:38]
	v_add_nc_u32_e32 v37, s15, v39
	v_ashrrev_i32_e32 v40, 31, v39
	v_lshlrev_b64 v[33:34], 3, v[33:34]
	s_clause 0x3
	global_load_dwordx2 v[62:63], v[19:20], off
	global_load_dwordx2 v[64:65], v[21:22], off
	;; [unrolled: 1-line block ×4, first 2 shown]
	v_ashrrev_i32_e32 v38, 31, v37
	v_lshlrev_b64 v[39:40], 3, v[39:40]
	v_add_co_u32 v33, vcc_lo, s4, v33
	v_lshlrev_b64 v[60:61], 3, v[37:38]
	v_add_co_ci_u32_e64 v34, null, s5, v34, vcc_lo
	v_add_co_u32 v35, vcc_lo, s4, v35
	v_add_co_ci_u32_e64 v36, null, s5, v36, vcc_lo
	v_add_co_u32 v37, vcc_lo, s4, v39
	;; [unrolled: 2-line block ×3, first 2 shown]
	v_add_co_ci_u32_e64 v40, null, s5, v61, vcc_lo
	s_clause 0x6
	global_load_dwordx2 v[70:71], v[27:28], off
	global_load_dwordx2 v[72:73], v[29:30], off
	;; [unrolled: 1-line block ×7, first 2 shown]
	s_mov_b32 s5, -1
	s_waitcnt vmcnt(19)
	buffer_store_dword v42, off, s[0:3], 0 offset:4
	buffer_store_dword v41, off, s[0:3], 0
	s_waitcnt vmcnt(18)
	buffer_store_dword v45, off, s[0:3], 0 offset:12
	buffer_store_dword v44, off, s[0:3], 0 offset:8
	s_waitcnt vmcnt(17)
	buffer_store_dword v47, off, s[0:3], 0 offset:20
	buffer_store_dword v46, off, s[0:3], 0 offset:16
	;; [unrolled: 3-line block ×19, first 2 shown]
	s_cbranch_scc1 .LBB19_88
; %bb.4:
	v_cmp_eq_u32_e64 s4, 0, v0
	s_and_saveexec_b32 s5, s4
; %bb.5:
	v_mov_b32_e32 v41, 0
	ds_write_b32 v41, v41 offset:320
; %bb.6:
	s_or_b32 exec_lo, exec_lo, s5
	v_lshl_add_u32 v41, v0, 3, 0
	s_waitcnt lgkmcnt(0)
	s_waitcnt_vscnt null, 0x0
	s_barrier
	buffer_gl0_inv
	s_mov_b32 s8, exec_lo
	s_clause 0x1
	buffer_load_dword v44, v41, s[0:3], 0 offen
	buffer_load_dword v45, v41, s[0:3], 0 offen offset:4
	s_waitcnt vmcnt(0)
	v_cmpx_eq_f64_e32 0, v[44:45]
	s_cbranch_execz .LBB19_10
; %bb.7:
	v_mov_b32_e32 v42, 0
	s_mov_b32 s9, 0
	ds_read_b32 v44, v42 offset:320
	s_waitcnt lgkmcnt(0)
	v_readfirstlane_b32 s5, v44
	v_add_nc_u32_e32 v44, 1, v0
	s_cmp_eq_u32 s5, 0
	v_cmp_gt_i32_e32 vcc_lo, s5, v44
	s_cselect_b32 s12, -1, 0
	s_or_b32 s12, s12, vcc_lo
	s_and_b32 exec_lo, exec_lo, s12
	s_cbranch_execz .LBB19_10
; %bb.8:
	v_mov_b32_e32 v45, s5
.LBB19_9:                               ; =>This Inner Loop Header: Depth=1
	ds_cmpst_rtn_b32 v45, v42, v45, v44 offset:320
	s_waitcnt lgkmcnt(0)
	v_cmp_ne_u32_e32 vcc_lo, 0, v45
	v_cmp_le_i32_e64 s5, v45, v44
	s_and_b32 s5, vcc_lo, s5
	s_and_b32 s5, exec_lo, s5
	s_or_b32 s9, s5, s9
	s_andn2_b32 exec_lo, exec_lo, s9
	s_cbranch_execnz .LBB19_9
.LBB19_10:
	s_or_b32 exec_lo, exec_lo, s8
	v_mov_b32_e32 v42, 0
	s_barrier
	buffer_gl0_inv
	ds_read_b32 v44, v42 offset:320
	s_and_saveexec_b32 s5, s4
	s_cbranch_execz .LBB19_12
; %bb.11:
	s_lshl_b64 s[8:9], s[6:7], 2
	s_add_u32 s8, s10, s8
	s_addc_u32 s9, s11, s9
	s_waitcnt lgkmcnt(0)
	global_store_dword v42, v44, s[8:9]
.LBB19_12:
	s_or_b32 exec_lo, exec_lo, s5
	s_waitcnt lgkmcnt(0)
	v_cmp_ne_u32_e32 vcc_lo, 0, v44
	s_mov_b32 s5, 0
	s_cbranch_vccnz .LBB19_88
; %bb.13:
	s_clause 0x1
	buffer_load_dword v44, v41, s[0:3], 0 offen
	buffer_load_dword v45, v41, s[0:3], 0 offen offset:4
	s_waitcnt vmcnt(0)
	v_div_scale_f64 v[46:47], null, v[44:45], v[44:45], 1.0
	v_div_scale_f64 v[52:53], vcc_lo, 1.0, v[44:45], 1.0
	v_rcp_f64_e32 v[48:49], v[46:47]
	v_fma_f64 v[50:51], -v[46:47], v[48:49], 1.0
	v_fma_f64 v[48:49], v[48:49], v[50:51], v[48:49]
	v_fma_f64 v[50:51], -v[46:47], v[48:49], 1.0
	v_fma_f64 v[48:49], v[48:49], v[50:51], v[48:49]
	v_mul_f64 v[50:51], v[52:53], v[48:49]
	v_fma_f64 v[46:47], -v[46:47], v[50:51], v[52:53]
	v_div_fmas_f64 v[46:47], v[46:47], v[48:49], v[50:51]
	v_div_fixup_f64 v[45:46], v[46:47], v[44:45], 1.0
	v_add_nc_u32_e32 v44, 0xa0, v43
	buffer_store_dword v46, v41, s[0:3], 0 offen offset:4
	buffer_store_dword v45, v41, s[0:3], 0 offen
	s_clause 0x1
	buffer_load_dword v48, off, s[0:3], 0 offset:12
	buffer_load_dword v47, off, s[0:3], 0 offset:8
	v_xor_b32_e32 v46, 0x80000000, v46
	s_waitcnt vmcnt(0)
	ds_write2_b64 v43, v[45:46], v[47:48] offset1:20
	s_waitcnt lgkmcnt(0)
	s_waitcnt_vscnt null, 0x0
	s_barrier
	buffer_gl0_inv
	s_and_saveexec_b32 s5, s4
	s_cbranch_execz .LBB19_15
; %bb.14:
	s_clause 0x1
	buffer_load_dword v45, v41, s[0:3], 0 offen
	buffer_load_dword v46, v41, s[0:3], 0 offen offset:4
	ds_read_b64 v[47:48], v44
	v_mov_b32_e32 v42, 0
	ds_read_b64 v[49:50], v42 offset:8
	s_waitcnt vmcnt(0) lgkmcnt(1)
	v_fma_f64 v[45:46], v[45:46], v[47:48], 0
	s_waitcnt lgkmcnt(0)
	v_mul_f64 v[45:46], v[45:46], v[49:50]
	buffer_store_dword v45, off, s[0:3], 0 offset:8
	buffer_store_dword v46, off, s[0:3], 0 offset:12
.LBB19_15:
	s_or_b32 exec_lo, exec_lo, s5
	s_waitcnt_vscnt null, 0x0
	s_barrier
	buffer_gl0_inv
	s_clause 0x1
	buffer_load_dword v45, off, s[0:3], 0 offset:16
	buffer_load_dword v46, off, s[0:3], 0 offset:20
	s_mov_b32 s5, exec_lo
	s_waitcnt vmcnt(0)
	ds_write_b64 v44, v[45:46]
	s_waitcnt lgkmcnt(0)
	s_barrier
	buffer_gl0_inv
	v_cmpx_gt_u32_e32 2, v0
	s_cbranch_execz .LBB19_19
; %bb.16:
	s_clause 0x1
	buffer_load_dword v45, v41, s[0:3], 0 offen
	buffer_load_dword v46, v41, s[0:3], 0 offen offset:4
	ds_read_b64 v[41:42], v44
	s_waitcnt vmcnt(0) lgkmcnt(0)
	v_fma_f64 v[41:42], v[45:46], v[41:42], 0
	s_and_saveexec_b32 s8, s4
	s_cbranch_execz .LBB19_18
; %bb.17:
	s_clause 0x1
	buffer_load_dword v45, off, s[0:3], 0 offset:8
	buffer_load_dword v46, off, s[0:3], 0 offset:12
	v_mov_b32_e32 v47, 0
	ds_read_b64 v[47:48], v47 offset:168
	s_waitcnt vmcnt(0) lgkmcnt(0)
	v_fma_f64 v[41:42], v[45:46], v[47:48], v[41:42]
.LBB19_18:
	s_or_b32 exec_lo, exec_lo, s8
	v_mov_b32_e32 v45, 0
	ds_read_b64 v[45:46], v45 offset:16
	s_waitcnt lgkmcnt(0)
	v_mul_f64 v[41:42], v[41:42], v[45:46]
	buffer_store_dword v42, off, s[0:3], 0 offset:20
	buffer_store_dword v41, off, s[0:3], 0 offset:16
.LBB19_19:
	s_or_b32 exec_lo, exec_lo, s5
	s_waitcnt_vscnt null, 0x0
	s_barrier
	buffer_gl0_inv
	s_clause 0x1
	buffer_load_dword v41, off, s[0:3], 0 offset:24
	buffer_load_dword v42, off, s[0:3], 0 offset:28
	v_add_nc_u32_e32 v45, -1, v0
	s_mov_b32 s4, exec_lo
	s_waitcnt vmcnt(0)
	ds_write_b64 v44, v[41:42]
	s_waitcnt lgkmcnt(0)
	s_barrier
	buffer_gl0_inv
	v_cmpx_gt_u32_e32 3, v0
	s_cbranch_execz .LBB19_23
; %bb.20:
	v_mov_b32_e32 v41, 0
	v_add_nc_u32_e32 v46, -1, v0
	v_add_nc_u32_e32 v47, 0xa0, v43
	v_mov_b32_e32 v42, 0
	v_mov_b32_e32 v48, v43
	s_mov_b32 s5, 0
.LBB19_21:                              ; =>This Inner Loop Header: Depth=1
	s_clause 0x1
	buffer_load_dword v49, v48, s[0:3], 0 offen
	buffer_load_dword v50, v48, s[0:3], 0 offen offset:4
	ds_read_b64 v[51:52], v47
	v_add_nc_u32_e32 v46, 1, v46
	v_add_nc_u32_e32 v47, 8, v47
	v_add_nc_u32_e32 v48, 8, v48
	v_cmp_lt_u32_e32 vcc_lo, 1, v46
	s_or_b32 s5, vcc_lo, s5
	s_waitcnt vmcnt(0) lgkmcnt(0)
	v_fma_f64 v[41:42], v[49:50], v[51:52], v[41:42]
	s_andn2_b32 exec_lo, exec_lo, s5
	s_cbranch_execnz .LBB19_21
; %bb.22:
	s_or_b32 exec_lo, exec_lo, s5
	v_mov_b32_e32 v46, 0
	ds_read_b64 v[46:47], v46 offset:24
	s_waitcnt lgkmcnt(0)
	v_mul_f64 v[41:42], v[41:42], v[46:47]
	buffer_store_dword v42, off, s[0:3], 0 offset:28
	buffer_store_dword v41, off, s[0:3], 0 offset:24
.LBB19_23:
	s_or_b32 exec_lo, exec_lo, s4
	s_waitcnt_vscnt null, 0x0
	s_barrier
	buffer_gl0_inv
	s_clause 0x1
	buffer_load_dword v41, off, s[0:3], 0 offset:32
	buffer_load_dword v42, off, s[0:3], 0 offset:36
	s_mov_b32 s4, exec_lo
	s_waitcnt vmcnt(0)
	ds_write_b64 v44, v[41:42]
	s_waitcnt lgkmcnt(0)
	s_barrier
	buffer_gl0_inv
	v_cmpx_gt_u32_e32 4, v0
	s_cbranch_execz .LBB19_27
; %bb.24:
	v_mov_b32_e32 v41, 0
	v_add_nc_u32_e32 v46, -1, v0
	v_add_nc_u32_e32 v47, 0xa0, v43
	v_mov_b32_e32 v42, 0
	v_mov_b32_e32 v48, v43
	s_mov_b32 s5, 0
.LBB19_25:                              ; =>This Inner Loop Header: Depth=1
	s_clause 0x1
	buffer_load_dword v49, v48, s[0:3], 0 offen
	buffer_load_dword v50, v48, s[0:3], 0 offen offset:4
	ds_read_b64 v[51:52], v47
	v_add_nc_u32_e32 v46, 1, v46
	v_add_nc_u32_e32 v47, 8, v47
	v_add_nc_u32_e32 v48, 8, v48
	v_cmp_lt_u32_e32 vcc_lo, 2, v46
	s_or_b32 s5, vcc_lo, s5
	s_waitcnt vmcnt(0) lgkmcnt(0)
	v_fma_f64 v[41:42], v[49:50], v[51:52], v[41:42]
	s_andn2_b32 exec_lo, exec_lo, s5
	s_cbranch_execnz .LBB19_25
; %bb.26:
	s_or_b32 exec_lo, exec_lo, s5
	v_mov_b32_e32 v46, 0
	ds_read_b64 v[46:47], v46 offset:32
	s_waitcnt lgkmcnt(0)
	v_mul_f64 v[41:42], v[41:42], v[46:47]
	buffer_store_dword v42, off, s[0:3], 0 offset:36
	buffer_store_dword v41, off, s[0:3], 0 offset:32
.LBB19_27:
	s_or_b32 exec_lo, exec_lo, s4
	s_waitcnt_vscnt null, 0x0
	s_barrier
	buffer_gl0_inv
	s_clause 0x1
	buffer_load_dword v41, off, s[0:3], 0 offset:40
	buffer_load_dword v42, off, s[0:3], 0 offset:44
	;; [unrolled: 45-line block ×16, first 2 shown]
	s_mov_b32 s4, exec_lo
	s_waitcnt vmcnt(0)
	ds_write_b64 v44, v[41:42]
	s_waitcnt lgkmcnt(0)
	s_barrier
	buffer_gl0_inv
	v_cmpx_ne_u32_e32 19, v0
	s_cbranch_execz .LBB19_87
; %bb.84:
	v_mov_b32_e32 v41, 0
	v_mov_b32_e32 v42, 0
	s_mov_b32 s5, 0
.LBB19_85:                              ; =>This Inner Loop Header: Depth=1
	s_clause 0x1
	buffer_load_dword v46, v43, s[0:3], 0 offen
	buffer_load_dword v47, v43, s[0:3], 0 offen offset:4
	ds_read_b64 v[48:49], v44
	v_add_nc_u32_e32 v45, 1, v45
	v_add_nc_u32_e32 v44, 8, v44
	;; [unrolled: 1-line block ×3, first 2 shown]
	v_cmp_lt_u32_e32 vcc_lo, 17, v45
	s_or_b32 s5, vcc_lo, s5
	s_waitcnt vmcnt(0) lgkmcnt(0)
	v_fma_f64 v[41:42], v[46:47], v[48:49], v[41:42]
	s_andn2_b32 exec_lo, exec_lo, s5
	s_cbranch_execnz .LBB19_85
; %bb.86:
	s_or_b32 exec_lo, exec_lo, s5
	v_mov_b32_e32 v43, 0
	ds_read_b64 v[43:44], v43 offset:152
	s_waitcnt lgkmcnt(0)
	v_mul_f64 v[41:42], v[41:42], v[43:44]
	buffer_store_dword v42, off, s[0:3], 0 offset:156
	buffer_store_dword v41, off, s[0:3], 0 offset:152
.LBB19_87:
	s_or_b32 exec_lo, exec_lo, s4
	s_mov_b32 s5, -1
	s_waitcnt_vscnt null, 0x0
	s_barrier
	buffer_gl0_inv
.LBB19_88:
	s_and_b32 vcc_lo, exec_lo, s5
	s_cbranch_vccz .LBB19_90
; %bb.89:
	s_lshl_b64 s[4:5], s[6:7], 2
	v_mov_b32_e32 v41, 0
	s_add_u32 s4, s10, s4
	s_addc_u32 s5, s11, s5
	global_load_dword v41, v41, s[4:5]
	s_waitcnt vmcnt(0)
	v_cmp_ne_u32_e32 vcc_lo, 0, v41
	s_cbranch_vccz .LBB19_91
.LBB19_90:
	s_endpgm
.LBB19_91:
	v_lshl_add_u32 v41, v0, 3, 0xa0
	s_mov_b32 s4, exec_lo
	v_cmpx_eq_u32_e32 19, v0
	s_cbranch_execz .LBB19_93
; %bb.92:
	s_clause 0x1
	buffer_load_dword v42, off, s[0:3], 0 offset:144
	buffer_load_dword v43, off, s[0:3], 0 offset:148
	v_mov_b32_e32 v44, 0
	buffer_store_dword v44, off, s[0:3], 0 offset:144
	buffer_store_dword v44, off, s[0:3], 0 offset:148
	s_waitcnt vmcnt(0)
	ds_write_b64 v41, v[42:43]
.LBB19_93:
	s_or_b32 exec_lo, exec_lo, s4
	s_waitcnt lgkmcnt(0)
	s_waitcnt_vscnt null, 0x0
	s_barrier
	buffer_gl0_inv
	s_clause 0x3
	buffer_load_dword v43, off, s[0:3], 0 offset:152
	buffer_load_dword v44, off, s[0:3], 0 offset:156
	;; [unrolled: 1-line block ×4, first 2 shown]
	v_mov_b32_e32 v42, 0
	s_mov_b32 s4, exec_lo
	ds_read_b64 v[47:48], v42 offset:312
	s_waitcnt vmcnt(2) lgkmcnt(0)
	v_fma_f64 v[43:44], v[43:44], v[47:48], 0
	s_waitcnt vmcnt(0)
	v_add_f64 v[43:44], v[45:46], -v[43:44]
	buffer_store_dword v43, off, s[0:3], 0 offset:144
	buffer_store_dword v44, off, s[0:3], 0 offset:148
	v_cmpx_lt_u32_e32 17, v0
	s_cbranch_execz .LBB19_95
; %bb.94:
	s_clause 0x1
	buffer_load_dword v43, off, s[0:3], 0 offset:136
	buffer_load_dword v44, off, s[0:3], 0 offset:140
	buffer_store_dword v42, off, s[0:3], 0 offset:136
	buffer_store_dword v42, off, s[0:3], 0 offset:140
	s_waitcnt vmcnt(0)
	ds_write_b64 v41, v[43:44]
.LBB19_95:
	s_or_b32 exec_lo, exec_lo, s4
	s_waitcnt lgkmcnt(0)
	s_waitcnt_vscnt null, 0x0
	s_barrier
	buffer_gl0_inv
	s_clause 0x5
	buffer_load_dword v46, off, s[0:3], 0 offset:144
	buffer_load_dword v47, off, s[0:3], 0 offset:148
	;; [unrolled: 1-line block ×6, first 2 shown]
	ds_read_b128 v[42:45], v42 offset:304
	s_mov_b32 s4, exec_lo
	s_waitcnt vmcnt(4) lgkmcnt(0)
	v_fma_f64 v[42:43], v[46:47], v[42:43], 0
	s_waitcnt vmcnt(2)
	v_fma_f64 v[42:43], v[48:49], v[44:45], v[42:43]
	s_waitcnt vmcnt(0)
	v_add_f64 v[42:43], v[50:51], -v[42:43]
	buffer_store_dword v42, off, s[0:3], 0 offset:136
	buffer_store_dword v43, off, s[0:3], 0 offset:140
	v_cmpx_lt_u32_e32 16, v0
	s_cbranch_execz .LBB19_97
; %bb.96:
	s_clause 0x1
	buffer_load_dword v42, off, s[0:3], 0 offset:128
	buffer_load_dword v43, off, s[0:3], 0 offset:132
	v_mov_b32_e32 v44, 0
	buffer_store_dword v44, off, s[0:3], 0 offset:128
	buffer_store_dword v44, off, s[0:3], 0 offset:132
	s_waitcnt vmcnt(0)
	ds_write_b64 v41, v[42:43]
.LBB19_97:
	s_or_b32 exec_lo, exec_lo, s4
	s_waitcnt lgkmcnt(0)
	s_waitcnt_vscnt null, 0x0
	s_barrier
	buffer_gl0_inv
	s_clause 0x7
	buffer_load_dword v47, off, s[0:3], 0 offset:136
	buffer_load_dword v48, off, s[0:3], 0 offset:140
	;; [unrolled: 1-line block ×8, first 2 shown]
	v_mov_b32_e32 v42, 0
	ds_read2_b64 v[43:46], v42 offset0:37 offset1:38
	ds_read_b64 v[55:56], v42 offset:312
	s_mov_b32 s4, exec_lo
	s_waitcnt vmcnt(6) lgkmcnt(1)
	v_fma_f64 v[43:44], v[47:48], v[43:44], 0
	s_waitcnt vmcnt(4)
	v_fma_f64 v[43:44], v[49:50], v[45:46], v[43:44]
	s_waitcnt vmcnt(2) lgkmcnt(0)
	v_fma_f64 v[43:44], v[51:52], v[55:56], v[43:44]
	s_waitcnt vmcnt(0)
	v_add_f64 v[43:44], v[53:54], -v[43:44]
	buffer_store_dword v43, off, s[0:3], 0 offset:128
	buffer_store_dword v44, off, s[0:3], 0 offset:132
	v_cmpx_lt_u32_e32 15, v0
	s_cbranch_execz .LBB19_99
; %bb.98:
	s_clause 0x1
	buffer_load_dword v43, off, s[0:3], 0 offset:120
	buffer_load_dword v44, off, s[0:3], 0 offset:124
	buffer_store_dword v42, off, s[0:3], 0 offset:120
	buffer_store_dword v42, off, s[0:3], 0 offset:124
	s_waitcnt vmcnt(0)
	ds_write_b64 v41, v[43:44]
.LBB19_99:
	s_or_b32 exec_lo, exec_lo, s4
	s_waitcnt lgkmcnt(0)
	s_waitcnt_vscnt null, 0x0
	s_barrier
	buffer_gl0_inv
	s_clause 0x9
	buffer_load_dword v51, off, s[0:3], 0 offset:128
	buffer_load_dword v52, off, s[0:3], 0 offset:132
	;; [unrolled: 1-line block ×10, first 2 shown]
	ds_read_b128 v[43:46], v42 offset:288
	ds_read_b128 v[47:50], v42 offset:304
	s_mov_b32 s4, exec_lo
	s_waitcnt vmcnt(8) lgkmcnt(1)
	v_fma_f64 v[42:43], v[51:52], v[43:44], 0
	s_waitcnt vmcnt(6)
	v_fma_f64 v[42:43], v[53:54], v[45:46], v[42:43]
	s_waitcnt vmcnt(4) lgkmcnt(0)
	v_fma_f64 v[42:43], v[55:56], v[47:48], v[42:43]
	s_waitcnt vmcnt(2)
	v_fma_f64 v[42:43], v[57:58], v[49:50], v[42:43]
	s_waitcnt vmcnt(0)
	v_add_f64 v[42:43], v[59:60], -v[42:43]
	buffer_store_dword v42, off, s[0:3], 0 offset:120
	buffer_store_dword v43, off, s[0:3], 0 offset:124
	v_cmpx_lt_u32_e32 14, v0
	s_cbranch_execz .LBB19_101
; %bb.100:
	s_clause 0x1
	buffer_load_dword v42, off, s[0:3], 0 offset:112
	buffer_load_dword v43, off, s[0:3], 0 offset:116
	v_mov_b32_e32 v44, 0
	buffer_store_dword v44, off, s[0:3], 0 offset:112
	buffer_store_dword v44, off, s[0:3], 0 offset:116
	s_waitcnt vmcnt(0)
	ds_write_b64 v41, v[42:43]
.LBB19_101:
	s_or_b32 exec_lo, exec_lo, s4
	s_waitcnt lgkmcnt(0)
	s_waitcnt_vscnt null, 0x0
	s_barrier
	buffer_gl0_inv
	s_clause 0xb
	buffer_load_dword v51, off, s[0:3], 0 offset:120
	buffer_load_dword v52, off, s[0:3], 0 offset:124
	;; [unrolled: 1-line block ×12, first 2 shown]
	v_mov_b32_e32 v42, 0
	ds_read2_b64 v[43:46], v42 offset0:35 offset1:36
	ds_read2_b64 v[47:50], v42 offset0:37 offset1:38
	s_mov_b32 s4, exec_lo
	s_waitcnt vmcnt(10) lgkmcnt(1)
	v_fma_f64 v[43:44], v[51:52], v[43:44], 0
	s_waitcnt vmcnt(8)
	v_fma_f64 v[43:44], v[53:54], v[45:46], v[43:44]
	ds_read_b64 v[45:46], v42 offset:312
	s_waitcnt vmcnt(6) lgkmcnt(1)
	v_fma_f64 v[43:44], v[55:56], v[47:48], v[43:44]
	s_waitcnt vmcnt(4)
	v_fma_f64 v[43:44], v[57:58], v[49:50], v[43:44]
	s_waitcnt vmcnt(2) lgkmcnt(0)
	v_fma_f64 v[43:44], v[59:60], v[45:46], v[43:44]
	s_waitcnt vmcnt(0)
	v_add_f64 v[43:44], v[61:62], -v[43:44]
	buffer_store_dword v43, off, s[0:3], 0 offset:112
	buffer_store_dword v44, off, s[0:3], 0 offset:116
	v_cmpx_lt_u32_e32 13, v0
	s_cbranch_execz .LBB19_103
; %bb.102:
	s_clause 0x1
	buffer_load_dword v43, off, s[0:3], 0 offset:104
	buffer_load_dword v44, off, s[0:3], 0 offset:108
	buffer_store_dword v42, off, s[0:3], 0 offset:104
	buffer_store_dword v42, off, s[0:3], 0 offset:108
	s_waitcnt vmcnt(0)
	ds_write_b64 v41, v[43:44]
.LBB19_103:
	s_or_b32 exec_lo, exec_lo, s4
	s_waitcnt lgkmcnt(0)
	s_waitcnt_vscnt null, 0x0
	s_barrier
	buffer_gl0_inv
	s_clause 0xd
	buffer_load_dword v51, off, s[0:3], 0 offset:112
	buffer_load_dword v52, off, s[0:3], 0 offset:116
	;; [unrolled: 1-line block ×14, first 2 shown]
	ds_read_b128 v[43:46], v42 offset:272
	ds_read_b128 v[47:50], v42 offset:288
	s_mov_b32 s4, exec_lo
	s_waitcnt vmcnt(12) lgkmcnt(1)
	v_fma_f64 v[43:44], v[51:52], v[43:44], 0
	s_waitcnt vmcnt(10)
	v_fma_f64 v[43:44], v[53:54], v[45:46], v[43:44]
	s_waitcnt vmcnt(8) lgkmcnt(0)
	v_fma_f64 v[43:44], v[55:56], v[47:48], v[43:44]
	s_waitcnt vmcnt(6)
	v_fma_f64 v[46:47], v[57:58], v[49:50], v[43:44]
	ds_read_b128 v[42:45], v42 offset:304
	s_waitcnt vmcnt(4) lgkmcnt(0)
	v_fma_f64 v[42:43], v[59:60], v[42:43], v[46:47]
	s_waitcnt vmcnt(2)
	v_fma_f64 v[42:43], v[61:62], v[44:45], v[42:43]
	s_waitcnt vmcnt(0)
	v_add_f64 v[42:43], v[63:64], -v[42:43]
	buffer_store_dword v42, off, s[0:3], 0 offset:104
	buffer_store_dword v43, off, s[0:3], 0 offset:108
	v_cmpx_lt_u32_e32 12, v0
	s_cbranch_execz .LBB19_105
; %bb.104:
	s_clause 0x1
	buffer_load_dword v42, off, s[0:3], 0 offset:96
	buffer_load_dword v43, off, s[0:3], 0 offset:100
	v_mov_b32_e32 v44, 0
	buffer_store_dword v44, off, s[0:3], 0 offset:96
	buffer_store_dword v44, off, s[0:3], 0 offset:100
	s_waitcnt vmcnt(0)
	ds_write_b64 v41, v[42:43]
.LBB19_105:
	s_or_b32 exec_lo, exec_lo, s4
	s_waitcnt lgkmcnt(0)
	s_waitcnt_vscnt null, 0x0
	s_barrier
	buffer_gl0_inv
	s_clause 0xf
	buffer_load_dword v51, off, s[0:3], 0 offset:104
	buffer_load_dword v52, off, s[0:3], 0 offset:108
	;; [unrolled: 1-line block ×16, first 2 shown]
	v_mov_b32_e32 v42, 0
	ds_read2_b64 v[43:46], v42 offset0:33 offset1:34
	ds_read2_b64 v[47:50], v42 offset0:35 offset1:36
	s_mov_b32 s4, exec_lo
	s_waitcnt vmcnt(14) lgkmcnt(1)
	v_fma_f64 v[43:44], v[51:52], v[43:44], 0
	s_waitcnt vmcnt(12)
	v_fma_f64 v[43:44], v[53:54], v[45:46], v[43:44]
	s_waitcnt vmcnt(10) lgkmcnt(0)
	v_fma_f64 v[43:44], v[55:56], v[47:48], v[43:44]
	s_waitcnt vmcnt(8)
	v_fma_f64 v[47:48], v[57:58], v[49:50], v[43:44]
	ds_read2_b64 v[43:46], v42 offset0:37 offset1:38
	ds_read_b64 v[49:50], v42 offset:312
	s_waitcnt vmcnt(6) lgkmcnt(1)
	v_fma_f64 v[43:44], v[59:60], v[43:44], v[47:48]
	s_waitcnt vmcnt(4)
	v_fma_f64 v[43:44], v[61:62], v[45:46], v[43:44]
	s_waitcnt vmcnt(2) lgkmcnt(0)
	v_fma_f64 v[43:44], v[63:64], v[49:50], v[43:44]
	s_waitcnt vmcnt(0)
	v_add_f64 v[43:44], v[65:66], -v[43:44]
	buffer_store_dword v43, off, s[0:3], 0 offset:96
	buffer_store_dword v44, off, s[0:3], 0 offset:100
	v_cmpx_lt_u32_e32 11, v0
	s_cbranch_execz .LBB19_107
; %bb.106:
	s_clause 0x1
	buffer_load_dword v43, off, s[0:3], 0 offset:88
	buffer_load_dword v44, off, s[0:3], 0 offset:92
	buffer_store_dword v42, off, s[0:3], 0 offset:88
	buffer_store_dword v42, off, s[0:3], 0 offset:92
	s_waitcnt vmcnt(0)
	ds_write_b64 v41, v[43:44]
.LBB19_107:
	s_or_b32 exec_lo, exec_lo, s4
	s_waitcnt lgkmcnt(0)
	s_waitcnt_vscnt null, 0x0
	s_barrier
	buffer_gl0_inv
	s_clause 0x11
	buffer_load_dword v51, off, s[0:3], 0 offset:96
	buffer_load_dword v52, off, s[0:3], 0 offset:100
	;; [unrolled: 1-line block ×18, first 2 shown]
	ds_read_b128 v[43:46], v42 offset:256
	ds_read_b128 v[47:50], v42 offset:272
	s_mov_b32 s4, exec_lo
	s_waitcnt vmcnt(16) lgkmcnt(1)
	v_fma_f64 v[43:44], v[51:52], v[43:44], 0
	s_waitcnt vmcnt(14)
	v_fma_f64 v[43:44], v[53:54], v[45:46], v[43:44]
	s_waitcnt vmcnt(12) lgkmcnt(0)
	v_fma_f64 v[43:44], v[55:56], v[47:48], v[43:44]
	s_waitcnt vmcnt(10)
	v_fma_f64 v[51:52], v[57:58], v[49:50], v[43:44]
	ds_read_b128 v[43:46], v42 offset:288
	ds_read_b128 v[47:50], v42 offset:304
	s_waitcnt vmcnt(8) lgkmcnt(1)
	v_fma_f64 v[42:43], v[59:60], v[43:44], v[51:52]
	s_waitcnt vmcnt(6)
	v_fma_f64 v[42:43], v[61:62], v[45:46], v[42:43]
	s_waitcnt vmcnt(4) lgkmcnt(0)
	v_fma_f64 v[42:43], v[63:64], v[47:48], v[42:43]
	s_waitcnt vmcnt(2)
	v_fma_f64 v[42:43], v[65:66], v[49:50], v[42:43]
	s_waitcnt vmcnt(0)
	v_add_f64 v[42:43], v[67:68], -v[42:43]
	buffer_store_dword v42, off, s[0:3], 0 offset:88
	buffer_store_dword v43, off, s[0:3], 0 offset:92
	v_cmpx_lt_u32_e32 10, v0
	s_cbranch_execz .LBB19_109
; %bb.108:
	s_clause 0x1
	buffer_load_dword v42, off, s[0:3], 0 offset:80
	buffer_load_dword v43, off, s[0:3], 0 offset:84
	v_mov_b32_e32 v44, 0
	buffer_store_dword v44, off, s[0:3], 0 offset:80
	buffer_store_dword v44, off, s[0:3], 0 offset:84
	s_waitcnt vmcnt(0)
	ds_write_b64 v41, v[42:43]
.LBB19_109:
	s_or_b32 exec_lo, exec_lo, s4
	s_waitcnt lgkmcnt(0)
	s_waitcnt_vscnt null, 0x0
	s_barrier
	buffer_gl0_inv
	s_clause 0x13
	buffer_load_dword v51, off, s[0:3], 0 offset:88
	buffer_load_dword v52, off, s[0:3], 0 offset:92
	;; [unrolled: 1-line block ×20, first 2 shown]
	v_mov_b32_e32 v42, 0
	ds_read2_b64 v[43:46], v42 offset0:31 offset1:32
	ds_read2_b64 v[47:50], v42 offset0:33 offset1:34
	s_mov_b32 s4, exec_lo
	s_waitcnt vmcnt(18) lgkmcnt(1)
	v_fma_f64 v[43:44], v[51:52], v[43:44], 0
	s_waitcnt vmcnt(16)
	v_fma_f64 v[43:44], v[53:54], v[45:46], v[43:44]
	s_waitcnt vmcnt(14) lgkmcnt(0)
	v_fma_f64 v[43:44], v[55:56], v[47:48], v[43:44]
	s_waitcnt vmcnt(12)
	v_fma_f64 v[51:52], v[57:58], v[49:50], v[43:44]
	ds_read2_b64 v[43:46], v42 offset0:35 offset1:36
	ds_read2_b64 v[47:50], v42 offset0:37 offset1:38
	s_waitcnt vmcnt(10) lgkmcnt(1)
	v_fma_f64 v[43:44], v[59:60], v[43:44], v[51:52]
	s_waitcnt vmcnt(8)
	v_fma_f64 v[43:44], v[61:62], v[45:46], v[43:44]
	ds_read_b64 v[45:46], v42 offset:312
	s_waitcnt vmcnt(6) lgkmcnt(1)
	v_fma_f64 v[43:44], v[63:64], v[47:48], v[43:44]
	s_waitcnt vmcnt(3)
	v_fma_f64 v[43:44], v[65:66], v[49:50], v[43:44]
	s_waitcnt vmcnt(2) lgkmcnt(0)
	v_fma_f64 v[43:44], v[67:68], v[45:46], v[43:44]
	s_waitcnt vmcnt(0)
	v_add_f64 v[43:44], v[69:70], -v[43:44]
	buffer_store_dword v43, off, s[0:3], 0 offset:80
	buffer_store_dword v44, off, s[0:3], 0 offset:84
	v_cmpx_lt_u32_e32 9, v0
	s_cbranch_execz .LBB19_111
; %bb.110:
	s_clause 0x1
	buffer_load_dword v43, off, s[0:3], 0 offset:72
	buffer_load_dword v44, off, s[0:3], 0 offset:76
	buffer_store_dword v42, off, s[0:3], 0 offset:72
	buffer_store_dword v42, off, s[0:3], 0 offset:76
	s_waitcnt vmcnt(0)
	ds_write_b64 v41, v[43:44]
.LBB19_111:
	s_or_b32 exec_lo, exec_lo, s4
	s_waitcnt lgkmcnt(0)
	s_waitcnt_vscnt null, 0x0
	s_barrier
	buffer_gl0_inv
	s_clause 0x15
	buffer_load_dword v51, off, s[0:3], 0 offset:80
	buffer_load_dword v52, off, s[0:3], 0 offset:84
	;; [unrolled: 1-line block ×22, first 2 shown]
	ds_read_b128 v[43:46], v42 offset:240
	ds_read_b128 v[47:50], v42 offset:256
	s_mov_b32 s4, exec_lo
	s_waitcnt vmcnt(20) lgkmcnt(1)
	v_fma_f64 v[43:44], v[51:52], v[43:44], 0
	s_waitcnt vmcnt(18)
	v_fma_f64 v[43:44], v[53:54], v[45:46], v[43:44]
	s_waitcnt vmcnt(16) lgkmcnt(0)
	v_fma_f64 v[43:44], v[55:56], v[47:48], v[43:44]
	s_waitcnt vmcnt(14)
	v_fma_f64 v[51:52], v[57:58], v[49:50], v[43:44]
	ds_read_b128 v[43:46], v42 offset:272
	ds_read_b128 v[47:50], v42 offset:288
	s_waitcnt vmcnt(12) lgkmcnt(1)
	v_fma_f64 v[43:44], v[59:60], v[43:44], v[51:52]
	s_waitcnt vmcnt(10)
	v_fma_f64 v[43:44], v[61:62], v[45:46], v[43:44]
	s_waitcnt vmcnt(8) lgkmcnt(0)
	v_fma_f64 v[43:44], v[63:64], v[47:48], v[43:44]
	s_waitcnt vmcnt(4)
	v_fma_f64 v[46:47], v[65:66], v[49:50], v[43:44]
	ds_read_b128 v[42:45], v42 offset:304
	s_waitcnt vmcnt(3) lgkmcnt(0)
	v_fma_f64 v[42:43], v[69:70], v[42:43], v[46:47]
	s_waitcnt vmcnt(2)
	v_fma_f64 v[42:43], v[67:68], v[44:45], v[42:43]
	s_waitcnt vmcnt(0)
	v_add_f64 v[42:43], v[71:72], -v[42:43]
	buffer_store_dword v42, off, s[0:3], 0 offset:72
	buffer_store_dword v43, off, s[0:3], 0 offset:76
	v_cmpx_lt_u32_e32 8, v0
	s_cbranch_execz .LBB19_113
; %bb.112:
	s_clause 0x1
	buffer_load_dword v42, off, s[0:3], 0 offset:64
	buffer_load_dword v43, off, s[0:3], 0 offset:68
	v_mov_b32_e32 v44, 0
	buffer_store_dword v44, off, s[0:3], 0 offset:64
	buffer_store_dword v44, off, s[0:3], 0 offset:68
	s_waitcnt vmcnt(0)
	ds_write_b64 v41, v[42:43]
.LBB19_113:
	s_or_b32 exec_lo, exec_lo, s4
	s_waitcnt lgkmcnt(0)
	s_waitcnt_vscnt null, 0x0
	s_barrier
	buffer_gl0_inv
	s_clause 0x17
	buffer_load_dword v51, off, s[0:3], 0 offset:72
	buffer_load_dword v52, off, s[0:3], 0 offset:76
	;; [unrolled: 1-line block ×24, first 2 shown]
	v_mov_b32_e32 v42, 0
	ds_read2_b64 v[43:46], v42 offset0:29 offset1:30
	ds_read2_b64 v[47:50], v42 offset0:31 offset1:32
	s_mov_b32 s4, exec_lo
	s_waitcnt vmcnt(22) lgkmcnt(1)
	v_fma_f64 v[43:44], v[51:52], v[43:44], 0
	s_waitcnt vmcnt(20)
	v_fma_f64 v[43:44], v[53:54], v[45:46], v[43:44]
	s_waitcnt vmcnt(18) lgkmcnt(0)
	v_fma_f64 v[43:44], v[55:56], v[47:48], v[43:44]
	s_waitcnt vmcnt(16)
	v_fma_f64 v[51:52], v[57:58], v[49:50], v[43:44]
	ds_read2_b64 v[43:46], v42 offset0:33 offset1:34
	ds_read2_b64 v[47:50], v42 offset0:35 offset1:36
	s_waitcnt vmcnt(14) lgkmcnt(1)
	v_fma_f64 v[43:44], v[59:60], v[43:44], v[51:52]
	s_waitcnt vmcnt(12)
	v_fma_f64 v[43:44], v[61:62], v[45:46], v[43:44]
	s_waitcnt vmcnt(10) lgkmcnt(0)
	v_fma_f64 v[43:44], v[63:64], v[47:48], v[43:44]
	s_waitcnt vmcnt(5)
	v_fma_f64 v[47:48], v[65:66], v[49:50], v[43:44]
	ds_read2_b64 v[43:46], v42 offset0:37 offset1:38
	ds_read_b64 v[49:50], v42 offset:312
	s_waitcnt vmcnt(4) lgkmcnt(1)
	v_fma_f64 v[43:44], v[71:72], v[43:44], v[47:48]
	s_waitcnt vmcnt(3)
	v_fma_f64 v[43:44], v[69:70], v[45:46], v[43:44]
	s_waitcnt vmcnt(2) lgkmcnt(0)
	v_fma_f64 v[43:44], v[67:68], v[49:50], v[43:44]
	s_waitcnt vmcnt(0)
	v_add_f64 v[43:44], v[73:74], -v[43:44]
	buffer_store_dword v44, off, s[0:3], 0 offset:68
	buffer_store_dword v43, off, s[0:3], 0 offset:64
	v_cmpx_lt_u32_e32 7, v0
	s_cbranch_execz .LBB19_115
; %bb.114:
	s_clause 0x1
	buffer_load_dword v43, off, s[0:3], 0 offset:56
	buffer_load_dword v44, off, s[0:3], 0 offset:60
	buffer_store_dword v42, off, s[0:3], 0 offset:56
	buffer_store_dword v42, off, s[0:3], 0 offset:60
	s_waitcnt vmcnt(0)
	ds_write_b64 v41, v[43:44]
.LBB19_115:
	s_or_b32 exec_lo, exec_lo, s4
	s_waitcnt lgkmcnt(0)
	s_waitcnt_vscnt null, 0x0
	s_barrier
	buffer_gl0_inv
	s_clause 0x19
	buffer_load_dword v51, off, s[0:3], 0 offset:64
	buffer_load_dword v52, off, s[0:3], 0 offset:68
	;; [unrolled: 1-line block ×26, first 2 shown]
	ds_read_b128 v[43:46], v42 offset:224
	ds_read_b128 v[47:50], v42 offset:240
	s_mov_b32 s4, exec_lo
	s_waitcnt vmcnt(24) lgkmcnt(1)
	v_fma_f64 v[43:44], v[51:52], v[43:44], 0
	s_waitcnt vmcnt(22)
	v_fma_f64 v[43:44], v[53:54], v[45:46], v[43:44]
	s_waitcnt vmcnt(20) lgkmcnt(0)
	v_fma_f64 v[43:44], v[55:56], v[47:48], v[43:44]
	s_waitcnt vmcnt(18)
	v_fma_f64 v[51:52], v[57:58], v[49:50], v[43:44]
	ds_read_b128 v[43:46], v42 offset:256
	ds_read_b128 v[47:50], v42 offset:272
	s_waitcnt vmcnt(16) lgkmcnt(1)
	v_fma_f64 v[43:44], v[59:60], v[43:44], v[51:52]
	s_waitcnt vmcnt(14)
	v_fma_f64 v[43:44], v[61:62], v[45:46], v[43:44]
	s_waitcnt vmcnt(12) lgkmcnt(0)
	v_fma_f64 v[43:44], v[63:64], v[47:48], v[43:44]
	s_waitcnt vmcnt(7)
	v_fma_f64 v[51:52], v[65:66], v[49:50], v[43:44]
	ds_read_b128 v[43:46], v42 offset:288
	ds_read_b128 v[47:50], v42 offset:304
	s_waitcnt vmcnt(6) lgkmcnt(1)
	v_fma_f64 v[42:43], v[71:72], v[43:44], v[51:52]
	s_waitcnt vmcnt(5)
	v_fma_f64 v[42:43], v[69:70], v[45:46], v[42:43]
	s_waitcnt vmcnt(4) lgkmcnt(0)
	v_fma_f64 v[42:43], v[67:68], v[47:48], v[42:43]
	s_waitcnt vmcnt(2)
	v_fma_f64 v[42:43], v[73:74], v[49:50], v[42:43]
	s_waitcnt vmcnt(0)
	v_add_f64 v[42:43], v[75:76], -v[42:43]
	buffer_store_dword v43, off, s[0:3], 0 offset:60
	buffer_store_dword v42, off, s[0:3], 0 offset:56
	v_cmpx_lt_u32_e32 6, v0
	s_cbranch_execz .LBB19_117
; %bb.116:
	s_clause 0x1
	buffer_load_dword v42, off, s[0:3], 0 offset:48
	buffer_load_dword v43, off, s[0:3], 0 offset:52
	v_mov_b32_e32 v44, 0
	buffer_store_dword v44, off, s[0:3], 0 offset:48
	buffer_store_dword v44, off, s[0:3], 0 offset:52
	s_waitcnt vmcnt(0)
	ds_write_b64 v41, v[42:43]
.LBB19_117:
	s_or_b32 exec_lo, exec_lo, s4
	s_waitcnt lgkmcnt(0)
	s_waitcnt_vscnt null, 0x0
	s_barrier
	buffer_gl0_inv
	s_clause 0x1b
	buffer_load_dword v47, off, s[0:3], 0 offset:56
	buffer_load_dword v48, off, s[0:3], 0 offset:60
	;; [unrolled: 1-line block ×28, first 2 shown]
	v_mov_b32_e32 v42, 0
	s_mov_b32 s4, exec_lo
	ds_read2_b64 v[43:46], v42 offset0:27 offset1:28
	s_waitcnt vmcnt(26) lgkmcnt(0)
	v_fma_f64 v[43:44], v[47:48], v[43:44], 0
	s_waitcnt vmcnt(24)
	v_fma_f64 v[47:48], v[49:50], v[45:46], v[43:44]
	ds_read2_b64 v[43:46], v42 offset0:29 offset1:30
	s_waitcnt vmcnt(22) lgkmcnt(0)
	v_fma_f64 v[43:44], v[51:52], v[43:44], v[47:48]
	s_waitcnt vmcnt(20)
	v_fma_f64 v[47:48], v[53:54], v[45:46], v[43:44]
	;; [unrolled: 5-line block ×6, first 2 shown]
	ds_read_b64 v[45:46], v42 offset:312
	s_waitcnt vmcnt(2) lgkmcnt(0)
	v_fma_f64 v[43:44], v[71:72], v[45:46], v[43:44]
	s_waitcnt vmcnt(0)
	v_add_f64 v[43:44], v[73:74], -v[43:44]
	buffer_store_dword v44, off, s[0:3], 0 offset:52
	buffer_store_dword v43, off, s[0:3], 0 offset:48
	v_cmpx_lt_u32_e32 5, v0
	s_cbranch_execz .LBB19_119
; %bb.118:
	s_clause 0x1
	buffer_load_dword v43, off, s[0:3], 0 offset:40
	buffer_load_dword v44, off, s[0:3], 0 offset:44
	buffer_store_dword v42, off, s[0:3], 0 offset:40
	buffer_store_dword v42, off, s[0:3], 0 offset:44
	s_waitcnt vmcnt(0)
	ds_write_b64 v41, v[43:44]
.LBB19_119:
	s_or_b32 exec_lo, exec_lo, s4
	s_waitcnt lgkmcnt(0)
	s_waitcnt_vscnt null, 0x0
	s_barrier
	buffer_gl0_inv
	s_clause 0x1b
	buffer_load_dword v47, off, s[0:3], 0 offset:48
	buffer_load_dword v48, off, s[0:3], 0 offset:52
	;; [unrolled: 1-line block ×28, first 2 shown]
	ds_read_b128 v[43:46], v42 offset:208
	s_clause 0x1
	buffer_load_dword v75, off, s[0:3], 0 offset:40
	buffer_load_dword v76, off, s[0:3], 0 offset:44
	s_mov_b32 s4, exec_lo
	s_waitcnt vmcnt(28) lgkmcnt(0)
	v_fma_f64 v[43:44], v[47:48], v[43:44], 0
	s_waitcnt vmcnt(26)
	v_fma_f64 v[47:48], v[49:50], v[45:46], v[43:44]
	ds_read_b128 v[43:46], v42 offset:224
	s_waitcnt vmcnt(24) lgkmcnt(0)
	v_fma_f64 v[43:44], v[51:52], v[43:44], v[47:48]
	s_waitcnt vmcnt(22)
	v_fma_f64 v[47:48], v[53:54], v[45:46], v[43:44]
	ds_read_b128 v[43:46], v42 offset:240
	;; [unrolled: 5-line block ×6, first 2 shown]
	s_waitcnt vmcnt(4) lgkmcnt(0)
	v_fma_f64 v[42:43], v[71:72], v[42:43], v[46:47]
	s_waitcnt vmcnt(2)
	v_fma_f64 v[42:43], v[73:74], v[44:45], v[42:43]
	s_waitcnt vmcnt(0)
	v_add_f64 v[42:43], v[75:76], -v[42:43]
	buffer_store_dword v43, off, s[0:3], 0 offset:44
	buffer_store_dword v42, off, s[0:3], 0 offset:40
	v_cmpx_lt_u32_e32 4, v0
	s_cbranch_execz .LBB19_121
; %bb.120:
	s_clause 0x1
	buffer_load_dword v42, off, s[0:3], 0 offset:32
	buffer_load_dword v43, off, s[0:3], 0 offset:36
	v_mov_b32_e32 v44, 0
	buffer_store_dword v44, off, s[0:3], 0 offset:32
	buffer_store_dword v44, off, s[0:3], 0 offset:36
	s_waitcnt vmcnt(0)
	ds_write_b64 v41, v[42:43]
.LBB19_121:
	s_or_b32 exec_lo, exec_lo, s4
	s_waitcnt lgkmcnt(0)
	s_waitcnt_vscnt null, 0x0
	s_barrier
	buffer_gl0_inv
	s_clause 0x1b
	buffer_load_dword v47, off, s[0:3], 0 offset:40
	buffer_load_dword v48, off, s[0:3], 0 offset:44
	;; [unrolled: 1-line block ×28, first 2 shown]
	v_mov_b32_e32 v42, 0
	s_mov_b32 s4, exec_lo
	ds_read2_b64 v[43:46], v42 offset0:25 offset1:26
	s_clause 0x1
	buffer_load_dword v75, off, s[0:3], 0 offset:152
	buffer_load_dword v76, off, s[0:3], 0 offset:156
	s_waitcnt vmcnt(28) lgkmcnt(0)
	v_fma_f64 v[43:44], v[47:48], v[43:44], 0
	s_clause 0x1
	buffer_load_dword v47, off, s[0:3], 0 offset:32
	buffer_load_dword v48, off, s[0:3], 0 offset:36
	s_waitcnt vmcnt(28)
	v_fma_f64 v[49:50], v[49:50], v[45:46], v[43:44]
	ds_read2_b64 v[43:46], v42 offset0:27 offset1:28
	s_waitcnt vmcnt(26) lgkmcnt(0)
	v_fma_f64 v[43:44], v[51:52], v[43:44], v[49:50]
	s_waitcnt vmcnt(24)
	v_fma_f64 v[49:50], v[53:54], v[45:46], v[43:44]
	ds_read2_b64 v[43:46], v42 offset0:29 offset1:30
	s_waitcnt vmcnt(22) lgkmcnt(0)
	v_fma_f64 v[43:44], v[55:56], v[43:44], v[49:50]
	s_waitcnt vmcnt(20)
	v_fma_f64 v[49:50], v[57:58], v[45:46], v[43:44]
	ds_read2_b64 v[43:46], v42 offset0:31 offset1:32
	s_waitcnt vmcnt(18) lgkmcnt(0)
	v_fma_f64 v[43:44], v[59:60], v[43:44], v[49:50]
	s_waitcnt vmcnt(16)
	v_fma_f64 v[49:50], v[61:62], v[45:46], v[43:44]
	ds_read2_b64 v[43:46], v42 offset0:33 offset1:34
	s_waitcnt vmcnt(14) lgkmcnt(0)
	v_fma_f64 v[43:44], v[63:64], v[43:44], v[49:50]
	s_waitcnt vmcnt(12)
	v_fma_f64 v[49:50], v[65:66], v[45:46], v[43:44]
	ds_read2_b64 v[43:46], v42 offset0:35 offset1:36
	s_waitcnt vmcnt(10) lgkmcnt(0)
	v_fma_f64 v[43:44], v[67:68], v[43:44], v[49:50]
	s_waitcnt vmcnt(8)
	v_fma_f64 v[49:50], v[69:70], v[45:46], v[43:44]
	ds_read2_b64 v[43:46], v42 offset0:37 offset1:38
	s_waitcnt vmcnt(6) lgkmcnt(0)
	v_fma_f64 v[43:44], v[71:72], v[43:44], v[49:50]
	s_waitcnt vmcnt(4)
	v_fma_f64 v[43:44], v[73:74], v[45:46], v[43:44]
	ds_read_b64 v[45:46], v42 offset:312
	s_waitcnt vmcnt(2) lgkmcnt(0)
	v_fma_f64 v[43:44], v[75:76], v[45:46], v[43:44]
	s_waitcnt vmcnt(0)
	v_add_f64 v[43:44], v[47:48], -v[43:44]
	buffer_store_dword v44, off, s[0:3], 0 offset:36
	buffer_store_dword v43, off, s[0:3], 0 offset:32
	v_cmpx_lt_u32_e32 3, v0
	s_cbranch_execz .LBB19_123
; %bb.122:
	s_clause 0x1
	buffer_load_dword v43, off, s[0:3], 0 offset:24
	buffer_load_dword v44, off, s[0:3], 0 offset:28
	buffer_store_dword v42, off, s[0:3], 0 offset:24
	buffer_store_dword v42, off, s[0:3], 0 offset:28
	s_waitcnt vmcnt(0)
	ds_write_b64 v41, v[43:44]
.LBB19_123:
	s_or_b32 exec_lo, exec_lo, s4
	s_waitcnt lgkmcnt(0)
	s_waitcnt_vscnt null, 0x0
	s_barrier
	buffer_gl0_inv
	s_clause 0x1b
	buffer_load_dword v47, off, s[0:3], 0 offset:32
	buffer_load_dword v48, off, s[0:3], 0 offset:36
	buffer_load_dword v49, off, s[0:3], 0 offset:40
	buffer_load_dword v50, off, s[0:3], 0 offset:44
	buffer_load_dword v51, off, s[0:3], 0 offset:48
	buffer_load_dword v52, off, s[0:3], 0 offset:52
	buffer_load_dword v53, off, s[0:3], 0 offset:56
	buffer_load_dword v54, off, s[0:3], 0 offset:60
	buffer_load_dword v55, off, s[0:3], 0 offset:64
	buffer_load_dword v56, off, s[0:3], 0 offset:68
	buffer_load_dword v57, off, s[0:3], 0 offset:72
	buffer_load_dword v58, off, s[0:3], 0 offset:76
	buffer_load_dword v59, off, s[0:3], 0 offset:80
	buffer_load_dword v60, off, s[0:3], 0 offset:84
	buffer_load_dword v62, off, s[0:3], 0 offset:92
	buffer_load_dword v61, off, s[0:3], 0 offset:88
	buffer_load_dword v63, off, s[0:3], 0 offset:96
	buffer_load_dword v64, off, s[0:3], 0 offset:100
	buffer_load_dword v65, off, s[0:3], 0 offset:104
	buffer_load_dword v66, off, s[0:3], 0 offset:108
	buffer_load_dword v67, off, s[0:3], 0 offset:112
	buffer_load_dword v68, off, s[0:3], 0 offset:116
	buffer_load_dword v70, off, s[0:3], 0 offset:124
	buffer_load_dword v69, off, s[0:3], 0 offset:120
	buffer_load_dword v71, off, s[0:3], 0 offset:128
	buffer_load_dword v72, off, s[0:3], 0 offset:132
	buffer_load_dword v73, off, s[0:3], 0 offset:136
	buffer_load_dword v74, off, s[0:3], 0 offset:140
	ds_read_b128 v[43:46], v42 offset:192
	s_clause 0x1
	buffer_load_dword v75, off, s[0:3], 0 offset:144
	buffer_load_dword v76, off, s[0:3], 0 offset:148
	s_mov_b32 s4, exec_lo
	s_waitcnt vmcnt(28) lgkmcnt(0)
	v_fma_f64 v[43:44], v[47:48], v[43:44], 0
	s_clause 0x1
	buffer_load_dword v48, off, s[0:3], 0 offset:156
	buffer_load_dword v47, off, s[0:3], 0 offset:152
	s_waitcnt vmcnt(28)
	v_fma_f64 v[49:50], v[49:50], v[45:46], v[43:44]
	ds_read_b128 v[43:46], v42 offset:208
	s_clause 0x1
	buffer_load_dword v77, off, s[0:3], 0 offset:24
	buffer_load_dword v78, off, s[0:3], 0 offset:28
	s_waitcnt vmcnt(28) lgkmcnt(0)
	v_fma_f64 v[43:44], v[51:52], v[43:44], v[49:50]
	s_waitcnt vmcnt(26)
	v_fma_f64 v[49:50], v[53:54], v[45:46], v[43:44]
	ds_read_b128 v[43:46], v42 offset:224
	s_waitcnt vmcnt(24) lgkmcnt(0)
	v_fma_f64 v[43:44], v[55:56], v[43:44], v[49:50]
	s_waitcnt vmcnt(22)
	v_fma_f64 v[49:50], v[57:58], v[45:46], v[43:44]
	ds_read_b128 v[43:46], v42 offset:240
	;; [unrolled: 5-line block ×6, first 2 shown]
	s_waitcnt vmcnt(4) lgkmcnt(0)
	v_fma_f64 v[42:43], v[75:76], v[42:43], v[49:50]
	s_waitcnt vmcnt(2)
	v_fma_f64 v[42:43], v[47:48], v[44:45], v[42:43]
	s_waitcnt vmcnt(0)
	v_add_f64 v[42:43], v[77:78], -v[42:43]
	buffer_store_dword v43, off, s[0:3], 0 offset:28
	buffer_store_dword v42, off, s[0:3], 0 offset:24
	v_cmpx_lt_u32_e32 2, v0
	s_cbranch_execz .LBB19_125
; %bb.124:
	s_clause 0x1
	buffer_load_dword v42, off, s[0:3], 0 offset:16
	buffer_load_dword v43, off, s[0:3], 0 offset:20
	v_mov_b32_e32 v44, 0
	buffer_store_dword v44, off, s[0:3], 0 offset:16
	buffer_store_dword v44, off, s[0:3], 0 offset:20
	s_waitcnt vmcnt(0)
	ds_write_b64 v41, v[42:43]
.LBB19_125:
	s_or_b32 exec_lo, exec_lo, s4
	s_waitcnt lgkmcnt(0)
	s_waitcnt_vscnt null, 0x0
	s_barrier
	buffer_gl0_inv
	s_clause 0x1c
	buffer_load_dword v51, off, s[0:3], 0 offset:24
	buffer_load_dword v52, off, s[0:3], 0 offset:28
	;; [unrolled: 1-line block ×29, first 2 shown]
	v_mov_b32_e32 v42, 0
	buffer_load_dword v76, off, s[0:3], 0 offset:140
	s_mov_b32 s4, exec_lo
	ds_read2_b64 v[43:46], v42 offset0:23 offset1:24
	ds_read2_b64 v[47:50], v42 offset0:25 offset1:26
	s_waitcnt vmcnt(28) lgkmcnt(1)
	v_fma_f64 v[43:44], v[51:52], v[43:44], 0
	s_clause 0x3
	buffer_load_dword v52, off, s[0:3], 0 offset:148
	buffer_load_dword v81, off, s[0:3], 0 offset:152
	buffer_load_dword v51, off, s[0:3], 0 offset:144
	buffer_load_dword v82, off, s[0:3], 0 offset:156
	s_waitcnt vmcnt(30)
	v_fma_f64 v[43:44], v[53:54], v[45:46], v[43:44]
	s_clause 0x1
	buffer_load_dword v53, off, s[0:3], 0 offset:16
	buffer_load_dword v54, off, s[0:3], 0 offset:20
	s_waitcnt vmcnt(30) lgkmcnt(0)
	v_fma_f64 v[43:44], v[55:56], v[47:48], v[43:44]
	s_waitcnt vmcnt(28)
	v_fma_f64 v[55:56], v[57:58], v[49:50], v[43:44]
	ds_read2_b64 v[43:46], v42 offset0:27 offset1:28
	ds_read2_b64 v[47:50], v42 offset0:29 offset1:30
	s_waitcnt vmcnt(26) lgkmcnt(1)
	v_fma_f64 v[43:44], v[59:60], v[43:44], v[55:56]
	s_waitcnt vmcnt(24)
	v_fma_f64 v[43:44], v[61:62], v[45:46], v[43:44]
	s_waitcnt vmcnt(22) lgkmcnt(0)
	v_fma_f64 v[43:44], v[63:64], v[47:48], v[43:44]
	s_waitcnt vmcnt(17)
	v_fma_f64 v[55:56], v[65:66], v[49:50], v[43:44]
	ds_read2_b64 v[43:46], v42 offset0:31 offset1:32
	ds_read2_b64 v[47:50], v42 offset0:33 offset1:34
	s_waitcnt vmcnt(16) lgkmcnt(1)
	v_fma_f64 v[43:44], v[71:72], v[43:44], v[55:56]
	s_waitcnt vmcnt(15)
	v_fma_f64 v[43:44], v[69:70], v[45:46], v[43:44]
	;; [unrolled: 10-line block ×3, first 2 shown]
	ds_read_b64 v[45:46], v42 offset:312
	s_waitcnt vmcnt(6) lgkmcnt(1)
	v_fma_f64 v[43:44], v[75:76], v[47:48], v[43:44]
	s_waitcnt vmcnt(3)
	v_fma_f64 v[43:44], v[51:52], v[49:50], v[43:44]
	s_waitcnt vmcnt(2) lgkmcnt(0)
	v_fma_f64 v[43:44], v[81:82], v[45:46], v[43:44]
	s_waitcnt vmcnt(0)
	v_add_f64 v[43:44], v[53:54], -v[43:44]
	buffer_store_dword v44, off, s[0:3], 0 offset:20
	buffer_store_dword v43, off, s[0:3], 0 offset:16
	v_cmpx_lt_u32_e32 1, v0
	s_cbranch_execz .LBB19_127
; %bb.126:
	s_clause 0x1
	buffer_load_dword v43, off, s[0:3], 0 offset:8
	buffer_load_dword v44, off, s[0:3], 0 offset:12
	buffer_store_dword v42, off, s[0:3], 0 offset:8
	buffer_store_dword v42, off, s[0:3], 0 offset:12
	s_waitcnt vmcnt(0)
	ds_write_b64 v41, v[43:44]
.LBB19_127:
	s_or_b32 exec_lo, exec_lo, s4
	s_waitcnt lgkmcnt(0)
	s_waitcnt_vscnt null, 0x0
	s_barrier
	buffer_gl0_inv
	s_clause 0x1c
	buffer_load_dword v51, off, s[0:3], 0 offset:16
	buffer_load_dword v52, off, s[0:3], 0 offset:20
	;; [unrolled: 1-line block ×29, first 2 shown]
	ds_read_b128 v[43:46], v42 offset:176
	ds_read_b128 v[47:50], v42 offset:192
	buffer_load_dword v76, off, s[0:3], 0 offset:132
	s_mov_b32 s4, exec_lo
	s_waitcnt vmcnt(28) lgkmcnt(1)
	v_fma_f64 v[43:44], v[51:52], v[43:44], 0
	s_clause 0x5
	buffer_load_dword v52, off, s[0:3], 0 offset:140
	buffer_load_dword v81, off, s[0:3], 0 offset:152
	;; [unrolled: 1-line block ×6, first 2 shown]
	s_waitcnt vmcnt(32)
	v_fma_f64 v[43:44], v[53:54], v[45:46], v[43:44]
	s_waitcnt vmcnt(30) lgkmcnt(0)
	v_fma_f64 v[43:44], v[55:56], v[47:48], v[43:44]
	s_waitcnt vmcnt(28)
	v_fma_f64 v[53:54], v[57:58], v[49:50], v[43:44]
	ds_read_b128 v[43:46], v42 offset:208
	s_clause 0x1
	buffer_load_dword v55, off, s[0:3], 0 offset:8
	buffer_load_dword v56, off, s[0:3], 0 offset:12
	ds_read_b128 v[47:50], v42 offset:224
	s_waitcnt vmcnt(28) lgkmcnt(1)
	v_fma_f64 v[43:44], v[59:60], v[43:44], v[53:54]
	s_waitcnt vmcnt(26)
	v_fma_f64 v[43:44], v[61:62], v[45:46], v[43:44]
	s_waitcnt vmcnt(24) lgkmcnt(0)
	v_fma_f64 v[43:44], v[63:64], v[47:48], v[43:44]
	s_waitcnt vmcnt(19)
	v_fma_f64 v[53:54], v[65:66], v[49:50], v[43:44]
	ds_read_b128 v[43:46], v42 offset:240
	ds_read_b128 v[47:50], v42 offset:256
	s_waitcnt vmcnt(18) lgkmcnt(1)
	v_fma_f64 v[43:44], v[71:72], v[43:44], v[53:54]
	s_waitcnt vmcnt(17)
	v_fma_f64 v[43:44], v[69:70], v[45:46], v[43:44]
	s_waitcnt vmcnt(16) lgkmcnt(0)
	v_fma_f64 v[43:44], v[67:68], v[47:48], v[43:44]
	s_waitcnt vmcnt(11)
	v_fma_f64 v[53:54], v[73:74], v[49:50], v[43:44]
	ds_read_b128 v[43:46], v42 offset:272
	;; [unrolled: 10-line block ×3, first 2 shown]
	s_waitcnt vmcnt(3) lgkmcnt(0)
	v_fma_f64 v[42:43], v[83:84], v[42:43], v[46:47]
	s_waitcnt vmcnt(2)
	v_fma_f64 v[42:43], v[81:82], v[44:45], v[42:43]
	s_waitcnt vmcnt(0)
	v_add_f64 v[42:43], v[55:56], -v[42:43]
	buffer_store_dword v43, off, s[0:3], 0 offset:12
	buffer_store_dword v42, off, s[0:3], 0 offset:8
	v_cmpx_ne_u32_e32 0, v0
	s_cbranch_execz .LBB19_129
; %bb.128:
	s_clause 0x1
	buffer_load_dword v42, off, s[0:3], 0
	buffer_load_dword v43, off, s[0:3], 0 offset:4
	v_mov_b32_e32 v0, 0
	buffer_store_dword v0, off, s[0:3], 0
	buffer_store_dword v0, off, s[0:3], 0 offset:4
	s_waitcnt vmcnt(0)
	ds_write_b64 v41, v[42:43]
.LBB19_129:
	s_or_b32 exec_lo, exec_lo, s4
	s_waitcnt lgkmcnt(0)
	s_waitcnt_vscnt null, 0x0
	s_barrier
	buffer_gl0_inv
	s_clause 0x1c
	buffer_load_dword v50, off, s[0:3], 0 offset:8
	buffer_load_dword v51, off, s[0:3], 0 offset:12
	;; [unrolled: 1-line block ×29, first 2 shown]
	v_mov_b32_e32 v0, 0
	buffer_load_dword v75, off, s[0:3], 0 offset:124
	s_and_b32 vcc_lo, exec_lo, s22
	ds_read2_b64 v[42:45], v0 offset0:21 offset1:22
	ds_read2_b64 v[46:49], v0 offset0:23 offset1:24
	s_waitcnt vmcnt(28) lgkmcnt(1)
	v_fma_f64 v[41:42], v[50:51], v[42:43], 0
	s_clause 0x6
	buffer_load_dword v81, off, s[0:3], 0 offset:132
	buffer_load_dword v82, off, s[0:3], 0 offset:152
	;; [unrolled: 1-line block ×7, first 2 shown]
	s_waitcnt vmcnt(33)
	v_fma_f64 v[41:42], v[52:53], v[44:45], v[41:42]
	buffer_load_dword v44, off, s[0:3], 0 offset:148
	s_waitcnt vmcnt(32) lgkmcnt(0)
	v_fma_f64 v[41:42], v[54:55], v[46:47], v[41:42]
	s_waitcnt vmcnt(30)
	v_fma_f64 v[41:42], v[56:57], v[48:49], v[41:42]
	ds_read2_b64 v[45:48], v0 offset0:25 offset1:26
	ds_read2_b64 v[49:52], v0 offset0:27 offset1:28
	s_clause 0x1
	buffer_load_dword v53, off, s[0:3], 0
	buffer_load_dword v54, off, s[0:3], 0 offset:4
	s_waitcnt vmcnt(30) lgkmcnt(1)
	v_fma_f64 v[41:42], v[58:59], v[45:46], v[41:42]
	s_waitcnt vmcnt(28)
	v_fma_f64 v[41:42], v[60:61], v[47:48], v[41:42]
	s_waitcnt vmcnt(26) lgkmcnt(0)
	v_fma_f64 v[41:42], v[62:63], v[49:50], v[41:42]
	s_waitcnt vmcnt(21)
	v_fma_f64 v[41:42], v[64:65], v[51:52], v[41:42]
	ds_read2_b64 v[45:48], v0 offset0:29 offset1:30
	ds_read2_b64 v[49:52], v0 offset0:31 offset1:32
	s_waitcnt vmcnt(20) lgkmcnt(1)
	v_fma_f64 v[41:42], v[70:71], v[45:46], v[41:42]
	s_waitcnt vmcnt(19)
	v_fma_f64 v[41:42], v[68:69], v[47:48], v[41:42]
	s_waitcnt vmcnt(18) lgkmcnt(0)
	v_fma_f64 v[41:42], v[66:67], v[49:50], v[41:42]
	s_waitcnt vmcnt(13)
	v_fma_f64 v[41:42], v[72:73], v[51:52], v[41:42]
	ds_read2_b64 v[45:48], v0 offset0:33 offset1:34
	ds_read2_b64 v[49:52], v0 offset0:35 offset1:36
	s_waitcnt vmcnt(12) lgkmcnt(1)
	v_fma_f64 v[41:42], v[78:79], v[45:46], v[41:42]
	s_waitcnt vmcnt(11)
	v_fma_f64 v[41:42], v[76:77], v[47:48], v[41:42]
	s_waitcnt vmcnt(10) lgkmcnt(0)
	v_fma_f64 v[41:42], v[74:75], v[49:50], v[41:42]
	ds_read2_b64 v[45:48], v0 offset0:37 offset1:38
	ds_read_b64 v[49:50], v0 offset:312
	s_waitcnt vmcnt(5)
	v_fma_f64 v[41:42], v[80:81], v[51:52], v[41:42]
	s_waitcnt vmcnt(4) lgkmcnt(1)
	v_fma_f64 v[41:42], v[84:85], v[45:46], v[41:42]
	s_waitcnt vmcnt(2)
	v_fma_f64 v[41:42], v[43:44], v[47:48], v[41:42]
	s_waitcnt lgkmcnt(0)
	v_fma_f64 v[41:42], v[82:83], v[49:50], v[41:42]
	s_waitcnt vmcnt(0)
	v_add_f64 v[41:42], v[53:54], -v[41:42]
	buffer_store_dword v42, off, s[0:3], 0 offset:4
	buffer_store_dword v41, off, s[0:3], 0
	s_cbranch_vccz .LBB19_168
; %bb.130:
	global_load_dword v0, v0, s[20:21] offset:72
	s_waitcnt vmcnt(0)
	v_add_nc_u32_e32 v0, -1, v0
	v_cmp_ne_u32_e32 vcc_lo, 18, v0
	s_cbranch_vccz .LBB19_132
; %bb.131:
	v_lshlrev_b32_e32 v0, 3, v0
	s_clause 0x1
	buffer_load_dword v41, v0, s[0:3], 0 offen offset:4
	buffer_load_dword v42, v0, s[0:3], 0 offen
	s_waitcnt vmcnt(1)
	buffer_store_dword v41, off, s[0:3], 0 offset:148
	s_waitcnt vmcnt(0)
	buffer_store_dword v42, off, s[0:3], 0 offset:144
	buffer_store_dword v44, v0, s[0:3], 0 offen offset:4
	buffer_store_dword v43, v0, s[0:3], 0 offen
.LBB19_132:
	v_mov_b32_e32 v0, 0
	global_load_dword v41, v0, s[20:21] offset:68
	s_waitcnt vmcnt(0)
	v_add_nc_u32_e32 v41, -1, v41
	v_cmp_eq_u32_e32 vcc_lo, 17, v41
	s_cbranch_vccnz .LBB19_134
; %bb.133:
	v_lshlrev_b32_e32 v41, 3, v41
	s_clause 0x3
	buffer_load_dword v42, v41, s[0:3], 0 offen
	buffer_load_dword v43, v41, s[0:3], 0 offen offset:4
	buffer_load_dword v44, off, s[0:3], 0 offset:136
	buffer_load_dword v45, off, s[0:3], 0 offset:140
	s_waitcnt vmcnt(3)
	buffer_store_dword v42, off, s[0:3], 0 offset:136
	s_waitcnt vmcnt(2)
	buffer_store_dword v43, off, s[0:3], 0 offset:140
	s_waitcnt vmcnt(1)
	buffer_store_dword v44, v41, s[0:3], 0 offen
	s_waitcnt vmcnt(0)
	buffer_store_dword v45, v41, s[0:3], 0 offen offset:4
.LBB19_134:
	global_load_dword v0, v0, s[20:21] offset:64
	s_waitcnt vmcnt(0)
	v_add_nc_u32_e32 v0, -1, v0
	v_cmp_eq_u32_e32 vcc_lo, 16, v0
	s_cbranch_vccnz .LBB19_136
; %bb.135:
	v_lshlrev_b32_e32 v0, 3, v0
	s_clause 0x3
	buffer_load_dword v41, v0, s[0:3], 0 offen
	buffer_load_dword v42, v0, s[0:3], 0 offen offset:4
	buffer_load_dword v43, off, s[0:3], 0 offset:132
	buffer_load_dword v44, off, s[0:3], 0 offset:128
	s_waitcnt vmcnt(3)
	buffer_store_dword v41, off, s[0:3], 0 offset:128
	s_waitcnt vmcnt(2)
	buffer_store_dword v42, off, s[0:3], 0 offset:132
	s_waitcnt vmcnt(1)
	buffer_store_dword v43, v0, s[0:3], 0 offen offset:4
	s_waitcnt vmcnt(0)
	buffer_store_dword v44, v0, s[0:3], 0 offen
.LBB19_136:
	v_mov_b32_e32 v0, 0
	global_load_dword v41, v0, s[20:21] offset:60
	s_waitcnt vmcnt(0)
	v_add_nc_u32_e32 v41, -1, v41
	v_cmp_eq_u32_e32 vcc_lo, 15, v41
	s_cbranch_vccnz .LBB19_138
; %bb.137:
	v_lshlrev_b32_e32 v41, 3, v41
	s_clause 0x3
	buffer_load_dword v42, v41, s[0:3], 0 offen
	buffer_load_dword v43, v41, s[0:3], 0 offen offset:4
	buffer_load_dword v44, off, s[0:3], 0 offset:120
	buffer_load_dword v45, off, s[0:3], 0 offset:124
	s_waitcnt vmcnt(3)
	buffer_store_dword v42, off, s[0:3], 0 offset:120
	s_waitcnt vmcnt(2)
	buffer_store_dword v43, off, s[0:3], 0 offset:124
	s_waitcnt vmcnt(1)
	buffer_store_dword v44, v41, s[0:3], 0 offen
	s_waitcnt vmcnt(0)
	buffer_store_dword v45, v41, s[0:3], 0 offen offset:4
.LBB19_138:
	global_load_dword v0, v0, s[20:21] offset:56
	s_waitcnt vmcnt(0)
	v_add_nc_u32_e32 v0, -1, v0
	v_cmp_eq_u32_e32 vcc_lo, 14, v0
	s_cbranch_vccnz .LBB19_140
; %bb.139:
	v_lshlrev_b32_e32 v0, 3, v0
	s_clause 0x3
	buffer_load_dword v41, v0, s[0:3], 0 offen
	buffer_load_dword v42, v0, s[0:3], 0 offen offset:4
	buffer_load_dword v43, off, s[0:3], 0 offset:116
	buffer_load_dword v44, off, s[0:3], 0 offset:112
	s_waitcnt vmcnt(3)
	buffer_store_dword v41, off, s[0:3], 0 offset:112
	s_waitcnt vmcnt(2)
	buffer_store_dword v42, off, s[0:3], 0 offset:116
	s_waitcnt vmcnt(1)
	buffer_store_dword v43, v0, s[0:3], 0 offen offset:4
	s_waitcnt vmcnt(0)
	buffer_store_dword v44, v0, s[0:3], 0 offen
.LBB19_140:
	;; [unrolled: 43-line block ×8, first 2 shown]
	v_mov_b32_e32 v0, 0
	global_load_dword v41, v0, s[20:21] offset:4
	s_waitcnt vmcnt(0)
	v_add_nc_u32_e32 v41, -1, v41
	v_cmp_eq_u32_e32 vcc_lo, 1, v41
	s_cbranch_vccnz .LBB19_166
; %bb.165:
	v_lshlrev_b32_e32 v41, 3, v41
	s_clause 0x3
	buffer_load_dword v42, v41, s[0:3], 0 offen
	buffer_load_dword v43, v41, s[0:3], 0 offen offset:4
	buffer_load_dword v44, off, s[0:3], 0 offset:8
	buffer_load_dword v45, off, s[0:3], 0 offset:12
	s_waitcnt vmcnt(3)
	buffer_store_dword v42, off, s[0:3], 0 offset:8
	s_waitcnt vmcnt(2)
	buffer_store_dword v43, off, s[0:3], 0 offset:12
	s_waitcnt vmcnt(1)
	buffer_store_dword v44, v41, s[0:3], 0 offen
	s_waitcnt vmcnt(0)
	buffer_store_dword v45, v41, s[0:3], 0 offen offset:4
.LBB19_166:
	global_load_dword v0, v0, s[20:21]
	s_clause 0x1
	buffer_load_dword v41, off, s[0:3], 0
	buffer_load_dword v42, off, s[0:3], 0 offset:4
	s_waitcnt vmcnt(2)
	v_add_nc_u32_e32 v0, -1, v0
	v_cmp_eq_u32_e32 vcc_lo, 0, v0
	s_cbranch_vccnz .LBB19_168
; %bb.167:
	v_lshlrev_b32_e32 v0, 3, v0
	s_clause 0x1
	buffer_load_dword v43, v0, s[0:3], 0 offen offset:4
	buffer_load_dword v44, v0, s[0:3], 0 offen
	s_waitcnt vmcnt(1)
	buffer_store_dword v43, off, s[0:3], 0 offset:4
	s_waitcnt vmcnt(0)
	buffer_store_dword v44, off, s[0:3], 0
	buffer_store_dword v42, v0, s[0:3], 0 offen offset:4
	buffer_store_dword v41, v0, s[0:3], 0 offen
	s_clause 0x1
	buffer_load_dword v41, off, s[0:3], 0
	buffer_load_dword v42, off, s[0:3], 0 offset:4
.LBB19_168:
	s_clause 0x25
	buffer_load_dword v43, off, s[0:3], 0 offset:8
	buffer_load_dword v44, off, s[0:3], 0 offset:12
	;; [unrolled: 1-line block ×38, first 2 shown]
	s_waitcnt vmcnt(38)
	global_store_dwordx2 v[1:2], v[41:42], off
	s_waitcnt vmcnt(36)
	global_store_dwordx2 v[3:4], v[43:44], off
	;; [unrolled: 2-line block ×20, first 2 shown]
	s_endpgm
	.section	.rodata,"a",@progbits
	.p2align	6, 0x0
	.amdhsa_kernel _ZN9rocsolver6v33100L18getri_kernel_smallILi20EdPdEEvT1_iilPiilS4_bb
		.amdhsa_group_segment_fixed_size 328
		.amdhsa_private_segment_fixed_size 176
		.amdhsa_kernarg_size 60
		.amdhsa_user_sgpr_count 6
		.amdhsa_user_sgpr_private_segment_buffer 1
		.amdhsa_user_sgpr_dispatch_ptr 0
		.amdhsa_user_sgpr_queue_ptr 0
		.amdhsa_user_sgpr_kernarg_segment_ptr 1
		.amdhsa_user_sgpr_dispatch_id 0
		.amdhsa_user_sgpr_flat_scratch_init 0
		.amdhsa_user_sgpr_private_segment_size 0
		.amdhsa_wavefront_size32 1
		.amdhsa_uses_dynamic_stack 0
		.amdhsa_system_sgpr_private_segment_wavefront_offset 1
		.amdhsa_system_sgpr_workgroup_id_x 1
		.amdhsa_system_sgpr_workgroup_id_y 0
		.amdhsa_system_sgpr_workgroup_id_z 0
		.amdhsa_system_sgpr_workgroup_info 0
		.amdhsa_system_vgpr_workitem_id 0
		.amdhsa_next_free_vgpr 86
		.amdhsa_next_free_sgpr 23
		.amdhsa_reserve_vcc 1
		.amdhsa_reserve_flat_scratch 0
		.amdhsa_float_round_mode_32 0
		.amdhsa_float_round_mode_16_64 0
		.amdhsa_float_denorm_mode_32 3
		.amdhsa_float_denorm_mode_16_64 3
		.amdhsa_dx10_clamp 1
		.amdhsa_ieee_mode 1
		.amdhsa_fp16_overflow 0
		.amdhsa_workgroup_processor_mode 1
		.amdhsa_memory_ordered 1
		.amdhsa_forward_progress 1
		.amdhsa_shared_vgpr_count 0
		.amdhsa_exception_fp_ieee_invalid_op 0
		.amdhsa_exception_fp_denorm_src 0
		.amdhsa_exception_fp_ieee_div_zero 0
		.amdhsa_exception_fp_ieee_overflow 0
		.amdhsa_exception_fp_ieee_underflow 0
		.amdhsa_exception_fp_ieee_inexact 0
		.amdhsa_exception_int_div_zero 0
	.end_amdhsa_kernel
	.section	.text._ZN9rocsolver6v33100L18getri_kernel_smallILi20EdPdEEvT1_iilPiilS4_bb,"axG",@progbits,_ZN9rocsolver6v33100L18getri_kernel_smallILi20EdPdEEvT1_iilPiilS4_bb,comdat
.Lfunc_end19:
	.size	_ZN9rocsolver6v33100L18getri_kernel_smallILi20EdPdEEvT1_iilPiilS4_bb, .Lfunc_end19-_ZN9rocsolver6v33100L18getri_kernel_smallILi20EdPdEEvT1_iilPiilS4_bb
                                        ; -- End function
	.set _ZN9rocsolver6v33100L18getri_kernel_smallILi20EdPdEEvT1_iilPiilS4_bb.num_vgpr, 86
	.set _ZN9rocsolver6v33100L18getri_kernel_smallILi20EdPdEEvT1_iilPiilS4_bb.num_agpr, 0
	.set _ZN9rocsolver6v33100L18getri_kernel_smallILi20EdPdEEvT1_iilPiilS4_bb.numbered_sgpr, 23
	.set _ZN9rocsolver6v33100L18getri_kernel_smallILi20EdPdEEvT1_iilPiilS4_bb.num_named_barrier, 0
	.set _ZN9rocsolver6v33100L18getri_kernel_smallILi20EdPdEEvT1_iilPiilS4_bb.private_seg_size, 176
	.set _ZN9rocsolver6v33100L18getri_kernel_smallILi20EdPdEEvT1_iilPiilS4_bb.uses_vcc, 1
	.set _ZN9rocsolver6v33100L18getri_kernel_smallILi20EdPdEEvT1_iilPiilS4_bb.uses_flat_scratch, 0
	.set _ZN9rocsolver6v33100L18getri_kernel_smallILi20EdPdEEvT1_iilPiilS4_bb.has_dyn_sized_stack, 0
	.set _ZN9rocsolver6v33100L18getri_kernel_smallILi20EdPdEEvT1_iilPiilS4_bb.has_recursion, 0
	.set _ZN9rocsolver6v33100L18getri_kernel_smallILi20EdPdEEvT1_iilPiilS4_bb.has_indirect_call, 0
	.section	.AMDGPU.csdata,"",@progbits
; Kernel info:
; codeLenInByte = 17492
; TotalNumSgprs: 25
; NumVgprs: 86
; ScratchSize: 176
; MemoryBound: 0
; FloatMode: 240
; IeeeMode: 1
; LDSByteSize: 328 bytes/workgroup (compile time only)
; SGPRBlocks: 0
; VGPRBlocks: 10
; NumSGPRsForWavesPerEU: 25
; NumVGPRsForWavesPerEU: 86
; Occupancy: 10
; WaveLimiterHint : 1
; COMPUTE_PGM_RSRC2:SCRATCH_EN: 1
; COMPUTE_PGM_RSRC2:USER_SGPR: 6
; COMPUTE_PGM_RSRC2:TRAP_HANDLER: 0
; COMPUTE_PGM_RSRC2:TGID_X_EN: 1
; COMPUTE_PGM_RSRC2:TGID_Y_EN: 0
; COMPUTE_PGM_RSRC2:TGID_Z_EN: 0
; COMPUTE_PGM_RSRC2:TIDIG_COMP_CNT: 0
	.section	.text._ZN9rocsolver6v33100L18getri_kernel_smallILi21EdPdEEvT1_iilPiilS4_bb,"axG",@progbits,_ZN9rocsolver6v33100L18getri_kernel_smallILi21EdPdEEvT1_iilPiilS4_bb,comdat
	.globl	_ZN9rocsolver6v33100L18getri_kernel_smallILi21EdPdEEvT1_iilPiilS4_bb ; -- Begin function _ZN9rocsolver6v33100L18getri_kernel_smallILi21EdPdEEvT1_iilPiilS4_bb
	.p2align	8
	.type	_ZN9rocsolver6v33100L18getri_kernel_smallILi21EdPdEEvT1_iilPiilS4_bb,@function
_ZN9rocsolver6v33100L18getri_kernel_smallILi21EdPdEEvT1_iilPiilS4_bb: ; @_ZN9rocsolver6v33100L18getri_kernel_smallILi21EdPdEEvT1_iilPiilS4_bb
; %bb.0:
	s_add_u32 s0, s0, s7
	s_addc_u32 s1, s1, 0
	s_mov_b32 s7, exec_lo
	v_cmpx_gt_u32_e32 21, v0
	s_cbranch_execz .LBB20_94
; %bb.1:
	s_clause 0x2
	s_load_dword s7, s[4:5], 0x38
	s_load_dwordx4 s[16:19], s[4:5], 0x10
	s_load_dwordx4 s[8:11], s[4:5], 0x28
                                        ; implicit-def: $sgpr20_sgpr21
	s_waitcnt lgkmcnt(0)
	s_bitcmp1_b32 s7, 8
	s_cselect_b32 s22, -1, 0
	s_bfe_u32 s12, s7, 0x10008
	s_ashr_i32 s7, s6, 31
	s_cmp_eq_u32 s12, 0
	s_cbranch_scc1 .LBB20_3
; %bb.2:
	s_load_dword s12, s[4:5], 0x20
	s_mul_i32 s13, s8, s7
	s_mul_hi_u32 s14, s8, s6
	s_mul_i32 s9, s9, s6
	s_add_i32 s13, s14, s13
	s_mul_i32 s8, s8, s6
	s_add_i32 s9, s13, s9
	s_lshl_b64 s[8:9], s[8:9], 2
	s_waitcnt lgkmcnt(0)
	s_ashr_i32 s13, s12, 31
	s_add_u32 s14, s18, s8
	s_addc_u32 s15, s19, s9
	s_lshl_b64 s[8:9], s[12:13], 2
	s_add_u32 s20, s14, s8
	s_addc_u32 s21, s15, s9
.LBB20_3:
	s_clause 0x1
	s_load_dwordx4 s[12:15], s[4:5], 0x0
	s_load_dword s8, s[4:5], 0x38
	s_mul_i32 s4, s16, s7
	s_mul_hi_u32 s5, s16, s6
	s_mul_i32 s9, s17, s6
	s_add_i32 s5, s5, s4
	s_mul_i32 s4, s16, s6
	s_add_i32 s5, s5, s9
	v_lshlrev_b32_e32 v45, 3, v0
	s_lshl_b64 s[4:5], s[4:5], 3
	s_waitcnt lgkmcnt(0)
	v_add3_u32 v3, s15, s15, v0
	s_ashr_i32 s17, s14, 31
	s_mov_b32 s16, s14
	s_add_u32 s9, s12, s4
	s_addc_u32 s13, s13, s5
	v_add_nc_u32_e32 v5, s15, v3
	s_lshl_b64 s[4:5], s[16:17], 3
	v_ashrrev_i32_e32 v4, 31, v3
	s_add_u32 s4, s9, s4
	s_addc_u32 s5, s13, s5
	v_ashrrev_i32_e32 v6, 31, v5
	v_add_nc_u32_e32 v9, s15, v5
	v_add_co_u32 v1, s9, s4, v45
	s_mov_b32 s12, s15
	s_ashr_i32 s13, s15, 31
	v_lshlrev_b64 v[7:8], 3, v[3:4]
	v_add_co_ci_u32_e64 v2, null, s5, 0, s9
	s_lshl_b64 s[12:13], s[12:13], 3
	v_ashrrev_i32_e32 v10, 31, v9
	v_lshlrev_b64 v[11:12], 3, v[5:6]
	v_add_nc_u32_e32 v15, s15, v9
	v_add_co_u32 v3, vcc_lo, v1, s12
	v_add_co_ci_u32_e64 v4, null, s13, v2, vcc_lo
	v_add_co_u32 v5, vcc_lo, s4, v7
	v_lshlrev_b64 v[13:14], 3, v[9:10]
	v_add_co_ci_u32_e64 v6, null, s5, v8, vcc_lo
	v_add_co_u32 v7, vcc_lo, s4, v11
	v_add_nc_u32_e32 v11, s15, v15
	v_add_co_ci_u32_e64 v8, null, s5, v12, vcc_lo
	v_add_co_u32 v9, vcc_lo, s4, v13
	v_add_nc_u32_e32 v13, s15, v11
	v_ashrrev_i32_e32 v16, 31, v15
	v_ashrrev_i32_e32 v12, 31, v11
	v_add_co_ci_u32_e64 v10, null, s5, v14, vcc_lo
	v_add_nc_u32_e32 v17, s15, v13
	v_lshlrev_b64 v[15:16], 3, v[15:16]
	v_lshlrev_b64 v[19:20], 3, v[11:12]
	v_ashrrev_i32_e32 v14, 31, v13
	global_load_dwordx2 v[43:44], v45, s[4:5]
	v_add_nc_u32_e32 v21, s15, v17
	v_ashrrev_i32_e32 v18, 31, v17
	v_add_co_u32 v11, vcc_lo, s4, v15
	v_add_co_ci_u32_e64 v12, null, s5, v16, vcc_lo
	v_lshlrev_b64 v[15:16], 3, v[13:14]
	v_add_co_u32 v13, vcc_lo, s4, v19
	v_add_nc_u32_e32 v19, s15, v21
	v_ashrrev_i32_e32 v22, 31, v21
	v_add_co_ci_u32_e64 v14, null, s5, v20, vcc_lo
	v_lshlrev_b64 v[17:18], 3, v[17:18]
	v_add_nc_u32_e32 v23, s15, v19
	v_ashrrev_i32_e32 v20, 31, v19
	v_lshlrev_b64 v[21:22], 3, v[21:22]
	v_add_co_u32 v15, vcc_lo, s4, v15
	v_add_nc_u32_e32 v27, s15, v23
	v_lshlrev_b64 v[25:26], 3, v[19:20]
	v_add_co_ci_u32_e64 v16, null, s5, v16, vcc_lo
	v_add_co_u32 v17, vcc_lo, s4, v17
	v_ashrrev_i32_e32 v28, 31, v27
	v_add_nc_u32_e32 v29, s15, v27
	v_add_co_ci_u32_e64 v18, null, s5, v18, vcc_lo
	v_add_co_u32 v19, vcc_lo, s4, v21
	v_add_co_ci_u32_e64 v20, null, s5, v22, vcc_lo
	v_add_co_u32 v21, vcc_lo, s4, v25
	v_add_co_ci_u32_e64 v22, null, s5, v26, vcc_lo
	v_lshlrev_b64 v[25:26], 3, v[27:28]
	v_add_nc_u32_e32 v27, s15, v29
	v_ashrrev_i32_e32 v24, 31, v23
	v_ashrrev_i32_e32 v30, 31, v29
	s_clause 0x7
	global_load_dwordx2 v[46:47], v[3:4], off
	global_load_dwordx2 v[48:49], v[5:6], off
	;; [unrolled: 1-line block ×8, first 2 shown]
	v_add_nc_u32_e32 v31, s15, v27
	v_lshlrev_b64 v[23:24], 3, v[23:24]
	v_ashrrev_i32_e32 v28, 31, v27
	v_lshlrev_b64 v[29:30], 3, v[29:30]
	global_load_dwordx2 v[64:65], v[19:20], off
	v_add_nc_u32_e32 v35, s15, v31
	v_ashrrev_i32_e32 v32, 31, v31
	v_add_co_u32 v23, vcc_lo, s4, v23
	v_lshlrev_b64 v[33:34], 3, v[27:28]
	v_add_co_ci_u32_e64 v24, null, s5, v24, vcc_lo
	v_add_co_u32 v25, vcc_lo, s4, v25
	v_ashrrev_i32_e32 v36, 31, v35
	v_add_nc_u32_e32 v37, s15, v35
	v_add_co_ci_u32_e64 v26, null, s5, v26, vcc_lo
	v_add_co_u32 v27, vcc_lo, s4, v29
	v_add_co_ci_u32_e64 v28, null, s5, v30, vcc_lo
	v_add_co_u32 v29, vcc_lo, s4, v33
	v_add_co_ci_u32_e64 v30, null, s5, v34, vcc_lo
	v_lshlrev_b64 v[33:34], 3, v[35:36]
	v_add_nc_u32_e32 v35, s15, v37
	v_ashrrev_i32_e32 v38, 31, v37
	v_lshlrev_b64 v[31:32], 3, v[31:32]
	s_bitcmp0_b32 s8, 0
	v_add_nc_u32_e32 v39, s15, v35
	v_ashrrev_i32_e32 v36, 31, v35
	v_lshlrev_b64 v[37:38], 3, v[37:38]
	v_add_co_u32 v31, vcc_lo, s4, v31
	v_add_nc_u32_e32 v54, s15, v39
	v_lshlrev_b64 v[41:42], 3, v[35:36]
	v_ashrrev_i32_e32 v40, 31, v39
	v_add_co_ci_u32_e64 v32, null, s5, v32, vcc_lo
	v_add_co_u32 v33, vcc_lo, s4, v33
	v_ashrrev_i32_e32 v55, 31, v54
	v_add_co_ci_u32_e64 v34, null, s5, v34, vcc_lo
	v_add_co_u32 v35, vcc_lo, s4, v37
	v_add_co_ci_u32_e64 v36, null, s5, v38, vcc_lo
	v_lshlrev_b64 v[39:40], 3, v[39:40]
	v_add_co_u32 v37, vcc_lo, s4, v41
	v_add_co_ci_u32_e64 v38, null, s5, v42, vcc_lo
	v_lshlrev_b64 v[41:42], 3, v[54:55]
	v_add_co_u32 v39, vcc_lo, s4, v39
	v_add_co_ci_u32_e64 v40, null, s5, v40, vcc_lo
	s_clause 0x3
	global_load_dwordx2 v[54:55], v[21:22], off
	global_load_dwordx2 v[66:67], v[23:24], off
	;; [unrolled: 1-line block ×4, first 2 shown]
	v_add_co_u32 v41, vcc_lo, s4, v41
	v_add_co_ci_u32_e64 v42, null, s5, v42, vcc_lo
	s_clause 0x6
	global_load_dwordx2 v[72:73], v[29:30], off
	global_load_dwordx2 v[74:75], v[31:32], off
	;; [unrolled: 1-line block ×7, first 2 shown]
	s_mov_b32 s5, -1
	s_waitcnt vmcnt(20)
	buffer_store_dword v44, off, s[0:3], 0 offset:4
	buffer_store_dword v43, off, s[0:3], 0
	s_waitcnt vmcnt(19)
	buffer_store_dword v47, off, s[0:3], 0 offset:12
	buffer_store_dword v46, off, s[0:3], 0 offset:8
	s_waitcnt vmcnt(18)
	buffer_store_dword v49, off, s[0:3], 0 offset:20
	buffer_store_dword v48, off, s[0:3], 0 offset:16
	;; [unrolled: 3-line block ×20, first 2 shown]
	s_cbranch_scc1 .LBB20_92
; %bb.4:
	v_cmp_eq_u32_e64 s4, 0, v0
	s_and_saveexec_b32 s5, s4
; %bb.5:
	v_mov_b32_e32 v43, 0
	ds_write_b32 v43, v43 offset:168
; %bb.6:
	s_or_b32 exec_lo, exec_lo, s5
	v_lshl_add_u32 v43, v0, 3, 0
	s_waitcnt lgkmcnt(0)
	s_waitcnt_vscnt null, 0x0
	s_barrier
	buffer_gl0_inv
	s_mov_b32 s8, exec_lo
	s_clause 0x1
	buffer_load_dword v46, v43, s[0:3], 0 offen
	buffer_load_dword v47, v43, s[0:3], 0 offen offset:4
	s_waitcnt vmcnt(0)
	v_cmpx_eq_f64_e32 0, v[46:47]
	s_cbranch_execz .LBB20_10
; %bb.7:
	v_mov_b32_e32 v44, 0
	s_mov_b32 s9, 0
	ds_read_b32 v46, v44 offset:168
	s_waitcnt lgkmcnt(0)
	v_readfirstlane_b32 s5, v46
	v_add_nc_u32_e32 v46, 1, v0
	s_cmp_eq_u32 s5, 0
	v_cmp_gt_i32_e32 vcc_lo, s5, v46
	s_cselect_b32 s12, -1, 0
	s_or_b32 s12, s12, vcc_lo
	s_and_b32 exec_lo, exec_lo, s12
	s_cbranch_execz .LBB20_10
; %bb.8:
	v_mov_b32_e32 v47, s5
.LBB20_9:                               ; =>This Inner Loop Header: Depth=1
	ds_cmpst_rtn_b32 v47, v44, v47, v46 offset:168
	s_waitcnt lgkmcnt(0)
	v_cmp_ne_u32_e32 vcc_lo, 0, v47
	v_cmp_le_i32_e64 s5, v47, v46
	s_and_b32 s5, vcc_lo, s5
	s_and_b32 s5, exec_lo, s5
	s_or_b32 s9, s5, s9
	s_andn2_b32 exec_lo, exec_lo, s9
	s_cbranch_execnz .LBB20_9
.LBB20_10:
	s_or_b32 exec_lo, exec_lo, s8
	v_mov_b32_e32 v44, 0
	s_barrier
	buffer_gl0_inv
	ds_read_b32 v46, v44 offset:168
	s_and_saveexec_b32 s5, s4
	s_cbranch_execz .LBB20_12
; %bb.11:
	s_lshl_b64 s[8:9], s[6:7], 2
	s_add_u32 s8, s10, s8
	s_addc_u32 s9, s11, s9
	s_waitcnt lgkmcnt(0)
	global_store_dword v44, v46, s[8:9]
.LBB20_12:
	s_or_b32 exec_lo, exec_lo, s5
	s_waitcnt lgkmcnt(0)
	v_cmp_ne_u32_e32 vcc_lo, 0, v46
	s_mov_b32 s5, 0
	s_cbranch_vccnz .LBB20_92
; %bb.13:
	s_clause 0x1
	buffer_load_dword v46, v43, s[0:3], 0 offen
	buffer_load_dword v47, v43, s[0:3], 0 offen offset:4
	s_waitcnt vmcnt(0)
	v_div_scale_f64 v[48:49], null, v[46:47], v[46:47], 1.0
	v_div_scale_f64 v[54:55], vcc_lo, 1.0, v[46:47], 1.0
	v_rcp_f64_e32 v[50:51], v[48:49]
	v_fma_f64 v[52:53], -v[48:49], v[50:51], 1.0
	v_fma_f64 v[50:51], v[50:51], v[52:53], v[50:51]
	v_fma_f64 v[52:53], -v[48:49], v[50:51], 1.0
	v_fma_f64 v[50:51], v[50:51], v[52:53], v[50:51]
	v_mul_f64 v[52:53], v[54:55], v[50:51]
	v_fma_f64 v[48:49], -v[48:49], v[52:53], v[54:55]
	v_div_fmas_f64 v[48:49], v[48:49], v[50:51], v[52:53]
	v_div_fixup_f64 v[47:48], v[48:49], v[46:47], 1.0
	v_add_nc_u32_e32 v46, 0xb0, v45
	buffer_store_dword v48, v43, s[0:3], 0 offen offset:4
	buffer_store_dword v47, v43, s[0:3], 0 offen
	s_clause 0x1
	buffer_load_dword v50, off, s[0:3], 0 offset:12
	buffer_load_dword v49, off, s[0:3], 0 offset:8
	v_xor_b32_e32 v48, 0x80000000, v48
	s_waitcnt vmcnt(0)
	ds_write2_b64 v45, v[47:48], v[49:50] offset1:22
	s_waitcnt lgkmcnt(0)
	s_waitcnt_vscnt null, 0x0
	s_barrier
	buffer_gl0_inv
	s_and_saveexec_b32 s5, s4
	s_cbranch_execz .LBB20_15
; %bb.14:
	s_clause 0x1
	buffer_load_dword v47, v43, s[0:3], 0 offen
	buffer_load_dword v48, v43, s[0:3], 0 offen offset:4
	ds_read_b64 v[49:50], v46
	v_mov_b32_e32 v44, 0
	ds_read_b64 v[51:52], v44 offset:8
	s_waitcnt vmcnt(0) lgkmcnt(1)
	v_fma_f64 v[47:48], v[47:48], v[49:50], 0
	s_waitcnt lgkmcnt(0)
	v_mul_f64 v[47:48], v[47:48], v[51:52]
	buffer_store_dword v47, off, s[0:3], 0 offset:8
	buffer_store_dword v48, off, s[0:3], 0 offset:12
.LBB20_15:
	s_or_b32 exec_lo, exec_lo, s5
	s_waitcnt_vscnt null, 0x0
	s_barrier
	buffer_gl0_inv
	s_clause 0x1
	buffer_load_dword v47, off, s[0:3], 0 offset:16
	buffer_load_dword v48, off, s[0:3], 0 offset:20
	s_mov_b32 s5, exec_lo
	s_waitcnt vmcnt(0)
	ds_write_b64 v46, v[47:48]
	s_waitcnt lgkmcnt(0)
	s_barrier
	buffer_gl0_inv
	v_cmpx_gt_u32_e32 2, v0
	s_cbranch_execz .LBB20_19
; %bb.16:
	s_clause 0x1
	buffer_load_dword v47, v43, s[0:3], 0 offen
	buffer_load_dword v48, v43, s[0:3], 0 offen offset:4
	ds_read_b64 v[43:44], v46
	s_waitcnt vmcnt(0) lgkmcnt(0)
	v_fma_f64 v[43:44], v[47:48], v[43:44], 0
	s_and_saveexec_b32 s8, s4
	s_cbranch_execz .LBB20_18
; %bb.17:
	s_clause 0x1
	buffer_load_dword v47, off, s[0:3], 0 offset:8
	buffer_load_dword v48, off, s[0:3], 0 offset:12
	v_mov_b32_e32 v49, 0
	ds_read_b64 v[49:50], v49 offset:184
	s_waitcnt vmcnt(0) lgkmcnt(0)
	v_fma_f64 v[43:44], v[47:48], v[49:50], v[43:44]
.LBB20_18:
	s_or_b32 exec_lo, exec_lo, s8
	v_mov_b32_e32 v47, 0
	ds_read_b64 v[47:48], v47 offset:16
	s_waitcnt lgkmcnt(0)
	v_mul_f64 v[43:44], v[43:44], v[47:48]
	buffer_store_dword v44, off, s[0:3], 0 offset:20
	buffer_store_dword v43, off, s[0:3], 0 offset:16
.LBB20_19:
	s_or_b32 exec_lo, exec_lo, s5
	s_waitcnt_vscnt null, 0x0
	s_barrier
	buffer_gl0_inv
	s_clause 0x1
	buffer_load_dword v43, off, s[0:3], 0 offset:24
	buffer_load_dword v44, off, s[0:3], 0 offset:28
	v_add_nc_u32_e32 v47, -1, v0
	s_mov_b32 s4, exec_lo
	s_waitcnt vmcnt(0)
	ds_write_b64 v46, v[43:44]
	s_waitcnt lgkmcnt(0)
	s_barrier
	buffer_gl0_inv
	v_cmpx_gt_u32_e32 3, v0
	s_cbranch_execz .LBB20_23
; %bb.20:
	v_mov_b32_e32 v43, 0
	v_add_nc_u32_e32 v48, -1, v0
	v_add_nc_u32_e32 v49, 0xb0, v45
	v_mov_b32_e32 v44, 0
	v_mov_b32_e32 v50, v45
	s_mov_b32 s5, 0
.LBB20_21:                              ; =>This Inner Loop Header: Depth=1
	s_clause 0x1
	buffer_load_dword v51, v50, s[0:3], 0 offen
	buffer_load_dword v52, v50, s[0:3], 0 offen offset:4
	ds_read_b64 v[53:54], v49
	v_add_nc_u32_e32 v48, 1, v48
	v_add_nc_u32_e32 v49, 8, v49
	v_add_nc_u32_e32 v50, 8, v50
	v_cmp_lt_u32_e32 vcc_lo, 1, v48
	s_or_b32 s5, vcc_lo, s5
	s_waitcnt vmcnt(0) lgkmcnt(0)
	v_fma_f64 v[43:44], v[51:52], v[53:54], v[43:44]
	s_andn2_b32 exec_lo, exec_lo, s5
	s_cbranch_execnz .LBB20_21
; %bb.22:
	s_or_b32 exec_lo, exec_lo, s5
	v_mov_b32_e32 v48, 0
	ds_read_b64 v[48:49], v48 offset:24
	s_waitcnt lgkmcnt(0)
	v_mul_f64 v[43:44], v[43:44], v[48:49]
	buffer_store_dword v44, off, s[0:3], 0 offset:28
	buffer_store_dword v43, off, s[0:3], 0 offset:24
.LBB20_23:
	s_or_b32 exec_lo, exec_lo, s4
	s_waitcnt_vscnt null, 0x0
	s_barrier
	buffer_gl0_inv
	s_clause 0x1
	buffer_load_dword v43, off, s[0:3], 0 offset:32
	buffer_load_dword v44, off, s[0:3], 0 offset:36
	s_mov_b32 s4, exec_lo
	s_waitcnt vmcnt(0)
	ds_write_b64 v46, v[43:44]
	s_waitcnt lgkmcnt(0)
	s_barrier
	buffer_gl0_inv
	v_cmpx_gt_u32_e32 4, v0
	s_cbranch_execz .LBB20_27
; %bb.24:
	v_mov_b32_e32 v43, 0
	v_add_nc_u32_e32 v48, -1, v0
	v_add_nc_u32_e32 v49, 0xb0, v45
	v_mov_b32_e32 v44, 0
	v_mov_b32_e32 v50, v45
	s_mov_b32 s5, 0
.LBB20_25:                              ; =>This Inner Loop Header: Depth=1
	s_clause 0x1
	buffer_load_dword v51, v50, s[0:3], 0 offen
	buffer_load_dword v52, v50, s[0:3], 0 offen offset:4
	ds_read_b64 v[53:54], v49
	v_add_nc_u32_e32 v48, 1, v48
	v_add_nc_u32_e32 v49, 8, v49
	v_add_nc_u32_e32 v50, 8, v50
	v_cmp_lt_u32_e32 vcc_lo, 2, v48
	s_or_b32 s5, vcc_lo, s5
	s_waitcnt vmcnt(0) lgkmcnt(0)
	v_fma_f64 v[43:44], v[51:52], v[53:54], v[43:44]
	s_andn2_b32 exec_lo, exec_lo, s5
	s_cbranch_execnz .LBB20_25
; %bb.26:
	s_or_b32 exec_lo, exec_lo, s5
	v_mov_b32_e32 v48, 0
	ds_read_b64 v[48:49], v48 offset:32
	s_waitcnt lgkmcnt(0)
	v_mul_f64 v[43:44], v[43:44], v[48:49]
	buffer_store_dword v44, off, s[0:3], 0 offset:36
	buffer_store_dword v43, off, s[0:3], 0 offset:32
.LBB20_27:
	s_or_b32 exec_lo, exec_lo, s4
	s_waitcnt_vscnt null, 0x0
	s_barrier
	buffer_gl0_inv
	s_clause 0x1
	buffer_load_dword v43, off, s[0:3], 0 offset:40
	buffer_load_dword v44, off, s[0:3], 0 offset:44
	;; [unrolled: 45-line block ×17, first 2 shown]
	s_mov_b32 s4, exec_lo
	s_waitcnt vmcnt(0)
	ds_write_b64 v46, v[43:44]
	s_waitcnt lgkmcnt(0)
	s_barrier
	buffer_gl0_inv
	v_cmpx_ne_u32_e32 20, v0
	s_cbranch_execz .LBB20_91
; %bb.88:
	v_mov_b32_e32 v43, 0
	v_mov_b32_e32 v44, 0
	s_mov_b32 s5, 0
.LBB20_89:                              ; =>This Inner Loop Header: Depth=1
	s_clause 0x1
	buffer_load_dword v48, v45, s[0:3], 0 offen
	buffer_load_dword v49, v45, s[0:3], 0 offen offset:4
	ds_read_b64 v[50:51], v46
	v_add_nc_u32_e32 v47, 1, v47
	v_add_nc_u32_e32 v46, 8, v46
	;; [unrolled: 1-line block ×3, first 2 shown]
	v_cmp_lt_u32_e32 vcc_lo, 18, v47
	s_or_b32 s5, vcc_lo, s5
	s_waitcnt vmcnt(0) lgkmcnt(0)
	v_fma_f64 v[43:44], v[48:49], v[50:51], v[43:44]
	s_andn2_b32 exec_lo, exec_lo, s5
	s_cbranch_execnz .LBB20_89
; %bb.90:
	s_or_b32 exec_lo, exec_lo, s5
	v_mov_b32_e32 v45, 0
	ds_read_b64 v[45:46], v45 offset:160
	s_waitcnt lgkmcnt(0)
	v_mul_f64 v[43:44], v[43:44], v[45:46]
	buffer_store_dword v44, off, s[0:3], 0 offset:164
	buffer_store_dword v43, off, s[0:3], 0 offset:160
.LBB20_91:
	s_or_b32 exec_lo, exec_lo, s4
	s_mov_b32 s5, -1
	s_waitcnt_vscnt null, 0x0
	s_barrier
	buffer_gl0_inv
.LBB20_92:
	s_and_b32 vcc_lo, exec_lo, s5
	s_cbranch_vccz .LBB20_94
; %bb.93:
	s_lshl_b64 s[4:5], s[6:7], 2
	v_mov_b32_e32 v43, 0
	s_add_u32 s4, s10, s4
	s_addc_u32 s5, s11, s5
	global_load_dword v43, v43, s[4:5]
	s_waitcnt vmcnt(0)
	v_cmp_ne_u32_e32 vcc_lo, 0, v43
	s_cbranch_vccz .LBB20_95
.LBB20_94:
	s_endpgm
.LBB20_95:
	v_lshl_add_u32 v43, v0, 3, 0xb0
	s_mov_b32 s4, exec_lo
	v_cmpx_eq_u32_e32 20, v0
	s_cbranch_execz .LBB20_97
; %bb.96:
	s_clause 0x1
	buffer_load_dword v44, off, s[0:3], 0 offset:152
	buffer_load_dword v45, off, s[0:3], 0 offset:156
	v_mov_b32_e32 v46, 0
	buffer_store_dword v46, off, s[0:3], 0 offset:152
	buffer_store_dword v46, off, s[0:3], 0 offset:156
	s_waitcnt vmcnt(0)
	ds_write_b64 v43, v[44:45]
.LBB20_97:
	s_or_b32 exec_lo, exec_lo, s4
	s_waitcnt lgkmcnt(0)
	s_waitcnt_vscnt null, 0x0
	s_barrier
	buffer_gl0_inv
	s_clause 0x3
	buffer_load_dword v45, off, s[0:3], 0 offset:160
	buffer_load_dword v46, off, s[0:3], 0 offset:164
	;; [unrolled: 1-line block ×4, first 2 shown]
	v_mov_b32_e32 v44, 0
	s_mov_b32 s4, exec_lo
	ds_read_b64 v[49:50], v44 offset:336
	s_waitcnt vmcnt(2) lgkmcnt(0)
	v_fma_f64 v[45:46], v[45:46], v[49:50], 0
	s_waitcnt vmcnt(0)
	v_add_f64 v[45:46], v[47:48], -v[45:46]
	buffer_store_dword v45, off, s[0:3], 0 offset:152
	buffer_store_dword v46, off, s[0:3], 0 offset:156
	v_cmpx_lt_u32_e32 18, v0
	s_cbranch_execz .LBB20_99
; %bb.98:
	s_clause 0x1
	buffer_load_dword v45, off, s[0:3], 0 offset:144
	buffer_load_dword v46, off, s[0:3], 0 offset:148
	buffer_store_dword v44, off, s[0:3], 0 offset:144
	buffer_store_dword v44, off, s[0:3], 0 offset:148
	s_waitcnt vmcnt(0)
	ds_write_b64 v43, v[45:46]
.LBB20_99:
	s_or_b32 exec_lo, exec_lo, s4
	s_waitcnt lgkmcnt(0)
	s_waitcnt_vscnt null, 0x0
	s_barrier
	buffer_gl0_inv
	s_clause 0x5
	buffer_load_dword v48, off, s[0:3], 0 offset:152
	buffer_load_dword v49, off, s[0:3], 0 offset:156
	buffer_load_dword v50, off, s[0:3], 0 offset:160
	buffer_load_dword v51, off, s[0:3], 0 offset:164
	buffer_load_dword v52, off, s[0:3], 0 offset:144
	buffer_load_dword v53, off, s[0:3], 0 offset:148
	ds_read2_b64 v[44:47], v44 offset0:41 offset1:42
	s_mov_b32 s4, exec_lo
	s_waitcnt vmcnt(4) lgkmcnt(0)
	v_fma_f64 v[44:45], v[48:49], v[44:45], 0
	s_waitcnt vmcnt(2)
	v_fma_f64 v[44:45], v[50:51], v[46:47], v[44:45]
	s_waitcnt vmcnt(0)
	v_add_f64 v[44:45], v[52:53], -v[44:45]
	buffer_store_dword v44, off, s[0:3], 0 offset:144
	buffer_store_dword v45, off, s[0:3], 0 offset:148
	v_cmpx_lt_u32_e32 17, v0
	s_cbranch_execz .LBB20_101
; %bb.100:
	s_clause 0x1
	buffer_load_dword v44, off, s[0:3], 0 offset:136
	buffer_load_dword v45, off, s[0:3], 0 offset:140
	v_mov_b32_e32 v46, 0
	buffer_store_dword v46, off, s[0:3], 0 offset:136
	buffer_store_dword v46, off, s[0:3], 0 offset:140
	s_waitcnt vmcnt(0)
	ds_write_b64 v43, v[44:45]
.LBB20_101:
	s_or_b32 exec_lo, exec_lo, s4
	s_waitcnt lgkmcnt(0)
	s_waitcnt_vscnt null, 0x0
	s_barrier
	buffer_gl0_inv
	s_clause 0x7
	buffer_load_dword v49, off, s[0:3], 0 offset:144
	buffer_load_dword v50, off, s[0:3], 0 offset:148
	;; [unrolled: 1-line block ×8, first 2 shown]
	v_mov_b32_e32 v44, 0
	ds_read_b128 v[45:48], v44 offset:320
	ds_read_b64 v[57:58], v44 offset:336
	s_mov_b32 s4, exec_lo
	s_waitcnt vmcnt(6) lgkmcnt(1)
	v_fma_f64 v[45:46], v[49:50], v[45:46], 0
	s_waitcnt vmcnt(4)
	v_fma_f64 v[45:46], v[51:52], v[47:48], v[45:46]
	s_waitcnt vmcnt(2) lgkmcnt(0)
	v_fma_f64 v[45:46], v[53:54], v[57:58], v[45:46]
	s_waitcnt vmcnt(0)
	v_add_f64 v[45:46], v[55:56], -v[45:46]
	buffer_store_dword v45, off, s[0:3], 0 offset:136
	buffer_store_dword v46, off, s[0:3], 0 offset:140
	v_cmpx_lt_u32_e32 16, v0
	s_cbranch_execz .LBB20_103
; %bb.102:
	s_clause 0x1
	buffer_load_dword v45, off, s[0:3], 0 offset:128
	buffer_load_dword v46, off, s[0:3], 0 offset:132
	buffer_store_dword v44, off, s[0:3], 0 offset:128
	buffer_store_dword v44, off, s[0:3], 0 offset:132
	s_waitcnt vmcnt(0)
	ds_write_b64 v43, v[45:46]
.LBB20_103:
	s_or_b32 exec_lo, exec_lo, s4
	s_waitcnt lgkmcnt(0)
	s_waitcnt_vscnt null, 0x0
	s_barrier
	buffer_gl0_inv
	s_clause 0x9
	buffer_load_dword v53, off, s[0:3], 0 offset:136
	buffer_load_dword v54, off, s[0:3], 0 offset:140
	;; [unrolled: 1-line block ×10, first 2 shown]
	ds_read2_b64 v[45:48], v44 offset0:39 offset1:40
	ds_read2_b64 v[49:52], v44 offset0:41 offset1:42
	s_mov_b32 s4, exec_lo
	s_waitcnt vmcnt(8) lgkmcnt(1)
	v_fma_f64 v[44:45], v[53:54], v[45:46], 0
	s_waitcnt vmcnt(6)
	v_fma_f64 v[44:45], v[55:56], v[47:48], v[44:45]
	s_waitcnt vmcnt(4) lgkmcnt(0)
	v_fma_f64 v[44:45], v[57:58], v[49:50], v[44:45]
	s_waitcnt vmcnt(2)
	v_fma_f64 v[44:45], v[59:60], v[51:52], v[44:45]
	s_waitcnt vmcnt(0)
	v_add_f64 v[44:45], v[61:62], -v[44:45]
	buffer_store_dword v44, off, s[0:3], 0 offset:128
	buffer_store_dword v45, off, s[0:3], 0 offset:132
	v_cmpx_lt_u32_e32 15, v0
	s_cbranch_execz .LBB20_105
; %bb.104:
	s_clause 0x1
	buffer_load_dword v44, off, s[0:3], 0 offset:120
	buffer_load_dword v45, off, s[0:3], 0 offset:124
	v_mov_b32_e32 v46, 0
	buffer_store_dword v46, off, s[0:3], 0 offset:120
	buffer_store_dword v46, off, s[0:3], 0 offset:124
	s_waitcnt vmcnt(0)
	ds_write_b64 v43, v[44:45]
.LBB20_105:
	s_or_b32 exec_lo, exec_lo, s4
	s_waitcnt lgkmcnt(0)
	s_waitcnt_vscnt null, 0x0
	s_barrier
	buffer_gl0_inv
	s_clause 0xb
	buffer_load_dword v53, off, s[0:3], 0 offset:128
	buffer_load_dword v54, off, s[0:3], 0 offset:132
	;; [unrolled: 1-line block ×12, first 2 shown]
	v_mov_b32_e32 v44, 0
	ds_read_b128 v[45:48], v44 offset:304
	ds_read_b128 v[49:52], v44 offset:320
	s_mov_b32 s4, exec_lo
	s_waitcnt vmcnt(10) lgkmcnt(1)
	v_fma_f64 v[45:46], v[53:54], v[45:46], 0
	s_waitcnt vmcnt(8)
	v_fma_f64 v[45:46], v[55:56], v[47:48], v[45:46]
	ds_read_b64 v[47:48], v44 offset:336
	s_waitcnt vmcnt(6) lgkmcnt(1)
	v_fma_f64 v[45:46], v[57:58], v[49:50], v[45:46]
	s_waitcnt vmcnt(4)
	v_fma_f64 v[45:46], v[59:60], v[51:52], v[45:46]
	s_waitcnt vmcnt(2) lgkmcnt(0)
	v_fma_f64 v[45:46], v[61:62], v[47:48], v[45:46]
	s_waitcnt vmcnt(0)
	v_add_f64 v[45:46], v[63:64], -v[45:46]
	buffer_store_dword v45, off, s[0:3], 0 offset:120
	buffer_store_dword v46, off, s[0:3], 0 offset:124
	v_cmpx_lt_u32_e32 14, v0
	s_cbranch_execz .LBB20_107
; %bb.106:
	s_clause 0x1
	buffer_load_dword v45, off, s[0:3], 0 offset:112
	buffer_load_dword v46, off, s[0:3], 0 offset:116
	buffer_store_dword v44, off, s[0:3], 0 offset:112
	buffer_store_dword v44, off, s[0:3], 0 offset:116
	s_waitcnt vmcnt(0)
	ds_write_b64 v43, v[45:46]
.LBB20_107:
	s_or_b32 exec_lo, exec_lo, s4
	s_waitcnt lgkmcnt(0)
	s_waitcnt_vscnt null, 0x0
	s_barrier
	buffer_gl0_inv
	s_clause 0xd
	buffer_load_dword v53, off, s[0:3], 0 offset:120
	buffer_load_dword v54, off, s[0:3], 0 offset:124
	;; [unrolled: 1-line block ×14, first 2 shown]
	ds_read2_b64 v[45:48], v44 offset0:37 offset1:38
	ds_read2_b64 v[49:52], v44 offset0:39 offset1:40
	s_mov_b32 s4, exec_lo
	s_waitcnt vmcnt(12) lgkmcnt(1)
	v_fma_f64 v[45:46], v[53:54], v[45:46], 0
	s_waitcnt vmcnt(10)
	v_fma_f64 v[45:46], v[55:56], v[47:48], v[45:46]
	s_waitcnt vmcnt(8) lgkmcnt(0)
	v_fma_f64 v[45:46], v[57:58], v[49:50], v[45:46]
	s_waitcnt vmcnt(6)
	v_fma_f64 v[48:49], v[59:60], v[51:52], v[45:46]
	ds_read2_b64 v[44:47], v44 offset0:41 offset1:42
	s_waitcnt vmcnt(4) lgkmcnt(0)
	v_fma_f64 v[44:45], v[61:62], v[44:45], v[48:49]
	s_waitcnt vmcnt(2)
	v_fma_f64 v[44:45], v[63:64], v[46:47], v[44:45]
	s_waitcnt vmcnt(0)
	v_add_f64 v[44:45], v[65:66], -v[44:45]
	buffer_store_dword v44, off, s[0:3], 0 offset:112
	buffer_store_dword v45, off, s[0:3], 0 offset:116
	v_cmpx_lt_u32_e32 13, v0
	s_cbranch_execz .LBB20_109
; %bb.108:
	s_clause 0x1
	buffer_load_dword v44, off, s[0:3], 0 offset:104
	buffer_load_dword v45, off, s[0:3], 0 offset:108
	v_mov_b32_e32 v46, 0
	buffer_store_dword v46, off, s[0:3], 0 offset:104
	buffer_store_dword v46, off, s[0:3], 0 offset:108
	s_waitcnt vmcnt(0)
	ds_write_b64 v43, v[44:45]
.LBB20_109:
	s_or_b32 exec_lo, exec_lo, s4
	s_waitcnt lgkmcnt(0)
	s_waitcnt_vscnt null, 0x0
	s_barrier
	buffer_gl0_inv
	s_clause 0xf
	buffer_load_dword v53, off, s[0:3], 0 offset:112
	buffer_load_dword v54, off, s[0:3], 0 offset:116
	;; [unrolled: 1-line block ×16, first 2 shown]
	v_mov_b32_e32 v44, 0
	ds_read_b128 v[45:48], v44 offset:288
	ds_read_b128 v[49:52], v44 offset:304
	s_mov_b32 s4, exec_lo
	s_waitcnt vmcnt(14) lgkmcnt(1)
	v_fma_f64 v[45:46], v[53:54], v[45:46], 0
	s_waitcnt vmcnt(12)
	v_fma_f64 v[45:46], v[55:56], v[47:48], v[45:46]
	s_waitcnt vmcnt(10) lgkmcnt(0)
	v_fma_f64 v[45:46], v[57:58], v[49:50], v[45:46]
	s_waitcnt vmcnt(8)
	v_fma_f64 v[49:50], v[59:60], v[51:52], v[45:46]
	ds_read_b128 v[45:48], v44 offset:320
	ds_read_b64 v[51:52], v44 offset:336
	s_waitcnt vmcnt(6) lgkmcnt(1)
	v_fma_f64 v[45:46], v[61:62], v[45:46], v[49:50]
	s_waitcnt vmcnt(4)
	v_fma_f64 v[45:46], v[63:64], v[47:48], v[45:46]
	s_waitcnt vmcnt(2) lgkmcnt(0)
	v_fma_f64 v[45:46], v[65:66], v[51:52], v[45:46]
	s_waitcnt vmcnt(0)
	v_add_f64 v[45:46], v[67:68], -v[45:46]
	buffer_store_dword v45, off, s[0:3], 0 offset:104
	buffer_store_dword v46, off, s[0:3], 0 offset:108
	v_cmpx_lt_u32_e32 12, v0
	s_cbranch_execz .LBB20_111
; %bb.110:
	s_clause 0x1
	buffer_load_dword v45, off, s[0:3], 0 offset:96
	buffer_load_dword v46, off, s[0:3], 0 offset:100
	buffer_store_dword v44, off, s[0:3], 0 offset:96
	buffer_store_dword v44, off, s[0:3], 0 offset:100
	s_waitcnt vmcnt(0)
	ds_write_b64 v43, v[45:46]
.LBB20_111:
	s_or_b32 exec_lo, exec_lo, s4
	s_waitcnt lgkmcnt(0)
	s_waitcnt_vscnt null, 0x0
	s_barrier
	buffer_gl0_inv
	s_clause 0x11
	buffer_load_dword v53, off, s[0:3], 0 offset:104
	buffer_load_dword v54, off, s[0:3], 0 offset:108
	;; [unrolled: 1-line block ×18, first 2 shown]
	ds_read2_b64 v[45:48], v44 offset0:35 offset1:36
	ds_read2_b64 v[49:52], v44 offset0:37 offset1:38
	s_mov_b32 s4, exec_lo
	s_waitcnt vmcnt(16) lgkmcnt(1)
	v_fma_f64 v[45:46], v[53:54], v[45:46], 0
	s_waitcnt vmcnt(14)
	v_fma_f64 v[45:46], v[55:56], v[47:48], v[45:46]
	s_waitcnt vmcnt(12) lgkmcnt(0)
	v_fma_f64 v[45:46], v[57:58], v[49:50], v[45:46]
	s_waitcnt vmcnt(10)
	v_fma_f64 v[53:54], v[59:60], v[51:52], v[45:46]
	ds_read2_b64 v[45:48], v44 offset0:39 offset1:40
	ds_read2_b64 v[49:52], v44 offset0:41 offset1:42
	s_waitcnt vmcnt(8) lgkmcnt(1)
	v_fma_f64 v[44:45], v[61:62], v[45:46], v[53:54]
	s_waitcnt vmcnt(6)
	v_fma_f64 v[44:45], v[63:64], v[47:48], v[44:45]
	s_waitcnt vmcnt(4) lgkmcnt(0)
	v_fma_f64 v[44:45], v[65:66], v[49:50], v[44:45]
	s_waitcnt vmcnt(2)
	v_fma_f64 v[44:45], v[67:68], v[51:52], v[44:45]
	s_waitcnt vmcnt(0)
	v_add_f64 v[44:45], v[69:70], -v[44:45]
	buffer_store_dword v44, off, s[0:3], 0 offset:96
	buffer_store_dword v45, off, s[0:3], 0 offset:100
	v_cmpx_lt_u32_e32 11, v0
	s_cbranch_execz .LBB20_113
; %bb.112:
	s_clause 0x1
	buffer_load_dword v44, off, s[0:3], 0 offset:88
	buffer_load_dword v45, off, s[0:3], 0 offset:92
	v_mov_b32_e32 v46, 0
	buffer_store_dword v46, off, s[0:3], 0 offset:88
	buffer_store_dword v46, off, s[0:3], 0 offset:92
	s_waitcnt vmcnt(0)
	ds_write_b64 v43, v[44:45]
.LBB20_113:
	s_or_b32 exec_lo, exec_lo, s4
	s_waitcnt lgkmcnt(0)
	s_waitcnt_vscnt null, 0x0
	s_barrier
	buffer_gl0_inv
	s_clause 0x13
	buffer_load_dword v53, off, s[0:3], 0 offset:96
	buffer_load_dword v54, off, s[0:3], 0 offset:100
	;; [unrolled: 1-line block ×20, first 2 shown]
	v_mov_b32_e32 v44, 0
	ds_read_b128 v[45:48], v44 offset:272
	ds_read_b128 v[49:52], v44 offset:288
	s_mov_b32 s4, exec_lo
	s_waitcnt vmcnt(18) lgkmcnt(1)
	v_fma_f64 v[45:46], v[53:54], v[45:46], 0
	s_waitcnt vmcnt(16)
	v_fma_f64 v[45:46], v[55:56], v[47:48], v[45:46]
	s_waitcnt vmcnt(14) lgkmcnt(0)
	v_fma_f64 v[45:46], v[57:58], v[49:50], v[45:46]
	s_waitcnt vmcnt(12)
	v_fma_f64 v[53:54], v[59:60], v[51:52], v[45:46]
	ds_read_b128 v[45:48], v44 offset:304
	ds_read_b128 v[49:52], v44 offset:320
	s_waitcnt vmcnt(10) lgkmcnt(1)
	v_fma_f64 v[45:46], v[61:62], v[45:46], v[53:54]
	s_waitcnt vmcnt(8)
	v_fma_f64 v[45:46], v[63:64], v[47:48], v[45:46]
	ds_read_b64 v[47:48], v44 offset:336
	s_waitcnt vmcnt(6) lgkmcnt(1)
	v_fma_f64 v[45:46], v[65:66], v[49:50], v[45:46]
	s_waitcnt vmcnt(3)
	v_fma_f64 v[45:46], v[67:68], v[51:52], v[45:46]
	s_waitcnt vmcnt(2) lgkmcnt(0)
	v_fma_f64 v[45:46], v[69:70], v[47:48], v[45:46]
	s_waitcnt vmcnt(0)
	v_add_f64 v[45:46], v[71:72], -v[45:46]
	buffer_store_dword v45, off, s[0:3], 0 offset:88
	buffer_store_dword v46, off, s[0:3], 0 offset:92
	v_cmpx_lt_u32_e32 10, v0
	s_cbranch_execz .LBB20_115
; %bb.114:
	s_clause 0x1
	buffer_load_dword v45, off, s[0:3], 0 offset:80
	buffer_load_dword v46, off, s[0:3], 0 offset:84
	buffer_store_dword v44, off, s[0:3], 0 offset:80
	buffer_store_dword v44, off, s[0:3], 0 offset:84
	s_waitcnt vmcnt(0)
	ds_write_b64 v43, v[45:46]
.LBB20_115:
	s_or_b32 exec_lo, exec_lo, s4
	s_waitcnt lgkmcnt(0)
	s_waitcnt_vscnt null, 0x0
	s_barrier
	buffer_gl0_inv
	s_clause 0x15
	buffer_load_dword v53, off, s[0:3], 0 offset:88
	buffer_load_dword v54, off, s[0:3], 0 offset:92
	;; [unrolled: 1-line block ×22, first 2 shown]
	ds_read2_b64 v[45:48], v44 offset0:33 offset1:34
	ds_read2_b64 v[49:52], v44 offset0:35 offset1:36
	s_mov_b32 s4, exec_lo
	s_waitcnt vmcnt(20) lgkmcnt(1)
	v_fma_f64 v[45:46], v[53:54], v[45:46], 0
	s_waitcnt vmcnt(18)
	v_fma_f64 v[45:46], v[55:56], v[47:48], v[45:46]
	s_waitcnt vmcnt(16) lgkmcnt(0)
	v_fma_f64 v[45:46], v[57:58], v[49:50], v[45:46]
	s_waitcnt vmcnt(14)
	v_fma_f64 v[53:54], v[59:60], v[51:52], v[45:46]
	ds_read2_b64 v[45:48], v44 offset0:37 offset1:38
	ds_read2_b64 v[49:52], v44 offset0:39 offset1:40
	s_waitcnt vmcnt(12) lgkmcnt(1)
	v_fma_f64 v[45:46], v[61:62], v[45:46], v[53:54]
	s_waitcnt vmcnt(10)
	v_fma_f64 v[45:46], v[63:64], v[47:48], v[45:46]
	s_waitcnt vmcnt(8) lgkmcnt(0)
	v_fma_f64 v[45:46], v[65:66], v[49:50], v[45:46]
	s_waitcnt vmcnt(4)
	v_fma_f64 v[48:49], v[67:68], v[51:52], v[45:46]
	ds_read2_b64 v[44:47], v44 offset0:41 offset1:42
	s_waitcnt vmcnt(3) lgkmcnt(0)
	v_fma_f64 v[44:45], v[71:72], v[44:45], v[48:49]
	s_waitcnt vmcnt(2)
	v_fma_f64 v[44:45], v[69:70], v[46:47], v[44:45]
	s_waitcnt vmcnt(0)
	v_add_f64 v[44:45], v[73:74], -v[44:45]
	buffer_store_dword v44, off, s[0:3], 0 offset:80
	buffer_store_dword v45, off, s[0:3], 0 offset:84
	v_cmpx_lt_u32_e32 9, v0
	s_cbranch_execz .LBB20_117
; %bb.116:
	s_clause 0x1
	buffer_load_dword v44, off, s[0:3], 0 offset:72
	buffer_load_dword v45, off, s[0:3], 0 offset:76
	v_mov_b32_e32 v46, 0
	buffer_store_dword v46, off, s[0:3], 0 offset:72
	buffer_store_dword v46, off, s[0:3], 0 offset:76
	s_waitcnt vmcnt(0)
	ds_write_b64 v43, v[44:45]
.LBB20_117:
	s_or_b32 exec_lo, exec_lo, s4
	s_waitcnt lgkmcnt(0)
	s_waitcnt_vscnt null, 0x0
	s_barrier
	buffer_gl0_inv
	s_clause 0x17
	buffer_load_dword v53, off, s[0:3], 0 offset:80
	buffer_load_dword v54, off, s[0:3], 0 offset:84
	;; [unrolled: 1-line block ×24, first 2 shown]
	v_mov_b32_e32 v44, 0
	ds_read_b128 v[45:48], v44 offset:256
	ds_read_b128 v[49:52], v44 offset:272
	s_mov_b32 s4, exec_lo
	s_waitcnt vmcnt(22) lgkmcnt(1)
	v_fma_f64 v[45:46], v[53:54], v[45:46], 0
	s_waitcnt vmcnt(20)
	v_fma_f64 v[45:46], v[55:56], v[47:48], v[45:46]
	s_waitcnt vmcnt(18) lgkmcnt(0)
	v_fma_f64 v[45:46], v[57:58], v[49:50], v[45:46]
	s_waitcnt vmcnt(16)
	v_fma_f64 v[53:54], v[59:60], v[51:52], v[45:46]
	ds_read_b128 v[45:48], v44 offset:288
	ds_read_b128 v[49:52], v44 offset:304
	s_waitcnt vmcnt(14) lgkmcnt(1)
	v_fma_f64 v[45:46], v[61:62], v[45:46], v[53:54]
	s_waitcnt vmcnt(12)
	v_fma_f64 v[45:46], v[63:64], v[47:48], v[45:46]
	s_waitcnt vmcnt(10) lgkmcnt(0)
	v_fma_f64 v[45:46], v[65:66], v[49:50], v[45:46]
	s_waitcnt vmcnt(5)
	v_fma_f64 v[49:50], v[67:68], v[51:52], v[45:46]
	ds_read_b128 v[45:48], v44 offset:320
	ds_read_b64 v[51:52], v44 offset:336
	s_waitcnt vmcnt(4) lgkmcnt(1)
	v_fma_f64 v[45:46], v[73:74], v[45:46], v[49:50]
	s_waitcnt vmcnt(3)
	v_fma_f64 v[45:46], v[71:72], v[47:48], v[45:46]
	s_waitcnt vmcnt(2) lgkmcnt(0)
	v_fma_f64 v[45:46], v[69:70], v[51:52], v[45:46]
	s_waitcnt vmcnt(0)
	v_add_f64 v[45:46], v[75:76], -v[45:46]
	buffer_store_dword v46, off, s[0:3], 0 offset:76
	buffer_store_dword v45, off, s[0:3], 0 offset:72
	v_cmpx_lt_u32_e32 8, v0
	s_cbranch_execz .LBB20_119
; %bb.118:
	s_clause 0x1
	buffer_load_dword v45, off, s[0:3], 0 offset:64
	buffer_load_dword v46, off, s[0:3], 0 offset:68
	buffer_store_dword v44, off, s[0:3], 0 offset:64
	buffer_store_dword v44, off, s[0:3], 0 offset:68
	s_waitcnt vmcnt(0)
	ds_write_b64 v43, v[45:46]
.LBB20_119:
	s_or_b32 exec_lo, exec_lo, s4
	s_waitcnt lgkmcnt(0)
	s_waitcnt_vscnt null, 0x0
	s_barrier
	buffer_gl0_inv
	s_clause 0x19
	buffer_load_dword v49, off, s[0:3], 0 offset:72
	buffer_load_dword v50, off, s[0:3], 0 offset:76
	;; [unrolled: 1-line block ×26, first 2 shown]
	ds_read2_b64 v[45:48], v44 offset0:31 offset1:32
	s_mov_b32 s4, exec_lo
	s_waitcnt vmcnt(24) lgkmcnt(0)
	v_fma_f64 v[45:46], v[49:50], v[45:46], 0
	s_waitcnt vmcnt(22)
	v_fma_f64 v[49:50], v[51:52], v[47:48], v[45:46]
	ds_read2_b64 v[45:48], v44 offset0:33 offset1:34
	s_waitcnt vmcnt(20) lgkmcnt(0)
	v_fma_f64 v[45:46], v[53:54], v[45:46], v[49:50]
	s_waitcnt vmcnt(18)
	v_fma_f64 v[49:50], v[55:56], v[47:48], v[45:46]
	ds_read2_b64 v[45:48], v44 offset0:35 offset1:36
	;; [unrolled: 5-line block ×5, first 2 shown]
	s_waitcnt vmcnt(4) lgkmcnt(0)
	v_fma_f64 v[44:45], v[69:70], v[44:45], v[48:49]
	s_waitcnt vmcnt(2)
	v_fma_f64 v[44:45], v[71:72], v[46:47], v[44:45]
	s_waitcnt vmcnt(0)
	v_add_f64 v[44:45], v[73:74], -v[44:45]
	buffer_store_dword v45, off, s[0:3], 0 offset:68
	buffer_store_dword v44, off, s[0:3], 0 offset:64
	v_cmpx_lt_u32_e32 7, v0
	s_cbranch_execz .LBB20_121
; %bb.120:
	s_clause 0x1
	buffer_load_dword v44, off, s[0:3], 0 offset:56
	buffer_load_dword v45, off, s[0:3], 0 offset:60
	v_mov_b32_e32 v46, 0
	buffer_store_dword v46, off, s[0:3], 0 offset:56
	buffer_store_dword v46, off, s[0:3], 0 offset:60
	s_waitcnt vmcnt(0)
	ds_write_b64 v43, v[44:45]
.LBB20_121:
	s_or_b32 exec_lo, exec_lo, s4
	s_waitcnt lgkmcnt(0)
	s_waitcnt_vscnt null, 0x0
	s_barrier
	buffer_gl0_inv
	s_clause 0x1b
	buffer_load_dword v49, off, s[0:3], 0 offset:64
	buffer_load_dword v50, off, s[0:3], 0 offset:68
	;; [unrolled: 1-line block ×28, first 2 shown]
	v_mov_b32_e32 v44, 0
	s_mov_b32 s4, exec_lo
	ds_read_b128 v[45:48], v44 offset:240
	s_waitcnt vmcnt(26) lgkmcnt(0)
	v_fma_f64 v[45:46], v[49:50], v[45:46], 0
	s_waitcnt vmcnt(24)
	v_fma_f64 v[49:50], v[51:52], v[47:48], v[45:46]
	ds_read_b128 v[45:48], v44 offset:256
	s_waitcnt vmcnt(22) lgkmcnt(0)
	v_fma_f64 v[45:46], v[53:54], v[45:46], v[49:50]
	s_waitcnt vmcnt(20)
	v_fma_f64 v[49:50], v[55:56], v[47:48], v[45:46]
	ds_read_b128 v[45:48], v44 offset:272
	s_waitcnt vmcnt(18) lgkmcnt(0)
	v_fma_f64 v[45:46], v[57:58], v[45:46], v[49:50]
	s_waitcnt vmcnt(16)
	v_fma_f64 v[49:50], v[59:60], v[47:48], v[45:46]
	ds_read_b128 v[45:48], v44 offset:288
	s_waitcnt vmcnt(14) lgkmcnt(0)
	v_fma_f64 v[45:46], v[61:62], v[45:46], v[49:50]
	s_waitcnt vmcnt(12)
	v_fma_f64 v[49:50], v[63:64], v[47:48], v[45:46]
	ds_read_b128 v[45:48], v44 offset:304
	s_waitcnt vmcnt(10) lgkmcnt(0)
	v_fma_f64 v[45:46], v[65:66], v[45:46], v[49:50]
	s_waitcnt vmcnt(8)
	v_fma_f64 v[49:50], v[67:68], v[47:48], v[45:46]
	ds_read_b128 v[45:48], v44 offset:320
	s_waitcnt vmcnt(6) lgkmcnt(0)
	v_fma_f64 v[45:46], v[69:70], v[45:46], v[49:50]
	s_waitcnt vmcnt(4)
	v_fma_f64 v[45:46], v[71:72], v[47:48], v[45:46]
	ds_read_b64 v[47:48], v44 offset:336
	s_waitcnt vmcnt(2) lgkmcnt(0)
	v_fma_f64 v[45:46], v[73:74], v[47:48], v[45:46]
	s_waitcnt vmcnt(0)
	v_add_f64 v[45:46], v[75:76], -v[45:46]
	buffer_store_dword v46, off, s[0:3], 0 offset:60
	buffer_store_dword v45, off, s[0:3], 0 offset:56
	v_cmpx_lt_u32_e32 6, v0
	s_cbranch_execz .LBB20_123
; %bb.122:
	s_clause 0x1
	buffer_load_dword v45, off, s[0:3], 0 offset:48
	buffer_load_dword v46, off, s[0:3], 0 offset:52
	buffer_store_dword v44, off, s[0:3], 0 offset:48
	buffer_store_dword v44, off, s[0:3], 0 offset:52
	s_waitcnt vmcnt(0)
	ds_write_b64 v43, v[45:46]
.LBB20_123:
	s_or_b32 exec_lo, exec_lo, s4
	s_waitcnt lgkmcnt(0)
	s_waitcnt_vscnt null, 0x0
	s_barrier
	buffer_gl0_inv
	s_clause 0x1b
	buffer_load_dword v49, off, s[0:3], 0 offset:56
	buffer_load_dword v50, off, s[0:3], 0 offset:60
	;; [unrolled: 1-line block ×28, first 2 shown]
	ds_read2_b64 v[45:48], v44 offset0:29 offset1:30
	s_clause 0x1
	buffer_load_dword v77, off, s[0:3], 0 offset:48
	buffer_load_dword v78, off, s[0:3], 0 offset:52
	s_mov_b32 s4, exec_lo
	s_waitcnt vmcnt(28) lgkmcnt(0)
	v_fma_f64 v[45:46], v[49:50], v[45:46], 0
	s_waitcnt vmcnt(26)
	v_fma_f64 v[49:50], v[51:52], v[47:48], v[45:46]
	ds_read2_b64 v[45:48], v44 offset0:31 offset1:32
	s_waitcnt vmcnt(24) lgkmcnt(0)
	v_fma_f64 v[45:46], v[53:54], v[45:46], v[49:50]
	s_waitcnt vmcnt(22)
	v_fma_f64 v[49:50], v[55:56], v[47:48], v[45:46]
	ds_read2_b64 v[45:48], v44 offset0:33 offset1:34
	;; [unrolled: 5-line block ×6, first 2 shown]
	s_waitcnt vmcnt(4) lgkmcnt(0)
	v_fma_f64 v[44:45], v[73:74], v[44:45], v[48:49]
	s_waitcnt vmcnt(2)
	v_fma_f64 v[44:45], v[75:76], v[46:47], v[44:45]
	s_waitcnt vmcnt(0)
	v_add_f64 v[44:45], v[77:78], -v[44:45]
	buffer_store_dword v45, off, s[0:3], 0 offset:52
	buffer_store_dword v44, off, s[0:3], 0 offset:48
	v_cmpx_lt_u32_e32 5, v0
	s_cbranch_execz .LBB20_125
; %bb.124:
	s_clause 0x1
	buffer_load_dword v44, off, s[0:3], 0 offset:40
	buffer_load_dword v45, off, s[0:3], 0 offset:44
	v_mov_b32_e32 v46, 0
	buffer_store_dword v46, off, s[0:3], 0 offset:40
	buffer_store_dword v46, off, s[0:3], 0 offset:44
	s_waitcnt vmcnt(0)
	ds_write_b64 v43, v[44:45]
.LBB20_125:
	s_or_b32 exec_lo, exec_lo, s4
	s_waitcnt lgkmcnt(0)
	s_waitcnt_vscnt null, 0x0
	s_barrier
	buffer_gl0_inv
	s_clause 0x1c
	buffer_load_dword v53, off, s[0:3], 0 offset:48
	buffer_load_dword v54, off, s[0:3], 0 offset:52
	;; [unrolled: 1-line block ×29, first 2 shown]
	v_mov_b32_e32 v44, 0
	buffer_load_dword v78, off, s[0:3], 0 offset:164
	s_mov_b32 s4, exec_lo
	ds_read_b128 v[45:48], v44 offset:224
	ds_read_b128 v[49:52], v44 offset:240
	s_waitcnt vmcnt(28) lgkmcnt(1)
	v_fma_f64 v[45:46], v[53:54], v[45:46], 0
	s_clause 0x1
	buffer_load_dword v53, off, s[0:3], 0 offset:40
	buffer_load_dword v54, off, s[0:3], 0 offset:44
	s_waitcnt vmcnt(28)
	v_fma_f64 v[45:46], v[55:56], v[47:48], v[45:46]
	s_waitcnt vmcnt(26) lgkmcnt(0)
	v_fma_f64 v[45:46], v[57:58], v[49:50], v[45:46]
	s_waitcnt vmcnt(24)
	v_fma_f64 v[55:56], v[59:60], v[51:52], v[45:46]
	ds_read_b128 v[45:48], v44 offset:256
	ds_read_b128 v[49:52], v44 offset:272
	s_waitcnt vmcnt(22) lgkmcnt(1)
	v_fma_f64 v[45:46], v[61:62], v[45:46], v[55:56]
	s_waitcnt vmcnt(20)
	v_fma_f64 v[45:46], v[63:64], v[47:48], v[45:46]
	s_waitcnt vmcnt(18) lgkmcnt(0)
	v_fma_f64 v[45:46], v[65:66], v[49:50], v[45:46]
	s_waitcnt vmcnt(13)
	v_fma_f64 v[55:56], v[67:68], v[51:52], v[45:46]
	ds_read_b128 v[45:48], v44 offset:288
	ds_read_b128 v[49:52], v44 offset:304
	s_waitcnt vmcnt(12) lgkmcnt(1)
	v_fma_f64 v[45:46], v[73:74], v[45:46], v[55:56]
	s_waitcnt vmcnt(11)
	v_fma_f64 v[45:46], v[71:72], v[47:48], v[45:46]
	s_waitcnt vmcnt(10) lgkmcnt(0)
	v_fma_f64 v[45:46], v[69:70], v[49:50], v[45:46]
	s_waitcnt vmcnt(5)
	v_fma_f64 v[49:50], v[75:76], v[51:52], v[45:46]
	ds_read_b128 v[45:48], v44 offset:320
	ds_read_b64 v[51:52], v44 offset:336
	s_waitcnt vmcnt(4) lgkmcnt(1)
	v_fma_f64 v[45:46], v[81:82], v[45:46], v[49:50]
	s_waitcnt vmcnt(3)
	v_fma_f64 v[45:46], v[79:80], v[47:48], v[45:46]
	s_waitcnt vmcnt(2) lgkmcnt(0)
	v_fma_f64 v[45:46], v[77:78], v[51:52], v[45:46]
	s_waitcnt vmcnt(0)
	v_add_f64 v[45:46], v[53:54], -v[45:46]
	buffer_store_dword v46, off, s[0:3], 0 offset:44
	buffer_store_dword v45, off, s[0:3], 0 offset:40
	v_cmpx_lt_u32_e32 4, v0
	s_cbranch_execz .LBB20_127
; %bb.126:
	s_clause 0x1
	buffer_load_dword v45, off, s[0:3], 0 offset:32
	buffer_load_dword v46, off, s[0:3], 0 offset:36
	buffer_store_dword v44, off, s[0:3], 0 offset:32
	buffer_store_dword v44, off, s[0:3], 0 offset:36
	s_waitcnt vmcnt(0)
	ds_write_b64 v43, v[45:46]
.LBB20_127:
	s_or_b32 exec_lo, exec_lo, s4
	s_waitcnt lgkmcnt(0)
	s_waitcnt_vscnt null, 0x0
	s_barrier
	buffer_gl0_inv
	s_clause 0x1c
	buffer_load_dword v53, off, s[0:3], 0 offset:40
	buffer_load_dword v54, off, s[0:3], 0 offset:44
	;; [unrolled: 1-line block ×29, first 2 shown]
	ds_read2_b64 v[45:48], v44 offset0:27 offset1:28
	ds_read2_b64 v[49:52], v44 offset0:29 offset1:30
	buffer_load_dword v78, off, s[0:3], 0 offset:156
	s_mov_b32 s4, exec_lo
	s_waitcnt vmcnt(28) lgkmcnt(1)
	v_fma_f64 v[45:46], v[53:54], v[45:46], 0
	s_clause 0x1
	buffer_load_dword v54, off, s[0:3], 0 offset:164
	buffer_load_dword v53, off, s[0:3], 0 offset:160
	s_waitcnt vmcnt(28)
	v_fma_f64 v[45:46], v[55:56], v[47:48], v[45:46]
	s_clause 0x1
	buffer_load_dword v55, off, s[0:3], 0 offset:32
	buffer_load_dword v56, off, s[0:3], 0 offset:36
	s_waitcnt vmcnt(28) lgkmcnt(0)
	v_fma_f64 v[45:46], v[57:58], v[49:50], v[45:46]
	s_waitcnt vmcnt(26)
	v_fma_f64 v[57:58], v[59:60], v[51:52], v[45:46]
	ds_read2_b64 v[45:48], v44 offset0:31 offset1:32
	ds_read2_b64 v[49:52], v44 offset0:33 offset1:34
	s_waitcnt vmcnt(24) lgkmcnt(1)
	v_fma_f64 v[45:46], v[61:62], v[45:46], v[57:58]
	s_waitcnt vmcnt(22)
	v_fma_f64 v[45:46], v[63:64], v[47:48], v[45:46]
	s_waitcnt vmcnt(20) lgkmcnt(0)
	v_fma_f64 v[45:46], v[65:66], v[49:50], v[45:46]
	s_waitcnt vmcnt(15)
	v_fma_f64 v[57:58], v[67:68], v[51:52], v[45:46]
	ds_read2_b64 v[45:48], v44 offset0:35 offset1:36
	ds_read2_b64 v[49:52], v44 offset0:37 offset1:38
	s_waitcnt vmcnt(14) lgkmcnt(1)
	v_fma_f64 v[45:46], v[73:74], v[45:46], v[57:58]
	s_waitcnt vmcnt(13)
	v_fma_f64 v[45:46], v[71:72], v[47:48], v[45:46]
	;; [unrolled: 10-line block ×3, first 2 shown]
	s_waitcnt vmcnt(4) lgkmcnt(0)
	v_fma_f64 v[44:45], v[77:78], v[49:50], v[44:45]
	s_waitcnt vmcnt(2)
	v_fma_f64 v[44:45], v[53:54], v[51:52], v[44:45]
	s_waitcnt vmcnt(0)
	v_add_f64 v[44:45], v[55:56], -v[44:45]
	buffer_store_dword v45, off, s[0:3], 0 offset:36
	buffer_store_dword v44, off, s[0:3], 0 offset:32
	v_cmpx_lt_u32_e32 3, v0
	s_cbranch_execz .LBB20_129
; %bb.128:
	s_clause 0x1
	buffer_load_dword v44, off, s[0:3], 0 offset:24
	buffer_load_dword v45, off, s[0:3], 0 offset:28
	v_mov_b32_e32 v46, 0
	buffer_store_dword v46, off, s[0:3], 0 offset:24
	buffer_store_dword v46, off, s[0:3], 0 offset:28
	s_waitcnt vmcnt(0)
	ds_write_b64 v43, v[44:45]
.LBB20_129:
	s_or_b32 exec_lo, exec_lo, s4
	s_waitcnt lgkmcnt(0)
	s_waitcnt_vscnt null, 0x0
	s_barrier
	buffer_gl0_inv
	s_clause 0x1c
	buffer_load_dword v53, off, s[0:3], 0 offset:32
	buffer_load_dword v54, off, s[0:3], 0 offset:36
	;; [unrolled: 1-line block ×29, first 2 shown]
	v_mov_b32_e32 v44, 0
	buffer_load_dword v78, off, s[0:3], 0 offset:148
	s_mov_b32 s4, exec_lo
	ds_read_b128 v[45:48], v44 offset:208
	ds_read_b128 v[49:52], v44 offset:224
	s_waitcnt vmcnt(28) lgkmcnt(1)
	v_fma_f64 v[45:46], v[53:54], v[45:46], 0
	s_clause 0x3
	buffer_load_dword v54, off, s[0:3], 0 offset:156
	buffer_load_dword v83, off, s[0:3], 0 offset:160
	;; [unrolled: 1-line block ×4, first 2 shown]
	s_waitcnt vmcnt(30)
	v_fma_f64 v[45:46], v[55:56], v[47:48], v[45:46]
	s_clause 0x1
	buffer_load_dword v55, off, s[0:3], 0 offset:24
	buffer_load_dword v56, off, s[0:3], 0 offset:28
	s_waitcnt vmcnt(30) lgkmcnt(0)
	v_fma_f64 v[45:46], v[57:58], v[49:50], v[45:46]
	s_waitcnt vmcnt(28)
	v_fma_f64 v[57:58], v[59:60], v[51:52], v[45:46]
	ds_read_b128 v[45:48], v44 offset:240
	ds_read_b128 v[49:52], v44 offset:256
	s_waitcnt vmcnt(26) lgkmcnt(1)
	v_fma_f64 v[45:46], v[61:62], v[45:46], v[57:58]
	s_waitcnt vmcnt(24)
	v_fma_f64 v[45:46], v[63:64], v[47:48], v[45:46]
	s_waitcnt vmcnt(22) lgkmcnt(0)
	v_fma_f64 v[45:46], v[65:66], v[49:50], v[45:46]
	s_waitcnt vmcnt(17)
	v_fma_f64 v[57:58], v[67:68], v[51:52], v[45:46]
	ds_read_b128 v[45:48], v44 offset:272
	ds_read_b128 v[49:52], v44 offset:288
	s_waitcnt vmcnt(16) lgkmcnt(1)
	v_fma_f64 v[45:46], v[73:74], v[45:46], v[57:58]
	s_waitcnt vmcnt(15)
	v_fma_f64 v[45:46], v[71:72], v[47:48], v[45:46]
	;; [unrolled: 10-line block ×3, first 2 shown]
	ds_read_b64 v[47:48], v44 offset:336
	s_waitcnt vmcnt(6) lgkmcnt(1)
	v_fma_f64 v[45:46], v[77:78], v[49:50], v[45:46]
	s_waitcnt vmcnt(3)
	v_fma_f64 v[45:46], v[53:54], v[51:52], v[45:46]
	s_waitcnt vmcnt(2) lgkmcnt(0)
	v_fma_f64 v[45:46], v[83:84], v[47:48], v[45:46]
	s_waitcnt vmcnt(0)
	v_add_f64 v[45:46], v[55:56], -v[45:46]
	buffer_store_dword v46, off, s[0:3], 0 offset:28
	buffer_store_dword v45, off, s[0:3], 0 offset:24
	v_cmpx_lt_u32_e32 2, v0
	s_cbranch_execz .LBB20_131
; %bb.130:
	s_clause 0x1
	buffer_load_dword v45, off, s[0:3], 0 offset:16
	buffer_load_dword v46, off, s[0:3], 0 offset:20
	buffer_store_dword v44, off, s[0:3], 0 offset:16
	buffer_store_dword v44, off, s[0:3], 0 offset:20
	s_waitcnt vmcnt(0)
	ds_write_b64 v43, v[45:46]
.LBB20_131:
	s_or_b32 exec_lo, exec_lo, s4
	s_waitcnt lgkmcnt(0)
	s_waitcnt_vscnt null, 0x0
	s_barrier
	buffer_gl0_inv
	s_clause 0x1c
	buffer_load_dword v53, off, s[0:3], 0 offset:24
	buffer_load_dword v54, off, s[0:3], 0 offset:28
	;; [unrolled: 1-line block ×29, first 2 shown]
	ds_read2_b64 v[45:48], v44 offset0:25 offset1:26
	ds_read2_b64 v[49:52], v44 offset0:27 offset1:28
	buffer_load_dword v78, off, s[0:3], 0 offset:140
	s_mov_b32 s4, exec_lo
	s_waitcnt vmcnt(28) lgkmcnt(1)
	v_fma_f64 v[45:46], v[53:54], v[45:46], 0
	s_clause 0x5
	buffer_load_dword v54, off, s[0:3], 0 offset:148
	buffer_load_dword v83, off, s[0:3], 0 offset:160
	;; [unrolled: 1-line block ×6, first 2 shown]
	s_waitcnt vmcnt(32)
	v_fma_f64 v[45:46], v[55:56], v[47:48], v[45:46]
	s_waitcnt vmcnt(30) lgkmcnt(0)
	v_fma_f64 v[45:46], v[57:58], v[49:50], v[45:46]
	s_waitcnt vmcnt(28)
	v_fma_f64 v[55:56], v[59:60], v[51:52], v[45:46]
	ds_read2_b64 v[45:48], v44 offset0:29 offset1:30
	s_clause 0x1
	buffer_load_dword v57, off, s[0:3], 0 offset:16
	buffer_load_dword v58, off, s[0:3], 0 offset:20
	ds_read2_b64 v[49:52], v44 offset0:31 offset1:32
	s_waitcnt vmcnt(28) lgkmcnt(1)
	v_fma_f64 v[45:46], v[61:62], v[45:46], v[55:56]
	s_waitcnt vmcnt(26)
	v_fma_f64 v[45:46], v[63:64], v[47:48], v[45:46]
	s_waitcnt vmcnt(24) lgkmcnt(0)
	v_fma_f64 v[45:46], v[65:66], v[49:50], v[45:46]
	s_waitcnt vmcnt(19)
	v_fma_f64 v[55:56], v[67:68], v[51:52], v[45:46]
	ds_read2_b64 v[45:48], v44 offset0:33 offset1:34
	ds_read2_b64 v[49:52], v44 offset0:35 offset1:36
	s_waitcnt vmcnt(18) lgkmcnt(1)
	v_fma_f64 v[45:46], v[73:74], v[45:46], v[55:56]
	s_waitcnt vmcnt(17)
	v_fma_f64 v[45:46], v[71:72], v[47:48], v[45:46]
	s_waitcnt vmcnt(16) lgkmcnt(0)
	v_fma_f64 v[45:46], v[69:70], v[49:50], v[45:46]
	s_waitcnt vmcnt(11)
	v_fma_f64 v[55:56], v[75:76], v[51:52], v[45:46]
	ds_read2_b64 v[45:48], v44 offset0:37 offset1:38
	;; [unrolled: 10-line block ×3, first 2 shown]
	s_waitcnt vmcnt(3) lgkmcnt(0)
	v_fma_f64 v[44:45], v[85:86], v[44:45], v[48:49]
	s_waitcnt vmcnt(2)
	v_fma_f64 v[44:45], v[83:84], v[46:47], v[44:45]
	s_waitcnt vmcnt(0)
	v_add_f64 v[44:45], v[57:58], -v[44:45]
	buffer_store_dword v45, off, s[0:3], 0 offset:20
	buffer_store_dword v44, off, s[0:3], 0 offset:16
	v_cmpx_lt_u32_e32 1, v0
	s_cbranch_execz .LBB20_133
; %bb.132:
	s_clause 0x1
	buffer_load_dword v44, off, s[0:3], 0 offset:8
	buffer_load_dword v45, off, s[0:3], 0 offset:12
	v_mov_b32_e32 v46, 0
	buffer_store_dword v46, off, s[0:3], 0 offset:8
	buffer_store_dword v46, off, s[0:3], 0 offset:12
	s_waitcnt vmcnt(0)
	ds_write_b64 v43, v[44:45]
.LBB20_133:
	s_or_b32 exec_lo, exec_lo, s4
	s_waitcnt lgkmcnt(0)
	s_waitcnt_vscnt null, 0x0
	s_barrier
	buffer_gl0_inv
	s_clause 0x1c
	buffer_load_dword v53, off, s[0:3], 0 offset:16
	buffer_load_dword v54, off, s[0:3], 0 offset:20
	;; [unrolled: 1-line block ×29, first 2 shown]
	v_mov_b32_e32 v44, 0
	buffer_load_dword v78, off, s[0:3], 0 offset:132
	s_mov_b32 s4, exec_lo
	ds_read_b128 v[45:48], v44 offset:192
	ds_read_b128 v[49:52], v44 offset:208
	s_waitcnt vmcnt(28) lgkmcnt(1)
	v_fma_f64 v[45:46], v[53:54], v[45:46], 0
	s_clause 0x7
	buffer_load_dword v54, off, s[0:3], 0 offset:140
	buffer_load_dword v83, off, s[0:3], 0 offset:160
	;; [unrolled: 1-line block ×8, first 2 shown]
	s_waitcnt vmcnt(34)
	v_fma_f64 v[45:46], v[55:56], v[47:48], v[45:46]
	s_waitcnt vmcnt(32) lgkmcnt(0)
	v_fma_f64 v[45:46], v[57:58], v[49:50], v[45:46]
	s_waitcnt vmcnt(30)
	v_fma_f64 v[55:56], v[59:60], v[51:52], v[45:46]
	ds_read_b128 v[45:48], v44 offset:224
	ds_read_b128 v[49:52], v44 offset:240
	s_waitcnt vmcnt(28) lgkmcnt(1)
	v_fma_f64 v[45:46], v[61:62], v[45:46], v[55:56]
	s_clause 0x1
	buffer_load_dword v55, off, s[0:3], 0 offset:8
	buffer_load_dword v56, off, s[0:3], 0 offset:12
	s_waitcnt vmcnt(28)
	v_fma_f64 v[45:46], v[63:64], v[47:48], v[45:46]
	s_waitcnt vmcnt(26) lgkmcnt(0)
	v_fma_f64 v[45:46], v[65:66], v[49:50], v[45:46]
	s_waitcnt vmcnt(21)
	v_fma_f64 v[57:58], v[67:68], v[51:52], v[45:46]
	ds_read_b128 v[45:48], v44 offset:256
	ds_read_b128 v[49:52], v44 offset:272
	s_waitcnt vmcnt(20) lgkmcnt(1)
	v_fma_f64 v[45:46], v[73:74], v[45:46], v[57:58]
	s_waitcnt vmcnt(19)
	v_fma_f64 v[45:46], v[71:72], v[47:48], v[45:46]
	s_waitcnt vmcnt(18) lgkmcnt(0)
	v_fma_f64 v[45:46], v[69:70], v[49:50], v[45:46]
	s_waitcnt vmcnt(13)
	v_fma_f64 v[57:58], v[75:76], v[51:52], v[45:46]
	ds_read_b128 v[45:48], v44 offset:288
	ds_read_b128 v[49:52], v44 offset:304
	s_waitcnt vmcnt(12) lgkmcnt(1)
	v_fma_f64 v[45:46], v[81:82], v[45:46], v[57:58]
	s_waitcnt vmcnt(11)
	v_fma_f64 v[45:46], v[79:80], v[47:48], v[45:46]
	s_waitcnt vmcnt(10) lgkmcnt(0)
	v_fma_f64 v[45:46], v[77:78], v[49:50], v[45:46]
	s_waitcnt vmcnt(5)
	v_fma_f64 v[49:50], v[53:54], v[51:52], v[45:46]
	ds_read_b128 v[45:48], v44 offset:320
	ds_read_b64 v[51:52], v44 offset:336
	s_waitcnt vmcnt(4) lgkmcnt(1)
	v_fma_f64 v[45:46], v[87:88], v[45:46], v[49:50]
	s_waitcnt vmcnt(3)
	v_fma_f64 v[45:46], v[85:86], v[47:48], v[45:46]
	s_waitcnt vmcnt(2) lgkmcnt(0)
	v_fma_f64 v[45:46], v[83:84], v[51:52], v[45:46]
	s_waitcnt vmcnt(0)
	v_add_f64 v[45:46], v[55:56], -v[45:46]
	buffer_store_dword v46, off, s[0:3], 0 offset:12
	buffer_store_dword v45, off, s[0:3], 0 offset:8
	v_cmpx_ne_u32_e32 0, v0
	s_cbranch_execz .LBB20_135
; %bb.134:
	s_clause 0x1
	buffer_load_dword v45, off, s[0:3], 0
	buffer_load_dword v46, off, s[0:3], 0 offset:4
	buffer_store_dword v44, off, s[0:3], 0
	buffer_store_dword v44, off, s[0:3], 0 offset:4
	s_waitcnt vmcnt(0)
	ds_write_b64 v43, v[45:46]
.LBB20_135:
	s_or_b32 exec_lo, exec_lo, s4
	s_waitcnt lgkmcnt(0)
	s_waitcnt_vscnt null, 0x0
	s_barrier
	buffer_gl0_inv
	s_clause 0x1c
	buffer_load_dword v53, off, s[0:3], 0 offset:8
	buffer_load_dword v54, off, s[0:3], 0 offset:12
	;; [unrolled: 1-line block ×29, first 2 shown]
	ds_read2_b64 v[45:48], v44 offset0:23 offset1:24
	ds_read2_b64 v[49:52], v44 offset0:25 offset1:26
	buffer_load_dword v78, off, s[0:3], 0 offset:124
	s_and_b32 vcc_lo, exec_lo, s22
	s_waitcnt vmcnt(28) lgkmcnt(1)
	v_fma_f64 v[53:54], v[53:54], v[45:46], 0
	s_clause 0x6
	buffer_load_dword v84, off, s[0:3], 0 offset:132
	buffer_load_dword v45, off, s[0:3], 0 offset:152
	;; [unrolled: 1-line block ×7, first 2 shown]
	s_waitcnt vmcnt(33)
	v_fma_f64 v[46:47], v[55:56], v[47:48], v[53:54]
	s_waitcnt vmcnt(31) lgkmcnt(0)
	v_fma_f64 v[46:47], v[57:58], v[49:50], v[46:47]
	s_waitcnt vmcnt(29)
	v_fma_f64 v[55:56], v[59:60], v[51:52], v[46:47]
	ds_read2_b64 v[47:50], v44 offset0:27 offset1:28
	ds_read2_b64 v[51:54], v44 offset0:29 offset1:30
	buffer_load_dword v46, off, s[0:3], 0 offset:156
	s_waitcnt vmcnt(28) lgkmcnt(1)
	v_fma_f64 v[47:48], v[61:62], v[47:48], v[55:56]
	s_clause 0x3
	buffer_load_dword v56, off, s[0:3], 0 offset:164
	buffer_load_dword v55, off, s[0:3], 0 offset:160
	buffer_load_dword v57, off, s[0:3], 0
	buffer_load_dword v58, off, s[0:3], 0 offset:4
	s_waitcnt vmcnt(30)
	v_fma_f64 v[47:48], v[63:64], v[49:50], v[47:48]
	s_waitcnt vmcnt(28) lgkmcnt(0)
	v_fma_f64 v[47:48], v[65:66], v[51:52], v[47:48]
	s_waitcnt vmcnt(23)
	v_fma_f64 v[59:60], v[67:68], v[53:54], v[47:48]
	ds_read2_b64 v[47:50], v44 offset0:31 offset1:32
	ds_read2_b64 v[51:54], v44 offset0:33 offset1:34
	s_waitcnt vmcnt(22) lgkmcnt(1)
	v_fma_f64 v[47:48], v[73:74], v[47:48], v[59:60]
	s_waitcnt vmcnt(21)
	v_fma_f64 v[47:48], v[71:72], v[49:50], v[47:48]
	s_waitcnt vmcnt(20) lgkmcnt(0)
	v_fma_f64 v[47:48], v[69:70], v[51:52], v[47:48]
	s_waitcnt vmcnt(15)
	v_fma_f64 v[59:60], v[75:76], v[53:54], v[47:48]
	ds_read2_b64 v[47:50], v44 offset0:35 offset1:36
	ds_read2_b64 v[51:54], v44 offset0:37 offset1:38
	s_waitcnt vmcnt(14) lgkmcnt(1)
	v_fma_f64 v[47:48], v[81:82], v[47:48], v[59:60]
	;; [unrolled: 10-line block ×3, first 2 shown]
	s_waitcnt vmcnt(5)
	v_fma_f64 v[43:44], v[85:86], v[49:50], v[43:44]
	s_waitcnt vmcnt(4) lgkmcnt(0)
	v_fma_f64 v[43:44], v[45:46], v[51:52], v[43:44]
	s_waitcnt vmcnt(2)
	v_fma_f64 v[43:44], v[55:56], v[53:54], v[43:44]
	s_waitcnt vmcnt(0)
	v_add_f64 v[43:44], v[57:58], -v[43:44]
	buffer_store_dword v44, off, s[0:3], 0 offset:4
	buffer_store_dword v43, off, s[0:3], 0
	s_cbranch_vccz .LBB20_176
; %bb.136:
	v_mov_b32_e32 v0, 0
	global_load_dword v43, v0, s[20:21] offset:76
	s_waitcnt vmcnt(0)
	v_add_nc_u32_e32 v43, -1, v43
	v_cmp_ne_u32_e32 vcc_lo, 19, v43
	s_cbranch_vccz .LBB20_138
; %bb.137:
	v_lshlrev_b32_e32 v43, 3, v43
	s_clause 0x1
	buffer_load_dword v44, v43, s[0:3], 0 offen
	buffer_load_dword v47, v43, s[0:3], 0 offen offset:4
	s_waitcnt vmcnt(1)
	buffer_store_dword v44, off, s[0:3], 0 offset:152
	s_waitcnt vmcnt(0)
	buffer_store_dword v47, off, s[0:3], 0 offset:156
	buffer_store_dword v45, v43, s[0:3], 0 offen
	buffer_store_dword v46, v43, s[0:3], 0 offen offset:4
.LBB20_138:
	global_load_dword v0, v0, s[20:21] offset:72
	s_waitcnt vmcnt(0)
	v_add_nc_u32_e32 v0, -1, v0
	v_cmp_eq_u32_e32 vcc_lo, 18, v0
	s_cbranch_vccnz .LBB20_140
; %bb.139:
	v_lshlrev_b32_e32 v0, 3, v0
	s_clause 0x3
	buffer_load_dword v43, v0, s[0:3], 0 offen
	buffer_load_dword v44, v0, s[0:3], 0 offen offset:4
	buffer_load_dword v45, off, s[0:3], 0 offset:148
	buffer_load_dword v46, off, s[0:3], 0 offset:144
	s_waitcnt vmcnt(3)
	buffer_store_dword v43, off, s[0:3], 0 offset:144
	s_waitcnt vmcnt(2)
	buffer_store_dword v44, off, s[0:3], 0 offset:148
	s_waitcnt vmcnt(1)
	buffer_store_dword v45, v0, s[0:3], 0 offen offset:4
	s_waitcnt vmcnt(0)
	buffer_store_dword v46, v0, s[0:3], 0 offen
.LBB20_140:
	v_mov_b32_e32 v0, 0
	global_load_dword v43, v0, s[20:21] offset:68
	s_waitcnt vmcnt(0)
	v_add_nc_u32_e32 v43, -1, v43
	v_cmp_eq_u32_e32 vcc_lo, 17, v43
	s_cbranch_vccnz .LBB20_142
; %bb.141:
	v_lshlrev_b32_e32 v43, 3, v43
	s_clause 0x3
	buffer_load_dword v44, v43, s[0:3], 0 offen
	buffer_load_dword v45, v43, s[0:3], 0 offen offset:4
	buffer_load_dword v46, off, s[0:3], 0 offset:136
	buffer_load_dword v47, off, s[0:3], 0 offset:140
	s_waitcnt vmcnt(3)
	buffer_store_dword v44, off, s[0:3], 0 offset:136
	s_waitcnt vmcnt(2)
	buffer_store_dword v45, off, s[0:3], 0 offset:140
	s_waitcnt vmcnt(1)
	buffer_store_dword v46, v43, s[0:3], 0 offen
	s_waitcnt vmcnt(0)
	buffer_store_dword v47, v43, s[0:3], 0 offen offset:4
.LBB20_142:
	global_load_dword v0, v0, s[20:21] offset:64
	s_waitcnt vmcnt(0)
	v_add_nc_u32_e32 v0, -1, v0
	v_cmp_eq_u32_e32 vcc_lo, 16, v0
	s_cbranch_vccnz .LBB20_144
; %bb.143:
	v_lshlrev_b32_e32 v0, 3, v0
	s_clause 0x3
	buffer_load_dword v43, v0, s[0:3], 0 offen
	buffer_load_dword v44, v0, s[0:3], 0 offen offset:4
	buffer_load_dword v45, off, s[0:3], 0 offset:132
	buffer_load_dword v46, off, s[0:3], 0 offset:128
	s_waitcnt vmcnt(3)
	buffer_store_dword v43, off, s[0:3], 0 offset:128
	s_waitcnt vmcnt(2)
	buffer_store_dword v44, off, s[0:3], 0 offset:132
	s_waitcnt vmcnt(1)
	buffer_store_dword v45, v0, s[0:3], 0 offen offset:4
	s_waitcnt vmcnt(0)
	buffer_store_dword v46, v0, s[0:3], 0 offen
.LBB20_144:
	v_mov_b32_e32 v0, 0
	global_load_dword v43, v0, s[20:21] offset:60
	s_waitcnt vmcnt(0)
	v_add_nc_u32_e32 v43, -1, v43
	v_cmp_eq_u32_e32 vcc_lo, 15, v43
	s_cbranch_vccnz .LBB20_146
; %bb.145:
	v_lshlrev_b32_e32 v43, 3, v43
	s_clause 0x3
	buffer_load_dword v44, v43, s[0:3], 0 offen
	buffer_load_dword v45, v43, s[0:3], 0 offen offset:4
	buffer_load_dword v46, off, s[0:3], 0 offset:120
	buffer_load_dword v47, off, s[0:3], 0 offset:124
	s_waitcnt vmcnt(3)
	buffer_store_dword v44, off, s[0:3], 0 offset:120
	s_waitcnt vmcnt(2)
	buffer_store_dword v45, off, s[0:3], 0 offset:124
	s_waitcnt vmcnt(1)
	buffer_store_dword v46, v43, s[0:3], 0 offen
	s_waitcnt vmcnt(0)
	buffer_store_dword v47, v43, s[0:3], 0 offen offset:4
.LBB20_146:
	;; [unrolled: 43-line block ×9, first 2 shown]
	global_load_dword v0, v0, s[20:21]
	s_clause 0x1
	buffer_load_dword v43, off, s[0:3], 0
	buffer_load_dword v44, off, s[0:3], 0 offset:4
	s_waitcnt vmcnt(2)
	v_add_nc_u32_e32 v0, -1, v0
	v_cmp_eq_u32_e32 vcc_lo, 0, v0
	s_cbranch_vccnz .LBB20_176
; %bb.175:
	v_lshlrev_b32_e32 v0, 3, v0
	s_clause 0x1
	buffer_load_dword v45, v0, s[0:3], 0 offen offset:4
	buffer_load_dword v46, v0, s[0:3], 0 offen
	s_waitcnt vmcnt(1)
	buffer_store_dword v45, off, s[0:3], 0 offset:4
	s_waitcnt vmcnt(0)
	buffer_store_dword v46, off, s[0:3], 0
	buffer_store_dword v44, v0, s[0:3], 0 offen offset:4
	buffer_store_dword v43, v0, s[0:3], 0 offen
	s_clause 0x1
	buffer_load_dword v43, off, s[0:3], 0
	buffer_load_dword v44, off, s[0:3], 0 offset:4
.LBB20_176:
	s_clause 0x27
	buffer_load_dword v45, off, s[0:3], 0 offset:8
	buffer_load_dword v46, off, s[0:3], 0 offset:12
	;; [unrolled: 1-line block ×40, first 2 shown]
	s_waitcnt vmcnt(40)
	global_store_dwordx2 v[1:2], v[43:44], off
	s_waitcnt vmcnt(38)
	global_store_dwordx2 v[3:4], v[45:46], off
	;; [unrolled: 2-line block ×21, first 2 shown]
	s_endpgm
	.section	.rodata,"a",@progbits
	.p2align	6, 0x0
	.amdhsa_kernel _ZN9rocsolver6v33100L18getri_kernel_smallILi21EdPdEEvT1_iilPiilS4_bb
		.amdhsa_group_segment_fixed_size 344
		.amdhsa_private_segment_fixed_size 176
		.amdhsa_kernarg_size 60
		.amdhsa_user_sgpr_count 6
		.amdhsa_user_sgpr_private_segment_buffer 1
		.amdhsa_user_sgpr_dispatch_ptr 0
		.amdhsa_user_sgpr_queue_ptr 0
		.amdhsa_user_sgpr_kernarg_segment_ptr 1
		.amdhsa_user_sgpr_dispatch_id 0
		.amdhsa_user_sgpr_flat_scratch_init 0
		.amdhsa_user_sgpr_private_segment_size 0
		.amdhsa_wavefront_size32 1
		.amdhsa_uses_dynamic_stack 0
		.amdhsa_system_sgpr_private_segment_wavefront_offset 1
		.amdhsa_system_sgpr_workgroup_id_x 1
		.amdhsa_system_sgpr_workgroup_id_y 0
		.amdhsa_system_sgpr_workgroup_id_z 0
		.amdhsa_system_sgpr_workgroup_info 0
		.amdhsa_system_vgpr_workitem_id 0
		.amdhsa_next_free_vgpr 89
		.amdhsa_next_free_sgpr 23
		.amdhsa_reserve_vcc 1
		.amdhsa_reserve_flat_scratch 0
		.amdhsa_float_round_mode_32 0
		.amdhsa_float_round_mode_16_64 0
		.amdhsa_float_denorm_mode_32 3
		.amdhsa_float_denorm_mode_16_64 3
		.amdhsa_dx10_clamp 1
		.amdhsa_ieee_mode 1
		.amdhsa_fp16_overflow 0
		.amdhsa_workgroup_processor_mode 1
		.amdhsa_memory_ordered 1
		.amdhsa_forward_progress 1
		.amdhsa_shared_vgpr_count 0
		.amdhsa_exception_fp_ieee_invalid_op 0
		.amdhsa_exception_fp_denorm_src 0
		.amdhsa_exception_fp_ieee_div_zero 0
		.amdhsa_exception_fp_ieee_overflow 0
		.amdhsa_exception_fp_ieee_underflow 0
		.amdhsa_exception_fp_ieee_inexact 0
		.amdhsa_exception_int_div_zero 0
	.end_amdhsa_kernel
	.section	.text._ZN9rocsolver6v33100L18getri_kernel_smallILi21EdPdEEvT1_iilPiilS4_bb,"axG",@progbits,_ZN9rocsolver6v33100L18getri_kernel_smallILi21EdPdEEvT1_iilPiilS4_bb,comdat
.Lfunc_end20:
	.size	_ZN9rocsolver6v33100L18getri_kernel_smallILi21EdPdEEvT1_iilPiilS4_bb, .Lfunc_end20-_ZN9rocsolver6v33100L18getri_kernel_smallILi21EdPdEEvT1_iilPiilS4_bb
                                        ; -- End function
	.set _ZN9rocsolver6v33100L18getri_kernel_smallILi21EdPdEEvT1_iilPiilS4_bb.num_vgpr, 89
	.set _ZN9rocsolver6v33100L18getri_kernel_smallILi21EdPdEEvT1_iilPiilS4_bb.num_agpr, 0
	.set _ZN9rocsolver6v33100L18getri_kernel_smallILi21EdPdEEvT1_iilPiilS4_bb.numbered_sgpr, 23
	.set _ZN9rocsolver6v33100L18getri_kernel_smallILi21EdPdEEvT1_iilPiilS4_bb.num_named_barrier, 0
	.set _ZN9rocsolver6v33100L18getri_kernel_smallILi21EdPdEEvT1_iilPiilS4_bb.private_seg_size, 176
	.set _ZN9rocsolver6v33100L18getri_kernel_smallILi21EdPdEEvT1_iilPiilS4_bb.uses_vcc, 1
	.set _ZN9rocsolver6v33100L18getri_kernel_smallILi21EdPdEEvT1_iilPiilS4_bb.uses_flat_scratch, 0
	.set _ZN9rocsolver6v33100L18getri_kernel_smallILi21EdPdEEvT1_iilPiilS4_bb.has_dyn_sized_stack, 0
	.set _ZN9rocsolver6v33100L18getri_kernel_smallILi21EdPdEEvT1_iilPiilS4_bb.has_recursion, 0
	.set _ZN9rocsolver6v33100L18getri_kernel_smallILi21EdPdEEvT1_iilPiilS4_bb.has_indirect_call, 0
	.section	.AMDGPU.csdata,"",@progbits
; Kernel info:
; codeLenInByte = 18684
; TotalNumSgprs: 25
; NumVgprs: 89
; ScratchSize: 176
; MemoryBound: 0
; FloatMode: 240
; IeeeMode: 1
; LDSByteSize: 344 bytes/workgroup (compile time only)
; SGPRBlocks: 0
; VGPRBlocks: 11
; NumSGPRsForWavesPerEU: 25
; NumVGPRsForWavesPerEU: 89
; Occupancy: 10
; WaveLimiterHint : 1
; COMPUTE_PGM_RSRC2:SCRATCH_EN: 1
; COMPUTE_PGM_RSRC2:USER_SGPR: 6
; COMPUTE_PGM_RSRC2:TRAP_HANDLER: 0
; COMPUTE_PGM_RSRC2:TGID_X_EN: 1
; COMPUTE_PGM_RSRC2:TGID_Y_EN: 0
; COMPUTE_PGM_RSRC2:TGID_Z_EN: 0
; COMPUTE_PGM_RSRC2:TIDIG_COMP_CNT: 0
	.section	.text._ZN9rocsolver6v33100L18getri_kernel_smallILi22EdPdEEvT1_iilPiilS4_bb,"axG",@progbits,_ZN9rocsolver6v33100L18getri_kernel_smallILi22EdPdEEvT1_iilPiilS4_bb,comdat
	.globl	_ZN9rocsolver6v33100L18getri_kernel_smallILi22EdPdEEvT1_iilPiilS4_bb ; -- Begin function _ZN9rocsolver6v33100L18getri_kernel_smallILi22EdPdEEvT1_iilPiilS4_bb
	.p2align	8
	.type	_ZN9rocsolver6v33100L18getri_kernel_smallILi22EdPdEEvT1_iilPiilS4_bb,@function
_ZN9rocsolver6v33100L18getri_kernel_smallILi22EdPdEEvT1_iilPiilS4_bb: ; @_ZN9rocsolver6v33100L18getri_kernel_smallILi22EdPdEEvT1_iilPiilS4_bb
; %bb.0:
	s_add_u32 s0, s0, s7
	s_addc_u32 s1, s1, 0
	s_mov_b32 s7, exec_lo
	v_cmpx_gt_u32_e32 22, v0
	s_cbranch_execz .LBB21_98
; %bb.1:
	s_clause 0x2
	s_load_dword s7, s[4:5], 0x38
	s_load_dwordx4 s[16:19], s[4:5], 0x10
	s_load_dwordx4 s[8:11], s[4:5], 0x28
                                        ; implicit-def: $sgpr20_sgpr21
	s_waitcnt lgkmcnt(0)
	s_bitcmp1_b32 s7, 8
	s_cselect_b32 s22, -1, 0
	s_bfe_u32 s12, s7, 0x10008
	s_ashr_i32 s7, s6, 31
	s_cmp_eq_u32 s12, 0
	s_cbranch_scc1 .LBB21_3
; %bb.2:
	s_load_dword s12, s[4:5], 0x20
	s_mul_i32 s13, s8, s7
	s_mul_hi_u32 s14, s8, s6
	s_mul_i32 s9, s9, s6
	s_add_i32 s13, s14, s13
	s_mul_i32 s8, s8, s6
	s_add_i32 s9, s13, s9
	s_lshl_b64 s[8:9], s[8:9], 2
	s_waitcnt lgkmcnt(0)
	s_ashr_i32 s13, s12, 31
	s_add_u32 s14, s18, s8
	s_addc_u32 s15, s19, s9
	s_lshl_b64 s[8:9], s[12:13], 2
	s_add_u32 s20, s14, s8
	s_addc_u32 s21, s15, s9
.LBB21_3:
	s_clause 0x1
	s_load_dwordx4 s[12:15], s[4:5], 0x0
	s_load_dword s8, s[4:5], 0x38
	s_mul_i32 s4, s16, s7
	s_mul_hi_u32 s5, s16, s6
	s_mul_i32 s9, s17, s6
	s_add_i32 s5, s5, s4
	s_mul_i32 s4, s16, s6
	s_add_i32 s5, s5, s9
	v_lshlrev_b32_e32 v47, 3, v0
	s_lshl_b64 s[4:5], s[4:5], 3
	s_waitcnt lgkmcnt(0)
	v_add3_u32 v3, s15, s15, v0
	s_ashr_i32 s17, s14, 31
	s_mov_b32 s16, s14
	s_add_u32 s9, s12, s4
	s_addc_u32 s13, s13, s5
	v_add_nc_u32_e32 v5, s15, v3
	s_lshl_b64 s[4:5], s[16:17], 3
	v_ashrrev_i32_e32 v4, 31, v3
	s_add_u32 s4, s9, s4
	s_addc_u32 s5, s13, s5
	v_add_nc_u32_e32 v9, s15, v5
	v_ashrrev_i32_e32 v6, 31, v5
	v_add_co_u32 v1, s9, s4, v47
	s_mov_b32 s12, s15
	s_ashr_i32 s13, s15, 31
	v_lshlrev_b64 v[7:8], 3, v[3:4]
	v_add_nc_u32_e32 v13, s15, v9
	v_add_co_ci_u32_e64 v2, null, s5, 0, s9
	s_lshl_b64 s[12:13], s[12:13], 3
	v_lshlrev_b64 v[11:12], 3, v[5:6]
	v_add_co_u32 v3, vcc_lo, v1, s12
	v_ashrrev_i32_e32 v14, 31, v13
	v_add_nc_u32_e32 v15, s15, v13
	v_add_co_ci_u32_e64 v4, null, s13, v2, vcc_lo
	v_add_co_u32 v5, vcc_lo, s4, v7
	v_add_co_ci_u32_e64 v6, null, s5, v8, vcc_lo
	v_add_co_u32 v7, vcc_lo, s4, v11
	v_add_co_ci_u32_e64 v8, null, s5, v12, vcc_lo
	v_lshlrev_b64 v[11:12], 3, v[13:14]
	v_add_nc_u32_e32 v13, s15, v15
	v_ashrrev_i32_e32 v10, 31, v9
	v_ashrrev_i32_e32 v16, 31, v15
	global_load_dwordx2 v[45:46], v47, s[4:5]
	s_bitcmp0_b32 s8, 0
	v_add_nc_u32_e32 v17, s15, v13
	v_lshlrev_b64 v[9:10], 3, v[9:10]
	v_ashrrev_i32_e32 v14, 31, v13
	v_lshlrev_b64 v[15:16], 3, v[15:16]
	v_add_nc_u32_e32 v21, s15, v17
	v_ashrrev_i32_e32 v18, 31, v17
	v_add_co_u32 v9, vcc_lo, s4, v9
	v_lshlrev_b64 v[19:20], 3, v[13:14]
	v_add_co_ci_u32_e64 v10, null, s5, v10, vcc_lo
	v_add_co_u32 v11, vcc_lo, s4, v11
	v_ashrrev_i32_e32 v22, 31, v21
	v_add_nc_u32_e32 v23, s15, v21
	v_add_co_ci_u32_e64 v12, null, s5, v12, vcc_lo
	v_add_co_u32 v13, vcc_lo, s4, v15
	v_add_co_ci_u32_e64 v14, null, s5, v16, vcc_lo
	v_add_co_u32 v15, vcc_lo, s4, v19
	v_add_co_ci_u32_e64 v16, null, s5, v20, vcc_lo
	v_lshlrev_b64 v[19:20], 3, v[21:22]
	v_add_nc_u32_e32 v21, s15, v23
	v_ashrrev_i32_e32 v24, 31, v23
	v_lshlrev_b64 v[17:18], 3, v[17:18]
	s_clause 0x4
	global_load_dwordx2 v[48:49], v[3:4], off
	global_load_dwordx2 v[50:51], v[5:6], off
	;; [unrolled: 1-line block ×5, first 2 shown]
	v_add_nc_u32_e32 v25, s15, v21
	v_ashrrev_i32_e32 v22, 31, v21
	v_lshlrev_b64 v[23:24], 3, v[23:24]
	v_add_co_u32 v17, vcc_lo, s4, v17
	v_add_nc_u32_e32 v29, s15, v25
	v_lshlrev_b64 v[27:28], 3, v[21:22]
	v_add_co_ci_u32_e64 v18, null, s5, v18, vcc_lo
	v_add_co_u32 v19, vcc_lo, s4, v19
	v_ashrrev_i32_e32 v30, 31, v29
	v_add_nc_u32_e32 v31, s15, v29
	v_add_co_ci_u32_e64 v20, null, s5, v20, vcc_lo
	v_add_co_u32 v21, vcc_lo, s4, v23
	v_add_co_ci_u32_e64 v22, null, s5, v24, vcc_lo
	v_add_co_u32 v23, vcc_lo, s4, v27
	v_add_co_ci_u32_e64 v24, null, s5, v28, vcc_lo
	v_lshlrev_b64 v[27:28], 3, v[29:30]
	v_add_nc_u32_e32 v29, s15, v31
	v_ashrrev_i32_e32 v26, 31, v25
	v_ashrrev_i32_e32 v32, 31, v31
	s_clause 0x4
	global_load_dwordx2 v[60:61], v[13:14], off
	global_load_dwordx2 v[62:63], v[15:16], off
	;; [unrolled: 1-line block ×5, first 2 shown]
	v_add_nc_u32_e32 v33, s15, v29
	v_lshlrev_b64 v[25:26], 3, v[25:26]
	v_ashrrev_i32_e32 v30, 31, v29
	v_lshlrev_b64 v[31:32], 3, v[31:32]
	v_add_nc_u32_e32 v37, s15, v33
	v_ashrrev_i32_e32 v34, 31, v33
	v_add_co_u32 v25, vcc_lo, s4, v25
	v_lshlrev_b64 v[35:36], 3, v[29:30]
	v_add_co_ci_u32_e64 v26, null, s5, v26, vcc_lo
	v_add_co_u32 v27, vcc_lo, s4, v27
	v_ashrrev_i32_e32 v38, 31, v37
	v_add_nc_u32_e32 v39, s15, v37
	v_add_co_ci_u32_e64 v28, null, s5, v28, vcc_lo
	v_add_co_u32 v29, vcc_lo, s4, v31
	v_add_co_ci_u32_e64 v30, null, s5, v32, vcc_lo
	v_add_co_u32 v31, vcc_lo, s4, v35
	v_add_co_ci_u32_e64 v32, null, s5, v36, vcc_lo
	v_lshlrev_b64 v[35:36], 3, v[37:38]
	v_add_nc_u32_e32 v37, s15, v39
	v_ashrrev_i32_e32 v40, 31, v39
	v_lshlrev_b64 v[33:34], 3, v[33:34]
	v_add_nc_u32_e32 v41, s15, v37
	v_ashrrev_i32_e32 v38, 31, v37
	v_lshlrev_b64 v[39:40], 3, v[39:40]
	v_add_co_u32 v33, vcc_lo, s4, v33
	v_add_nc_u32_e32 v58, s15, v41
	v_lshlrev_b64 v[43:44], 3, v[37:38]
	v_ashrrev_i32_e32 v42, 31, v41
	v_add_co_ci_u32_e64 v34, null, s5, v34, vcc_lo
	v_add_co_u32 v35, vcc_lo, s4, v35
	v_ashrrev_i32_e32 v59, 31, v58
	v_add_co_ci_u32_e64 v36, null, s5, v36, vcc_lo
	v_add_co_u32 v37, vcc_lo, s4, v39
	v_add_co_ci_u32_e64 v38, null, s5, v40, vcc_lo
	v_lshlrev_b64 v[41:42], 3, v[41:42]
	v_add_co_u32 v39, vcc_lo, s4, v43
	v_add_co_ci_u32_e64 v40, null, s5, v44, vcc_lo
	v_lshlrev_b64 v[43:44], 3, v[58:59]
	v_add_co_u32 v41, vcc_lo, s4, v41
	v_add_co_ci_u32_e64 v42, null, s5, v42, vcc_lo
	s_clause 0x3
	global_load_dwordx2 v[58:59], v[23:24], off
	global_load_dwordx2 v[70:71], v[25:26], off
	;; [unrolled: 1-line block ×4, first 2 shown]
	v_add_co_u32 v43, vcc_lo, s4, v43
	v_add_co_ci_u32_e64 v44, null, s5, v44, vcc_lo
	s_clause 0x6
	global_load_dwordx2 v[76:77], v[31:32], off
	global_load_dwordx2 v[78:79], v[33:34], off
	;; [unrolled: 1-line block ×7, first 2 shown]
	s_mov_b32 s5, -1
	s_waitcnt vmcnt(21)
	buffer_store_dword v46, off, s[0:3], 0 offset:4
	buffer_store_dword v45, off, s[0:3], 0
	s_waitcnt vmcnt(20)
	buffer_store_dword v49, off, s[0:3], 0 offset:12
	buffer_store_dword v48, off, s[0:3], 0 offset:8
	s_waitcnt vmcnt(19)
	buffer_store_dword v51, off, s[0:3], 0 offset:20
	buffer_store_dword v50, off, s[0:3], 0 offset:16
	;; [unrolled: 3-line block ×21, first 2 shown]
	s_cbranch_scc1 .LBB21_96
; %bb.4:
	v_cmp_eq_u32_e64 s4, 0, v0
	s_and_saveexec_b32 s5, s4
; %bb.5:
	v_mov_b32_e32 v45, 0
	ds_write_b32 v45, v45 offset:352
; %bb.6:
	s_or_b32 exec_lo, exec_lo, s5
	v_lshl_add_u32 v45, v0, 3, 0
	s_waitcnt lgkmcnt(0)
	s_waitcnt_vscnt null, 0x0
	s_barrier
	buffer_gl0_inv
	s_mov_b32 s8, exec_lo
	s_clause 0x1
	buffer_load_dword v48, v45, s[0:3], 0 offen
	buffer_load_dword v49, v45, s[0:3], 0 offen offset:4
	s_waitcnt vmcnt(0)
	v_cmpx_eq_f64_e32 0, v[48:49]
	s_cbranch_execz .LBB21_10
; %bb.7:
	v_mov_b32_e32 v46, 0
	s_mov_b32 s9, 0
	ds_read_b32 v48, v46 offset:352
	s_waitcnt lgkmcnt(0)
	v_readfirstlane_b32 s5, v48
	v_add_nc_u32_e32 v48, 1, v0
	s_cmp_eq_u32 s5, 0
	v_cmp_gt_i32_e32 vcc_lo, s5, v48
	s_cselect_b32 s12, -1, 0
	s_or_b32 s12, s12, vcc_lo
	s_and_b32 exec_lo, exec_lo, s12
	s_cbranch_execz .LBB21_10
; %bb.8:
	v_mov_b32_e32 v49, s5
.LBB21_9:                               ; =>This Inner Loop Header: Depth=1
	ds_cmpst_rtn_b32 v49, v46, v49, v48 offset:352
	s_waitcnt lgkmcnt(0)
	v_cmp_ne_u32_e32 vcc_lo, 0, v49
	v_cmp_le_i32_e64 s5, v49, v48
	s_and_b32 s5, vcc_lo, s5
	s_and_b32 s5, exec_lo, s5
	s_or_b32 s9, s5, s9
	s_andn2_b32 exec_lo, exec_lo, s9
	s_cbranch_execnz .LBB21_9
.LBB21_10:
	s_or_b32 exec_lo, exec_lo, s8
	v_mov_b32_e32 v46, 0
	s_barrier
	buffer_gl0_inv
	ds_read_b32 v48, v46 offset:352
	s_and_saveexec_b32 s5, s4
	s_cbranch_execz .LBB21_12
; %bb.11:
	s_lshl_b64 s[8:9], s[6:7], 2
	s_add_u32 s8, s10, s8
	s_addc_u32 s9, s11, s9
	s_waitcnt lgkmcnt(0)
	global_store_dword v46, v48, s[8:9]
.LBB21_12:
	s_or_b32 exec_lo, exec_lo, s5
	s_waitcnt lgkmcnt(0)
	v_cmp_ne_u32_e32 vcc_lo, 0, v48
	s_mov_b32 s5, 0
	s_cbranch_vccnz .LBB21_96
; %bb.13:
	s_clause 0x1
	buffer_load_dword v48, v45, s[0:3], 0 offen
	buffer_load_dword v49, v45, s[0:3], 0 offen offset:4
	s_waitcnt vmcnt(0)
	v_div_scale_f64 v[50:51], null, v[48:49], v[48:49], 1.0
	v_div_scale_f64 v[56:57], vcc_lo, 1.0, v[48:49], 1.0
	v_rcp_f64_e32 v[52:53], v[50:51]
	v_fma_f64 v[54:55], -v[50:51], v[52:53], 1.0
	v_fma_f64 v[52:53], v[52:53], v[54:55], v[52:53]
	v_fma_f64 v[54:55], -v[50:51], v[52:53], 1.0
	v_fma_f64 v[52:53], v[52:53], v[54:55], v[52:53]
	v_mul_f64 v[54:55], v[56:57], v[52:53]
	v_fma_f64 v[50:51], -v[50:51], v[54:55], v[56:57]
	v_div_fmas_f64 v[50:51], v[50:51], v[52:53], v[54:55]
	v_div_fixup_f64 v[49:50], v[50:51], v[48:49], 1.0
	v_add_nc_u32_e32 v48, 0xb0, v47
	buffer_store_dword v50, v45, s[0:3], 0 offen offset:4
	buffer_store_dword v49, v45, s[0:3], 0 offen
	s_clause 0x1
	buffer_load_dword v52, off, s[0:3], 0 offset:12
	buffer_load_dword v51, off, s[0:3], 0 offset:8
	v_xor_b32_e32 v50, 0x80000000, v50
	s_waitcnt vmcnt(0)
	ds_write2_b64 v47, v[49:50], v[51:52] offset1:22
	s_waitcnt lgkmcnt(0)
	s_waitcnt_vscnt null, 0x0
	s_barrier
	buffer_gl0_inv
	s_and_saveexec_b32 s5, s4
	s_cbranch_execz .LBB21_15
; %bb.14:
	s_clause 0x1
	buffer_load_dword v49, v45, s[0:3], 0 offen
	buffer_load_dword v50, v45, s[0:3], 0 offen offset:4
	ds_read_b64 v[51:52], v48
	v_mov_b32_e32 v46, 0
	ds_read_b64 v[53:54], v46 offset:8
	s_waitcnt vmcnt(0) lgkmcnt(1)
	v_fma_f64 v[49:50], v[49:50], v[51:52], 0
	s_waitcnt lgkmcnt(0)
	v_mul_f64 v[49:50], v[49:50], v[53:54]
	buffer_store_dword v49, off, s[0:3], 0 offset:8
	buffer_store_dword v50, off, s[0:3], 0 offset:12
.LBB21_15:
	s_or_b32 exec_lo, exec_lo, s5
	s_waitcnt_vscnt null, 0x0
	s_barrier
	buffer_gl0_inv
	s_clause 0x1
	buffer_load_dword v49, off, s[0:3], 0 offset:16
	buffer_load_dword v50, off, s[0:3], 0 offset:20
	s_mov_b32 s5, exec_lo
	s_waitcnt vmcnt(0)
	ds_write_b64 v48, v[49:50]
	s_waitcnt lgkmcnt(0)
	s_barrier
	buffer_gl0_inv
	v_cmpx_gt_u32_e32 2, v0
	s_cbranch_execz .LBB21_19
; %bb.16:
	s_clause 0x1
	buffer_load_dword v49, v45, s[0:3], 0 offen
	buffer_load_dword v50, v45, s[0:3], 0 offen offset:4
	ds_read_b64 v[45:46], v48
	s_waitcnt vmcnt(0) lgkmcnt(0)
	v_fma_f64 v[45:46], v[49:50], v[45:46], 0
	s_and_saveexec_b32 s8, s4
	s_cbranch_execz .LBB21_18
; %bb.17:
	s_clause 0x1
	buffer_load_dword v49, off, s[0:3], 0 offset:8
	buffer_load_dword v50, off, s[0:3], 0 offset:12
	v_mov_b32_e32 v51, 0
	ds_read_b64 v[51:52], v51 offset:184
	s_waitcnt vmcnt(0) lgkmcnt(0)
	v_fma_f64 v[45:46], v[49:50], v[51:52], v[45:46]
.LBB21_18:
	s_or_b32 exec_lo, exec_lo, s8
	v_mov_b32_e32 v49, 0
	ds_read_b64 v[49:50], v49 offset:16
	s_waitcnt lgkmcnt(0)
	v_mul_f64 v[45:46], v[45:46], v[49:50]
	buffer_store_dword v46, off, s[0:3], 0 offset:20
	buffer_store_dword v45, off, s[0:3], 0 offset:16
.LBB21_19:
	s_or_b32 exec_lo, exec_lo, s5
	s_waitcnt_vscnt null, 0x0
	s_barrier
	buffer_gl0_inv
	s_clause 0x1
	buffer_load_dword v45, off, s[0:3], 0 offset:24
	buffer_load_dword v46, off, s[0:3], 0 offset:28
	v_add_nc_u32_e32 v49, -1, v0
	s_mov_b32 s4, exec_lo
	s_waitcnt vmcnt(0)
	ds_write_b64 v48, v[45:46]
	s_waitcnt lgkmcnt(0)
	s_barrier
	buffer_gl0_inv
	v_cmpx_gt_u32_e32 3, v0
	s_cbranch_execz .LBB21_23
; %bb.20:
	v_mov_b32_e32 v45, 0
	v_add_nc_u32_e32 v50, -1, v0
	v_add_nc_u32_e32 v51, 0xb0, v47
	v_mov_b32_e32 v46, 0
	v_mov_b32_e32 v52, v47
	s_mov_b32 s5, 0
.LBB21_21:                              ; =>This Inner Loop Header: Depth=1
	s_clause 0x1
	buffer_load_dword v53, v52, s[0:3], 0 offen
	buffer_load_dword v54, v52, s[0:3], 0 offen offset:4
	ds_read_b64 v[55:56], v51
	v_add_nc_u32_e32 v50, 1, v50
	v_add_nc_u32_e32 v51, 8, v51
	v_add_nc_u32_e32 v52, 8, v52
	v_cmp_lt_u32_e32 vcc_lo, 1, v50
	s_or_b32 s5, vcc_lo, s5
	s_waitcnt vmcnt(0) lgkmcnt(0)
	v_fma_f64 v[45:46], v[53:54], v[55:56], v[45:46]
	s_andn2_b32 exec_lo, exec_lo, s5
	s_cbranch_execnz .LBB21_21
; %bb.22:
	s_or_b32 exec_lo, exec_lo, s5
	v_mov_b32_e32 v50, 0
	ds_read_b64 v[50:51], v50 offset:24
	s_waitcnt lgkmcnt(0)
	v_mul_f64 v[45:46], v[45:46], v[50:51]
	buffer_store_dword v46, off, s[0:3], 0 offset:28
	buffer_store_dword v45, off, s[0:3], 0 offset:24
.LBB21_23:
	s_or_b32 exec_lo, exec_lo, s4
	s_waitcnt_vscnt null, 0x0
	s_barrier
	buffer_gl0_inv
	s_clause 0x1
	buffer_load_dword v45, off, s[0:3], 0 offset:32
	buffer_load_dword v46, off, s[0:3], 0 offset:36
	s_mov_b32 s4, exec_lo
	s_waitcnt vmcnt(0)
	ds_write_b64 v48, v[45:46]
	s_waitcnt lgkmcnt(0)
	s_barrier
	buffer_gl0_inv
	v_cmpx_gt_u32_e32 4, v0
	s_cbranch_execz .LBB21_27
; %bb.24:
	v_mov_b32_e32 v45, 0
	v_add_nc_u32_e32 v50, -1, v0
	v_add_nc_u32_e32 v51, 0xb0, v47
	v_mov_b32_e32 v46, 0
	v_mov_b32_e32 v52, v47
	s_mov_b32 s5, 0
.LBB21_25:                              ; =>This Inner Loop Header: Depth=1
	s_clause 0x1
	buffer_load_dword v53, v52, s[0:3], 0 offen
	buffer_load_dword v54, v52, s[0:3], 0 offen offset:4
	ds_read_b64 v[55:56], v51
	v_add_nc_u32_e32 v50, 1, v50
	v_add_nc_u32_e32 v51, 8, v51
	v_add_nc_u32_e32 v52, 8, v52
	v_cmp_lt_u32_e32 vcc_lo, 2, v50
	s_or_b32 s5, vcc_lo, s5
	s_waitcnt vmcnt(0) lgkmcnt(0)
	v_fma_f64 v[45:46], v[53:54], v[55:56], v[45:46]
	s_andn2_b32 exec_lo, exec_lo, s5
	s_cbranch_execnz .LBB21_25
; %bb.26:
	s_or_b32 exec_lo, exec_lo, s5
	v_mov_b32_e32 v50, 0
	ds_read_b64 v[50:51], v50 offset:32
	s_waitcnt lgkmcnt(0)
	v_mul_f64 v[45:46], v[45:46], v[50:51]
	buffer_store_dword v46, off, s[0:3], 0 offset:36
	buffer_store_dword v45, off, s[0:3], 0 offset:32
.LBB21_27:
	s_or_b32 exec_lo, exec_lo, s4
	s_waitcnt_vscnt null, 0x0
	s_barrier
	buffer_gl0_inv
	s_clause 0x1
	buffer_load_dword v45, off, s[0:3], 0 offset:40
	buffer_load_dword v46, off, s[0:3], 0 offset:44
	;; [unrolled: 45-line block ×18, first 2 shown]
	s_mov_b32 s4, exec_lo
	s_waitcnt vmcnt(0)
	ds_write_b64 v48, v[45:46]
	s_waitcnt lgkmcnt(0)
	s_barrier
	buffer_gl0_inv
	v_cmpx_ne_u32_e32 21, v0
	s_cbranch_execz .LBB21_95
; %bb.92:
	v_mov_b32_e32 v45, 0
	v_mov_b32_e32 v46, 0
	s_mov_b32 s5, 0
.LBB21_93:                              ; =>This Inner Loop Header: Depth=1
	s_clause 0x1
	buffer_load_dword v50, v47, s[0:3], 0 offen
	buffer_load_dword v51, v47, s[0:3], 0 offen offset:4
	ds_read_b64 v[52:53], v48
	v_add_nc_u32_e32 v49, 1, v49
	v_add_nc_u32_e32 v48, 8, v48
	;; [unrolled: 1-line block ×3, first 2 shown]
	v_cmp_lt_u32_e32 vcc_lo, 19, v49
	s_or_b32 s5, vcc_lo, s5
	s_waitcnt vmcnt(0) lgkmcnt(0)
	v_fma_f64 v[45:46], v[50:51], v[52:53], v[45:46]
	s_andn2_b32 exec_lo, exec_lo, s5
	s_cbranch_execnz .LBB21_93
; %bb.94:
	s_or_b32 exec_lo, exec_lo, s5
	v_mov_b32_e32 v47, 0
	ds_read_b64 v[47:48], v47 offset:168
	s_waitcnt lgkmcnt(0)
	v_mul_f64 v[45:46], v[45:46], v[47:48]
	buffer_store_dword v46, off, s[0:3], 0 offset:172
	buffer_store_dword v45, off, s[0:3], 0 offset:168
.LBB21_95:
	s_or_b32 exec_lo, exec_lo, s4
	s_mov_b32 s5, -1
	s_waitcnt_vscnt null, 0x0
	s_barrier
	buffer_gl0_inv
.LBB21_96:
	s_and_b32 vcc_lo, exec_lo, s5
	s_cbranch_vccz .LBB21_98
; %bb.97:
	s_lshl_b64 s[4:5], s[6:7], 2
	v_mov_b32_e32 v45, 0
	s_add_u32 s4, s10, s4
	s_addc_u32 s5, s11, s5
	global_load_dword v45, v45, s[4:5]
	s_waitcnt vmcnt(0)
	v_cmp_ne_u32_e32 vcc_lo, 0, v45
	s_cbranch_vccz .LBB21_99
.LBB21_98:
	s_endpgm
.LBB21_99:
	v_lshl_add_u32 v45, v0, 3, 0xb0
	s_mov_b32 s4, exec_lo
	v_cmpx_eq_u32_e32 21, v0
	s_cbranch_execz .LBB21_101
; %bb.100:
	s_clause 0x1
	buffer_load_dword v46, off, s[0:3], 0 offset:160
	buffer_load_dword v47, off, s[0:3], 0 offset:164
	v_mov_b32_e32 v48, 0
	buffer_store_dword v48, off, s[0:3], 0 offset:160
	buffer_store_dword v48, off, s[0:3], 0 offset:164
	s_waitcnt vmcnt(0)
	ds_write_b64 v45, v[46:47]
.LBB21_101:
	s_or_b32 exec_lo, exec_lo, s4
	s_waitcnt lgkmcnt(0)
	s_waitcnt_vscnt null, 0x0
	s_barrier
	buffer_gl0_inv
	s_clause 0x3
	buffer_load_dword v47, off, s[0:3], 0 offset:168
	buffer_load_dword v48, off, s[0:3], 0 offset:172
	;; [unrolled: 1-line block ×4, first 2 shown]
	v_mov_b32_e32 v46, 0
	s_mov_b32 s4, exec_lo
	ds_read_b64 v[51:52], v46 offset:344
	s_waitcnt vmcnt(2) lgkmcnt(0)
	v_fma_f64 v[47:48], v[47:48], v[51:52], 0
	s_waitcnt vmcnt(0)
	v_add_f64 v[47:48], v[49:50], -v[47:48]
	buffer_store_dword v47, off, s[0:3], 0 offset:160
	buffer_store_dword v48, off, s[0:3], 0 offset:164
	v_cmpx_lt_u32_e32 19, v0
	s_cbranch_execz .LBB21_103
; %bb.102:
	s_clause 0x1
	buffer_load_dword v47, off, s[0:3], 0 offset:152
	buffer_load_dword v48, off, s[0:3], 0 offset:156
	buffer_store_dword v46, off, s[0:3], 0 offset:152
	buffer_store_dword v46, off, s[0:3], 0 offset:156
	s_waitcnt vmcnt(0)
	ds_write_b64 v45, v[47:48]
.LBB21_103:
	s_or_b32 exec_lo, exec_lo, s4
	s_waitcnt lgkmcnt(0)
	s_waitcnt_vscnt null, 0x0
	s_barrier
	buffer_gl0_inv
	s_clause 0x5
	buffer_load_dword v50, off, s[0:3], 0 offset:160
	buffer_load_dword v51, off, s[0:3], 0 offset:164
	;; [unrolled: 1-line block ×6, first 2 shown]
	ds_read_b128 v[46:49], v46 offset:336
	s_mov_b32 s4, exec_lo
	s_waitcnt vmcnt(4) lgkmcnt(0)
	v_fma_f64 v[46:47], v[50:51], v[46:47], 0
	s_waitcnt vmcnt(2)
	v_fma_f64 v[46:47], v[52:53], v[48:49], v[46:47]
	s_waitcnt vmcnt(0)
	v_add_f64 v[46:47], v[54:55], -v[46:47]
	buffer_store_dword v46, off, s[0:3], 0 offset:152
	buffer_store_dword v47, off, s[0:3], 0 offset:156
	v_cmpx_lt_u32_e32 18, v0
	s_cbranch_execz .LBB21_105
; %bb.104:
	s_clause 0x1
	buffer_load_dword v46, off, s[0:3], 0 offset:144
	buffer_load_dword v47, off, s[0:3], 0 offset:148
	v_mov_b32_e32 v48, 0
	buffer_store_dword v48, off, s[0:3], 0 offset:144
	buffer_store_dword v48, off, s[0:3], 0 offset:148
	s_waitcnt vmcnt(0)
	ds_write_b64 v45, v[46:47]
.LBB21_105:
	s_or_b32 exec_lo, exec_lo, s4
	s_waitcnt lgkmcnt(0)
	s_waitcnt_vscnt null, 0x0
	s_barrier
	buffer_gl0_inv
	s_clause 0x7
	buffer_load_dword v51, off, s[0:3], 0 offset:152
	buffer_load_dword v52, off, s[0:3], 0 offset:156
	;; [unrolled: 1-line block ×8, first 2 shown]
	v_mov_b32_e32 v46, 0
	ds_read2_b64 v[47:50], v46 offset0:41 offset1:42
	ds_read_b64 v[59:60], v46 offset:344
	s_mov_b32 s4, exec_lo
	s_waitcnt vmcnt(6) lgkmcnt(1)
	v_fma_f64 v[47:48], v[51:52], v[47:48], 0
	s_waitcnt vmcnt(4)
	v_fma_f64 v[47:48], v[53:54], v[49:50], v[47:48]
	s_waitcnt vmcnt(2) lgkmcnt(0)
	v_fma_f64 v[47:48], v[55:56], v[59:60], v[47:48]
	s_waitcnt vmcnt(0)
	v_add_f64 v[47:48], v[57:58], -v[47:48]
	buffer_store_dword v47, off, s[0:3], 0 offset:144
	buffer_store_dword v48, off, s[0:3], 0 offset:148
	v_cmpx_lt_u32_e32 17, v0
	s_cbranch_execz .LBB21_107
; %bb.106:
	s_clause 0x1
	buffer_load_dword v47, off, s[0:3], 0 offset:136
	buffer_load_dword v48, off, s[0:3], 0 offset:140
	buffer_store_dword v46, off, s[0:3], 0 offset:136
	buffer_store_dword v46, off, s[0:3], 0 offset:140
	s_waitcnt vmcnt(0)
	ds_write_b64 v45, v[47:48]
.LBB21_107:
	s_or_b32 exec_lo, exec_lo, s4
	s_waitcnt lgkmcnt(0)
	s_waitcnt_vscnt null, 0x0
	s_barrier
	buffer_gl0_inv
	s_clause 0x9
	buffer_load_dword v55, off, s[0:3], 0 offset:144
	buffer_load_dword v56, off, s[0:3], 0 offset:148
	;; [unrolled: 1-line block ×10, first 2 shown]
	ds_read_b128 v[47:50], v46 offset:320
	ds_read_b128 v[51:54], v46 offset:336
	s_mov_b32 s4, exec_lo
	s_waitcnt vmcnt(8) lgkmcnt(1)
	v_fma_f64 v[46:47], v[55:56], v[47:48], 0
	s_waitcnt vmcnt(6)
	v_fma_f64 v[46:47], v[57:58], v[49:50], v[46:47]
	s_waitcnt vmcnt(4) lgkmcnt(0)
	v_fma_f64 v[46:47], v[59:60], v[51:52], v[46:47]
	s_waitcnt vmcnt(2)
	v_fma_f64 v[46:47], v[61:62], v[53:54], v[46:47]
	s_waitcnt vmcnt(0)
	v_add_f64 v[46:47], v[63:64], -v[46:47]
	buffer_store_dword v46, off, s[0:3], 0 offset:136
	buffer_store_dword v47, off, s[0:3], 0 offset:140
	v_cmpx_lt_u32_e32 16, v0
	s_cbranch_execz .LBB21_109
; %bb.108:
	s_clause 0x1
	buffer_load_dword v46, off, s[0:3], 0 offset:128
	buffer_load_dword v47, off, s[0:3], 0 offset:132
	v_mov_b32_e32 v48, 0
	buffer_store_dword v48, off, s[0:3], 0 offset:128
	buffer_store_dword v48, off, s[0:3], 0 offset:132
	s_waitcnt vmcnt(0)
	ds_write_b64 v45, v[46:47]
.LBB21_109:
	s_or_b32 exec_lo, exec_lo, s4
	s_waitcnt lgkmcnt(0)
	s_waitcnt_vscnt null, 0x0
	s_barrier
	buffer_gl0_inv
	s_clause 0xb
	buffer_load_dword v55, off, s[0:3], 0 offset:136
	buffer_load_dword v56, off, s[0:3], 0 offset:140
	;; [unrolled: 1-line block ×12, first 2 shown]
	v_mov_b32_e32 v46, 0
	ds_read2_b64 v[47:50], v46 offset0:39 offset1:40
	ds_read2_b64 v[51:54], v46 offset0:41 offset1:42
	s_mov_b32 s4, exec_lo
	s_waitcnt vmcnt(10) lgkmcnt(1)
	v_fma_f64 v[47:48], v[55:56], v[47:48], 0
	s_waitcnt vmcnt(8)
	v_fma_f64 v[47:48], v[57:58], v[49:50], v[47:48]
	ds_read_b64 v[49:50], v46 offset:344
	s_waitcnt vmcnt(6) lgkmcnt(1)
	v_fma_f64 v[47:48], v[59:60], v[51:52], v[47:48]
	s_waitcnt vmcnt(4)
	v_fma_f64 v[47:48], v[61:62], v[53:54], v[47:48]
	s_waitcnt vmcnt(2) lgkmcnt(0)
	v_fma_f64 v[47:48], v[63:64], v[49:50], v[47:48]
	s_waitcnt vmcnt(0)
	v_add_f64 v[47:48], v[65:66], -v[47:48]
	buffer_store_dword v47, off, s[0:3], 0 offset:128
	buffer_store_dword v48, off, s[0:3], 0 offset:132
	v_cmpx_lt_u32_e32 15, v0
	s_cbranch_execz .LBB21_111
; %bb.110:
	s_clause 0x1
	buffer_load_dword v47, off, s[0:3], 0 offset:120
	buffer_load_dword v48, off, s[0:3], 0 offset:124
	buffer_store_dword v46, off, s[0:3], 0 offset:120
	buffer_store_dword v46, off, s[0:3], 0 offset:124
	s_waitcnt vmcnt(0)
	ds_write_b64 v45, v[47:48]
.LBB21_111:
	s_or_b32 exec_lo, exec_lo, s4
	s_waitcnt lgkmcnt(0)
	s_waitcnt_vscnt null, 0x0
	s_barrier
	buffer_gl0_inv
	s_clause 0xd
	buffer_load_dword v55, off, s[0:3], 0 offset:128
	buffer_load_dword v56, off, s[0:3], 0 offset:132
	;; [unrolled: 1-line block ×14, first 2 shown]
	ds_read_b128 v[47:50], v46 offset:304
	ds_read_b128 v[51:54], v46 offset:320
	s_mov_b32 s4, exec_lo
	s_waitcnt vmcnt(12) lgkmcnt(1)
	v_fma_f64 v[47:48], v[55:56], v[47:48], 0
	s_waitcnt vmcnt(10)
	v_fma_f64 v[47:48], v[57:58], v[49:50], v[47:48]
	s_waitcnt vmcnt(8) lgkmcnt(0)
	v_fma_f64 v[47:48], v[59:60], v[51:52], v[47:48]
	s_waitcnt vmcnt(6)
	v_fma_f64 v[50:51], v[61:62], v[53:54], v[47:48]
	ds_read_b128 v[46:49], v46 offset:336
	s_waitcnt vmcnt(4) lgkmcnt(0)
	v_fma_f64 v[46:47], v[63:64], v[46:47], v[50:51]
	s_waitcnt vmcnt(2)
	v_fma_f64 v[46:47], v[65:66], v[48:49], v[46:47]
	s_waitcnt vmcnt(0)
	v_add_f64 v[46:47], v[67:68], -v[46:47]
	buffer_store_dword v46, off, s[0:3], 0 offset:120
	buffer_store_dword v47, off, s[0:3], 0 offset:124
	v_cmpx_lt_u32_e32 14, v0
	s_cbranch_execz .LBB21_113
; %bb.112:
	s_clause 0x1
	buffer_load_dword v46, off, s[0:3], 0 offset:112
	buffer_load_dword v47, off, s[0:3], 0 offset:116
	v_mov_b32_e32 v48, 0
	buffer_store_dword v48, off, s[0:3], 0 offset:112
	buffer_store_dword v48, off, s[0:3], 0 offset:116
	s_waitcnt vmcnt(0)
	ds_write_b64 v45, v[46:47]
.LBB21_113:
	s_or_b32 exec_lo, exec_lo, s4
	s_waitcnt lgkmcnt(0)
	s_waitcnt_vscnt null, 0x0
	s_barrier
	buffer_gl0_inv
	s_clause 0xf
	buffer_load_dword v55, off, s[0:3], 0 offset:120
	buffer_load_dword v56, off, s[0:3], 0 offset:124
	;; [unrolled: 1-line block ×16, first 2 shown]
	v_mov_b32_e32 v46, 0
	ds_read2_b64 v[47:50], v46 offset0:37 offset1:38
	ds_read2_b64 v[51:54], v46 offset0:39 offset1:40
	s_mov_b32 s4, exec_lo
	s_waitcnt vmcnt(14) lgkmcnt(1)
	v_fma_f64 v[47:48], v[55:56], v[47:48], 0
	s_waitcnt vmcnt(12)
	v_fma_f64 v[47:48], v[57:58], v[49:50], v[47:48]
	s_waitcnt vmcnt(10) lgkmcnt(0)
	v_fma_f64 v[47:48], v[59:60], v[51:52], v[47:48]
	s_waitcnt vmcnt(8)
	v_fma_f64 v[51:52], v[61:62], v[53:54], v[47:48]
	ds_read2_b64 v[47:50], v46 offset0:41 offset1:42
	ds_read_b64 v[53:54], v46 offset:344
	s_waitcnt vmcnt(6) lgkmcnt(1)
	v_fma_f64 v[47:48], v[63:64], v[47:48], v[51:52]
	s_waitcnt vmcnt(4)
	v_fma_f64 v[47:48], v[65:66], v[49:50], v[47:48]
	s_waitcnt vmcnt(2) lgkmcnt(0)
	v_fma_f64 v[47:48], v[67:68], v[53:54], v[47:48]
	s_waitcnt vmcnt(0)
	v_add_f64 v[47:48], v[69:70], -v[47:48]
	buffer_store_dword v47, off, s[0:3], 0 offset:112
	buffer_store_dword v48, off, s[0:3], 0 offset:116
	v_cmpx_lt_u32_e32 13, v0
	s_cbranch_execz .LBB21_115
; %bb.114:
	s_clause 0x1
	buffer_load_dword v47, off, s[0:3], 0 offset:104
	buffer_load_dword v48, off, s[0:3], 0 offset:108
	buffer_store_dword v46, off, s[0:3], 0 offset:104
	buffer_store_dword v46, off, s[0:3], 0 offset:108
	s_waitcnt vmcnt(0)
	ds_write_b64 v45, v[47:48]
.LBB21_115:
	s_or_b32 exec_lo, exec_lo, s4
	s_waitcnt lgkmcnt(0)
	s_waitcnt_vscnt null, 0x0
	s_barrier
	buffer_gl0_inv
	s_clause 0x11
	buffer_load_dword v55, off, s[0:3], 0 offset:112
	buffer_load_dword v56, off, s[0:3], 0 offset:116
	;; [unrolled: 1-line block ×18, first 2 shown]
	ds_read_b128 v[47:50], v46 offset:288
	ds_read_b128 v[51:54], v46 offset:304
	s_mov_b32 s4, exec_lo
	s_waitcnt vmcnt(16) lgkmcnt(1)
	v_fma_f64 v[47:48], v[55:56], v[47:48], 0
	s_waitcnt vmcnt(14)
	v_fma_f64 v[47:48], v[57:58], v[49:50], v[47:48]
	s_waitcnt vmcnt(12) lgkmcnt(0)
	v_fma_f64 v[47:48], v[59:60], v[51:52], v[47:48]
	s_waitcnt vmcnt(10)
	v_fma_f64 v[55:56], v[61:62], v[53:54], v[47:48]
	ds_read_b128 v[47:50], v46 offset:320
	ds_read_b128 v[51:54], v46 offset:336
	s_waitcnt vmcnt(8) lgkmcnt(1)
	v_fma_f64 v[46:47], v[63:64], v[47:48], v[55:56]
	s_waitcnt vmcnt(6)
	v_fma_f64 v[46:47], v[65:66], v[49:50], v[46:47]
	s_waitcnt vmcnt(4) lgkmcnt(0)
	v_fma_f64 v[46:47], v[67:68], v[51:52], v[46:47]
	s_waitcnt vmcnt(2)
	v_fma_f64 v[46:47], v[69:70], v[53:54], v[46:47]
	s_waitcnt vmcnt(0)
	v_add_f64 v[46:47], v[71:72], -v[46:47]
	buffer_store_dword v46, off, s[0:3], 0 offset:104
	buffer_store_dword v47, off, s[0:3], 0 offset:108
	v_cmpx_lt_u32_e32 12, v0
	s_cbranch_execz .LBB21_117
; %bb.116:
	s_clause 0x1
	buffer_load_dword v46, off, s[0:3], 0 offset:96
	buffer_load_dword v47, off, s[0:3], 0 offset:100
	v_mov_b32_e32 v48, 0
	buffer_store_dword v48, off, s[0:3], 0 offset:96
	buffer_store_dword v48, off, s[0:3], 0 offset:100
	s_waitcnt vmcnt(0)
	ds_write_b64 v45, v[46:47]
.LBB21_117:
	s_or_b32 exec_lo, exec_lo, s4
	s_waitcnt lgkmcnt(0)
	s_waitcnt_vscnt null, 0x0
	s_barrier
	buffer_gl0_inv
	s_clause 0x13
	buffer_load_dword v55, off, s[0:3], 0 offset:104
	buffer_load_dword v56, off, s[0:3], 0 offset:108
	;; [unrolled: 1-line block ×20, first 2 shown]
	v_mov_b32_e32 v46, 0
	ds_read2_b64 v[47:50], v46 offset0:35 offset1:36
	ds_read2_b64 v[51:54], v46 offset0:37 offset1:38
	s_mov_b32 s4, exec_lo
	s_waitcnt vmcnt(18) lgkmcnt(1)
	v_fma_f64 v[47:48], v[55:56], v[47:48], 0
	s_waitcnt vmcnt(16)
	v_fma_f64 v[47:48], v[57:58], v[49:50], v[47:48]
	s_waitcnt vmcnt(14) lgkmcnt(0)
	v_fma_f64 v[47:48], v[59:60], v[51:52], v[47:48]
	s_waitcnt vmcnt(12)
	v_fma_f64 v[55:56], v[61:62], v[53:54], v[47:48]
	ds_read2_b64 v[47:50], v46 offset0:39 offset1:40
	ds_read2_b64 v[51:54], v46 offset0:41 offset1:42
	s_waitcnt vmcnt(10) lgkmcnt(1)
	v_fma_f64 v[47:48], v[63:64], v[47:48], v[55:56]
	s_waitcnt vmcnt(8)
	v_fma_f64 v[47:48], v[65:66], v[49:50], v[47:48]
	ds_read_b64 v[49:50], v46 offset:344
	s_waitcnt vmcnt(6) lgkmcnt(1)
	v_fma_f64 v[47:48], v[67:68], v[51:52], v[47:48]
	s_waitcnt vmcnt(3)
	v_fma_f64 v[47:48], v[69:70], v[53:54], v[47:48]
	s_waitcnt vmcnt(2) lgkmcnt(0)
	v_fma_f64 v[47:48], v[71:72], v[49:50], v[47:48]
	s_waitcnt vmcnt(0)
	v_add_f64 v[47:48], v[73:74], -v[47:48]
	buffer_store_dword v47, off, s[0:3], 0 offset:96
	buffer_store_dword v48, off, s[0:3], 0 offset:100
	v_cmpx_lt_u32_e32 11, v0
	s_cbranch_execz .LBB21_119
; %bb.118:
	s_clause 0x1
	buffer_load_dword v47, off, s[0:3], 0 offset:88
	buffer_load_dword v48, off, s[0:3], 0 offset:92
	buffer_store_dword v46, off, s[0:3], 0 offset:88
	buffer_store_dword v46, off, s[0:3], 0 offset:92
	s_waitcnt vmcnt(0)
	ds_write_b64 v45, v[47:48]
.LBB21_119:
	s_or_b32 exec_lo, exec_lo, s4
	s_waitcnt lgkmcnt(0)
	s_waitcnt_vscnt null, 0x0
	s_barrier
	buffer_gl0_inv
	s_clause 0x15
	buffer_load_dword v55, off, s[0:3], 0 offset:96
	buffer_load_dword v56, off, s[0:3], 0 offset:100
	;; [unrolled: 1-line block ×22, first 2 shown]
	ds_read_b128 v[47:50], v46 offset:272
	ds_read_b128 v[51:54], v46 offset:288
	s_mov_b32 s4, exec_lo
	s_waitcnt vmcnt(20) lgkmcnt(1)
	v_fma_f64 v[47:48], v[55:56], v[47:48], 0
	s_waitcnt vmcnt(18)
	v_fma_f64 v[47:48], v[57:58], v[49:50], v[47:48]
	s_waitcnt vmcnt(16) lgkmcnt(0)
	v_fma_f64 v[47:48], v[59:60], v[51:52], v[47:48]
	s_waitcnt vmcnt(14)
	v_fma_f64 v[55:56], v[61:62], v[53:54], v[47:48]
	ds_read_b128 v[47:50], v46 offset:304
	ds_read_b128 v[51:54], v46 offset:320
	s_waitcnt vmcnt(12) lgkmcnt(1)
	v_fma_f64 v[47:48], v[63:64], v[47:48], v[55:56]
	s_waitcnt vmcnt(10)
	v_fma_f64 v[47:48], v[65:66], v[49:50], v[47:48]
	s_waitcnt vmcnt(8) lgkmcnt(0)
	v_fma_f64 v[47:48], v[67:68], v[51:52], v[47:48]
	s_waitcnt vmcnt(4)
	v_fma_f64 v[50:51], v[69:70], v[53:54], v[47:48]
	ds_read_b128 v[46:49], v46 offset:336
	s_waitcnt vmcnt(3) lgkmcnt(0)
	v_fma_f64 v[46:47], v[73:74], v[46:47], v[50:51]
	s_waitcnt vmcnt(2)
	v_fma_f64 v[46:47], v[71:72], v[48:49], v[46:47]
	s_waitcnt vmcnt(0)
	v_add_f64 v[46:47], v[75:76], -v[46:47]
	buffer_store_dword v46, off, s[0:3], 0 offset:88
	buffer_store_dword v47, off, s[0:3], 0 offset:92
	v_cmpx_lt_u32_e32 10, v0
	s_cbranch_execz .LBB21_121
; %bb.120:
	s_clause 0x1
	buffer_load_dword v46, off, s[0:3], 0 offset:80
	buffer_load_dword v47, off, s[0:3], 0 offset:84
	v_mov_b32_e32 v48, 0
	buffer_store_dword v48, off, s[0:3], 0 offset:80
	buffer_store_dword v48, off, s[0:3], 0 offset:84
	s_waitcnt vmcnt(0)
	ds_write_b64 v45, v[46:47]
.LBB21_121:
	s_or_b32 exec_lo, exec_lo, s4
	s_waitcnt lgkmcnt(0)
	s_waitcnt_vscnt null, 0x0
	s_barrier
	buffer_gl0_inv
	s_clause 0x17
	buffer_load_dword v51, off, s[0:3], 0 offset:88
	buffer_load_dword v52, off, s[0:3], 0 offset:92
	;; [unrolled: 1-line block ×24, first 2 shown]
	v_mov_b32_e32 v46, 0
	s_mov_b32 s4, exec_lo
	ds_read2_b64 v[47:50], v46 offset0:33 offset1:34
	s_waitcnt vmcnt(22) lgkmcnt(0)
	v_fma_f64 v[47:48], v[51:52], v[47:48], 0
	s_waitcnt vmcnt(20)
	v_fma_f64 v[51:52], v[53:54], v[49:50], v[47:48]
	ds_read2_b64 v[47:50], v46 offset0:35 offset1:36
	s_waitcnt vmcnt(18) lgkmcnt(0)
	v_fma_f64 v[47:48], v[55:56], v[47:48], v[51:52]
	s_waitcnt vmcnt(16)
	v_fma_f64 v[51:52], v[57:58], v[49:50], v[47:48]
	;; [unrolled: 5-line block ×5, first 2 shown]
	ds_read_b64 v[49:50], v46 offset:344
	s_waitcnt vmcnt(2) lgkmcnt(0)
	v_fma_f64 v[47:48], v[71:72], v[49:50], v[47:48]
	s_waitcnt vmcnt(0)
	v_add_f64 v[47:48], v[73:74], -v[47:48]
	buffer_store_dword v48, off, s[0:3], 0 offset:84
	buffer_store_dword v47, off, s[0:3], 0 offset:80
	v_cmpx_lt_u32_e32 9, v0
	s_cbranch_execz .LBB21_123
; %bb.122:
	s_clause 0x1
	buffer_load_dword v47, off, s[0:3], 0 offset:72
	buffer_load_dword v48, off, s[0:3], 0 offset:76
	buffer_store_dword v46, off, s[0:3], 0 offset:72
	buffer_store_dword v46, off, s[0:3], 0 offset:76
	s_waitcnt vmcnt(0)
	ds_write_b64 v45, v[47:48]
.LBB21_123:
	s_or_b32 exec_lo, exec_lo, s4
	s_waitcnt lgkmcnt(0)
	s_waitcnt_vscnt null, 0x0
	s_barrier
	buffer_gl0_inv
	s_clause 0x19
	buffer_load_dword v51, off, s[0:3], 0 offset:80
	buffer_load_dword v52, off, s[0:3], 0 offset:84
	;; [unrolled: 1-line block ×26, first 2 shown]
	ds_read_b128 v[47:50], v46 offset:256
	s_mov_b32 s4, exec_lo
	s_waitcnt vmcnt(24) lgkmcnt(0)
	v_fma_f64 v[47:48], v[51:52], v[47:48], 0
	s_waitcnt vmcnt(22)
	v_fma_f64 v[51:52], v[53:54], v[49:50], v[47:48]
	ds_read_b128 v[47:50], v46 offset:272
	s_waitcnt vmcnt(20) lgkmcnt(0)
	v_fma_f64 v[47:48], v[55:56], v[47:48], v[51:52]
	s_waitcnt vmcnt(18)
	v_fma_f64 v[51:52], v[57:58], v[49:50], v[47:48]
	ds_read_b128 v[47:50], v46 offset:288
	s_waitcnt vmcnt(16) lgkmcnt(0)
	v_fma_f64 v[47:48], v[59:60], v[47:48], v[51:52]
	s_waitcnt vmcnt(14)
	v_fma_f64 v[51:52], v[61:62], v[49:50], v[47:48]
	ds_read_b128 v[47:50], v46 offset:304
	s_waitcnt vmcnt(12) lgkmcnt(0)
	v_fma_f64 v[47:48], v[63:64], v[47:48], v[51:52]
	s_waitcnt vmcnt(10)
	v_fma_f64 v[51:52], v[65:66], v[49:50], v[47:48]
	ds_read_b128 v[47:50], v46 offset:320
	s_waitcnt vmcnt(8) lgkmcnt(0)
	v_fma_f64 v[47:48], v[67:68], v[47:48], v[51:52]
	s_waitcnt vmcnt(6)
	v_fma_f64 v[50:51], v[69:70], v[49:50], v[47:48]
	ds_read_b128 v[46:49], v46 offset:336
	s_waitcnt vmcnt(4) lgkmcnt(0)
	v_fma_f64 v[46:47], v[71:72], v[46:47], v[50:51]
	s_waitcnt vmcnt(2)
	v_fma_f64 v[46:47], v[73:74], v[48:49], v[46:47]
	s_waitcnt vmcnt(0)
	v_add_f64 v[46:47], v[75:76], -v[46:47]
	buffer_store_dword v47, off, s[0:3], 0 offset:76
	buffer_store_dword v46, off, s[0:3], 0 offset:72
	v_cmpx_lt_u32_e32 8, v0
	s_cbranch_execz .LBB21_125
; %bb.124:
	s_clause 0x1
	buffer_load_dword v46, off, s[0:3], 0 offset:64
	buffer_load_dword v47, off, s[0:3], 0 offset:68
	v_mov_b32_e32 v48, 0
	buffer_store_dword v48, off, s[0:3], 0 offset:64
	buffer_store_dword v48, off, s[0:3], 0 offset:68
	s_waitcnt vmcnt(0)
	ds_write_b64 v45, v[46:47]
.LBB21_125:
	s_or_b32 exec_lo, exec_lo, s4
	s_waitcnt lgkmcnt(0)
	s_waitcnt_vscnt null, 0x0
	s_barrier
	buffer_gl0_inv
	s_clause 0x1b
	buffer_load_dword v51, off, s[0:3], 0 offset:72
	buffer_load_dword v52, off, s[0:3], 0 offset:76
	;; [unrolled: 1-line block ×28, first 2 shown]
	v_mov_b32_e32 v46, 0
	s_mov_b32 s4, exec_lo
	ds_read2_b64 v[47:50], v46 offset0:31 offset1:32
	s_waitcnt vmcnt(26) lgkmcnt(0)
	v_fma_f64 v[47:48], v[51:52], v[47:48], 0
	s_waitcnt vmcnt(24)
	v_fma_f64 v[51:52], v[53:54], v[49:50], v[47:48]
	ds_read2_b64 v[47:50], v46 offset0:33 offset1:34
	s_waitcnt vmcnt(22) lgkmcnt(0)
	v_fma_f64 v[47:48], v[55:56], v[47:48], v[51:52]
	s_waitcnt vmcnt(20)
	v_fma_f64 v[51:52], v[57:58], v[49:50], v[47:48]
	;; [unrolled: 5-line block ×6, first 2 shown]
	ds_read_b64 v[49:50], v46 offset:344
	s_waitcnt vmcnt(2) lgkmcnt(0)
	v_fma_f64 v[47:48], v[75:76], v[49:50], v[47:48]
	s_waitcnt vmcnt(0)
	v_add_f64 v[47:48], v[77:78], -v[47:48]
	buffer_store_dword v48, off, s[0:3], 0 offset:68
	buffer_store_dword v47, off, s[0:3], 0 offset:64
	v_cmpx_lt_u32_e32 7, v0
	s_cbranch_execz .LBB21_127
; %bb.126:
	s_clause 0x1
	buffer_load_dword v47, off, s[0:3], 0 offset:56
	buffer_load_dword v48, off, s[0:3], 0 offset:60
	buffer_store_dword v46, off, s[0:3], 0 offset:56
	buffer_store_dword v46, off, s[0:3], 0 offset:60
	s_waitcnt vmcnt(0)
	ds_write_b64 v45, v[47:48]
.LBB21_127:
	s_or_b32 exec_lo, exec_lo, s4
	s_waitcnt lgkmcnt(0)
	s_waitcnt_vscnt null, 0x0
	s_barrier
	buffer_gl0_inv
	s_clause 0x1b
	buffer_load_dword v55, off, s[0:3], 0 offset:64
	buffer_load_dword v56, off, s[0:3], 0 offset:68
	;; [unrolled: 1-line block ×28, first 2 shown]
	ds_read_b128 v[47:50], v46 offset:240
	s_clause 0x1
	buffer_load_dword v83, off, s[0:3], 0 offset:56
	buffer_load_dword v84, off, s[0:3], 0 offset:60
	ds_read_b128 v[51:54], v46 offset:256
	s_mov_b32 s4, exec_lo
	s_waitcnt vmcnt(28) lgkmcnt(1)
	v_fma_f64 v[47:48], v[55:56], v[47:48], 0
	s_waitcnt vmcnt(26)
	v_fma_f64 v[47:48], v[57:58], v[49:50], v[47:48]
	s_waitcnt vmcnt(24) lgkmcnt(0)
	v_fma_f64 v[47:48], v[59:60], v[51:52], v[47:48]
	s_waitcnt vmcnt(22)
	v_fma_f64 v[55:56], v[61:62], v[53:54], v[47:48]
	ds_read_b128 v[47:50], v46 offset:272
	ds_read_b128 v[51:54], v46 offset:288
	s_waitcnt vmcnt(20) lgkmcnt(1)
	v_fma_f64 v[47:48], v[63:64], v[47:48], v[55:56]
	s_waitcnt vmcnt(18)
	v_fma_f64 v[47:48], v[65:66], v[49:50], v[47:48]
	s_waitcnt vmcnt(16) lgkmcnt(0)
	v_fma_f64 v[47:48], v[67:68], v[51:52], v[47:48]
	s_waitcnt vmcnt(11)
	v_fma_f64 v[55:56], v[69:70], v[53:54], v[47:48]
	ds_read_b128 v[47:50], v46 offset:304
	ds_read_b128 v[51:54], v46 offset:320
	s_waitcnt vmcnt(10) lgkmcnt(1)
	v_fma_f64 v[47:48], v[75:76], v[47:48], v[55:56]
	s_waitcnt vmcnt(9)
	v_fma_f64 v[47:48], v[73:74], v[49:50], v[47:48]
	s_waitcnt vmcnt(8) lgkmcnt(0)
	v_fma_f64 v[47:48], v[71:72], v[51:52], v[47:48]
	s_waitcnt vmcnt(4)
	v_fma_f64 v[50:51], v[77:78], v[53:54], v[47:48]
	ds_read_b128 v[46:49], v46 offset:336
	s_waitcnt vmcnt(3) lgkmcnt(0)
	v_fma_f64 v[46:47], v[81:82], v[46:47], v[50:51]
	s_waitcnt vmcnt(2)
	v_fma_f64 v[46:47], v[79:80], v[48:49], v[46:47]
	s_waitcnt vmcnt(0)
	v_add_f64 v[46:47], v[83:84], -v[46:47]
	buffer_store_dword v47, off, s[0:3], 0 offset:60
	buffer_store_dword v46, off, s[0:3], 0 offset:56
	v_cmpx_lt_u32_e32 6, v0
	s_cbranch_execz .LBB21_129
; %bb.128:
	s_clause 0x1
	buffer_load_dword v46, off, s[0:3], 0 offset:48
	buffer_load_dword v47, off, s[0:3], 0 offset:52
	v_mov_b32_e32 v48, 0
	buffer_store_dword v48, off, s[0:3], 0 offset:48
	buffer_store_dword v48, off, s[0:3], 0 offset:52
	s_waitcnt vmcnt(0)
	ds_write_b64 v45, v[46:47]
.LBB21_129:
	s_or_b32 exec_lo, exec_lo, s4
	s_waitcnt lgkmcnt(0)
	s_waitcnt_vscnt null, 0x0
	s_barrier
	buffer_gl0_inv
	s_clause 0x1c
	buffer_load_dword v55, off, s[0:3], 0 offset:56
	buffer_load_dword v56, off, s[0:3], 0 offset:60
	;; [unrolled: 1-line block ×29, first 2 shown]
	v_mov_b32_e32 v46, 0
	buffer_load_dword v80, off, s[0:3], 0 offset:172
	s_mov_b32 s4, exec_lo
	ds_read2_b64 v[47:50], v46 offset0:29 offset1:30
	ds_read2_b64 v[51:54], v46 offset0:31 offset1:32
	s_waitcnt vmcnt(28) lgkmcnt(1)
	v_fma_f64 v[47:48], v[55:56], v[47:48], 0
	s_clause 0x1
	buffer_load_dword v55, off, s[0:3], 0 offset:48
	buffer_load_dword v56, off, s[0:3], 0 offset:52
	s_waitcnt vmcnt(28)
	v_fma_f64 v[47:48], v[57:58], v[49:50], v[47:48]
	s_waitcnt vmcnt(26) lgkmcnt(0)
	v_fma_f64 v[47:48], v[59:60], v[51:52], v[47:48]
	s_waitcnt vmcnt(24)
	v_fma_f64 v[57:58], v[61:62], v[53:54], v[47:48]
	ds_read2_b64 v[47:50], v46 offset0:33 offset1:34
	ds_read2_b64 v[51:54], v46 offset0:35 offset1:36
	s_waitcnt vmcnt(22) lgkmcnt(1)
	v_fma_f64 v[47:48], v[63:64], v[47:48], v[57:58]
	s_waitcnt vmcnt(20)
	v_fma_f64 v[47:48], v[65:66], v[49:50], v[47:48]
	s_waitcnt vmcnt(18) lgkmcnt(0)
	v_fma_f64 v[47:48], v[67:68], v[51:52], v[47:48]
	s_waitcnt vmcnt(13)
	v_fma_f64 v[57:58], v[69:70], v[53:54], v[47:48]
	ds_read2_b64 v[47:50], v46 offset0:37 offset1:38
	ds_read2_b64 v[51:54], v46 offset0:39 offset1:40
	s_waitcnt vmcnt(12) lgkmcnt(1)
	v_fma_f64 v[47:48], v[75:76], v[47:48], v[57:58]
	s_waitcnt vmcnt(11)
	v_fma_f64 v[47:48], v[73:74], v[49:50], v[47:48]
	s_waitcnt vmcnt(10) lgkmcnt(0)
	v_fma_f64 v[47:48], v[71:72], v[51:52], v[47:48]
	s_waitcnt vmcnt(5)
	v_fma_f64 v[51:52], v[77:78], v[53:54], v[47:48]
	ds_read2_b64 v[47:50], v46 offset0:41 offset1:42
	ds_read_b64 v[53:54], v46 offset:344
	s_waitcnt vmcnt(4) lgkmcnt(1)
	v_fma_f64 v[47:48], v[83:84], v[47:48], v[51:52]
	s_waitcnt vmcnt(3)
	v_fma_f64 v[47:48], v[81:82], v[49:50], v[47:48]
	s_waitcnt vmcnt(2) lgkmcnt(0)
	v_fma_f64 v[47:48], v[79:80], v[53:54], v[47:48]
	s_waitcnt vmcnt(0)
	v_add_f64 v[47:48], v[55:56], -v[47:48]
	buffer_store_dword v48, off, s[0:3], 0 offset:52
	buffer_store_dword v47, off, s[0:3], 0 offset:48
	v_cmpx_lt_u32_e32 5, v0
	s_cbranch_execz .LBB21_131
; %bb.130:
	s_clause 0x1
	buffer_load_dword v47, off, s[0:3], 0 offset:40
	buffer_load_dword v48, off, s[0:3], 0 offset:44
	buffer_store_dword v46, off, s[0:3], 0 offset:40
	buffer_store_dword v46, off, s[0:3], 0 offset:44
	s_waitcnt vmcnt(0)
	ds_write_b64 v45, v[47:48]
.LBB21_131:
	s_or_b32 exec_lo, exec_lo, s4
	s_waitcnt lgkmcnt(0)
	s_waitcnt_vscnt null, 0x0
	s_barrier
	buffer_gl0_inv
	s_clause 0x1c
	buffer_load_dword v55, off, s[0:3], 0 offset:48
	buffer_load_dword v56, off, s[0:3], 0 offset:52
	;; [unrolled: 1-line block ×29, first 2 shown]
	ds_read_b128 v[47:50], v46 offset:224
	ds_read_b128 v[51:54], v46 offset:240
	buffer_load_dword v80, off, s[0:3], 0 offset:164
	s_mov_b32 s4, exec_lo
	s_waitcnt vmcnt(28) lgkmcnt(1)
	v_fma_f64 v[47:48], v[55:56], v[47:48], 0
	s_clause 0x1
	buffer_load_dword v56, off, s[0:3], 0 offset:172
	buffer_load_dword v55, off, s[0:3], 0 offset:168
	s_waitcnt vmcnt(28)
	v_fma_f64 v[47:48], v[57:58], v[49:50], v[47:48]
	s_clause 0x1
	buffer_load_dword v57, off, s[0:3], 0 offset:40
	buffer_load_dword v58, off, s[0:3], 0 offset:44
	s_waitcnt vmcnt(28) lgkmcnt(0)
	v_fma_f64 v[47:48], v[59:60], v[51:52], v[47:48]
	s_waitcnt vmcnt(26)
	v_fma_f64 v[59:60], v[61:62], v[53:54], v[47:48]
	ds_read_b128 v[47:50], v46 offset:256
	ds_read_b128 v[51:54], v46 offset:272
	s_waitcnt vmcnt(24) lgkmcnt(1)
	v_fma_f64 v[47:48], v[63:64], v[47:48], v[59:60]
	s_waitcnt vmcnt(22)
	v_fma_f64 v[47:48], v[65:66], v[49:50], v[47:48]
	s_waitcnt vmcnt(20) lgkmcnt(0)
	v_fma_f64 v[47:48], v[67:68], v[51:52], v[47:48]
	s_waitcnt vmcnt(15)
	v_fma_f64 v[59:60], v[69:70], v[53:54], v[47:48]
	ds_read_b128 v[47:50], v46 offset:288
	ds_read_b128 v[51:54], v46 offset:304
	s_waitcnt vmcnt(14) lgkmcnt(1)
	v_fma_f64 v[47:48], v[75:76], v[47:48], v[59:60]
	s_waitcnt vmcnt(13)
	v_fma_f64 v[47:48], v[73:74], v[49:50], v[47:48]
	;; [unrolled: 10-line block ×3, first 2 shown]
	s_waitcnt vmcnt(4) lgkmcnt(0)
	v_fma_f64 v[46:47], v[79:80], v[51:52], v[46:47]
	s_waitcnt vmcnt(2)
	v_fma_f64 v[46:47], v[55:56], v[53:54], v[46:47]
	s_waitcnt vmcnt(0)
	v_add_f64 v[46:47], v[57:58], -v[46:47]
	buffer_store_dword v47, off, s[0:3], 0 offset:44
	buffer_store_dword v46, off, s[0:3], 0 offset:40
	v_cmpx_lt_u32_e32 4, v0
	s_cbranch_execz .LBB21_133
; %bb.132:
	s_clause 0x1
	buffer_load_dword v46, off, s[0:3], 0 offset:32
	buffer_load_dword v47, off, s[0:3], 0 offset:36
	v_mov_b32_e32 v48, 0
	buffer_store_dword v48, off, s[0:3], 0 offset:32
	buffer_store_dword v48, off, s[0:3], 0 offset:36
	s_waitcnt vmcnt(0)
	ds_write_b64 v45, v[46:47]
.LBB21_133:
	s_or_b32 exec_lo, exec_lo, s4
	s_waitcnt lgkmcnt(0)
	s_waitcnt_vscnt null, 0x0
	s_barrier
	buffer_gl0_inv
	s_clause 0x1c
	buffer_load_dword v55, off, s[0:3], 0 offset:40
	buffer_load_dword v56, off, s[0:3], 0 offset:44
	;; [unrolled: 1-line block ×29, first 2 shown]
	v_mov_b32_e32 v46, 0
	buffer_load_dword v80, off, s[0:3], 0 offset:156
	s_mov_b32 s4, exec_lo
	ds_read2_b64 v[47:50], v46 offset0:27 offset1:28
	ds_read2_b64 v[51:54], v46 offset0:29 offset1:30
	s_waitcnt vmcnt(28) lgkmcnt(1)
	v_fma_f64 v[47:48], v[55:56], v[47:48], 0
	s_clause 0x3
	buffer_load_dword v56, off, s[0:3], 0 offset:164
	buffer_load_dword v85, off, s[0:3], 0 offset:168
	buffer_load_dword v55, off, s[0:3], 0 offset:160
	buffer_load_dword v86, off, s[0:3], 0 offset:172
	s_waitcnt vmcnt(30)
	v_fma_f64 v[47:48], v[57:58], v[49:50], v[47:48]
	s_clause 0x1
	buffer_load_dword v57, off, s[0:3], 0 offset:32
	buffer_load_dword v58, off, s[0:3], 0 offset:36
	s_waitcnt vmcnt(30) lgkmcnt(0)
	v_fma_f64 v[47:48], v[59:60], v[51:52], v[47:48]
	s_waitcnt vmcnt(28)
	v_fma_f64 v[59:60], v[61:62], v[53:54], v[47:48]
	ds_read2_b64 v[47:50], v46 offset0:31 offset1:32
	ds_read2_b64 v[51:54], v46 offset0:33 offset1:34
	s_waitcnt vmcnt(26) lgkmcnt(1)
	v_fma_f64 v[47:48], v[63:64], v[47:48], v[59:60]
	s_waitcnt vmcnt(24)
	v_fma_f64 v[47:48], v[65:66], v[49:50], v[47:48]
	s_waitcnt vmcnt(22) lgkmcnt(0)
	v_fma_f64 v[47:48], v[67:68], v[51:52], v[47:48]
	s_waitcnt vmcnt(17)
	v_fma_f64 v[59:60], v[69:70], v[53:54], v[47:48]
	ds_read2_b64 v[47:50], v46 offset0:35 offset1:36
	ds_read2_b64 v[51:54], v46 offset0:37 offset1:38
	s_waitcnt vmcnt(16) lgkmcnt(1)
	v_fma_f64 v[47:48], v[75:76], v[47:48], v[59:60]
	s_waitcnt vmcnt(15)
	v_fma_f64 v[47:48], v[73:74], v[49:50], v[47:48]
	;; [unrolled: 10-line block ×3, first 2 shown]
	ds_read_b64 v[49:50], v46 offset:344
	s_waitcnt vmcnt(6) lgkmcnt(1)
	v_fma_f64 v[47:48], v[79:80], v[51:52], v[47:48]
	s_waitcnt vmcnt(3)
	v_fma_f64 v[47:48], v[55:56], v[53:54], v[47:48]
	s_waitcnt vmcnt(2) lgkmcnt(0)
	v_fma_f64 v[47:48], v[85:86], v[49:50], v[47:48]
	s_waitcnt vmcnt(0)
	v_add_f64 v[47:48], v[57:58], -v[47:48]
	buffer_store_dword v48, off, s[0:3], 0 offset:36
	buffer_store_dword v47, off, s[0:3], 0 offset:32
	v_cmpx_lt_u32_e32 3, v0
	s_cbranch_execz .LBB21_135
; %bb.134:
	s_clause 0x1
	buffer_load_dword v47, off, s[0:3], 0 offset:24
	buffer_load_dword v48, off, s[0:3], 0 offset:28
	buffer_store_dword v46, off, s[0:3], 0 offset:24
	buffer_store_dword v46, off, s[0:3], 0 offset:28
	s_waitcnt vmcnt(0)
	ds_write_b64 v45, v[47:48]
.LBB21_135:
	s_or_b32 exec_lo, exec_lo, s4
	s_waitcnt lgkmcnt(0)
	s_waitcnt_vscnt null, 0x0
	s_barrier
	buffer_gl0_inv
	s_clause 0x1c
	buffer_load_dword v55, off, s[0:3], 0 offset:32
	buffer_load_dword v56, off, s[0:3], 0 offset:36
	;; [unrolled: 1-line block ×29, first 2 shown]
	ds_read_b128 v[47:50], v46 offset:208
	ds_read_b128 v[51:54], v46 offset:224
	buffer_load_dword v80, off, s[0:3], 0 offset:148
	s_mov_b32 s4, exec_lo
	s_waitcnt vmcnt(28) lgkmcnt(1)
	v_fma_f64 v[47:48], v[55:56], v[47:48], 0
	s_clause 0x5
	buffer_load_dword v56, off, s[0:3], 0 offset:156
	buffer_load_dword v85, off, s[0:3], 0 offset:168
	;; [unrolled: 1-line block ×6, first 2 shown]
	s_waitcnt vmcnt(32)
	v_fma_f64 v[47:48], v[57:58], v[49:50], v[47:48]
	s_waitcnt vmcnt(30) lgkmcnt(0)
	v_fma_f64 v[47:48], v[59:60], v[51:52], v[47:48]
	s_waitcnt vmcnt(28)
	v_fma_f64 v[57:58], v[61:62], v[53:54], v[47:48]
	ds_read_b128 v[47:50], v46 offset:240
	s_clause 0x1
	buffer_load_dword v59, off, s[0:3], 0 offset:24
	buffer_load_dword v60, off, s[0:3], 0 offset:28
	ds_read_b128 v[51:54], v46 offset:256
	s_waitcnt vmcnt(28) lgkmcnt(1)
	v_fma_f64 v[47:48], v[63:64], v[47:48], v[57:58]
	s_waitcnt vmcnt(26)
	v_fma_f64 v[47:48], v[65:66], v[49:50], v[47:48]
	s_waitcnt vmcnt(24) lgkmcnt(0)
	v_fma_f64 v[47:48], v[67:68], v[51:52], v[47:48]
	s_waitcnt vmcnt(19)
	v_fma_f64 v[57:58], v[69:70], v[53:54], v[47:48]
	ds_read_b128 v[47:50], v46 offset:272
	ds_read_b128 v[51:54], v46 offset:288
	s_waitcnt vmcnt(18) lgkmcnt(1)
	v_fma_f64 v[47:48], v[75:76], v[47:48], v[57:58]
	s_waitcnt vmcnt(17)
	v_fma_f64 v[47:48], v[73:74], v[49:50], v[47:48]
	s_waitcnt vmcnt(16) lgkmcnt(0)
	v_fma_f64 v[47:48], v[71:72], v[51:52], v[47:48]
	s_waitcnt vmcnt(11)
	v_fma_f64 v[57:58], v[77:78], v[53:54], v[47:48]
	ds_read_b128 v[47:50], v46 offset:304
	;; [unrolled: 10-line block ×3, first 2 shown]
	s_waitcnt vmcnt(3) lgkmcnt(0)
	v_fma_f64 v[46:47], v[87:88], v[46:47], v[50:51]
	s_waitcnt vmcnt(2)
	v_fma_f64 v[46:47], v[85:86], v[48:49], v[46:47]
	s_waitcnt vmcnt(0)
	v_add_f64 v[46:47], v[59:60], -v[46:47]
	buffer_store_dword v47, off, s[0:3], 0 offset:28
	buffer_store_dword v46, off, s[0:3], 0 offset:24
	v_cmpx_lt_u32_e32 2, v0
	s_cbranch_execz .LBB21_137
; %bb.136:
	s_clause 0x1
	buffer_load_dword v46, off, s[0:3], 0 offset:16
	buffer_load_dword v47, off, s[0:3], 0 offset:20
	v_mov_b32_e32 v48, 0
	buffer_store_dword v48, off, s[0:3], 0 offset:16
	buffer_store_dword v48, off, s[0:3], 0 offset:20
	s_waitcnt vmcnt(0)
	ds_write_b64 v45, v[46:47]
.LBB21_137:
	s_or_b32 exec_lo, exec_lo, s4
	s_waitcnt lgkmcnt(0)
	s_waitcnt_vscnt null, 0x0
	s_barrier
	buffer_gl0_inv
	s_clause 0x1c
	buffer_load_dword v55, off, s[0:3], 0 offset:24
	buffer_load_dword v56, off, s[0:3], 0 offset:28
	;; [unrolled: 1-line block ×29, first 2 shown]
	v_mov_b32_e32 v46, 0
	buffer_load_dword v80, off, s[0:3], 0 offset:140
	s_mov_b32 s4, exec_lo
	ds_read2_b64 v[47:50], v46 offset0:25 offset1:26
	ds_read2_b64 v[51:54], v46 offset0:27 offset1:28
	s_waitcnt vmcnt(28) lgkmcnt(1)
	v_fma_f64 v[47:48], v[55:56], v[47:48], 0
	s_clause 0x7
	buffer_load_dword v56, off, s[0:3], 0 offset:148
	buffer_load_dword v85, off, s[0:3], 0 offset:168
	;; [unrolled: 1-line block ×8, first 2 shown]
	s_waitcnt vmcnt(34)
	v_fma_f64 v[47:48], v[57:58], v[49:50], v[47:48]
	s_waitcnt vmcnt(32) lgkmcnt(0)
	v_fma_f64 v[47:48], v[59:60], v[51:52], v[47:48]
	s_waitcnt vmcnt(30)
	v_fma_f64 v[57:58], v[61:62], v[53:54], v[47:48]
	ds_read2_b64 v[47:50], v46 offset0:29 offset1:30
	ds_read2_b64 v[51:54], v46 offset0:31 offset1:32
	s_waitcnt vmcnt(28) lgkmcnt(1)
	v_fma_f64 v[47:48], v[63:64], v[47:48], v[57:58]
	s_clause 0x1
	buffer_load_dword v57, off, s[0:3], 0 offset:16
	buffer_load_dword v58, off, s[0:3], 0 offset:20
	s_waitcnt vmcnt(28)
	v_fma_f64 v[47:48], v[65:66], v[49:50], v[47:48]
	s_waitcnt vmcnt(26) lgkmcnt(0)
	v_fma_f64 v[47:48], v[67:68], v[51:52], v[47:48]
	s_waitcnt vmcnt(21)
	v_fma_f64 v[59:60], v[69:70], v[53:54], v[47:48]
	ds_read2_b64 v[47:50], v46 offset0:33 offset1:34
	ds_read2_b64 v[51:54], v46 offset0:35 offset1:36
	s_waitcnt vmcnt(20) lgkmcnt(1)
	v_fma_f64 v[47:48], v[75:76], v[47:48], v[59:60]
	s_waitcnt vmcnt(19)
	v_fma_f64 v[47:48], v[73:74], v[49:50], v[47:48]
	s_waitcnt vmcnt(18) lgkmcnt(0)
	v_fma_f64 v[47:48], v[71:72], v[51:52], v[47:48]
	s_waitcnt vmcnt(13)
	v_fma_f64 v[59:60], v[77:78], v[53:54], v[47:48]
	ds_read2_b64 v[47:50], v46 offset0:37 offset1:38
	ds_read2_b64 v[51:54], v46 offset0:39 offset1:40
	s_waitcnt vmcnt(12) lgkmcnt(1)
	v_fma_f64 v[47:48], v[83:84], v[47:48], v[59:60]
	s_waitcnt vmcnt(11)
	v_fma_f64 v[47:48], v[81:82], v[49:50], v[47:48]
	s_waitcnt vmcnt(10) lgkmcnt(0)
	v_fma_f64 v[47:48], v[79:80], v[51:52], v[47:48]
	s_waitcnt vmcnt(5)
	v_fma_f64 v[51:52], v[55:56], v[53:54], v[47:48]
	ds_read2_b64 v[47:50], v46 offset0:41 offset1:42
	ds_read_b64 v[53:54], v46 offset:344
	s_waitcnt vmcnt(4) lgkmcnt(1)
	v_fma_f64 v[47:48], v[89:90], v[47:48], v[51:52]
	s_waitcnt vmcnt(3)
	v_fma_f64 v[47:48], v[87:88], v[49:50], v[47:48]
	s_waitcnt vmcnt(2) lgkmcnt(0)
	v_fma_f64 v[47:48], v[85:86], v[53:54], v[47:48]
	s_waitcnt vmcnt(0)
	v_add_f64 v[47:48], v[57:58], -v[47:48]
	buffer_store_dword v48, off, s[0:3], 0 offset:20
	buffer_store_dword v47, off, s[0:3], 0 offset:16
	v_cmpx_lt_u32_e32 1, v0
	s_cbranch_execz .LBB21_139
; %bb.138:
	s_clause 0x1
	buffer_load_dword v47, off, s[0:3], 0 offset:8
	buffer_load_dword v48, off, s[0:3], 0 offset:12
	buffer_store_dword v46, off, s[0:3], 0 offset:8
	buffer_store_dword v46, off, s[0:3], 0 offset:12
	s_waitcnt vmcnt(0)
	ds_write_b64 v45, v[47:48]
.LBB21_139:
	s_or_b32 exec_lo, exec_lo, s4
	s_waitcnt lgkmcnt(0)
	s_waitcnt_vscnt null, 0x0
	s_barrier
	buffer_gl0_inv
	s_clause 0x1c
	buffer_load_dword v55, off, s[0:3], 0 offset:16
	buffer_load_dword v56, off, s[0:3], 0 offset:20
	buffer_load_dword v57, off, s[0:3], 0 offset:24
	buffer_load_dword v58, off, s[0:3], 0 offset:28
	buffer_load_dword v59, off, s[0:3], 0 offset:32
	buffer_load_dword v60, off, s[0:3], 0 offset:36
	buffer_load_dword v61, off, s[0:3], 0 offset:40
	buffer_load_dword v62, off, s[0:3], 0 offset:44
	buffer_load_dword v63, off, s[0:3], 0 offset:48
	buffer_load_dword v64, off, s[0:3], 0 offset:52
	buffer_load_dword v65, off, s[0:3], 0 offset:56
	buffer_load_dword v66, off, s[0:3], 0 offset:60
	buffer_load_dword v67, off, s[0:3], 0 offset:64
	buffer_load_dword v68, off, s[0:3], 0 offset:68
	buffer_load_dword v70, off, s[0:3], 0 offset:76
	buffer_load_dword v71, off, s[0:3], 0 offset:96
	buffer_load_dword v73, off, s[0:3], 0 offset:88
	buffer_load_dword v75, off, s[0:3], 0 offset:80
	buffer_load_dword v69, off, s[0:3], 0 offset:72
	buffer_load_dword v76, off, s[0:3], 0 offset:84
	buffer_load_dword v74, off, s[0:3], 0 offset:92
	buffer_load_dword v72, off, s[0:3], 0 offset:100
	buffer_load_dword v78, off, s[0:3], 0 offset:108
	buffer_load_dword v79, off, s[0:3], 0 offset:128
	buffer_load_dword v81, off, s[0:3], 0 offset:120
	buffer_load_dword v83, off, s[0:3], 0 offset:112
	buffer_load_dword v77, off, s[0:3], 0 offset:104
	buffer_load_dword v84, off, s[0:3], 0 offset:116
	buffer_load_dword v82, off, s[0:3], 0 offset:124
	ds_read_b128 v[47:50], v46 offset:192
	ds_read_b128 v[51:54], v46 offset:208
	buffer_load_dword v80, off, s[0:3], 0 offset:132
	s_mov_b32 s4, exec_lo
	s_waitcnt vmcnt(28) lgkmcnt(1)
	v_fma_f64 v[47:48], v[55:56], v[47:48], 0
	s_clause 0x7
	buffer_load_dword v56, off, s[0:3], 0 offset:140
	buffer_load_dword v85, off, s[0:3], 0 offset:160
	;; [unrolled: 1-line block ×8, first 2 shown]
	s_waitcnt vmcnt(34)
	v_fma_f64 v[47:48], v[57:58], v[49:50], v[47:48]
	s_waitcnt vmcnt(32) lgkmcnt(0)
	v_fma_f64 v[47:48], v[59:60], v[51:52], v[47:48]
	s_waitcnt vmcnt(30)
	v_fma_f64 v[57:58], v[61:62], v[53:54], v[47:48]
	ds_read_b128 v[47:50], v46 offset:224
	ds_read_b128 v[51:54], v46 offset:240
	s_waitcnt vmcnt(28) lgkmcnt(1)
	v_fma_f64 v[47:48], v[63:64], v[47:48], v[57:58]
	s_clause 0x3
	buffer_load_dword v58, off, s[0:3], 0 offset:172
	buffer_load_dword v57, off, s[0:3], 0 offset:168
	;; [unrolled: 1-line block ×4, first 2 shown]
	s_waitcnt vmcnt(30)
	v_fma_f64 v[47:48], v[65:66], v[49:50], v[47:48]
	s_waitcnt vmcnt(28) lgkmcnt(0)
	v_fma_f64 v[47:48], v[67:68], v[51:52], v[47:48]
	s_waitcnt vmcnt(23)
	v_fma_f64 v[61:62], v[69:70], v[53:54], v[47:48]
	ds_read_b128 v[47:50], v46 offset:256
	ds_read_b128 v[51:54], v46 offset:272
	s_waitcnt vmcnt(22) lgkmcnt(1)
	v_fma_f64 v[47:48], v[75:76], v[47:48], v[61:62]
	s_waitcnt vmcnt(21)
	v_fma_f64 v[47:48], v[73:74], v[49:50], v[47:48]
	s_waitcnt vmcnt(20) lgkmcnt(0)
	v_fma_f64 v[47:48], v[71:72], v[51:52], v[47:48]
	s_waitcnt vmcnt(15)
	v_fma_f64 v[61:62], v[77:78], v[53:54], v[47:48]
	ds_read_b128 v[47:50], v46 offset:288
	ds_read_b128 v[51:54], v46 offset:304
	s_waitcnt vmcnt(14) lgkmcnt(1)
	v_fma_f64 v[47:48], v[83:84], v[47:48], v[61:62]
	;; [unrolled: 10-line block ×3, first 2 shown]
	s_waitcnt vmcnt(5)
	v_fma_f64 v[46:47], v[87:88], v[49:50], v[46:47]
	s_waitcnt vmcnt(4) lgkmcnt(0)
	v_fma_f64 v[46:47], v[85:86], v[51:52], v[46:47]
	s_waitcnt vmcnt(2)
	v_fma_f64 v[46:47], v[57:58], v[53:54], v[46:47]
	s_waitcnt vmcnt(0)
	v_add_f64 v[46:47], v[59:60], -v[46:47]
	buffer_store_dword v47, off, s[0:3], 0 offset:12
	buffer_store_dword v46, off, s[0:3], 0 offset:8
	v_cmpx_ne_u32_e32 0, v0
	s_cbranch_execz .LBB21_141
; %bb.140:
	s_clause 0x1
	buffer_load_dword v46, off, s[0:3], 0
	buffer_load_dword v47, off, s[0:3], 0 offset:4
	v_mov_b32_e32 v0, 0
	buffer_store_dword v0, off, s[0:3], 0
	buffer_store_dword v0, off, s[0:3], 0 offset:4
	s_waitcnt vmcnt(0)
	ds_write_b64 v45, v[46:47]
.LBB21_141:
	s_or_b32 exec_lo, exec_lo, s4
	s_waitcnt lgkmcnt(0)
	s_waitcnt_vscnt null, 0x0
	s_barrier
	buffer_gl0_inv
	s_clause 0x1c
	buffer_load_dword v53, off, s[0:3], 0 offset:8
	buffer_load_dword v54, off, s[0:3], 0 offset:12
	;; [unrolled: 1-line block ×29, first 2 shown]
	v_mov_b32_e32 v0, 0
	buffer_load_dword v78, off, s[0:3], 0 offset:124
	s_and_b32 vcc_lo, exec_lo, s22
	ds_read2_b64 v[45:48], v0 offset0:23 offset1:24
	ds_read2_b64 v[49:52], v0 offset0:25 offset1:26
	s_clause 0x7
	buffer_load_dword v84, off, s[0:3], 0 offset:132
	buffer_load_dword v85, off, s[0:3], 0 offset:152
	;; [unrolled: 1-line block ×8, first 2 shown]
	s_waitcnt vmcnt(36) lgkmcnt(1)
	v_fma_f64 v[45:46], v[53:54], v[45:46], 0
	s_waitcnt vmcnt(34)
	v_fma_f64 v[45:46], v[55:56], v[47:48], v[45:46]
	s_waitcnt vmcnt(32) lgkmcnt(0)
	v_fma_f64 v[45:46], v[57:58], v[49:50], v[45:46]
	ds_read2_b64 v[47:50], v0 offset0:27 offset1:28
	s_waitcnt vmcnt(30)
	v_fma_f64 v[45:46], v[59:60], v[51:52], v[45:46]
	ds_read2_b64 v[51:54], v0 offset0:29 offset1:30
	s_waitcnt vmcnt(28) lgkmcnt(1)
	v_fma_f64 v[45:46], v[61:62], v[47:48], v[45:46]
	s_clause 0x5
	buffer_load_dword v48, off, s[0:3], 0 offset:164
	buffer_load_dword v57, off, s[0:3], 0 offset:168
	;; [unrolled: 1-line block ×4, first 2 shown]
	buffer_load_dword v59, off, s[0:3], 0
	buffer_load_dword v60, off, s[0:3], 0 offset:4
	s_waitcnt vmcnt(32)
	v_fma_f64 v[45:46], v[63:64], v[49:50], v[45:46]
	s_waitcnt vmcnt(30) lgkmcnt(0)
	v_fma_f64 v[45:46], v[65:66], v[51:52], v[45:46]
	s_waitcnt vmcnt(25)
	v_fma_f64 v[45:46], v[67:68], v[53:54], v[45:46]
	ds_read2_b64 v[49:52], v0 offset0:31 offset1:32
	ds_read2_b64 v[53:56], v0 offset0:33 offset1:34
	s_waitcnt vmcnt(24) lgkmcnt(1)
	v_fma_f64 v[45:46], v[73:74], v[49:50], v[45:46]
	s_waitcnt vmcnt(23)
	v_fma_f64 v[45:46], v[71:72], v[51:52], v[45:46]
	s_waitcnt vmcnt(22) lgkmcnt(0)
	v_fma_f64 v[45:46], v[69:70], v[53:54], v[45:46]
	s_waitcnt vmcnt(17)
	v_fma_f64 v[45:46], v[75:76], v[55:56], v[45:46]
	ds_read2_b64 v[49:52], v0 offset0:35 offset1:36
	ds_read2_b64 v[53:56], v0 offset0:37 offset1:38
	s_waitcnt vmcnt(16) lgkmcnt(1)
	v_fma_f64 v[45:46], v[81:82], v[49:50], v[45:46]
	;; [unrolled: 10-line block ×3, first 2 shown]
	ds_read_b64 v[49:50], v0 offset:344
	s_waitcnt vmcnt(7)
	v_fma_f64 v[45:46], v[87:88], v[51:52], v[45:46]
	s_waitcnt vmcnt(6) lgkmcnt(1)
	v_fma_f64 v[45:46], v[85:86], v[53:54], v[45:46]
	s_waitcnt vmcnt(3)
	v_fma_f64 v[45:46], v[47:48], v[55:56], v[45:46]
	s_waitcnt vmcnt(2) lgkmcnt(0)
	v_fma_f64 v[45:46], v[57:58], v[49:50], v[45:46]
	s_waitcnt vmcnt(0)
	v_add_f64 v[45:46], v[59:60], -v[45:46]
	buffer_store_dword v46, off, s[0:3], 0 offset:4
	buffer_store_dword v45, off, s[0:3], 0
	s_cbranch_vccz .LBB21_184
; %bb.142:
	global_load_dword v0, v0, s[20:21] offset:80
	s_waitcnt vmcnt(0)
	v_add_nc_u32_e32 v0, -1, v0
	v_cmp_ne_u32_e32 vcc_lo, 20, v0
	s_cbranch_vccz .LBB21_144
; %bb.143:
	v_lshlrev_b32_e32 v0, 3, v0
	s_clause 0x1
	buffer_load_dword v45, v0, s[0:3], 0 offen offset:4
	buffer_load_dword v46, v0, s[0:3], 0 offen
	s_waitcnt vmcnt(1)
	buffer_store_dword v45, off, s[0:3], 0 offset:164
	s_waitcnt vmcnt(0)
	buffer_store_dword v46, off, s[0:3], 0 offset:160
	buffer_store_dword v48, v0, s[0:3], 0 offen offset:4
	buffer_store_dword v47, v0, s[0:3], 0 offen
.LBB21_144:
	v_mov_b32_e32 v0, 0
	global_load_dword v45, v0, s[20:21] offset:76
	s_waitcnt vmcnt(0)
	v_add_nc_u32_e32 v45, -1, v45
	v_cmp_eq_u32_e32 vcc_lo, 19, v45
	s_cbranch_vccnz .LBB21_146
; %bb.145:
	v_lshlrev_b32_e32 v45, 3, v45
	s_clause 0x3
	buffer_load_dword v46, v45, s[0:3], 0 offen
	buffer_load_dword v47, v45, s[0:3], 0 offen offset:4
	buffer_load_dword v48, off, s[0:3], 0 offset:152
	buffer_load_dword v49, off, s[0:3], 0 offset:156
	s_waitcnt vmcnt(3)
	buffer_store_dword v46, off, s[0:3], 0 offset:152
	s_waitcnt vmcnt(2)
	buffer_store_dword v47, off, s[0:3], 0 offset:156
	s_waitcnt vmcnt(1)
	buffer_store_dword v48, v45, s[0:3], 0 offen
	s_waitcnt vmcnt(0)
	buffer_store_dword v49, v45, s[0:3], 0 offen offset:4
.LBB21_146:
	global_load_dword v0, v0, s[20:21] offset:72
	s_waitcnt vmcnt(0)
	v_add_nc_u32_e32 v0, -1, v0
	v_cmp_eq_u32_e32 vcc_lo, 18, v0
	s_cbranch_vccnz .LBB21_148
; %bb.147:
	v_lshlrev_b32_e32 v0, 3, v0
	s_clause 0x3
	buffer_load_dword v45, v0, s[0:3], 0 offen
	buffer_load_dword v46, v0, s[0:3], 0 offen offset:4
	buffer_load_dword v47, off, s[0:3], 0 offset:148
	buffer_load_dword v48, off, s[0:3], 0 offset:144
	s_waitcnt vmcnt(3)
	buffer_store_dword v45, off, s[0:3], 0 offset:144
	s_waitcnt vmcnt(2)
	buffer_store_dword v46, off, s[0:3], 0 offset:148
	s_waitcnt vmcnt(1)
	buffer_store_dword v47, v0, s[0:3], 0 offen offset:4
	s_waitcnt vmcnt(0)
	buffer_store_dword v48, v0, s[0:3], 0 offen
.LBB21_148:
	v_mov_b32_e32 v0, 0
	global_load_dword v45, v0, s[20:21] offset:68
	s_waitcnt vmcnt(0)
	v_add_nc_u32_e32 v45, -1, v45
	v_cmp_eq_u32_e32 vcc_lo, 17, v45
	s_cbranch_vccnz .LBB21_150
; %bb.149:
	v_lshlrev_b32_e32 v45, 3, v45
	s_clause 0x3
	buffer_load_dword v46, v45, s[0:3], 0 offen
	buffer_load_dword v47, v45, s[0:3], 0 offen offset:4
	buffer_load_dword v48, off, s[0:3], 0 offset:136
	buffer_load_dword v49, off, s[0:3], 0 offset:140
	s_waitcnt vmcnt(3)
	buffer_store_dword v46, off, s[0:3], 0 offset:136
	s_waitcnt vmcnt(2)
	buffer_store_dword v47, off, s[0:3], 0 offset:140
	s_waitcnt vmcnt(1)
	buffer_store_dword v48, v45, s[0:3], 0 offen
	s_waitcnt vmcnt(0)
	buffer_store_dword v49, v45, s[0:3], 0 offen offset:4
.LBB21_150:
	global_load_dword v0, v0, s[20:21] offset:64
	s_waitcnt vmcnt(0)
	v_add_nc_u32_e32 v0, -1, v0
	v_cmp_eq_u32_e32 vcc_lo, 16, v0
	s_cbranch_vccnz .LBB21_152
; %bb.151:
	v_lshlrev_b32_e32 v0, 3, v0
	s_clause 0x3
	buffer_load_dword v45, v0, s[0:3], 0 offen
	buffer_load_dword v46, v0, s[0:3], 0 offen offset:4
	buffer_load_dword v47, off, s[0:3], 0 offset:132
	buffer_load_dword v48, off, s[0:3], 0 offset:128
	s_waitcnt vmcnt(3)
	buffer_store_dword v45, off, s[0:3], 0 offset:128
	s_waitcnt vmcnt(2)
	buffer_store_dword v46, off, s[0:3], 0 offset:132
	s_waitcnt vmcnt(1)
	buffer_store_dword v47, v0, s[0:3], 0 offen offset:4
	s_waitcnt vmcnt(0)
	buffer_store_dword v48, v0, s[0:3], 0 offen
.LBB21_152:
	;; [unrolled: 43-line block ×9, first 2 shown]
	v_mov_b32_e32 v0, 0
	global_load_dword v45, v0, s[20:21] offset:4
	s_waitcnt vmcnt(0)
	v_add_nc_u32_e32 v45, -1, v45
	v_cmp_eq_u32_e32 vcc_lo, 1, v45
	s_cbranch_vccnz .LBB21_182
; %bb.181:
	v_lshlrev_b32_e32 v45, 3, v45
	s_clause 0x3
	buffer_load_dword v46, v45, s[0:3], 0 offen
	buffer_load_dword v47, v45, s[0:3], 0 offen offset:4
	buffer_load_dword v48, off, s[0:3], 0 offset:8
	buffer_load_dword v49, off, s[0:3], 0 offset:12
	s_waitcnt vmcnt(3)
	buffer_store_dword v46, off, s[0:3], 0 offset:8
	s_waitcnt vmcnt(2)
	buffer_store_dword v47, off, s[0:3], 0 offset:12
	s_waitcnt vmcnt(1)
	buffer_store_dword v48, v45, s[0:3], 0 offen
	s_waitcnt vmcnt(0)
	buffer_store_dword v49, v45, s[0:3], 0 offen offset:4
.LBB21_182:
	global_load_dword v0, v0, s[20:21]
	s_clause 0x1
	buffer_load_dword v45, off, s[0:3], 0
	buffer_load_dword v46, off, s[0:3], 0 offset:4
	s_waitcnt vmcnt(2)
	v_add_nc_u32_e32 v0, -1, v0
	v_cmp_eq_u32_e32 vcc_lo, 0, v0
	s_cbranch_vccnz .LBB21_184
; %bb.183:
	v_lshlrev_b32_e32 v0, 3, v0
	s_clause 0x1
	buffer_load_dword v47, v0, s[0:3], 0 offen offset:4
	buffer_load_dword v48, v0, s[0:3], 0 offen
	s_waitcnt vmcnt(1)
	buffer_store_dword v47, off, s[0:3], 0 offset:4
	s_waitcnt vmcnt(0)
	buffer_store_dword v48, off, s[0:3], 0
	buffer_store_dword v46, v0, s[0:3], 0 offen offset:4
	buffer_store_dword v45, v0, s[0:3], 0 offen
	s_clause 0x1
	buffer_load_dword v45, off, s[0:3], 0
	buffer_load_dword v46, off, s[0:3], 0 offset:4
.LBB21_184:
	s_clause 0x29
	buffer_load_dword v47, off, s[0:3], 0 offset:8
	buffer_load_dword v48, off, s[0:3], 0 offset:12
	;; [unrolled: 1-line block ×42, first 2 shown]
	s_waitcnt vmcnt(42)
	global_store_dwordx2 v[1:2], v[45:46], off
	s_waitcnt vmcnt(40)
	global_store_dwordx2 v[3:4], v[47:48], off
	;; [unrolled: 2-line block ×22, first 2 shown]
	s_endpgm
	.section	.rodata,"a",@progbits
	.p2align	6, 0x0
	.amdhsa_kernel _ZN9rocsolver6v33100L18getri_kernel_smallILi22EdPdEEvT1_iilPiilS4_bb
		.amdhsa_group_segment_fixed_size 360
		.amdhsa_private_segment_fixed_size 192
		.amdhsa_kernarg_size 60
		.amdhsa_user_sgpr_count 6
		.amdhsa_user_sgpr_private_segment_buffer 1
		.amdhsa_user_sgpr_dispatch_ptr 0
		.amdhsa_user_sgpr_queue_ptr 0
		.amdhsa_user_sgpr_kernarg_segment_ptr 1
		.amdhsa_user_sgpr_dispatch_id 0
		.amdhsa_user_sgpr_flat_scratch_init 0
		.amdhsa_user_sgpr_private_segment_size 0
		.amdhsa_wavefront_size32 1
		.amdhsa_uses_dynamic_stack 0
		.amdhsa_system_sgpr_private_segment_wavefront_offset 1
		.amdhsa_system_sgpr_workgroup_id_x 1
		.amdhsa_system_sgpr_workgroup_id_y 0
		.amdhsa_system_sgpr_workgroup_id_z 0
		.amdhsa_system_sgpr_workgroup_info 0
		.amdhsa_system_vgpr_workitem_id 0
		.amdhsa_next_free_vgpr 91
		.amdhsa_next_free_sgpr 23
		.amdhsa_reserve_vcc 1
		.amdhsa_reserve_flat_scratch 0
		.amdhsa_float_round_mode_32 0
		.amdhsa_float_round_mode_16_64 0
		.amdhsa_float_denorm_mode_32 3
		.amdhsa_float_denorm_mode_16_64 3
		.amdhsa_dx10_clamp 1
		.amdhsa_ieee_mode 1
		.amdhsa_fp16_overflow 0
		.amdhsa_workgroup_processor_mode 1
		.amdhsa_memory_ordered 1
		.amdhsa_forward_progress 1
		.amdhsa_shared_vgpr_count 0
		.amdhsa_exception_fp_ieee_invalid_op 0
		.amdhsa_exception_fp_denorm_src 0
		.amdhsa_exception_fp_ieee_div_zero 0
		.amdhsa_exception_fp_ieee_overflow 0
		.amdhsa_exception_fp_ieee_underflow 0
		.amdhsa_exception_fp_ieee_inexact 0
		.amdhsa_exception_int_div_zero 0
	.end_amdhsa_kernel
	.section	.text._ZN9rocsolver6v33100L18getri_kernel_smallILi22EdPdEEvT1_iilPiilS4_bb,"axG",@progbits,_ZN9rocsolver6v33100L18getri_kernel_smallILi22EdPdEEvT1_iilPiilS4_bb,comdat
.Lfunc_end21:
	.size	_ZN9rocsolver6v33100L18getri_kernel_smallILi22EdPdEEvT1_iilPiilS4_bb, .Lfunc_end21-_ZN9rocsolver6v33100L18getri_kernel_smallILi22EdPdEEvT1_iilPiilS4_bb
                                        ; -- End function
	.set _ZN9rocsolver6v33100L18getri_kernel_smallILi22EdPdEEvT1_iilPiilS4_bb.num_vgpr, 91
	.set _ZN9rocsolver6v33100L18getri_kernel_smallILi22EdPdEEvT1_iilPiilS4_bb.num_agpr, 0
	.set _ZN9rocsolver6v33100L18getri_kernel_smallILi22EdPdEEvT1_iilPiilS4_bb.numbered_sgpr, 23
	.set _ZN9rocsolver6v33100L18getri_kernel_smallILi22EdPdEEvT1_iilPiilS4_bb.num_named_barrier, 0
	.set _ZN9rocsolver6v33100L18getri_kernel_smallILi22EdPdEEvT1_iilPiilS4_bb.private_seg_size, 192
	.set _ZN9rocsolver6v33100L18getri_kernel_smallILi22EdPdEEvT1_iilPiilS4_bb.uses_vcc, 1
	.set _ZN9rocsolver6v33100L18getri_kernel_smallILi22EdPdEEvT1_iilPiilS4_bb.uses_flat_scratch, 0
	.set _ZN9rocsolver6v33100L18getri_kernel_smallILi22EdPdEEvT1_iilPiilS4_bb.has_dyn_sized_stack, 0
	.set _ZN9rocsolver6v33100L18getri_kernel_smallILi22EdPdEEvT1_iilPiilS4_bb.has_recursion, 0
	.set _ZN9rocsolver6v33100L18getri_kernel_smallILi22EdPdEEvT1_iilPiilS4_bb.has_indirect_call, 0
	.section	.AMDGPU.csdata,"",@progbits
; Kernel info:
; codeLenInByte = 19932
; TotalNumSgprs: 25
; NumVgprs: 91
; ScratchSize: 192
; MemoryBound: 0
; FloatMode: 240
; IeeeMode: 1
; LDSByteSize: 360 bytes/workgroup (compile time only)
; SGPRBlocks: 0
; VGPRBlocks: 11
; NumSGPRsForWavesPerEU: 25
; NumVGPRsForWavesPerEU: 91
; Occupancy: 10
; WaveLimiterHint : 1
; COMPUTE_PGM_RSRC2:SCRATCH_EN: 1
; COMPUTE_PGM_RSRC2:USER_SGPR: 6
; COMPUTE_PGM_RSRC2:TRAP_HANDLER: 0
; COMPUTE_PGM_RSRC2:TGID_X_EN: 1
; COMPUTE_PGM_RSRC2:TGID_Y_EN: 0
; COMPUTE_PGM_RSRC2:TGID_Z_EN: 0
; COMPUTE_PGM_RSRC2:TIDIG_COMP_CNT: 0
	.section	.text._ZN9rocsolver6v33100L18getri_kernel_smallILi23EdPdEEvT1_iilPiilS4_bb,"axG",@progbits,_ZN9rocsolver6v33100L18getri_kernel_smallILi23EdPdEEvT1_iilPiilS4_bb,comdat
	.globl	_ZN9rocsolver6v33100L18getri_kernel_smallILi23EdPdEEvT1_iilPiilS4_bb ; -- Begin function _ZN9rocsolver6v33100L18getri_kernel_smallILi23EdPdEEvT1_iilPiilS4_bb
	.p2align	8
	.type	_ZN9rocsolver6v33100L18getri_kernel_smallILi23EdPdEEvT1_iilPiilS4_bb,@function
_ZN9rocsolver6v33100L18getri_kernel_smallILi23EdPdEEvT1_iilPiilS4_bb: ; @_ZN9rocsolver6v33100L18getri_kernel_smallILi23EdPdEEvT1_iilPiilS4_bb
; %bb.0:
	s_add_u32 s0, s0, s7
	s_addc_u32 s1, s1, 0
	s_mov_b32 s7, exec_lo
	v_cmpx_gt_u32_e32 23, v0
	s_cbranch_execz .LBB22_102
; %bb.1:
	s_clause 0x2
	s_load_dword s7, s[4:5], 0x38
	s_load_dwordx4 s[16:19], s[4:5], 0x10
	s_load_dwordx4 s[8:11], s[4:5], 0x28
                                        ; implicit-def: $sgpr20_sgpr21
	s_waitcnt lgkmcnt(0)
	s_bitcmp1_b32 s7, 8
	s_cselect_b32 s22, -1, 0
	s_bfe_u32 s12, s7, 0x10008
	s_ashr_i32 s7, s6, 31
	s_cmp_eq_u32 s12, 0
	s_cbranch_scc1 .LBB22_3
; %bb.2:
	s_load_dword s12, s[4:5], 0x20
	s_mul_i32 s13, s8, s7
	s_mul_hi_u32 s14, s8, s6
	s_mul_i32 s9, s9, s6
	s_add_i32 s13, s14, s13
	s_mul_i32 s8, s8, s6
	s_add_i32 s9, s13, s9
	s_lshl_b64 s[8:9], s[8:9], 2
	s_waitcnt lgkmcnt(0)
	s_ashr_i32 s13, s12, 31
	s_add_u32 s14, s18, s8
	s_addc_u32 s15, s19, s9
	s_lshl_b64 s[8:9], s[12:13], 2
	s_add_u32 s20, s14, s8
	s_addc_u32 s21, s15, s9
.LBB22_3:
	s_clause 0x1
	s_load_dwordx4 s[12:15], s[4:5], 0x0
	s_load_dword s8, s[4:5], 0x38
	s_mul_i32 s4, s16, s7
	s_mul_hi_u32 s5, s16, s6
	s_mul_i32 s9, s17, s6
	s_add_i32 s5, s5, s4
	s_mul_i32 s4, s16, s6
	s_add_i32 s5, s5, s9
	v_lshlrev_b32_e32 v49, 3, v0
	s_lshl_b64 s[4:5], s[4:5], 3
	s_waitcnt lgkmcnt(0)
	s_ashr_i32 s17, s14, 31
	s_mov_b32 s16, s14
	s_add_u32 s9, s12, s4
	s_addc_u32 s12, s13, s5
	s_lshl_b64 s[4:5], s[16:17], 3
	v_add3_u32 v3, s15, s15, v0
	s_add_u32 s4, s9, s4
	s_addc_u32 s5, s12, s5
	v_add_co_u32 v1, s9, s4, v49
	global_load_dwordx2 v[47:48], v49, s[4:5]
	v_add_nc_u32_e32 v5, s15, v3
	v_ashrrev_i32_e32 v4, 31, v3
	s_mov_b32 s12, s15
	s_ashr_i32 s13, s15, 31
	v_add_co_ci_u32_e64 v2, null, s5, 0, s9
	v_add_nc_u32_e32 v9, s15, v5
	v_ashrrev_i32_e32 v6, 31, v5
	v_lshlrev_b64 v[7:8], 3, v[3:4]
	s_lshl_b64 s[12:13], s[12:13], 3
	s_bitcmp0_b32 s8, 0
	v_add_nc_u32_e32 v13, s15, v9
	v_lshlrev_b64 v[11:12], 3, v[5:6]
	v_add_co_u32 v3, vcc_lo, v1, s12
	v_add_co_ci_u32_e64 v4, null, s13, v2, vcc_lo
	v_add_nc_u32_e32 v15, s15, v13
	v_ashrrev_i32_e32 v14, 31, v13
	v_add_co_u32 v5, vcc_lo, s4, v7
	v_add_co_ci_u32_e64 v6, null, s5, v8, vcc_lo
	v_ashrrev_i32_e32 v16, 31, v15
	v_add_nc_u32_e32 v17, s15, v15
	v_add_co_u32 v7, vcc_lo, s4, v11
	v_ashrrev_i32_e32 v10, 31, v9
	v_add_co_ci_u32_e64 v8, null, s5, v12, vcc_lo
	v_lshlrev_b64 v[11:12], 3, v[13:14]
	v_lshlrev_b64 v[13:14], 3, v[15:16]
	v_add_nc_u32_e32 v15, s15, v17
	v_lshlrev_b64 v[9:10], 3, v[9:10]
	v_ashrrev_i32_e32 v18, 31, v17
	v_add_nc_u32_e32 v19, s15, v15
	v_ashrrev_i32_e32 v16, 31, v15
	v_add_co_u32 v9, vcc_lo, s4, v9
	v_lshlrev_b64 v[17:18], 3, v[17:18]
	v_add_nc_u32_e32 v23, s15, v19
	v_add_co_ci_u32_e64 v10, null, s5, v10, vcc_lo
	v_add_co_u32 v11, vcc_lo, s4, v11
	v_lshlrev_b64 v[21:22], 3, v[15:16]
	v_add_co_ci_u32_e64 v12, null, s5, v12, vcc_lo
	v_add_co_u32 v13, vcc_lo, s4, v13
	v_ashrrev_i32_e32 v24, 31, v23
	v_add_nc_u32_e32 v25, s15, v23
	v_add_co_ci_u32_e64 v14, null, s5, v14, vcc_lo
	v_add_co_u32 v15, vcc_lo, s4, v17
	v_add_co_ci_u32_e64 v16, null, s5, v18, vcc_lo
	v_add_co_u32 v17, vcc_lo, s4, v21
	v_add_co_ci_u32_e64 v18, null, s5, v22, vcc_lo
	v_lshlrev_b64 v[21:22], 3, v[23:24]
	v_add_nc_u32_e32 v23, s15, v25
	v_ashrrev_i32_e32 v20, 31, v19
	v_ashrrev_i32_e32 v26, 31, v25
	s_clause 0x7
	global_load_dwordx2 v[50:51], v[3:4], off
	global_load_dwordx2 v[52:53], v[5:6], off
	;; [unrolled: 1-line block ×8, first 2 shown]
	v_add_nc_u32_e32 v27, s15, v23
	v_lshlrev_b64 v[19:20], 3, v[19:20]
	v_ashrrev_i32_e32 v24, 31, v23
	v_lshlrev_b64 v[25:26], 3, v[25:26]
	v_add_nc_u32_e32 v31, s15, v27
	v_ashrrev_i32_e32 v28, 31, v27
	v_add_co_u32 v19, vcc_lo, s4, v19
	v_lshlrev_b64 v[29:30], 3, v[23:24]
	v_add_co_ci_u32_e64 v20, null, s5, v20, vcc_lo
	v_add_co_u32 v21, vcc_lo, s4, v21
	v_ashrrev_i32_e32 v32, 31, v31
	v_add_nc_u32_e32 v33, s15, v31
	v_add_co_ci_u32_e64 v22, null, s5, v22, vcc_lo
	v_add_co_u32 v23, vcc_lo, s4, v25
	v_add_co_ci_u32_e64 v24, null, s5, v26, vcc_lo
	v_add_co_u32 v25, vcc_lo, s4, v29
	v_add_co_ci_u32_e64 v26, null, s5, v30, vcc_lo
	v_lshlrev_b64 v[29:30], 3, v[31:32]
	v_add_nc_u32_e32 v31, s15, v33
	v_ashrrev_i32_e32 v34, 31, v33
	v_lshlrev_b64 v[27:28], 3, v[27:28]
	s_clause 0x3
	global_load_dwordx2 v[66:67], v[19:20], off
	global_load_dwordx2 v[68:69], v[21:22], off
	;; [unrolled: 1-line block ×4, first 2 shown]
	v_add_nc_u32_e32 v35, s15, v31
	v_ashrrev_i32_e32 v32, 31, v31
	v_lshlrev_b64 v[33:34], 3, v[33:34]
	v_add_co_u32 v27, vcc_lo, s4, v27
	v_add_nc_u32_e32 v39, s15, v35
	v_lshlrev_b64 v[37:38], 3, v[31:32]
	v_add_co_ci_u32_e64 v28, null, s5, v28, vcc_lo
	v_add_co_u32 v29, vcc_lo, s4, v29
	v_ashrrev_i32_e32 v40, 31, v39
	v_add_nc_u32_e32 v41, s15, v39
	v_add_co_ci_u32_e64 v30, null, s5, v30, vcc_lo
	v_add_co_u32 v31, vcc_lo, s4, v33
	v_add_co_ci_u32_e64 v32, null, s5, v34, vcc_lo
	v_add_co_u32 v33, vcc_lo, s4, v37
	v_add_co_ci_u32_e64 v34, null, s5, v38, vcc_lo
	v_lshlrev_b64 v[37:38], 3, v[39:40]
	v_add_nc_u32_e32 v39, s15, v41
	v_ashrrev_i32_e32 v36, 31, v35
	v_ashrrev_i32_e32 v42, 31, v41
	s_clause 0x3
	global_load_dwordx2 v[74:75], v[27:28], off
	global_load_dwordx2 v[76:77], v[29:30], off
	;; [unrolled: 1-line block ×4, first 2 shown]
	v_add_nc_u32_e32 v43, s15, v39
	v_lshlrev_b64 v[35:36], 3, v[35:36]
	v_ashrrev_i32_e32 v40, 31, v39
	v_lshlrev_b64 v[41:42], 3, v[41:42]
	v_add_nc_u32_e32 v82, s15, v43
	v_ashrrev_i32_e32 v44, 31, v43
	v_add_co_u32 v35, vcc_lo, s4, v35
	v_lshlrev_b64 v[45:46], 3, v[39:40]
	v_ashrrev_i32_e32 v83, 31, v82
	v_add_co_ci_u32_e64 v36, null, s5, v36, vcc_lo
	v_add_co_u32 v37, vcc_lo, s4, v37
	v_lshlrev_b64 v[43:44], 3, v[43:44]
	v_add_co_ci_u32_e64 v38, null, s5, v38, vcc_lo
	v_add_co_u32 v39, vcc_lo, s4, v41
	v_add_co_ci_u32_e64 v40, null, s5, v42, vcc_lo
	v_add_co_u32 v41, vcc_lo, s4, v45
	v_lshlrev_b64 v[82:83], 3, v[82:83]
	v_add_co_ci_u32_e64 v42, null, s5, v46, vcc_lo
	v_add_co_u32 v45, vcc_lo, s4, v43
	v_add_co_ci_u32_e64 v46, null, s5, v44, vcc_lo
	v_add_co_u32 v43, vcc_lo, s4, v82
	s_clause 0x2
	global_load_dwordx2 v[84:85], v[35:36], off
	global_load_dwordx2 v[86:87], v[37:38], off
	;; [unrolled: 1-line block ×3, first 2 shown]
	v_add_co_ci_u32_e64 v44, null, s5, v83, vcc_lo
	s_clause 0x1
	global_load_dwordx2 v[82:83], v[41:42], off
	global_load_dwordx2 v[90:91], v[45:46], off
	s_mov_b32 s5, -1
	s_waitcnt vmcnt(21)
	buffer_store_dword v48, off, s[0:3], 0 offset:4
	buffer_store_dword v47, off, s[0:3], 0
	global_load_dwordx2 v[47:48], v[43:44], off
	s_waitcnt vmcnt(21)
	buffer_store_dword v51, off, s[0:3], 0 offset:12
	buffer_store_dword v50, off, s[0:3], 0 offset:8
	s_waitcnt vmcnt(20)
	buffer_store_dword v53, off, s[0:3], 0 offset:20
	buffer_store_dword v52, off, s[0:3], 0 offset:16
	;; [unrolled: 3-line block ×22, first 2 shown]
	s_cbranch_scc1 .LBB22_100
; %bb.4:
	v_cmp_eq_u32_e64 s4, 0, v0
	s_and_saveexec_b32 s5, s4
; %bb.5:
	v_mov_b32_e32 v47, 0
	ds_write_b32 v47, v47 offset:184
; %bb.6:
	s_or_b32 exec_lo, exec_lo, s5
	v_lshl_add_u32 v47, v0, 3, 0
	s_waitcnt lgkmcnt(0)
	s_waitcnt_vscnt null, 0x0
	s_barrier
	buffer_gl0_inv
	s_mov_b32 s8, exec_lo
	s_clause 0x1
	buffer_load_dword v50, v47, s[0:3], 0 offen
	buffer_load_dword v51, v47, s[0:3], 0 offen offset:4
	s_waitcnt vmcnt(0)
	v_cmpx_eq_f64_e32 0, v[50:51]
	s_cbranch_execz .LBB22_10
; %bb.7:
	v_mov_b32_e32 v48, 0
	s_mov_b32 s9, 0
	ds_read_b32 v50, v48 offset:184
	s_waitcnt lgkmcnt(0)
	v_readfirstlane_b32 s5, v50
	v_add_nc_u32_e32 v50, 1, v0
	s_cmp_eq_u32 s5, 0
	v_cmp_gt_i32_e32 vcc_lo, s5, v50
	s_cselect_b32 s12, -1, 0
	s_or_b32 s12, s12, vcc_lo
	s_and_b32 exec_lo, exec_lo, s12
	s_cbranch_execz .LBB22_10
; %bb.8:
	v_mov_b32_e32 v51, s5
.LBB22_9:                               ; =>This Inner Loop Header: Depth=1
	ds_cmpst_rtn_b32 v51, v48, v51, v50 offset:184
	s_waitcnt lgkmcnt(0)
	v_cmp_ne_u32_e32 vcc_lo, 0, v51
	v_cmp_le_i32_e64 s5, v51, v50
	s_and_b32 s5, vcc_lo, s5
	s_and_b32 s5, exec_lo, s5
	s_or_b32 s9, s5, s9
	s_andn2_b32 exec_lo, exec_lo, s9
	s_cbranch_execnz .LBB22_9
.LBB22_10:
	s_or_b32 exec_lo, exec_lo, s8
	v_mov_b32_e32 v48, 0
	s_barrier
	buffer_gl0_inv
	ds_read_b32 v50, v48 offset:184
	s_and_saveexec_b32 s5, s4
	s_cbranch_execz .LBB22_12
; %bb.11:
	s_lshl_b64 s[8:9], s[6:7], 2
	s_add_u32 s8, s10, s8
	s_addc_u32 s9, s11, s9
	s_waitcnt lgkmcnt(0)
	global_store_dword v48, v50, s[8:9]
.LBB22_12:
	s_or_b32 exec_lo, exec_lo, s5
	s_waitcnt lgkmcnt(0)
	v_cmp_ne_u32_e32 vcc_lo, 0, v50
	s_mov_b32 s5, 0
	s_cbranch_vccnz .LBB22_100
; %bb.13:
	s_clause 0x1
	buffer_load_dword v50, v47, s[0:3], 0 offen
	buffer_load_dword v51, v47, s[0:3], 0 offen offset:4
	s_waitcnt vmcnt(0)
	v_div_scale_f64 v[52:53], null, v[50:51], v[50:51], 1.0
	v_div_scale_f64 v[58:59], vcc_lo, 1.0, v[50:51], 1.0
	v_rcp_f64_e32 v[54:55], v[52:53]
	v_fma_f64 v[56:57], -v[52:53], v[54:55], 1.0
	v_fma_f64 v[54:55], v[54:55], v[56:57], v[54:55]
	v_fma_f64 v[56:57], -v[52:53], v[54:55], 1.0
	v_fma_f64 v[54:55], v[54:55], v[56:57], v[54:55]
	v_mul_f64 v[56:57], v[58:59], v[54:55]
	v_fma_f64 v[52:53], -v[52:53], v[56:57], v[58:59]
	v_div_fmas_f64 v[52:53], v[52:53], v[54:55], v[56:57]
	v_div_fixup_f64 v[51:52], v[52:53], v[50:51], 1.0
	v_add_nc_u32_e32 v50, 0xc0, v49
	buffer_store_dword v52, v47, s[0:3], 0 offen offset:4
	buffer_store_dword v51, v47, s[0:3], 0 offen
	s_clause 0x1
	buffer_load_dword v54, off, s[0:3], 0 offset:12
	buffer_load_dword v53, off, s[0:3], 0 offset:8
	v_xor_b32_e32 v52, 0x80000000, v52
	s_waitcnt vmcnt(0)
	ds_write2_b64 v49, v[51:52], v[53:54] offset1:24
	s_waitcnt lgkmcnt(0)
	s_waitcnt_vscnt null, 0x0
	s_barrier
	buffer_gl0_inv
	s_and_saveexec_b32 s5, s4
	s_cbranch_execz .LBB22_15
; %bb.14:
	s_clause 0x1
	buffer_load_dword v51, v47, s[0:3], 0 offen
	buffer_load_dword v52, v47, s[0:3], 0 offen offset:4
	ds_read_b64 v[53:54], v50
	v_mov_b32_e32 v48, 0
	ds_read_b64 v[55:56], v48 offset:8
	s_waitcnt vmcnt(0) lgkmcnt(1)
	v_fma_f64 v[51:52], v[51:52], v[53:54], 0
	s_waitcnt lgkmcnt(0)
	v_mul_f64 v[51:52], v[51:52], v[55:56]
	buffer_store_dword v51, off, s[0:3], 0 offset:8
	buffer_store_dword v52, off, s[0:3], 0 offset:12
.LBB22_15:
	s_or_b32 exec_lo, exec_lo, s5
	s_waitcnt_vscnt null, 0x0
	s_barrier
	buffer_gl0_inv
	s_clause 0x1
	buffer_load_dword v51, off, s[0:3], 0 offset:16
	buffer_load_dword v52, off, s[0:3], 0 offset:20
	s_mov_b32 s5, exec_lo
	s_waitcnt vmcnt(0)
	ds_write_b64 v50, v[51:52]
	s_waitcnt lgkmcnt(0)
	s_barrier
	buffer_gl0_inv
	v_cmpx_gt_u32_e32 2, v0
	s_cbranch_execz .LBB22_19
; %bb.16:
	s_clause 0x1
	buffer_load_dword v51, v47, s[0:3], 0 offen
	buffer_load_dword v52, v47, s[0:3], 0 offen offset:4
	ds_read_b64 v[47:48], v50
	s_waitcnt vmcnt(0) lgkmcnt(0)
	v_fma_f64 v[47:48], v[51:52], v[47:48], 0
	s_and_saveexec_b32 s8, s4
	s_cbranch_execz .LBB22_18
; %bb.17:
	s_clause 0x1
	buffer_load_dword v51, off, s[0:3], 0 offset:8
	buffer_load_dword v52, off, s[0:3], 0 offset:12
	v_mov_b32_e32 v53, 0
	ds_read_b64 v[53:54], v53 offset:200
	s_waitcnt vmcnt(0) lgkmcnt(0)
	v_fma_f64 v[47:48], v[51:52], v[53:54], v[47:48]
.LBB22_18:
	s_or_b32 exec_lo, exec_lo, s8
	v_mov_b32_e32 v51, 0
	ds_read_b64 v[51:52], v51 offset:16
	s_waitcnt lgkmcnt(0)
	v_mul_f64 v[47:48], v[47:48], v[51:52]
	buffer_store_dword v48, off, s[0:3], 0 offset:20
	buffer_store_dword v47, off, s[0:3], 0 offset:16
.LBB22_19:
	s_or_b32 exec_lo, exec_lo, s5
	s_waitcnt_vscnt null, 0x0
	s_barrier
	buffer_gl0_inv
	s_clause 0x1
	buffer_load_dword v47, off, s[0:3], 0 offset:24
	buffer_load_dword v48, off, s[0:3], 0 offset:28
	v_add_nc_u32_e32 v51, -1, v0
	s_mov_b32 s4, exec_lo
	s_waitcnt vmcnt(0)
	ds_write_b64 v50, v[47:48]
	s_waitcnt lgkmcnt(0)
	s_barrier
	buffer_gl0_inv
	v_cmpx_gt_u32_e32 3, v0
	s_cbranch_execz .LBB22_23
; %bb.20:
	v_mov_b32_e32 v47, 0
	v_add_nc_u32_e32 v52, -1, v0
	v_add_nc_u32_e32 v53, 0xc0, v49
	v_mov_b32_e32 v48, 0
	v_mov_b32_e32 v54, v49
	s_mov_b32 s5, 0
.LBB22_21:                              ; =>This Inner Loop Header: Depth=1
	s_clause 0x1
	buffer_load_dword v55, v54, s[0:3], 0 offen
	buffer_load_dword v56, v54, s[0:3], 0 offen offset:4
	ds_read_b64 v[57:58], v53
	v_add_nc_u32_e32 v52, 1, v52
	v_add_nc_u32_e32 v53, 8, v53
	v_add_nc_u32_e32 v54, 8, v54
	v_cmp_lt_u32_e32 vcc_lo, 1, v52
	s_or_b32 s5, vcc_lo, s5
	s_waitcnt vmcnt(0) lgkmcnt(0)
	v_fma_f64 v[47:48], v[55:56], v[57:58], v[47:48]
	s_andn2_b32 exec_lo, exec_lo, s5
	s_cbranch_execnz .LBB22_21
; %bb.22:
	s_or_b32 exec_lo, exec_lo, s5
	v_mov_b32_e32 v52, 0
	ds_read_b64 v[52:53], v52 offset:24
	s_waitcnt lgkmcnt(0)
	v_mul_f64 v[47:48], v[47:48], v[52:53]
	buffer_store_dword v48, off, s[0:3], 0 offset:28
	buffer_store_dword v47, off, s[0:3], 0 offset:24
.LBB22_23:
	s_or_b32 exec_lo, exec_lo, s4
	s_waitcnt_vscnt null, 0x0
	s_barrier
	buffer_gl0_inv
	s_clause 0x1
	buffer_load_dword v47, off, s[0:3], 0 offset:32
	buffer_load_dword v48, off, s[0:3], 0 offset:36
	s_mov_b32 s4, exec_lo
	s_waitcnt vmcnt(0)
	ds_write_b64 v50, v[47:48]
	s_waitcnt lgkmcnt(0)
	s_barrier
	buffer_gl0_inv
	v_cmpx_gt_u32_e32 4, v0
	s_cbranch_execz .LBB22_27
; %bb.24:
	v_mov_b32_e32 v47, 0
	v_add_nc_u32_e32 v52, -1, v0
	v_add_nc_u32_e32 v53, 0xc0, v49
	v_mov_b32_e32 v48, 0
	v_mov_b32_e32 v54, v49
	s_mov_b32 s5, 0
.LBB22_25:                              ; =>This Inner Loop Header: Depth=1
	s_clause 0x1
	buffer_load_dword v55, v54, s[0:3], 0 offen
	buffer_load_dword v56, v54, s[0:3], 0 offen offset:4
	ds_read_b64 v[57:58], v53
	v_add_nc_u32_e32 v52, 1, v52
	v_add_nc_u32_e32 v53, 8, v53
	v_add_nc_u32_e32 v54, 8, v54
	v_cmp_lt_u32_e32 vcc_lo, 2, v52
	s_or_b32 s5, vcc_lo, s5
	s_waitcnt vmcnt(0) lgkmcnt(0)
	v_fma_f64 v[47:48], v[55:56], v[57:58], v[47:48]
	s_andn2_b32 exec_lo, exec_lo, s5
	s_cbranch_execnz .LBB22_25
; %bb.26:
	s_or_b32 exec_lo, exec_lo, s5
	v_mov_b32_e32 v52, 0
	ds_read_b64 v[52:53], v52 offset:32
	s_waitcnt lgkmcnt(0)
	v_mul_f64 v[47:48], v[47:48], v[52:53]
	buffer_store_dword v48, off, s[0:3], 0 offset:36
	buffer_store_dword v47, off, s[0:3], 0 offset:32
.LBB22_27:
	s_or_b32 exec_lo, exec_lo, s4
	s_waitcnt_vscnt null, 0x0
	s_barrier
	buffer_gl0_inv
	s_clause 0x1
	buffer_load_dword v47, off, s[0:3], 0 offset:40
	buffer_load_dword v48, off, s[0:3], 0 offset:44
	;; [unrolled: 45-line block ×19, first 2 shown]
	s_mov_b32 s4, exec_lo
	s_waitcnt vmcnt(0)
	ds_write_b64 v50, v[47:48]
	s_waitcnt lgkmcnt(0)
	s_barrier
	buffer_gl0_inv
	v_cmpx_ne_u32_e32 22, v0
	s_cbranch_execz .LBB22_99
; %bb.96:
	v_mov_b32_e32 v47, 0
	v_mov_b32_e32 v48, 0
	s_mov_b32 s5, 0
.LBB22_97:                              ; =>This Inner Loop Header: Depth=1
	s_clause 0x1
	buffer_load_dword v52, v49, s[0:3], 0 offen
	buffer_load_dword v53, v49, s[0:3], 0 offen offset:4
	ds_read_b64 v[54:55], v50
	v_add_nc_u32_e32 v51, 1, v51
	v_add_nc_u32_e32 v50, 8, v50
	;; [unrolled: 1-line block ×3, first 2 shown]
	v_cmp_lt_u32_e32 vcc_lo, 20, v51
	s_or_b32 s5, vcc_lo, s5
	s_waitcnt vmcnt(0) lgkmcnt(0)
	v_fma_f64 v[47:48], v[52:53], v[54:55], v[47:48]
	s_andn2_b32 exec_lo, exec_lo, s5
	s_cbranch_execnz .LBB22_97
; %bb.98:
	s_or_b32 exec_lo, exec_lo, s5
	v_mov_b32_e32 v49, 0
	ds_read_b64 v[49:50], v49 offset:176
	s_waitcnt lgkmcnt(0)
	v_mul_f64 v[47:48], v[47:48], v[49:50]
	buffer_store_dword v48, off, s[0:3], 0 offset:180
	buffer_store_dword v47, off, s[0:3], 0 offset:176
.LBB22_99:
	s_or_b32 exec_lo, exec_lo, s4
	s_mov_b32 s5, -1
	s_waitcnt_vscnt null, 0x0
	s_barrier
	buffer_gl0_inv
.LBB22_100:
	s_and_b32 vcc_lo, exec_lo, s5
	s_cbranch_vccz .LBB22_102
; %bb.101:
	s_lshl_b64 s[4:5], s[6:7], 2
	v_mov_b32_e32 v47, 0
	s_add_u32 s4, s10, s4
	s_addc_u32 s5, s11, s5
	global_load_dword v47, v47, s[4:5]
	s_waitcnt vmcnt(0)
	v_cmp_ne_u32_e32 vcc_lo, 0, v47
	s_cbranch_vccz .LBB22_103
.LBB22_102:
	s_endpgm
.LBB22_103:
	v_lshl_add_u32 v47, v0, 3, 0xc0
	s_mov_b32 s4, exec_lo
	v_cmpx_eq_u32_e32 22, v0
	s_cbranch_execz .LBB22_105
; %bb.104:
	s_clause 0x1
	buffer_load_dword v48, off, s[0:3], 0 offset:168
	buffer_load_dword v49, off, s[0:3], 0 offset:172
	v_mov_b32_e32 v50, 0
	buffer_store_dword v50, off, s[0:3], 0 offset:168
	buffer_store_dword v50, off, s[0:3], 0 offset:172
	s_waitcnt vmcnt(0)
	ds_write_b64 v47, v[48:49]
.LBB22_105:
	s_or_b32 exec_lo, exec_lo, s4
	s_waitcnt lgkmcnt(0)
	s_waitcnt_vscnt null, 0x0
	s_barrier
	buffer_gl0_inv
	s_clause 0x3
	buffer_load_dword v49, off, s[0:3], 0 offset:176
	buffer_load_dword v50, off, s[0:3], 0 offset:180
	;; [unrolled: 1-line block ×4, first 2 shown]
	v_mov_b32_e32 v48, 0
	s_mov_b32 s4, exec_lo
	ds_read_b64 v[53:54], v48 offset:368
	s_waitcnt vmcnt(2) lgkmcnt(0)
	v_fma_f64 v[49:50], v[49:50], v[53:54], 0
	s_waitcnt vmcnt(0)
	v_add_f64 v[49:50], v[51:52], -v[49:50]
	buffer_store_dword v49, off, s[0:3], 0 offset:168
	buffer_store_dword v50, off, s[0:3], 0 offset:172
	v_cmpx_lt_u32_e32 20, v0
	s_cbranch_execz .LBB22_107
; %bb.106:
	s_clause 0x1
	buffer_load_dword v49, off, s[0:3], 0 offset:160
	buffer_load_dword v50, off, s[0:3], 0 offset:164
	buffer_store_dword v48, off, s[0:3], 0 offset:160
	buffer_store_dword v48, off, s[0:3], 0 offset:164
	s_waitcnt vmcnt(0)
	ds_write_b64 v47, v[49:50]
.LBB22_107:
	s_or_b32 exec_lo, exec_lo, s4
	s_waitcnt lgkmcnt(0)
	s_waitcnt_vscnt null, 0x0
	s_barrier
	buffer_gl0_inv
	s_clause 0x5
	buffer_load_dword v52, off, s[0:3], 0 offset:168
	buffer_load_dword v53, off, s[0:3], 0 offset:172
	;; [unrolled: 1-line block ×6, first 2 shown]
	ds_read2_b64 v[48:51], v48 offset0:45 offset1:46
	s_mov_b32 s4, exec_lo
	s_waitcnt vmcnt(4) lgkmcnt(0)
	v_fma_f64 v[48:49], v[52:53], v[48:49], 0
	s_waitcnt vmcnt(2)
	v_fma_f64 v[48:49], v[54:55], v[50:51], v[48:49]
	s_waitcnt vmcnt(0)
	v_add_f64 v[48:49], v[56:57], -v[48:49]
	buffer_store_dword v48, off, s[0:3], 0 offset:160
	buffer_store_dword v49, off, s[0:3], 0 offset:164
	v_cmpx_lt_u32_e32 19, v0
	s_cbranch_execz .LBB22_109
; %bb.108:
	s_clause 0x1
	buffer_load_dword v48, off, s[0:3], 0 offset:152
	buffer_load_dword v49, off, s[0:3], 0 offset:156
	v_mov_b32_e32 v50, 0
	buffer_store_dword v50, off, s[0:3], 0 offset:152
	buffer_store_dword v50, off, s[0:3], 0 offset:156
	s_waitcnt vmcnt(0)
	ds_write_b64 v47, v[48:49]
.LBB22_109:
	s_or_b32 exec_lo, exec_lo, s4
	s_waitcnt lgkmcnt(0)
	s_waitcnt_vscnt null, 0x0
	s_barrier
	buffer_gl0_inv
	s_clause 0x7
	buffer_load_dword v53, off, s[0:3], 0 offset:160
	buffer_load_dword v54, off, s[0:3], 0 offset:164
	;; [unrolled: 1-line block ×8, first 2 shown]
	v_mov_b32_e32 v48, 0
	ds_read_b128 v[49:52], v48 offset:352
	ds_read_b64 v[61:62], v48 offset:368
	s_mov_b32 s4, exec_lo
	s_waitcnt vmcnt(6) lgkmcnt(1)
	v_fma_f64 v[49:50], v[53:54], v[49:50], 0
	s_waitcnt vmcnt(4)
	v_fma_f64 v[49:50], v[55:56], v[51:52], v[49:50]
	s_waitcnt vmcnt(2) lgkmcnt(0)
	v_fma_f64 v[49:50], v[57:58], v[61:62], v[49:50]
	s_waitcnt vmcnt(0)
	v_add_f64 v[49:50], v[59:60], -v[49:50]
	buffer_store_dword v49, off, s[0:3], 0 offset:152
	buffer_store_dword v50, off, s[0:3], 0 offset:156
	v_cmpx_lt_u32_e32 18, v0
	s_cbranch_execz .LBB22_111
; %bb.110:
	s_clause 0x1
	buffer_load_dword v49, off, s[0:3], 0 offset:144
	buffer_load_dword v50, off, s[0:3], 0 offset:148
	buffer_store_dword v48, off, s[0:3], 0 offset:144
	buffer_store_dword v48, off, s[0:3], 0 offset:148
	s_waitcnt vmcnt(0)
	ds_write_b64 v47, v[49:50]
.LBB22_111:
	s_or_b32 exec_lo, exec_lo, s4
	s_waitcnt lgkmcnt(0)
	s_waitcnt_vscnt null, 0x0
	s_barrier
	buffer_gl0_inv
	s_clause 0x9
	buffer_load_dword v57, off, s[0:3], 0 offset:152
	buffer_load_dword v58, off, s[0:3], 0 offset:156
	;; [unrolled: 1-line block ×10, first 2 shown]
	ds_read2_b64 v[49:52], v48 offset0:43 offset1:44
	ds_read2_b64 v[53:56], v48 offset0:45 offset1:46
	s_mov_b32 s4, exec_lo
	s_waitcnt vmcnt(8) lgkmcnt(1)
	v_fma_f64 v[48:49], v[57:58], v[49:50], 0
	s_waitcnt vmcnt(6)
	v_fma_f64 v[48:49], v[59:60], v[51:52], v[48:49]
	s_waitcnt vmcnt(4) lgkmcnt(0)
	v_fma_f64 v[48:49], v[61:62], v[53:54], v[48:49]
	s_waitcnt vmcnt(2)
	v_fma_f64 v[48:49], v[63:64], v[55:56], v[48:49]
	s_waitcnt vmcnt(0)
	v_add_f64 v[48:49], v[65:66], -v[48:49]
	buffer_store_dword v48, off, s[0:3], 0 offset:144
	buffer_store_dword v49, off, s[0:3], 0 offset:148
	v_cmpx_lt_u32_e32 17, v0
	s_cbranch_execz .LBB22_113
; %bb.112:
	s_clause 0x1
	buffer_load_dword v48, off, s[0:3], 0 offset:136
	buffer_load_dword v49, off, s[0:3], 0 offset:140
	v_mov_b32_e32 v50, 0
	buffer_store_dword v50, off, s[0:3], 0 offset:136
	buffer_store_dword v50, off, s[0:3], 0 offset:140
	s_waitcnt vmcnt(0)
	ds_write_b64 v47, v[48:49]
.LBB22_113:
	s_or_b32 exec_lo, exec_lo, s4
	s_waitcnt lgkmcnt(0)
	s_waitcnt_vscnt null, 0x0
	s_barrier
	buffer_gl0_inv
	s_clause 0xb
	buffer_load_dword v57, off, s[0:3], 0 offset:144
	buffer_load_dword v58, off, s[0:3], 0 offset:148
	;; [unrolled: 1-line block ×12, first 2 shown]
	v_mov_b32_e32 v48, 0
	ds_read_b128 v[49:52], v48 offset:336
	ds_read_b128 v[53:56], v48 offset:352
	s_mov_b32 s4, exec_lo
	s_waitcnt vmcnt(10) lgkmcnt(1)
	v_fma_f64 v[49:50], v[57:58], v[49:50], 0
	s_waitcnt vmcnt(8)
	v_fma_f64 v[49:50], v[59:60], v[51:52], v[49:50]
	ds_read_b64 v[51:52], v48 offset:368
	s_waitcnt vmcnt(6) lgkmcnt(1)
	v_fma_f64 v[49:50], v[61:62], v[53:54], v[49:50]
	s_waitcnt vmcnt(4)
	v_fma_f64 v[49:50], v[63:64], v[55:56], v[49:50]
	s_waitcnt vmcnt(2) lgkmcnt(0)
	v_fma_f64 v[49:50], v[65:66], v[51:52], v[49:50]
	s_waitcnt vmcnt(0)
	v_add_f64 v[49:50], v[67:68], -v[49:50]
	buffer_store_dword v49, off, s[0:3], 0 offset:136
	buffer_store_dword v50, off, s[0:3], 0 offset:140
	v_cmpx_lt_u32_e32 16, v0
	s_cbranch_execz .LBB22_115
; %bb.114:
	s_clause 0x1
	buffer_load_dword v49, off, s[0:3], 0 offset:128
	buffer_load_dword v50, off, s[0:3], 0 offset:132
	buffer_store_dword v48, off, s[0:3], 0 offset:128
	buffer_store_dword v48, off, s[0:3], 0 offset:132
	s_waitcnt vmcnt(0)
	ds_write_b64 v47, v[49:50]
.LBB22_115:
	s_or_b32 exec_lo, exec_lo, s4
	s_waitcnt lgkmcnt(0)
	s_waitcnt_vscnt null, 0x0
	s_barrier
	buffer_gl0_inv
	s_clause 0xd
	buffer_load_dword v57, off, s[0:3], 0 offset:136
	buffer_load_dword v58, off, s[0:3], 0 offset:140
	;; [unrolled: 1-line block ×14, first 2 shown]
	ds_read2_b64 v[49:52], v48 offset0:41 offset1:42
	ds_read2_b64 v[53:56], v48 offset0:43 offset1:44
	s_mov_b32 s4, exec_lo
	s_waitcnt vmcnt(12) lgkmcnt(1)
	v_fma_f64 v[49:50], v[57:58], v[49:50], 0
	s_waitcnt vmcnt(10)
	v_fma_f64 v[49:50], v[59:60], v[51:52], v[49:50]
	s_waitcnt vmcnt(8) lgkmcnt(0)
	v_fma_f64 v[49:50], v[61:62], v[53:54], v[49:50]
	s_waitcnt vmcnt(6)
	v_fma_f64 v[52:53], v[63:64], v[55:56], v[49:50]
	ds_read2_b64 v[48:51], v48 offset0:45 offset1:46
	s_waitcnt vmcnt(4) lgkmcnt(0)
	v_fma_f64 v[48:49], v[65:66], v[48:49], v[52:53]
	s_waitcnt vmcnt(2)
	v_fma_f64 v[48:49], v[67:68], v[50:51], v[48:49]
	s_waitcnt vmcnt(0)
	v_add_f64 v[48:49], v[69:70], -v[48:49]
	buffer_store_dword v48, off, s[0:3], 0 offset:128
	buffer_store_dword v49, off, s[0:3], 0 offset:132
	v_cmpx_lt_u32_e32 15, v0
	s_cbranch_execz .LBB22_117
; %bb.116:
	s_clause 0x1
	buffer_load_dword v48, off, s[0:3], 0 offset:120
	buffer_load_dword v49, off, s[0:3], 0 offset:124
	v_mov_b32_e32 v50, 0
	buffer_store_dword v50, off, s[0:3], 0 offset:120
	buffer_store_dword v50, off, s[0:3], 0 offset:124
	s_waitcnt vmcnt(0)
	ds_write_b64 v47, v[48:49]
.LBB22_117:
	s_or_b32 exec_lo, exec_lo, s4
	s_waitcnt lgkmcnt(0)
	s_waitcnt_vscnt null, 0x0
	s_barrier
	buffer_gl0_inv
	s_clause 0xf
	buffer_load_dword v57, off, s[0:3], 0 offset:128
	buffer_load_dword v58, off, s[0:3], 0 offset:132
	;; [unrolled: 1-line block ×16, first 2 shown]
	v_mov_b32_e32 v48, 0
	ds_read_b128 v[49:52], v48 offset:320
	ds_read_b128 v[53:56], v48 offset:336
	s_mov_b32 s4, exec_lo
	s_waitcnt vmcnt(14) lgkmcnt(1)
	v_fma_f64 v[49:50], v[57:58], v[49:50], 0
	s_waitcnt vmcnt(12)
	v_fma_f64 v[49:50], v[59:60], v[51:52], v[49:50]
	s_waitcnt vmcnt(10) lgkmcnt(0)
	v_fma_f64 v[49:50], v[61:62], v[53:54], v[49:50]
	s_waitcnt vmcnt(8)
	v_fma_f64 v[53:54], v[63:64], v[55:56], v[49:50]
	ds_read_b128 v[49:52], v48 offset:352
	ds_read_b64 v[55:56], v48 offset:368
	s_waitcnt vmcnt(6) lgkmcnt(1)
	v_fma_f64 v[49:50], v[65:66], v[49:50], v[53:54]
	s_waitcnt vmcnt(4)
	v_fma_f64 v[49:50], v[67:68], v[51:52], v[49:50]
	s_waitcnt vmcnt(2) lgkmcnt(0)
	v_fma_f64 v[49:50], v[69:70], v[55:56], v[49:50]
	s_waitcnt vmcnt(0)
	v_add_f64 v[49:50], v[71:72], -v[49:50]
	buffer_store_dword v49, off, s[0:3], 0 offset:120
	buffer_store_dword v50, off, s[0:3], 0 offset:124
	v_cmpx_lt_u32_e32 14, v0
	s_cbranch_execz .LBB22_119
; %bb.118:
	s_clause 0x1
	buffer_load_dword v49, off, s[0:3], 0 offset:112
	buffer_load_dword v50, off, s[0:3], 0 offset:116
	buffer_store_dword v48, off, s[0:3], 0 offset:112
	buffer_store_dword v48, off, s[0:3], 0 offset:116
	s_waitcnt vmcnt(0)
	ds_write_b64 v47, v[49:50]
.LBB22_119:
	s_or_b32 exec_lo, exec_lo, s4
	s_waitcnt lgkmcnt(0)
	s_waitcnt_vscnt null, 0x0
	s_barrier
	buffer_gl0_inv
	s_clause 0x11
	buffer_load_dword v57, off, s[0:3], 0 offset:120
	buffer_load_dword v58, off, s[0:3], 0 offset:124
	;; [unrolled: 1-line block ×18, first 2 shown]
	ds_read2_b64 v[49:52], v48 offset0:39 offset1:40
	ds_read2_b64 v[53:56], v48 offset0:41 offset1:42
	s_mov_b32 s4, exec_lo
	s_waitcnt vmcnt(16) lgkmcnt(1)
	v_fma_f64 v[49:50], v[57:58], v[49:50], 0
	s_waitcnt vmcnt(14)
	v_fma_f64 v[49:50], v[59:60], v[51:52], v[49:50]
	s_waitcnt vmcnt(12) lgkmcnt(0)
	v_fma_f64 v[49:50], v[61:62], v[53:54], v[49:50]
	s_waitcnt vmcnt(10)
	v_fma_f64 v[57:58], v[63:64], v[55:56], v[49:50]
	ds_read2_b64 v[49:52], v48 offset0:43 offset1:44
	ds_read2_b64 v[53:56], v48 offset0:45 offset1:46
	s_waitcnt vmcnt(8) lgkmcnt(1)
	v_fma_f64 v[48:49], v[65:66], v[49:50], v[57:58]
	s_waitcnt vmcnt(6)
	v_fma_f64 v[48:49], v[67:68], v[51:52], v[48:49]
	s_waitcnt vmcnt(4) lgkmcnt(0)
	v_fma_f64 v[48:49], v[69:70], v[53:54], v[48:49]
	s_waitcnt vmcnt(2)
	v_fma_f64 v[48:49], v[71:72], v[55:56], v[48:49]
	s_waitcnt vmcnt(0)
	v_add_f64 v[48:49], v[73:74], -v[48:49]
	buffer_store_dword v48, off, s[0:3], 0 offset:112
	buffer_store_dword v49, off, s[0:3], 0 offset:116
	v_cmpx_lt_u32_e32 13, v0
	s_cbranch_execz .LBB22_121
; %bb.120:
	s_clause 0x1
	buffer_load_dword v48, off, s[0:3], 0 offset:104
	buffer_load_dword v49, off, s[0:3], 0 offset:108
	v_mov_b32_e32 v50, 0
	buffer_store_dword v50, off, s[0:3], 0 offset:104
	buffer_store_dword v50, off, s[0:3], 0 offset:108
	s_waitcnt vmcnt(0)
	ds_write_b64 v47, v[48:49]
.LBB22_121:
	s_or_b32 exec_lo, exec_lo, s4
	s_waitcnt lgkmcnt(0)
	s_waitcnt_vscnt null, 0x0
	s_barrier
	buffer_gl0_inv
	s_clause 0x13
	buffer_load_dword v57, off, s[0:3], 0 offset:112
	buffer_load_dword v58, off, s[0:3], 0 offset:116
	;; [unrolled: 1-line block ×20, first 2 shown]
	v_mov_b32_e32 v48, 0
	ds_read_b128 v[49:52], v48 offset:304
	ds_read_b128 v[53:56], v48 offset:320
	s_mov_b32 s4, exec_lo
	s_waitcnt vmcnt(18) lgkmcnt(1)
	v_fma_f64 v[49:50], v[57:58], v[49:50], 0
	s_waitcnt vmcnt(16)
	v_fma_f64 v[49:50], v[59:60], v[51:52], v[49:50]
	s_waitcnt vmcnt(14) lgkmcnt(0)
	v_fma_f64 v[49:50], v[61:62], v[53:54], v[49:50]
	s_waitcnt vmcnt(12)
	v_fma_f64 v[57:58], v[63:64], v[55:56], v[49:50]
	ds_read_b128 v[49:52], v48 offset:336
	ds_read_b128 v[53:56], v48 offset:352
	s_waitcnt vmcnt(10) lgkmcnt(1)
	v_fma_f64 v[49:50], v[65:66], v[49:50], v[57:58]
	s_waitcnt vmcnt(8)
	v_fma_f64 v[49:50], v[67:68], v[51:52], v[49:50]
	ds_read_b64 v[51:52], v48 offset:368
	s_waitcnt vmcnt(6) lgkmcnt(1)
	v_fma_f64 v[49:50], v[69:70], v[53:54], v[49:50]
	s_waitcnt vmcnt(3)
	v_fma_f64 v[49:50], v[71:72], v[55:56], v[49:50]
	s_waitcnt vmcnt(2) lgkmcnt(0)
	v_fma_f64 v[49:50], v[73:74], v[51:52], v[49:50]
	s_waitcnt vmcnt(0)
	v_add_f64 v[49:50], v[75:76], -v[49:50]
	buffer_store_dword v49, off, s[0:3], 0 offset:104
	buffer_store_dword v50, off, s[0:3], 0 offset:108
	v_cmpx_lt_u32_e32 12, v0
	s_cbranch_execz .LBB22_123
; %bb.122:
	s_clause 0x1
	buffer_load_dword v49, off, s[0:3], 0 offset:96
	buffer_load_dword v50, off, s[0:3], 0 offset:100
	buffer_store_dword v48, off, s[0:3], 0 offset:96
	buffer_store_dword v48, off, s[0:3], 0 offset:100
	s_waitcnt vmcnt(0)
	ds_write_b64 v47, v[49:50]
.LBB22_123:
	s_or_b32 exec_lo, exec_lo, s4
	s_waitcnt lgkmcnt(0)
	s_waitcnt_vscnt null, 0x0
	s_barrier
	buffer_gl0_inv
	s_clause 0x15
	buffer_load_dword v53, off, s[0:3], 0 offset:104
	buffer_load_dword v54, off, s[0:3], 0 offset:108
	;; [unrolled: 1-line block ×22, first 2 shown]
	ds_read2_b64 v[49:52], v48 offset0:37 offset1:38
	s_mov_b32 s4, exec_lo
	s_waitcnt vmcnt(20) lgkmcnt(0)
	v_fma_f64 v[49:50], v[53:54], v[49:50], 0
	s_waitcnt vmcnt(18)
	v_fma_f64 v[53:54], v[55:56], v[51:52], v[49:50]
	ds_read2_b64 v[49:52], v48 offset0:39 offset1:40
	s_waitcnt vmcnt(16) lgkmcnt(0)
	v_fma_f64 v[49:50], v[57:58], v[49:50], v[53:54]
	s_waitcnt vmcnt(14)
	v_fma_f64 v[53:54], v[59:60], v[51:52], v[49:50]
	ds_read2_b64 v[49:52], v48 offset0:41 offset1:42
	;; [unrolled: 5-line block ×4, first 2 shown]
	s_waitcnt vmcnt(4) lgkmcnt(0)
	v_fma_f64 v[48:49], v[69:70], v[48:49], v[52:53]
	s_waitcnt vmcnt(2)
	v_fma_f64 v[48:49], v[71:72], v[50:51], v[48:49]
	s_waitcnt vmcnt(0)
	v_add_f64 v[48:49], v[73:74], -v[48:49]
	buffer_store_dword v48, off, s[0:3], 0 offset:96
	buffer_store_dword v49, off, s[0:3], 0 offset:100
	v_cmpx_lt_u32_e32 11, v0
	s_cbranch_execz .LBB22_125
; %bb.124:
	s_clause 0x1
	buffer_load_dword v48, off, s[0:3], 0 offset:88
	buffer_load_dword v49, off, s[0:3], 0 offset:92
	v_mov_b32_e32 v50, 0
	buffer_store_dword v50, off, s[0:3], 0 offset:88
	buffer_store_dword v50, off, s[0:3], 0 offset:92
	s_waitcnt vmcnt(0)
	ds_write_b64 v47, v[48:49]
.LBB22_125:
	s_or_b32 exec_lo, exec_lo, s4
	s_waitcnt lgkmcnt(0)
	s_waitcnt_vscnt null, 0x0
	s_barrier
	buffer_gl0_inv
	s_clause 0x17
	buffer_load_dword v53, off, s[0:3], 0 offset:96
	buffer_load_dword v54, off, s[0:3], 0 offset:100
	;; [unrolled: 1-line block ×24, first 2 shown]
	v_mov_b32_e32 v48, 0
	s_mov_b32 s4, exec_lo
	ds_read_b128 v[49:52], v48 offset:288
	s_waitcnt vmcnt(22) lgkmcnt(0)
	v_fma_f64 v[49:50], v[53:54], v[49:50], 0
	s_waitcnt vmcnt(20)
	v_fma_f64 v[53:54], v[55:56], v[51:52], v[49:50]
	ds_read_b128 v[49:52], v48 offset:304
	s_waitcnt vmcnt(18) lgkmcnt(0)
	v_fma_f64 v[49:50], v[57:58], v[49:50], v[53:54]
	s_waitcnt vmcnt(16)
	v_fma_f64 v[53:54], v[59:60], v[51:52], v[49:50]
	;; [unrolled: 5-line block ×5, first 2 shown]
	ds_read_b64 v[51:52], v48 offset:368
	s_waitcnt vmcnt(2) lgkmcnt(0)
	v_fma_f64 v[49:50], v[73:74], v[51:52], v[49:50]
	s_waitcnt vmcnt(0)
	v_add_f64 v[49:50], v[75:76], -v[49:50]
	buffer_store_dword v50, off, s[0:3], 0 offset:92
	buffer_store_dword v49, off, s[0:3], 0 offset:88
	v_cmpx_lt_u32_e32 10, v0
	s_cbranch_execz .LBB22_127
; %bb.126:
	s_clause 0x1
	buffer_load_dword v49, off, s[0:3], 0 offset:80
	buffer_load_dword v50, off, s[0:3], 0 offset:84
	buffer_store_dword v48, off, s[0:3], 0 offset:80
	buffer_store_dword v48, off, s[0:3], 0 offset:84
	s_waitcnt vmcnt(0)
	ds_write_b64 v47, v[49:50]
.LBB22_127:
	s_or_b32 exec_lo, exec_lo, s4
	s_waitcnt lgkmcnt(0)
	s_waitcnt_vscnt null, 0x0
	s_barrier
	buffer_gl0_inv
	s_clause 0x19
	buffer_load_dword v53, off, s[0:3], 0 offset:88
	buffer_load_dword v54, off, s[0:3], 0 offset:92
	buffer_load_dword v55, off, s[0:3], 0 offset:96
	buffer_load_dword v56, off, s[0:3], 0 offset:100
	buffer_load_dword v57, off, s[0:3], 0 offset:104
	buffer_load_dword v58, off, s[0:3], 0 offset:108
	buffer_load_dword v59, off, s[0:3], 0 offset:112
	buffer_load_dword v60, off, s[0:3], 0 offset:116
	buffer_load_dword v61, off, s[0:3], 0 offset:120
	buffer_load_dword v62, off, s[0:3], 0 offset:124
	buffer_load_dword v63, off, s[0:3], 0 offset:128
	buffer_load_dword v64, off, s[0:3], 0 offset:132
	buffer_load_dword v65, off, s[0:3], 0 offset:136
	buffer_load_dword v66, off, s[0:3], 0 offset:140
	buffer_load_dword v68, off, s[0:3], 0 offset:148
	buffer_load_dword v67, off, s[0:3], 0 offset:144
	buffer_load_dword v69, off, s[0:3], 0 offset:152
	buffer_load_dword v70, off, s[0:3], 0 offset:156
	buffer_load_dword v71, off, s[0:3], 0 offset:160
	buffer_load_dword v72, off, s[0:3], 0 offset:164
	buffer_load_dword v73, off, s[0:3], 0 offset:168
	buffer_load_dword v74, off, s[0:3], 0 offset:172
	buffer_load_dword v76, off, s[0:3], 0 offset:180
	buffer_load_dword v75, off, s[0:3], 0 offset:176
	buffer_load_dword v77, off, s[0:3], 0 offset:80
	buffer_load_dword v78, off, s[0:3], 0 offset:84
	ds_read2_b64 v[49:52], v48 offset0:35 offset1:36
	s_mov_b32 s4, exec_lo
	s_waitcnt vmcnt(24) lgkmcnt(0)
	v_fma_f64 v[49:50], v[53:54], v[49:50], 0
	s_waitcnt vmcnt(22)
	v_fma_f64 v[53:54], v[55:56], v[51:52], v[49:50]
	ds_read2_b64 v[49:52], v48 offset0:37 offset1:38
	s_waitcnt vmcnt(20) lgkmcnt(0)
	v_fma_f64 v[49:50], v[57:58], v[49:50], v[53:54]
	s_waitcnt vmcnt(18)
	v_fma_f64 v[53:54], v[59:60], v[51:52], v[49:50]
	ds_read2_b64 v[49:52], v48 offset0:39 offset1:40
	;; [unrolled: 5-line block ×5, first 2 shown]
	s_waitcnt vmcnt(4) lgkmcnt(0)
	v_fma_f64 v[48:49], v[73:74], v[48:49], v[52:53]
	s_waitcnt vmcnt(2)
	v_fma_f64 v[48:49], v[75:76], v[50:51], v[48:49]
	s_waitcnt vmcnt(0)
	v_add_f64 v[48:49], v[77:78], -v[48:49]
	buffer_store_dword v49, off, s[0:3], 0 offset:84
	buffer_store_dword v48, off, s[0:3], 0 offset:80
	v_cmpx_lt_u32_e32 9, v0
	s_cbranch_execz .LBB22_129
; %bb.128:
	s_clause 0x1
	buffer_load_dword v48, off, s[0:3], 0 offset:72
	buffer_load_dword v49, off, s[0:3], 0 offset:76
	v_mov_b32_e32 v50, 0
	buffer_store_dword v50, off, s[0:3], 0 offset:72
	buffer_store_dword v50, off, s[0:3], 0 offset:76
	s_waitcnt vmcnt(0)
	ds_write_b64 v47, v[48:49]
.LBB22_129:
	s_or_b32 exec_lo, exec_lo, s4
	s_waitcnt lgkmcnt(0)
	s_waitcnt_vscnt null, 0x0
	s_barrier
	buffer_gl0_inv
	s_clause 0x1b
	buffer_load_dword v57, off, s[0:3], 0 offset:80
	buffer_load_dword v58, off, s[0:3], 0 offset:84
	;; [unrolled: 1-line block ×28, first 2 shown]
	v_mov_b32_e32 v48, 0
	ds_read_b128 v[49:52], v48 offset:272
	ds_read_b128 v[53:56], v48 offset:288
	s_mov_b32 s4, exec_lo
	s_waitcnt vmcnt(26) lgkmcnt(1)
	v_fma_f64 v[49:50], v[57:58], v[49:50], 0
	s_waitcnt vmcnt(24)
	v_fma_f64 v[49:50], v[59:60], v[51:52], v[49:50]
	s_waitcnt vmcnt(22) lgkmcnt(0)
	v_fma_f64 v[49:50], v[61:62], v[53:54], v[49:50]
	s_waitcnt vmcnt(20)
	v_fma_f64 v[57:58], v[63:64], v[55:56], v[49:50]
	ds_read_b128 v[49:52], v48 offset:304
	ds_read_b128 v[53:56], v48 offset:320
	s_waitcnt vmcnt(18) lgkmcnt(1)
	v_fma_f64 v[49:50], v[65:66], v[49:50], v[57:58]
	s_waitcnt vmcnt(16)
	v_fma_f64 v[49:50], v[67:68], v[51:52], v[49:50]
	s_waitcnt vmcnt(14) lgkmcnt(0)
	v_fma_f64 v[49:50], v[69:70], v[53:54], v[49:50]
	s_waitcnt vmcnt(9)
	v_fma_f64 v[57:58], v[71:72], v[55:56], v[49:50]
	ds_read_b128 v[49:52], v48 offset:336
	ds_read_b128 v[53:56], v48 offset:352
	s_waitcnt vmcnt(8) lgkmcnt(1)
	v_fma_f64 v[49:50], v[77:78], v[49:50], v[57:58]
	s_waitcnt vmcnt(7)
	v_fma_f64 v[49:50], v[75:76], v[51:52], v[49:50]
	ds_read_b64 v[51:52], v48 offset:368
	s_waitcnt vmcnt(6) lgkmcnt(1)
	v_fma_f64 v[49:50], v[73:74], v[53:54], v[49:50]
	s_waitcnt vmcnt(3)
	v_fma_f64 v[49:50], v[79:80], v[55:56], v[49:50]
	s_waitcnt vmcnt(2) lgkmcnt(0)
	v_fma_f64 v[49:50], v[81:82], v[51:52], v[49:50]
	s_waitcnt vmcnt(0)
	v_add_f64 v[49:50], v[83:84], -v[49:50]
	buffer_store_dword v50, off, s[0:3], 0 offset:76
	buffer_store_dword v49, off, s[0:3], 0 offset:72
	v_cmpx_lt_u32_e32 8, v0
	s_cbranch_execz .LBB22_131
; %bb.130:
	s_clause 0x1
	buffer_load_dword v49, off, s[0:3], 0 offset:64
	buffer_load_dword v50, off, s[0:3], 0 offset:68
	buffer_store_dword v48, off, s[0:3], 0 offset:64
	buffer_store_dword v48, off, s[0:3], 0 offset:68
	s_waitcnt vmcnt(0)
	ds_write_b64 v47, v[49:50]
.LBB22_131:
	s_or_b32 exec_lo, exec_lo, s4
	s_waitcnt lgkmcnt(0)
	s_waitcnt_vscnt null, 0x0
	s_barrier
	buffer_gl0_inv
	s_clause 0x1b
	buffer_load_dword v57, off, s[0:3], 0 offset:72
	buffer_load_dword v58, off, s[0:3], 0 offset:76
	;; [unrolled: 1-line block ×28, first 2 shown]
	ds_read2_b64 v[49:52], v48 offset0:33 offset1:34
	s_clause 0x1
	buffer_load_dword v85, off, s[0:3], 0 offset:64
	buffer_load_dword v86, off, s[0:3], 0 offset:68
	ds_read2_b64 v[53:56], v48 offset0:35 offset1:36
	s_mov_b32 s4, exec_lo
	s_waitcnt vmcnt(28) lgkmcnt(1)
	v_fma_f64 v[49:50], v[57:58], v[49:50], 0
	s_waitcnt vmcnt(26)
	v_fma_f64 v[49:50], v[59:60], v[51:52], v[49:50]
	s_waitcnt vmcnt(24) lgkmcnt(0)
	v_fma_f64 v[49:50], v[61:62], v[53:54], v[49:50]
	s_waitcnt vmcnt(22)
	v_fma_f64 v[57:58], v[63:64], v[55:56], v[49:50]
	ds_read2_b64 v[49:52], v48 offset0:37 offset1:38
	ds_read2_b64 v[53:56], v48 offset0:39 offset1:40
	s_waitcnt vmcnt(20) lgkmcnt(1)
	v_fma_f64 v[49:50], v[65:66], v[49:50], v[57:58]
	s_waitcnt vmcnt(18)
	v_fma_f64 v[49:50], v[67:68], v[51:52], v[49:50]
	s_waitcnt vmcnt(16) lgkmcnt(0)
	v_fma_f64 v[49:50], v[69:70], v[53:54], v[49:50]
	s_waitcnt vmcnt(11)
	v_fma_f64 v[57:58], v[71:72], v[55:56], v[49:50]
	ds_read2_b64 v[49:52], v48 offset0:41 offset1:42
	ds_read2_b64 v[53:56], v48 offset0:43 offset1:44
	s_waitcnt vmcnt(10) lgkmcnt(1)
	v_fma_f64 v[49:50], v[77:78], v[49:50], v[57:58]
	s_waitcnt vmcnt(9)
	v_fma_f64 v[49:50], v[75:76], v[51:52], v[49:50]
	s_waitcnt vmcnt(8) lgkmcnt(0)
	v_fma_f64 v[49:50], v[73:74], v[53:54], v[49:50]
	s_waitcnt vmcnt(4)
	v_fma_f64 v[52:53], v[79:80], v[55:56], v[49:50]
	ds_read2_b64 v[48:51], v48 offset0:45 offset1:46
	s_waitcnt vmcnt(3) lgkmcnt(0)
	v_fma_f64 v[48:49], v[83:84], v[48:49], v[52:53]
	s_waitcnt vmcnt(2)
	v_fma_f64 v[48:49], v[81:82], v[50:51], v[48:49]
	s_waitcnt vmcnt(0)
	v_add_f64 v[48:49], v[85:86], -v[48:49]
	buffer_store_dword v49, off, s[0:3], 0 offset:68
	buffer_store_dword v48, off, s[0:3], 0 offset:64
	v_cmpx_lt_u32_e32 7, v0
	s_cbranch_execz .LBB22_133
; %bb.132:
	s_clause 0x1
	buffer_load_dword v48, off, s[0:3], 0 offset:56
	buffer_load_dword v49, off, s[0:3], 0 offset:60
	v_mov_b32_e32 v50, 0
	buffer_store_dword v50, off, s[0:3], 0 offset:56
	buffer_store_dword v50, off, s[0:3], 0 offset:60
	s_waitcnt vmcnt(0)
	ds_write_b64 v47, v[48:49]
.LBB22_133:
	s_or_b32 exec_lo, exec_lo, s4
	s_waitcnt lgkmcnt(0)
	s_waitcnt_vscnt null, 0x0
	s_barrier
	buffer_gl0_inv
	s_clause 0x1c
	buffer_load_dword v57, off, s[0:3], 0 offset:64
	buffer_load_dword v58, off, s[0:3], 0 offset:68
	buffer_load_dword v59, off, s[0:3], 0 offset:72
	buffer_load_dword v60, off, s[0:3], 0 offset:76
	buffer_load_dword v61, off, s[0:3], 0 offset:80
	buffer_load_dword v62, off, s[0:3], 0 offset:84
	buffer_load_dword v63, off, s[0:3], 0 offset:88
	buffer_load_dword v64, off, s[0:3], 0 offset:92
	buffer_load_dword v65, off, s[0:3], 0 offset:96
	buffer_load_dword v66, off, s[0:3], 0 offset:100
	buffer_load_dword v67, off, s[0:3], 0 offset:104
	buffer_load_dword v68, off, s[0:3], 0 offset:108
	buffer_load_dword v69, off, s[0:3], 0 offset:112
	buffer_load_dword v70, off, s[0:3], 0 offset:116
	buffer_load_dword v72, off, s[0:3], 0 offset:124
	buffer_load_dword v73, off, s[0:3], 0 offset:144
	buffer_load_dword v75, off, s[0:3], 0 offset:136
	buffer_load_dword v77, off, s[0:3], 0 offset:128
	buffer_load_dword v71, off, s[0:3], 0 offset:120
	buffer_load_dword v78, off, s[0:3], 0 offset:132
	buffer_load_dword v76, off, s[0:3], 0 offset:140
	buffer_load_dword v74, off, s[0:3], 0 offset:148
	buffer_load_dword v80, off, s[0:3], 0 offset:156
	buffer_load_dword v81, off, s[0:3], 0 offset:176
	buffer_load_dword v83, off, s[0:3], 0 offset:168
	buffer_load_dword v85, off, s[0:3], 0 offset:160
	buffer_load_dword v79, off, s[0:3], 0 offset:152
	buffer_load_dword v86, off, s[0:3], 0 offset:164
	buffer_load_dword v84, off, s[0:3], 0 offset:172
	v_mov_b32_e32 v48, 0
	buffer_load_dword v82, off, s[0:3], 0 offset:180
	s_mov_b32 s4, exec_lo
	ds_read_b128 v[49:52], v48 offset:256
	ds_read_b128 v[53:56], v48 offset:272
	s_waitcnt vmcnt(28) lgkmcnt(1)
	v_fma_f64 v[49:50], v[57:58], v[49:50], 0
	s_clause 0x1
	buffer_load_dword v57, off, s[0:3], 0 offset:56
	buffer_load_dword v58, off, s[0:3], 0 offset:60
	s_waitcnt vmcnt(28)
	v_fma_f64 v[49:50], v[59:60], v[51:52], v[49:50]
	s_waitcnt vmcnt(26) lgkmcnt(0)
	v_fma_f64 v[49:50], v[61:62], v[53:54], v[49:50]
	s_waitcnt vmcnt(24)
	v_fma_f64 v[59:60], v[63:64], v[55:56], v[49:50]
	ds_read_b128 v[49:52], v48 offset:288
	ds_read_b128 v[53:56], v48 offset:304
	s_waitcnt vmcnt(22) lgkmcnt(1)
	v_fma_f64 v[49:50], v[65:66], v[49:50], v[59:60]
	s_waitcnt vmcnt(20)
	v_fma_f64 v[49:50], v[67:68], v[51:52], v[49:50]
	s_waitcnt vmcnt(18) lgkmcnt(0)
	v_fma_f64 v[49:50], v[69:70], v[53:54], v[49:50]
	s_waitcnt vmcnt(13)
	v_fma_f64 v[59:60], v[71:72], v[55:56], v[49:50]
	ds_read_b128 v[49:52], v48 offset:320
	ds_read_b128 v[53:56], v48 offset:336
	s_waitcnt vmcnt(12) lgkmcnt(1)
	v_fma_f64 v[49:50], v[77:78], v[49:50], v[59:60]
	s_waitcnt vmcnt(11)
	v_fma_f64 v[49:50], v[75:76], v[51:52], v[49:50]
	s_waitcnt vmcnt(10) lgkmcnt(0)
	v_fma_f64 v[49:50], v[73:74], v[53:54], v[49:50]
	s_waitcnt vmcnt(5)
	v_fma_f64 v[53:54], v[79:80], v[55:56], v[49:50]
	ds_read_b128 v[49:52], v48 offset:352
	ds_read_b64 v[55:56], v48 offset:368
	s_waitcnt vmcnt(4) lgkmcnt(1)
	v_fma_f64 v[49:50], v[85:86], v[49:50], v[53:54]
	s_waitcnt vmcnt(3)
	v_fma_f64 v[49:50], v[83:84], v[51:52], v[49:50]
	s_waitcnt vmcnt(2) lgkmcnt(0)
	v_fma_f64 v[49:50], v[81:82], v[55:56], v[49:50]
	s_waitcnt vmcnt(0)
	v_add_f64 v[49:50], v[57:58], -v[49:50]
	buffer_store_dword v50, off, s[0:3], 0 offset:60
	buffer_store_dword v49, off, s[0:3], 0 offset:56
	v_cmpx_lt_u32_e32 6, v0
	s_cbranch_execz .LBB22_135
; %bb.134:
	s_clause 0x1
	buffer_load_dword v49, off, s[0:3], 0 offset:48
	buffer_load_dword v50, off, s[0:3], 0 offset:52
	buffer_store_dword v48, off, s[0:3], 0 offset:48
	buffer_store_dword v48, off, s[0:3], 0 offset:52
	s_waitcnt vmcnt(0)
	ds_write_b64 v47, v[49:50]
.LBB22_135:
	s_or_b32 exec_lo, exec_lo, s4
	s_waitcnt lgkmcnt(0)
	s_waitcnt_vscnt null, 0x0
	s_barrier
	buffer_gl0_inv
	s_clause 0x1c
	buffer_load_dword v57, off, s[0:3], 0 offset:56
	buffer_load_dword v58, off, s[0:3], 0 offset:60
	;; [unrolled: 1-line block ×29, first 2 shown]
	ds_read2_b64 v[49:52], v48 offset0:31 offset1:32
	ds_read2_b64 v[53:56], v48 offset0:33 offset1:34
	buffer_load_dword v82, off, s[0:3], 0 offset:172
	s_mov_b32 s4, exec_lo
	s_waitcnt vmcnt(28) lgkmcnt(1)
	v_fma_f64 v[49:50], v[57:58], v[49:50], 0
	s_clause 0x1
	buffer_load_dword v58, off, s[0:3], 0 offset:180
	buffer_load_dword v57, off, s[0:3], 0 offset:176
	s_waitcnt vmcnt(28)
	v_fma_f64 v[49:50], v[59:60], v[51:52], v[49:50]
	s_clause 0x1
	buffer_load_dword v59, off, s[0:3], 0 offset:48
	buffer_load_dword v60, off, s[0:3], 0 offset:52
	s_waitcnt vmcnt(28) lgkmcnt(0)
	v_fma_f64 v[49:50], v[61:62], v[53:54], v[49:50]
	s_waitcnt vmcnt(26)
	v_fma_f64 v[61:62], v[63:64], v[55:56], v[49:50]
	ds_read2_b64 v[49:52], v48 offset0:35 offset1:36
	ds_read2_b64 v[53:56], v48 offset0:37 offset1:38
	s_waitcnt vmcnt(24) lgkmcnt(1)
	v_fma_f64 v[49:50], v[65:66], v[49:50], v[61:62]
	s_waitcnt vmcnt(22)
	v_fma_f64 v[49:50], v[67:68], v[51:52], v[49:50]
	s_waitcnt vmcnt(20) lgkmcnt(0)
	v_fma_f64 v[49:50], v[69:70], v[53:54], v[49:50]
	s_waitcnt vmcnt(15)
	v_fma_f64 v[61:62], v[71:72], v[55:56], v[49:50]
	ds_read2_b64 v[49:52], v48 offset0:39 offset1:40
	ds_read2_b64 v[53:56], v48 offset0:41 offset1:42
	s_waitcnt vmcnt(14) lgkmcnt(1)
	v_fma_f64 v[49:50], v[77:78], v[49:50], v[61:62]
	s_waitcnt vmcnt(13)
	v_fma_f64 v[49:50], v[75:76], v[51:52], v[49:50]
	;; [unrolled: 10-line block ×3, first 2 shown]
	s_waitcnt vmcnt(4) lgkmcnt(0)
	v_fma_f64 v[48:49], v[81:82], v[53:54], v[48:49]
	s_waitcnt vmcnt(2)
	v_fma_f64 v[48:49], v[57:58], v[55:56], v[48:49]
	s_waitcnt vmcnt(0)
	v_add_f64 v[48:49], v[59:60], -v[48:49]
	buffer_store_dword v49, off, s[0:3], 0 offset:52
	buffer_store_dword v48, off, s[0:3], 0 offset:48
	v_cmpx_lt_u32_e32 5, v0
	s_cbranch_execz .LBB22_137
; %bb.136:
	s_clause 0x1
	buffer_load_dword v48, off, s[0:3], 0 offset:40
	buffer_load_dword v49, off, s[0:3], 0 offset:44
	v_mov_b32_e32 v50, 0
	buffer_store_dword v50, off, s[0:3], 0 offset:40
	buffer_store_dword v50, off, s[0:3], 0 offset:44
	s_waitcnt vmcnt(0)
	ds_write_b64 v47, v[48:49]
.LBB22_137:
	s_or_b32 exec_lo, exec_lo, s4
	s_waitcnt lgkmcnt(0)
	s_waitcnt_vscnt null, 0x0
	s_barrier
	buffer_gl0_inv
	s_clause 0x1c
	buffer_load_dword v57, off, s[0:3], 0 offset:48
	buffer_load_dword v58, off, s[0:3], 0 offset:52
	;; [unrolled: 1-line block ×29, first 2 shown]
	v_mov_b32_e32 v48, 0
	buffer_load_dword v82, off, s[0:3], 0 offset:164
	s_mov_b32 s4, exec_lo
	ds_read_b128 v[49:52], v48 offset:240
	ds_read_b128 v[53:56], v48 offset:256
	s_waitcnt vmcnt(28) lgkmcnt(1)
	v_fma_f64 v[49:50], v[57:58], v[49:50], 0
	s_clause 0x3
	buffer_load_dword v58, off, s[0:3], 0 offset:172
	buffer_load_dword v87, off, s[0:3], 0 offset:176
	;; [unrolled: 1-line block ×4, first 2 shown]
	s_waitcnt vmcnt(30)
	v_fma_f64 v[49:50], v[59:60], v[51:52], v[49:50]
	s_clause 0x1
	buffer_load_dword v59, off, s[0:3], 0 offset:40
	buffer_load_dword v60, off, s[0:3], 0 offset:44
	s_waitcnt vmcnt(30) lgkmcnt(0)
	v_fma_f64 v[49:50], v[61:62], v[53:54], v[49:50]
	s_waitcnt vmcnt(28)
	v_fma_f64 v[61:62], v[63:64], v[55:56], v[49:50]
	ds_read_b128 v[49:52], v48 offset:272
	ds_read_b128 v[53:56], v48 offset:288
	s_waitcnt vmcnt(26) lgkmcnt(1)
	v_fma_f64 v[49:50], v[65:66], v[49:50], v[61:62]
	s_waitcnt vmcnt(24)
	v_fma_f64 v[49:50], v[67:68], v[51:52], v[49:50]
	s_waitcnt vmcnt(22) lgkmcnt(0)
	v_fma_f64 v[49:50], v[69:70], v[53:54], v[49:50]
	s_waitcnt vmcnt(17)
	v_fma_f64 v[61:62], v[71:72], v[55:56], v[49:50]
	ds_read_b128 v[49:52], v48 offset:304
	ds_read_b128 v[53:56], v48 offset:320
	s_waitcnt vmcnt(16) lgkmcnt(1)
	v_fma_f64 v[49:50], v[77:78], v[49:50], v[61:62]
	s_waitcnt vmcnt(15)
	v_fma_f64 v[49:50], v[75:76], v[51:52], v[49:50]
	;; [unrolled: 10-line block ×3, first 2 shown]
	ds_read_b64 v[51:52], v48 offset:368
	s_waitcnt vmcnt(6) lgkmcnt(1)
	v_fma_f64 v[49:50], v[81:82], v[53:54], v[49:50]
	s_waitcnt vmcnt(3)
	v_fma_f64 v[49:50], v[57:58], v[55:56], v[49:50]
	s_waitcnt vmcnt(2) lgkmcnt(0)
	v_fma_f64 v[49:50], v[87:88], v[51:52], v[49:50]
	s_waitcnt vmcnt(0)
	v_add_f64 v[49:50], v[59:60], -v[49:50]
	buffer_store_dword v50, off, s[0:3], 0 offset:44
	buffer_store_dword v49, off, s[0:3], 0 offset:40
	v_cmpx_lt_u32_e32 4, v0
	s_cbranch_execz .LBB22_139
; %bb.138:
	s_clause 0x1
	buffer_load_dword v49, off, s[0:3], 0 offset:32
	buffer_load_dword v50, off, s[0:3], 0 offset:36
	buffer_store_dword v48, off, s[0:3], 0 offset:32
	buffer_store_dword v48, off, s[0:3], 0 offset:36
	s_waitcnt vmcnt(0)
	ds_write_b64 v47, v[49:50]
.LBB22_139:
	s_or_b32 exec_lo, exec_lo, s4
	s_waitcnt lgkmcnt(0)
	s_waitcnt_vscnt null, 0x0
	s_barrier
	buffer_gl0_inv
	s_clause 0x1c
	buffer_load_dword v57, off, s[0:3], 0 offset:40
	buffer_load_dword v58, off, s[0:3], 0 offset:44
	;; [unrolled: 1-line block ×29, first 2 shown]
	ds_read2_b64 v[49:52], v48 offset0:29 offset1:30
	ds_read2_b64 v[53:56], v48 offset0:31 offset1:32
	buffer_load_dword v82, off, s[0:3], 0 offset:156
	s_mov_b32 s4, exec_lo
	s_waitcnt vmcnt(28) lgkmcnt(1)
	v_fma_f64 v[49:50], v[57:58], v[49:50], 0
	s_clause 0x5
	buffer_load_dword v58, off, s[0:3], 0 offset:164
	buffer_load_dword v87, off, s[0:3], 0 offset:176
	;; [unrolled: 1-line block ×6, first 2 shown]
	s_waitcnt vmcnt(32)
	v_fma_f64 v[49:50], v[59:60], v[51:52], v[49:50]
	s_waitcnt vmcnt(30) lgkmcnt(0)
	v_fma_f64 v[49:50], v[61:62], v[53:54], v[49:50]
	s_waitcnt vmcnt(28)
	v_fma_f64 v[59:60], v[63:64], v[55:56], v[49:50]
	ds_read2_b64 v[49:52], v48 offset0:33 offset1:34
	s_clause 0x1
	buffer_load_dword v61, off, s[0:3], 0 offset:32
	buffer_load_dword v62, off, s[0:3], 0 offset:36
	ds_read2_b64 v[53:56], v48 offset0:35 offset1:36
	s_waitcnt vmcnt(28) lgkmcnt(1)
	v_fma_f64 v[49:50], v[65:66], v[49:50], v[59:60]
	s_waitcnt vmcnt(26)
	v_fma_f64 v[49:50], v[67:68], v[51:52], v[49:50]
	s_waitcnt vmcnt(24) lgkmcnt(0)
	v_fma_f64 v[49:50], v[69:70], v[53:54], v[49:50]
	s_waitcnt vmcnt(19)
	v_fma_f64 v[59:60], v[71:72], v[55:56], v[49:50]
	ds_read2_b64 v[49:52], v48 offset0:37 offset1:38
	ds_read2_b64 v[53:56], v48 offset0:39 offset1:40
	s_waitcnt vmcnt(18) lgkmcnt(1)
	v_fma_f64 v[49:50], v[77:78], v[49:50], v[59:60]
	s_waitcnt vmcnt(17)
	v_fma_f64 v[49:50], v[75:76], v[51:52], v[49:50]
	s_waitcnt vmcnt(16) lgkmcnt(0)
	v_fma_f64 v[49:50], v[73:74], v[53:54], v[49:50]
	s_waitcnt vmcnt(11)
	v_fma_f64 v[59:60], v[79:80], v[55:56], v[49:50]
	ds_read2_b64 v[49:52], v48 offset0:41 offset1:42
	;; [unrolled: 10-line block ×3, first 2 shown]
	s_waitcnt vmcnt(3) lgkmcnt(0)
	v_fma_f64 v[48:49], v[89:90], v[48:49], v[52:53]
	s_waitcnt vmcnt(2)
	v_fma_f64 v[48:49], v[87:88], v[50:51], v[48:49]
	s_waitcnt vmcnt(0)
	v_add_f64 v[48:49], v[61:62], -v[48:49]
	buffer_store_dword v49, off, s[0:3], 0 offset:36
	buffer_store_dword v48, off, s[0:3], 0 offset:32
	v_cmpx_lt_u32_e32 3, v0
	s_cbranch_execz .LBB22_141
; %bb.140:
	s_clause 0x1
	buffer_load_dword v48, off, s[0:3], 0 offset:24
	buffer_load_dword v49, off, s[0:3], 0 offset:28
	v_mov_b32_e32 v50, 0
	buffer_store_dword v50, off, s[0:3], 0 offset:24
	buffer_store_dword v50, off, s[0:3], 0 offset:28
	s_waitcnt vmcnt(0)
	ds_write_b64 v47, v[48:49]
.LBB22_141:
	s_or_b32 exec_lo, exec_lo, s4
	s_waitcnt lgkmcnt(0)
	s_waitcnt_vscnt null, 0x0
	s_barrier
	buffer_gl0_inv
	s_clause 0x1c
	buffer_load_dword v57, off, s[0:3], 0 offset:32
	buffer_load_dword v58, off, s[0:3], 0 offset:36
	;; [unrolled: 1-line block ×29, first 2 shown]
	v_mov_b32_e32 v48, 0
	buffer_load_dword v82, off, s[0:3], 0 offset:148
	s_mov_b32 s4, exec_lo
	ds_read_b128 v[49:52], v48 offset:224
	ds_read_b128 v[53:56], v48 offset:240
	s_waitcnt vmcnt(28) lgkmcnt(1)
	v_fma_f64 v[49:50], v[57:58], v[49:50], 0
	s_clause 0x7
	buffer_load_dword v58, off, s[0:3], 0 offset:156
	buffer_load_dword v87, off, s[0:3], 0 offset:176
	;; [unrolled: 1-line block ×8, first 2 shown]
	s_waitcnt vmcnt(34)
	v_fma_f64 v[49:50], v[59:60], v[51:52], v[49:50]
	s_waitcnt vmcnt(32) lgkmcnt(0)
	v_fma_f64 v[49:50], v[61:62], v[53:54], v[49:50]
	s_waitcnt vmcnt(30)
	v_fma_f64 v[59:60], v[63:64], v[55:56], v[49:50]
	ds_read_b128 v[49:52], v48 offset:256
	ds_read_b128 v[53:56], v48 offset:272
	s_waitcnt vmcnt(28) lgkmcnt(1)
	v_fma_f64 v[49:50], v[65:66], v[49:50], v[59:60]
	s_clause 0x1
	buffer_load_dword v59, off, s[0:3], 0 offset:24
	buffer_load_dword v60, off, s[0:3], 0 offset:28
	s_waitcnt vmcnt(28)
	v_fma_f64 v[49:50], v[67:68], v[51:52], v[49:50]
	s_waitcnt vmcnt(26) lgkmcnt(0)
	v_fma_f64 v[49:50], v[69:70], v[53:54], v[49:50]
	s_waitcnt vmcnt(21)
	v_fma_f64 v[61:62], v[71:72], v[55:56], v[49:50]
	ds_read_b128 v[49:52], v48 offset:288
	ds_read_b128 v[53:56], v48 offset:304
	s_waitcnt vmcnt(20) lgkmcnt(1)
	v_fma_f64 v[49:50], v[77:78], v[49:50], v[61:62]
	s_waitcnt vmcnt(19)
	v_fma_f64 v[49:50], v[75:76], v[51:52], v[49:50]
	s_waitcnt vmcnt(18) lgkmcnt(0)
	v_fma_f64 v[49:50], v[73:74], v[53:54], v[49:50]
	s_waitcnt vmcnt(13)
	v_fma_f64 v[61:62], v[79:80], v[55:56], v[49:50]
	ds_read_b128 v[49:52], v48 offset:320
	ds_read_b128 v[53:56], v48 offset:336
	s_waitcnt vmcnt(12) lgkmcnt(1)
	v_fma_f64 v[49:50], v[85:86], v[49:50], v[61:62]
	s_waitcnt vmcnt(11)
	v_fma_f64 v[49:50], v[83:84], v[51:52], v[49:50]
	s_waitcnt vmcnt(10) lgkmcnt(0)
	v_fma_f64 v[49:50], v[81:82], v[53:54], v[49:50]
	s_waitcnt vmcnt(5)
	v_fma_f64 v[53:54], v[57:58], v[55:56], v[49:50]
	ds_read_b128 v[49:52], v48 offset:352
	ds_read_b64 v[55:56], v48 offset:368
	s_waitcnt vmcnt(4) lgkmcnt(1)
	v_fma_f64 v[49:50], v[91:92], v[49:50], v[53:54]
	s_waitcnt vmcnt(3)
	v_fma_f64 v[49:50], v[89:90], v[51:52], v[49:50]
	s_waitcnt vmcnt(2) lgkmcnt(0)
	v_fma_f64 v[49:50], v[87:88], v[55:56], v[49:50]
	s_waitcnt vmcnt(0)
	v_add_f64 v[49:50], v[59:60], -v[49:50]
	buffer_store_dword v50, off, s[0:3], 0 offset:28
	buffer_store_dword v49, off, s[0:3], 0 offset:24
	v_cmpx_lt_u32_e32 2, v0
	s_cbranch_execz .LBB22_143
; %bb.142:
	s_clause 0x1
	buffer_load_dword v49, off, s[0:3], 0 offset:16
	buffer_load_dword v50, off, s[0:3], 0 offset:20
	buffer_store_dword v48, off, s[0:3], 0 offset:16
	buffer_store_dword v48, off, s[0:3], 0 offset:20
	s_waitcnt vmcnt(0)
	ds_write_b64 v47, v[49:50]
.LBB22_143:
	s_or_b32 exec_lo, exec_lo, s4
	s_waitcnt lgkmcnt(0)
	s_waitcnt_vscnt null, 0x0
	s_barrier
	buffer_gl0_inv
	s_clause 0x1c
	buffer_load_dword v57, off, s[0:3], 0 offset:24
	buffer_load_dword v58, off, s[0:3], 0 offset:28
	;; [unrolled: 1-line block ×29, first 2 shown]
	ds_read2_b64 v[49:52], v48 offset0:27 offset1:28
	ds_read2_b64 v[53:56], v48 offset0:29 offset1:30
	buffer_load_dword v82, off, s[0:3], 0 offset:140
	s_mov_b32 s4, exec_lo
	s_waitcnt vmcnt(28) lgkmcnt(1)
	v_fma_f64 v[49:50], v[57:58], v[49:50], 0
	s_clause 0x7
	buffer_load_dword v58, off, s[0:3], 0 offset:148
	buffer_load_dword v87, off, s[0:3], 0 offset:168
	;; [unrolled: 1-line block ×8, first 2 shown]
	s_waitcnt vmcnt(34)
	v_fma_f64 v[49:50], v[59:60], v[51:52], v[49:50]
	s_waitcnt vmcnt(32) lgkmcnt(0)
	v_fma_f64 v[49:50], v[61:62], v[53:54], v[49:50]
	s_waitcnt vmcnt(30)
	v_fma_f64 v[59:60], v[63:64], v[55:56], v[49:50]
	ds_read2_b64 v[49:52], v48 offset0:31 offset1:32
	ds_read2_b64 v[53:56], v48 offset0:33 offset1:34
	s_waitcnt vmcnt(28) lgkmcnt(1)
	v_fma_f64 v[49:50], v[65:66], v[49:50], v[59:60]
	s_clause 0x3
	buffer_load_dword v60, off, s[0:3], 0 offset:180
	buffer_load_dword v59, off, s[0:3], 0 offset:176
	;; [unrolled: 1-line block ×4, first 2 shown]
	s_waitcnt vmcnt(30)
	v_fma_f64 v[49:50], v[67:68], v[51:52], v[49:50]
	s_waitcnt vmcnt(28) lgkmcnt(0)
	v_fma_f64 v[49:50], v[69:70], v[53:54], v[49:50]
	s_waitcnt vmcnt(23)
	v_fma_f64 v[63:64], v[71:72], v[55:56], v[49:50]
	ds_read2_b64 v[49:52], v48 offset0:35 offset1:36
	ds_read2_b64 v[53:56], v48 offset0:37 offset1:38
	s_waitcnt vmcnt(22) lgkmcnt(1)
	v_fma_f64 v[49:50], v[77:78], v[49:50], v[63:64]
	s_waitcnt vmcnt(21)
	v_fma_f64 v[49:50], v[75:76], v[51:52], v[49:50]
	s_waitcnt vmcnt(20) lgkmcnt(0)
	v_fma_f64 v[49:50], v[73:74], v[53:54], v[49:50]
	s_waitcnt vmcnt(15)
	v_fma_f64 v[63:64], v[79:80], v[55:56], v[49:50]
	ds_read2_b64 v[49:52], v48 offset0:39 offset1:40
	ds_read2_b64 v[53:56], v48 offset0:41 offset1:42
	s_waitcnt vmcnt(14) lgkmcnt(1)
	v_fma_f64 v[49:50], v[85:86], v[49:50], v[63:64]
	;; [unrolled: 10-line block ×3, first 2 shown]
	s_waitcnt vmcnt(5)
	v_fma_f64 v[48:49], v[89:90], v[51:52], v[48:49]
	s_waitcnt vmcnt(4) lgkmcnt(0)
	v_fma_f64 v[48:49], v[87:88], v[53:54], v[48:49]
	s_waitcnt vmcnt(2)
	v_fma_f64 v[48:49], v[59:60], v[55:56], v[48:49]
	s_waitcnt vmcnt(0)
	v_add_f64 v[48:49], v[61:62], -v[48:49]
	buffer_store_dword v49, off, s[0:3], 0 offset:20
	buffer_store_dword v48, off, s[0:3], 0 offset:16
	v_cmpx_lt_u32_e32 1, v0
	s_cbranch_execz .LBB22_145
; %bb.144:
	s_clause 0x1
	buffer_load_dword v48, off, s[0:3], 0 offset:8
	buffer_load_dword v49, off, s[0:3], 0 offset:12
	v_mov_b32_e32 v50, 0
	buffer_store_dword v50, off, s[0:3], 0 offset:8
	buffer_store_dword v50, off, s[0:3], 0 offset:12
	s_waitcnt vmcnt(0)
	ds_write_b64 v47, v[48:49]
.LBB22_145:
	s_or_b32 exec_lo, exec_lo, s4
	s_waitcnt lgkmcnt(0)
	s_waitcnt_vscnt null, 0x0
	s_barrier
	buffer_gl0_inv
	s_clause 0x1c
	buffer_load_dword v57, off, s[0:3], 0 offset:16
	buffer_load_dword v58, off, s[0:3], 0 offset:20
	;; [unrolled: 1-line block ×29, first 2 shown]
	v_mov_b32_e32 v48, 0
	buffer_load_dword v82, off, s[0:3], 0 offset:132
	s_mov_b32 s4, exec_lo
	ds_read_b128 v[49:52], v48 offset:208
	ds_read_b128 v[53:56], v48 offset:224
	s_waitcnt vmcnt(28) lgkmcnt(1)
	v_fma_f64 v[49:50], v[57:58], v[49:50], 0
	s_clause 0x7
	buffer_load_dword v58, off, s[0:3], 0 offset:140
	buffer_load_dword v87, off, s[0:3], 0 offset:160
	;; [unrolled: 1-line block ×8, first 2 shown]
	s_waitcnt vmcnt(34)
	v_fma_f64 v[49:50], v[59:60], v[51:52], v[49:50]
	s_waitcnt vmcnt(32) lgkmcnt(0)
	v_fma_f64 v[49:50], v[61:62], v[53:54], v[49:50]
	s_waitcnt vmcnt(30)
	v_fma_f64 v[59:60], v[63:64], v[55:56], v[49:50]
	ds_read_b128 v[49:52], v48 offset:240
	ds_read_b128 v[53:56], v48 offset:256
	s_waitcnt vmcnt(28) lgkmcnt(1)
	v_fma_f64 v[49:50], v[65:66], v[49:50], v[59:60]
	s_clause 0x5
	buffer_load_dword v60, off, s[0:3], 0 offset:172
	buffer_load_dword v61, off, s[0:3], 0 offset:176
	;; [unrolled: 1-line block ×6, first 2 shown]
	s_waitcnt vmcnt(32)
	v_fma_f64 v[49:50], v[67:68], v[51:52], v[49:50]
	s_waitcnt vmcnt(30) lgkmcnt(0)
	v_fma_f64 v[49:50], v[69:70], v[53:54], v[49:50]
	s_waitcnt vmcnt(25)
	v_fma_f64 v[65:66], v[71:72], v[55:56], v[49:50]
	ds_read_b128 v[49:52], v48 offset:272
	ds_read_b128 v[53:56], v48 offset:288
	s_waitcnt vmcnt(24) lgkmcnt(1)
	v_fma_f64 v[49:50], v[77:78], v[49:50], v[65:66]
	s_waitcnt vmcnt(23)
	v_fma_f64 v[49:50], v[75:76], v[51:52], v[49:50]
	s_waitcnt vmcnt(22) lgkmcnt(0)
	v_fma_f64 v[49:50], v[73:74], v[53:54], v[49:50]
	s_waitcnt vmcnt(17)
	v_fma_f64 v[65:66], v[79:80], v[55:56], v[49:50]
	ds_read_b128 v[49:52], v48 offset:304
	ds_read_b128 v[53:56], v48 offset:320
	s_waitcnt vmcnt(16) lgkmcnt(1)
	v_fma_f64 v[49:50], v[85:86], v[49:50], v[65:66]
	;; [unrolled: 10-line block ×3, first 2 shown]
	s_waitcnt vmcnt(7)
	v_fma_f64 v[49:50], v[89:90], v[51:52], v[49:50]
	ds_read_b64 v[51:52], v48 offset:368
	s_waitcnt vmcnt(6) lgkmcnt(1)
	v_fma_f64 v[49:50], v[87:88], v[53:54], v[49:50]
	s_waitcnt vmcnt(3)
	v_fma_f64 v[49:50], v[59:60], v[55:56], v[49:50]
	s_waitcnt vmcnt(2) lgkmcnt(0)
	v_fma_f64 v[49:50], v[61:62], v[51:52], v[49:50]
	s_waitcnt vmcnt(0)
	v_add_f64 v[49:50], v[63:64], -v[49:50]
	buffer_store_dword v50, off, s[0:3], 0 offset:12
	buffer_store_dword v49, off, s[0:3], 0 offset:8
	v_cmpx_ne_u32_e32 0, v0
	s_cbranch_execz .LBB22_147
; %bb.146:
	s_clause 0x1
	buffer_load_dword v49, off, s[0:3], 0
	buffer_load_dword v50, off, s[0:3], 0 offset:4
	buffer_store_dword v48, off, s[0:3], 0
	buffer_store_dword v48, off, s[0:3], 0 offset:4
	s_waitcnt vmcnt(0)
	ds_write_b64 v47, v[49:50]
.LBB22_147:
	s_or_b32 exec_lo, exec_lo, s4
	s_waitcnt lgkmcnt(0)
	s_waitcnt_vscnt null, 0x0
	s_barrier
	buffer_gl0_inv
	s_clause 0x1c
	buffer_load_dword v57, off, s[0:3], 0 offset:8
	buffer_load_dword v58, off, s[0:3], 0 offset:12
	;; [unrolled: 1-line block ×29, first 2 shown]
	ds_read2_b64 v[49:52], v48 offset0:25 offset1:26
	ds_read2_b64 v[53:56], v48 offset0:27 offset1:28
	s_clause 0x8
	buffer_load_dword v82, off, s[0:3], 0 offset:124
	buffer_load_dword v88, off, s[0:3], 0 offset:132
	;; [unrolled: 1-line block ×9, first 2 shown]
	s_and_b32 vcc_lo, exec_lo, s22
	s_waitcnt vmcnt(36) lgkmcnt(1)
	v_fma_f64 v[49:50], v[57:58], v[49:50], 0
	s_waitcnt vmcnt(34)
	v_fma_f64 v[49:50], v[59:60], v[51:52], v[49:50]
	s_waitcnt vmcnt(32) lgkmcnt(0)
	v_fma_f64 v[49:50], v[61:62], v[53:54], v[49:50]
	s_waitcnt vmcnt(30)
	v_fma_f64 v[57:58], v[63:64], v[55:56], v[49:50]
	ds_read2_b64 v[49:52], v48 offset0:29 offset1:30
	ds_read2_b64 v[53:56], v48 offset0:31 offset1:32
	s_waitcnt vmcnt(28) lgkmcnt(1)
	v_fma_f64 v[57:58], v[65:66], v[49:50], v[57:58]
	s_clause 0x5
	buffer_load_dword v60, off, s[0:3], 0 offset:164
	buffer_load_dword v61, off, s[0:3], 0 offset:176
	;; [unrolled: 1-line block ×6, first 2 shown]
	s_waitcnt vmcnt(32)
	v_fma_f64 v[51:52], v[67:68], v[51:52], v[57:58]
	s_waitcnt vmcnt(30) lgkmcnt(0)
	v_fma_f64 v[51:52], v[69:70], v[53:54], v[51:52]
	s_waitcnt vmcnt(25)
	v_fma_f64 v[63:64], v[71:72], v[55:56], v[51:52]
	ds_read2_b64 v[51:54], v48 offset0:33 offset1:34
	s_clause 0x1
	buffer_load_dword v65, off, s[0:3], 0
	buffer_load_dword v66, off, s[0:3], 0 offset:4
	ds_read2_b64 v[55:58], v48 offset0:35 offset1:36
	s_waitcnt vmcnt(26) lgkmcnt(1)
	v_fma_f64 v[51:52], v[77:78], v[51:52], v[63:64]
	s_waitcnt vmcnt(25)
	v_fma_f64 v[51:52], v[75:76], v[53:54], v[51:52]
	s_waitcnt vmcnt(24) lgkmcnt(0)
	v_fma_f64 v[51:52], v[73:74], v[55:56], v[51:52]
	s_waitcnt vmcnt(19)
	v_fma_f64 v[63:64], v[79:80], v[57:58], v[51:52]
	ds_read2_b64 v[51:54], v48 offset0:37 offset1:38
	ds_read2_b64 v[55:58], v48 offset0:39 offset1:40
	s_waitcnt vmcnt(18) lgkmcnt(1)
	v_fma_f64 v[51:52], v[85:86], v[51:52], v[63:64]
	s_waitcnt vmcnt(17)
	v_fma_f64 v[51:52], v[83:84], v[53:54], v[51:52]
	s_waitcnt vmcnt(16) lgkmcnt(0)
	v_fma_f64 v[51:52], v[81:82], v[55:56], v[51:52]
	s_waitcnt vmcnt(11)
	v_fma_f64 v[63:64], v[87:88], v[57:58], v[51:52]
	ds_read2_b64 v[51:54], v48 offset0:41 offset1:42
	;; [unrolled: 10-line block ×3, first 2 shown]
	s_waitcnt vmcnt(3) lgkmcnt(0)
	v_fma_f64 v[47:48], v[49:50], v[51:52], v[55:56]
	s_waitcnt vmcnt(2)
	v_fma_f64 v[47:48], v[61:62], v[53:54], v[47:48]
	s_waitcnt vmcnt(0)
	v_add_f64 v[47:48], v[65:66], -v[47:48]
	buffer_store_dword v48, off, s[0:3], 0 offset:4
	buffer_store_dword v47, off, s[0:3], 0
	s_cbranch_vccz .LBB22_192
; %bb.148:
	v_mov_b32_e32 v0, 0
	global_load_dword v47, v0, s[20:21] offset:84
	s_waitcnt vmcnt(0)
	v_add_nc_u32_e32 v47, -1, v47
	v_cmp_ne_u32_e32 vcc_lo, 21, v47
	s_cbranch_vccz .LBB22_150
; %bb.149:
	v_lshlrev_b32_e32 v47, 3, v47
	s_clause 0x1
	buffer_load_dword v48, v47, s[0:3], 0 offen
	buffer_load_dword v51, v47, s[0:3], 0 offen offset:4
	s_waitcnt vmcnt(1)
	buffer_store_dword v48, off, s[0:3], 0 offset:168
	s_waitcnt vmcnt(0)
	buffer_store_dword v51, off, s[0:3], 0 offset:172
	buffer_store_dword v49, v47, s[0:3], 0 offen
	buffer_store_dword v50, v47, s[0:3], 0 offen offset:4
.LBB22_150:
	global_load_dword v0, v0, s[20:21] offset:80
	s_waitcnt vmcnt(0)
	v_add_nc_u32_e32 v0, -1, v0
	v_cmp_eq_u32_e32 vcc_lo, 20, v0
	s_cbranch_vccnz .LBB22_152
; %bb.151:
	v_lshlrev_b32_e32 v0, 3, v0
	s_clause 0x3
	buffer_load_dword v47, v0, s[0:3], 0 offen
	buffer_load_dword v48, v0, s[0:3], 0 offen offset:4
	buffer_load_dword v49, off, s[0:3], 0 offset:164
	buffer_load_dword v50, off, s[0:3], 0 offset:160
	s_waitcnt vmcnt(3)
	buffer_store_dword v47, off, s[0:3], 0 offset:160
	s_waitcnt vmcnt(2)
	buffer_store_dword v48, off, s[0:3], 0 offset:164
	s_waitcnt vmcnt(1)
	buffer_store_dword v49, v0, s[0:3], 0 offen offset:4
	s_waitcnt vmcnt(0)
	buffer_store_dword v50, v0, s[0:3], 0 offen
.LBB22_152:
	v_mov_b32_e32 v0, 0
	global_load_dword v47, v0, s[20:21] offset:76
	s_waitcnt vmcnt(0)
	v_add_nc_u32_e32 v47, -1, v47
	v_cmp_eq_u32_e32 vcc_lo, 19, v47
	s_cbranch_vccnz .LBB22_154
; %bb.153:
	v_lshlrev_b32_e32 v47, 3, v47
	s_clause 0x3
	buffer_load_dword v48, v47, s[0:3], 0 offen
	buffer_load_dword v49, v47, s[0:3], 0 offen offset:4
	buffer_load_dword v50, off, s[0:3], 0 offset:152
	buffer_load_dword v51, off, s[0:3], 0 offset:156
	s_waitcnt vmcnt(3)
	buffer_store_dword v48, off, s[0:3], 0 offset:152
	s_waitcnt vmcnt(2)
	buffer_store_dword v49, off, s[0:3], 0 offset:156
	s_waitcnt vmcnt(1)
	buffer_store_dword v50, v47, s[0:3], 0 offen
	s_waitcnt vmcnt(0)
	buffer_store_dword v51, v47, s[0:3], 0 offen offset:4
.LBB22_154:
	global_load_dword v0, v0, s[20:21] offset:72
	s_waitcnt vmcnt(0)
	v_add_nc_u32_e32 v0, -1, v0
	v_cmp_eq_u32_e32 vcc_lo, 18, v0
	s_cbranch_vccnz .LBB22_156
; %bb.155:
	v_lshlrev_b32_e32 v0, 3, v0
	s_clause 0x3
	buffer_load_dword v47, v0, s[0:3], 0 offen
	buffer_load_dword v48, v0, s[0:3], 0 offen offset:4
	buffer_load_dword v49, off, s[0:3], 0 offset:148
	buffer_load_dword v50, off, s[0:3], 0 offset:144
	s_waitcnt vmcnt(3)
	buffer_store_dword v47, off, s[0:3], 0 offset:144
	s_waitcnt vmcnt(2)
	buffer_store_dword v48, off, s[0:3], 0 offset:148
	s_waitcnt vmcnt(1)
	buffer_store_dword v49, v0, s[0:3], 0 offen offset:4
	s_waitcnt vmcnt(0)
	buffer_store_dword v50, v0, s[0:3], 0 offen
.LBB22_156:
	v_mov_b32_e32 v0, 0
	global_load_dword v47, v0, s[20:21] offset:68
	s_waitcnt vmcnt(0)
	v_add_nc_u32_e32 v47, -1, v47
	v_cmp_eq_u32_e32 vcc_lo, 17, v47
	s_cbranch_vccnz .LBB22_158
; %bb.157:
	v_lshlrev_b32_e32 v47, 3, v47
	s_clause 0x3
	buffer_load_dword v48, v47, s[0:3], 0 offen
	buffer_load_dword v49, v47, s[0:3], 0 offen offset:4
	buffer_load_dword v50, off, s[0:3], 0 offset:136
	buffer_load_dword v51, off, s[0:3], 0 offset:140
	s_waitcnt vmcnt(3)
	buffer_store_dword v48, off, s[0:3], 0 offset:136
	s_waitcnt vmcnt(2)
	buffer_store_dword v49, off, s[0:3], 0 offset:140
	s_waitcnt vmcnt(1)
	buffer_store_dword v50, v47, s[0:3], 0 offen
	s_waitcnt vmcnt(0)
	buffer_store_dword v51, v47, s[0:3], 0 offen offset:4
.LBB22_158:
	global_load_dword v0, v0, s[20:21] offset:64
	s_waitcnt vmcnt(0)
	v_add_nc_u32_e32 v0, -1, v0
	v_cmp_eq_u32_e32 vcc_lo, 16, v0
	s_cbranch_vccnz .LBB22_160
; %bb.159:
	v_lshlrev_b32_e32 v0, 3, v0
	s_clause 0x3
	buffer_load_dword v47, v0, s[0:3], 0 offen
	buffer_load_dword v48, v0, s[0:3], 0 offen offset:4
	buffer_load_dword v49, off, s[0:3], 0 offset:132
	buffer_load_dword v50, off, s[0:3], 0 offset:128
	s_waitcnt vmcnt(3)
	buffer_store_dword v47, off, s[0:3], 0 offset:128
	s_waitcnt vmcnt(2)
	buffer_store_dword v48, off, s[0:3], 0 offset:132
	s_waitcnt vmcnt(1)
	buffer_store_dword v49, v0, s[0:3], 0 offen offset:4
	s_waitcnt vmcnt(0)
	buffer_store_dword v50, v0, s[0:3], 0 offen
.LBB22_160:
	v_mov_b32_e32 v0, 0
	global_load_dword v47, v0, s[20:21] offset:60
	s_waitcnt vmcnt(0)
	v_add_nc_u32_e32 v47, -1, v47
	v_cmp_eq_u32_e32 vcc_lo, 15, v47
	s_cbranch_vccnz .LBB22_162
; %bb.161:
	v_lshlrev_b32_e32 v47, 3, v47
	s_clause 0x3
	buffer_load_dword v48, v47, s[0:3], 0 offen
	buffer_load_dword v49, v47, s[0:3], 0 offen offset:4
	buffer_load_dword v50, off, s[0:3], 0 offset:120
	buffer_load_dword v51, off, s[0:3], 0 offset:124
	s_waitcnt vmcnt(3)
	buffer_store_dword v48, off, s[0:3], 0 offset:120
	s_waitcnt vmcnt(2)
	buffer_store_dword v49, off, s[0:3], 0 offset:124
	s_waitcnt vmcnt(1)
	buffer_store_dword v50, v47, s[0:3], 0 offen
	s_waitcnt vmcnt(0)
	buffer_store_dword v51, v47, s[0:3], 0 offen offset:4
.LBB22_162:
	global_load_dword v0, v0, s[20:21] offset:56
	s_waitcnt vmcnt(0)
	v_add_nc_u32_e32 v0, -1, v0
	v_cmp_eq_u32_e32 vcc_lo, 14, v0
	s_cbranch_vccnz .LBB22_164
; %bb.163:
	v_lshlrev_b32_e32 v0, 3, v0
	s_clause 0x3
	buffer_load_dword v47, v0, s[0:3], 0 offen
	buffer_load_dword v48, v0, s[0:3], 0 offen offset:4
	buffer_load_dword v49, off, s[0:3], 0 offset:116
	buffer_load_dword v50, off, s[0:3], 0 offset:112
	s_waitcnt vmcnt(3)
	buffer_store_dword v47, off, s[0:3], 0 offset:112
	s_waitcnt vmcnt(2)
	buffer_store_dword v48, off, s[0:3], 0 offset:116
	s_waitcnt vmcnt(1)
	buffer_store_dword v49, v0, s[0:3], 0 offen offset:4
	s_waitcnt vmcnt(0)
	buffer_store_dword v50, v0, s[0:3], 0 offen
.LBB22_164:
	v_mov_b32_e32 v0, 0
	global_load_dword v47, v0, s[20:21] offset:52
	s_waitcnt vmcnt(0)
	v_add_nc_u32_e32 v47, -1, v47
	v_cmp_eq_u32_e32 vcc_lo, 13, v47
	s_cbranch_vccnz .LBB22_166
; %bb.165:
	v_lshlrev_b32_e32 v47, 3, v47
	s_clause 0x3
	buffer_load_dword v48, v47, s[0:3], 0 offen
	buffer_load_dword v49, v47, s[0:3], 0 offen offset:4
	buffer_load_dword v50, off, s[0:3], 0 offset:104
	buffer_load_dword v51, off, s[0:3], 0 offset:108
	s_waitcnt vmcnt(3)
	buffer_store_dword v48, off, s[0:3], 0 offset:104
	s_waitcnt vmcnt(2)
	buffer_store_dword v49, off, s[0:3], 0 offset:108
	s_waitcnt vmcnt(1)
	buffer_store_dword v50, v47, s[0:3], 0 offen
	s_waitcnt vmcnt(0)
	buffer_store_dword v51, v47, s[0:3], 0 offen offset:4
.LBB22_166:
	global_load_dword v0, v0, s[20:21] offset:48
	s_waitcnt vmcnt(0)
	v_add_nc_u32_e32 v0, -1, v0
	v_cmp_eq_u32_e32 vcc_lo, 12, v0
	s_cbranch_vccnz .LBB22_168
; %bb.167:
	v_lshlrev_b32_e32 v0, 3, v0
	s_clause 0x3
	buffer_load_dword v47, v0, s[0:3], 0 offen
	buffer_load_dword v48, v0, s[0:3], 0 offen offset:4
	buffer_load_dword v49, off, s[0:3], 0 offset:100
	buffer_load_dword v50, off, s[0:3], 0 offset:96
	s_waitcnt vmcnt(3)
	buffer_store_dword v47, off, s[0:3], 0 offset:96
	s_waitcnt vmcnt(2)
	buffer_store_dword v48, off, s[0:3], 0 offset:100
	s_waitcnt vmcnt(1)
	buffer_store_dword v49, v0, s[0:3], 0 offen offset:4
	s_waitcnt vmcnt(0)
	buffer_store_dword v50, v0, s[0:3], 0 offen
.LBB22_168:
	v_mov_b32_e32 v0, 0
	global_load_dword v47, v0, s[20:21] offset:44
	s_waitcnt vmcnt(0)
	v_add_nc_u32_e32 v47, -1, v47
	v_cmp_eq_u32_e32 vcc_lo, 11, v47
	s_cbranch_vccnz .LBB22_170
; %bb.169:
	v_lshlrev_b32_e32 v47, 3, v47
	s_clause 0x3
	buffer_load_dword v48, v47, s[0:3], 0 offen
	buffer_load_dword v49, v47, s[0:3], 0 offen offset:4
	buffer_load_dword v50, off, s[0:3], 0 offset:88
	buffer_load_dword v51, off, s[0:3], 0 offset:92
	s_waitcnt vmcnt(3)
	buffer_store_dword v48, off, s[0:3], 0 offset:88
	s_waitcnt vmcnt(2)
	buffer_store_dword v49, off, s[0:3], 0 offset:92
	s_waitcnt vmcnt(1)
	buffer_store_dword v50, v47, s[0:3], 0 offen
	s_waitcnt vmcnt(0)
	buffer_store_dword v51, v47, s[0:3], 0 offen offset:4
.LBB22_170:
	global_load_dword v0, v0, s[20:21] offset:40
	s_waitcnt vmcnt(0)
	v_add_nc_u32_e32 v0, -1, v0
	v_cmp_eq_u32_e32 vcc_lo, 10, v0
	s_cbranch_vccnz .LBB22_172
; %bb.171:
	v_lshlrev_b32_e32 v0, 3, v0
	s_clause 0x3
	buffer_load_dword v47, v0, s[0:3], 0 offen
	buffer_load_dword v48, v0, s[0:3], 0 offen offset:4
	buffer_load_dword v49, off, s[0:3], 0 offset:84
	buffer_load_dword v50, off, s[0:3], 0 offset:80
	s_waitcnt vmcnt(3)
	buffer_store_dword v47, off, s[0:3], 0 offset:80
	s_waitcnt vmcnt(2)
	buffer_store_dword v48, off, s[0:3], 0 offset:84
	s_waitcnt vmcnt(1)
	buffer_store_dword v49, v0, s[0:3], 0 offen offset:4
	s_waitcnt vmcnt(0)
	buffer_store_dword v50, v0, s[0:3], 0 offen
.LBB22_172:
	v_mov_b32_e32 v0, 0
	global_load_dword v47, v0, s[20:21] offset:36
	s_waitcnt vmcnt(0)
	v_add_nc_u32_e32 v47, -1, v47
	v_cmp_eq_u32_e32 vcc_lo, 9, v47
	s_cbranch_vccnz .LBB22_174
; %bb.173:
	v_lshlrev_b32_e32 v47, 3, v47
	s_clause 0x3
	buffer_load_dword v48, v47, s[0:3], 0 offen
	buffer_load_dword v49, v47, s[0:3], 0 offen offset:4
	buffer_load_dword v50, off, s[0:3], 0 offset:72
	buffer_load_dword v51, off, s[0:3], 0 offset:76
	s_waitcnt vmcnt(3)
	buffer_store_dword v48, off, s[0:3], 0 offset:72
	s_waitcnt vmcnt(2)
	buffer_store_dword v49, off, s[0:3], 0 offset:76
	s_waitcnt vmcnt(1)
	buffer_store_dword v50, v47, s[0:3], 0 offen
	s_waitcnt vmcnt(0)
	buffer_store_dword v51, v47, s[0:3], 0 offen offset:4
.LBB22_174:
	global_load_dword v0, v0, s[20:21] offset:32
	s_waitcnt vmcnt(0)
	v_add_nc_u32_e32 v0, -1, v0
	v_cmp_eq_u32_e32 vcc_lo, 8, v0
	s_cbranch_vccnz .LBB22_176
; %bb.175:
	v_lshlrev_b32_e32 v0, 3, v0
	s_clause 0x3
	buffer_load_dword v47, v0, s[0:3], 0 offen
	buffer_load_dword v48, v0, s[0:3], 0 offen offset:4
	buffer_load_dword v49, off, s[0:3], 0 offset:68
	buffer_load_dword v50, off, s[0:3], 0 offset:64
	s_waitcnt vmcnt(3)
	buffer_store_dword v47, off, s[0:3], 0 offset:64
	s_waitcnt vmcnt(2)
	buffer_store_dword v48, off, s[0:3], 0 offset:68
	s_waitcnt vmcnt(1)
	buffer_store_dword v49, v0, s[0:3], 0 offen offset:4
	s_waitcnt vmcnt(0)
	buffer_store_dword v50, v0, s[0:3], 0 offen
.LBB22_176:
	v_mov_b32_e32 v0, 0
	global_load_dword v47, v0, s[20:21] offset:28
	s_waitcnt vmcnt(0)
	v_add_nc_u32_e32 v47, -1, v47
	v_cmp_eq_u32_e32 vcc_lo, 7, v47
	s_cbranch_vccnz .LBB22_178
; %bb.177:
	v_lshlrev_b32_e32 v47, 3, v47
	s_clause 0x3
	buffer_load_dword v48, v47, s[0:3], 0 offen
	buffer_load_dword v49, v47, s[0:3], 0 offen offset:4
	buffer_load_dword v50, off, s[0:3], 0 offset:56
	buffer_load_dword v51, off, s[0:3], 0 offset:60
	s_waitcnt vmcnt(3)
	buffer_store_dword v48, off, s[0:3], 0 offset:56
	s_waitcnt vmcnt(2)
	buffer_store_dword v49, off, s[0:3], 0 offset:60
	s_waitcnt vmcnt(1)
	buffer_store_dword v50, v47, s[0:3], 0 offen
	s_waitcnt vmcnt(0)
	buffer_store_dword v51, v47, s[0:3], 0 offen offset:4
.LBB22_178:
	global_load_dword v0, v0, s[20:21] offset:24
	s_waitcnt vmcnt(0)
	v_add_nc_u32_e32 v0, -1, v0
	v_cmp_eq_u32_e32 vcc_lo, 6, v0
	s_cbranch_vccnz .LBB22_180
; %bb.179:
	v_lshlrev_b32_e32 v0, 3, v0
	s_clause 0x3
	buffer_load_dword v47, v0, s[0:3], 0 offen
	buffer_load_dword v48, v0, s[0:3], 0 offen offset:4
	buffer_load_dword v49, off, s[0:3], 0 offset:52
	buffer_load_dword v50, off, s[0:3], 0 offset:48
	s_waitcnt vmcnt(3)
	buffer_store_dword v47, off, s[0:3], 0 offset:48
	s_waitcnt vmcnt(2)
	buffer_store_dword v48, off, s[0:3], 0 offset:52
	s_waitcnt vmcnt(1)
	buffer_store_dword v49, v0, s[0:3], 0 offen offset:4
	s_waitcnt vmcnt(0)
	buffer_store_dword v50, v0, s[0:3], 0 offen
.LBB22_180:
	v_mov_b32_e32 v0, 0
	global_load_dword v47, v0, s[20:21] offset:20
	s_waitcnt vmcnt(0)
	v_add_nc_u32_e32 v47, -1, v47
	v_cmp_eq_u32_e32 vcc_lo, 5, v47
	s_cbranch_vccnz .LBB22_182
; %bb.181:
	v_lshlrev_b32_e32 v47, 3, v47
	s_clause 0x3
	buffer_load_dword v48, v47, s[0:3], 0 offen
	buffer_load_dword v49, v47, s[0:3], 0 offen offset:4
	buffer_load_dword v50, off, s[0:3], 0 offset:40
	buffer_load_dword v51, off, s[0:3], 0 offset:44
	s_waitcnt vmcnt(3)
	buffer_store_dword v48, off, s[0:3], 0 offset:40
	s_waitcnt vmcnt(2)
	buffer_store_dword v49, off, s[0:3], 0 offset:44
	s_waitcnt vmcnt(1)
	buffer_store_dword v50, v47, s[0:3], 0 offen
	s_waitcnt vmcnt(0)
	buffer_store_dword v51, v47, s[0:3], 0 offen offset:4
.LBB22_182:
	global_load_dword v0, v0, s[20:21] offset:16
	s_waitcnt vmcnt(0)
	v_add_nc_u32_e32 v0, -1, v0
	v_cmp_eq_u32_e32 vcc_lo, 4, v0
	s_cbranch_vccnz .LBB22_184
; %bb.183:
	v_lshlrev_b32_e32 v0, 3, v0
	s_clause 0x3
	buffer_load_dword v47, v0, s[0:3], 0 offen
	buffer_load_dword v48, v0, s[0:3], 0 offen offset:4
	buffer_load_dword v49, off, s[0:3], 0 offset:36
	buffer_load_dword v50, off, s[0:3], 0 offset:32
	s_waitcnt vmcnt(3)
	buffer_store_dword v47, off, s[0:3], 0 offset:32
	s_waitcnt vmcnt(2)
	buffer_store_dword v48, off, s[0:3], 0 offset:36
	s_waitcnt vmcnt(1)
	buffer_store_dword v49, v0, s[0:3], 0 offen offset:4
	s_waitcnt vmcnt(0)
	buffer_store_dword v50, v0, s[0:3], 0 offen
.LBB22_184:
	v_mov_b32_e32 v0, 0
	global_load_dword v47, v0, s[20:21] offset:12
	s_waitcnt vmcnt(0)
	v_add_nc_u32_e32 v47, -1, v47
	v_cmp_eq_u32_e32 vcc_lo, 3, v47
	s_cbranch_vccnz .LBB22_186
; %bb.185:
	v_lshlrev_b32_e32 v47, 3, v47
	s_clause 0x3
	buffer_load_dword v48, v47, s[0:3], 0 offen
	buffer_load_dword v49, v47, s[0:3], 0 offen offset:4
	buffer_load_dword v50, off, s[0:3], 0 offset:24
	buffer_load_dword v51, off, s[0:3], 0 offset:28
	s_waitcnt vmcnt(3)
	buffer_store_dword v48, off, s[0:3], 0 offset:24
	s_waitcnt vmcnt(2)
	buffer_store_dword v49, off, s[0:3], 0 offset:28
	s_waitcnt vmcnt(1)
	buffer_store_dword v50, v47, s[0:3], 0 offen
	s_waitcnt vmcnt(0)
	buffer_store_dword v51, v47, s[0:3], 0 offen offset:4
.LBB22_186:
	global_load_dword v0, v0, s[20:21] offset:8
	s_waitcnt vmcnt(0)
	v_add_nc_u32_e32 v0, -1, v0
	v_cmp_eq_u32_e32 vcc_lo, 2, v0
	s_cbranch_vccnz .LBB22_188
; %bb.187:
	v_lshlrev_b32_e32 v0, 3, v0
	s_clause 0x3
	buffer_load_dword v47, v0, s[0:3], 0 offen
	buffer_load_dword v48, v0, s[0:3], 0 offen offset:4
	buffer_load_dword v49, off, s[0:3], 0 offset:20
	buffer_load_dword v50, off, s[0:3], 0 offset:16
	s_waitcnt vmcnt(3)
	buffer_store_dword v47, off, s[0:3], 0 offset:16
	s_waitcnt vmcnt(2)
	buffer_store_dword v48, off, s[0:3], 0 offset:20
	s_waitcnt vmcnt(1)
	buffer_store_dword v49, v0, s[0:3], 0 offen offset:4
	s_waitcnt vmcnt(0)
	buffer_store_dword v50, v0, s[0:3], 0 offen
.LBB22_188:
	v_mov_b32_e32 v0, 0
	global_load_dword v47, v0, s[20:21] offset:4
	s_waitcnt vmcnt(0)
	v_add_nc_u32_e32 v47, -1, v47
	v_cmp_eq_u32_e32 vcc_lo, 1, v47
	s_cbranch_vccnz .LBB22_190
; %bb.189:
	v_lshlrev_b32_e32 v47, 3, v47
	s_clause 0x3
	buffer_load_dword v48, v47, s[0:3], 0 offen
	buffer_load_dword v49, v47, s[0:3], 0 offen offset:4
	buffer_load_dword v50, off, s[0:3], 0 offset:8
	buffer_load_dword v51, off, s[0:3], 0 offset:12
	s_waitcnt vmcnt(3)
	buffer_store_dword v48, off, s[0:3], 0 offset:8
	s_waitcnt vmcnt(2)
	buffer_store_dword v49, off, s[0:3], 0 offset:12
	s_waitcnt vmcnt(1)
	buffer_store_dword v50, v47, s[0:3], 0 offen
	s_waitcnt vmcnt(0)
	buffer_store_dword v51, v47, s[0:3], 0 offen offset:4
.LBB22_190:
	global_load_dword v0, v0, s[20:21]
	s_clause 0x1
	buffer_load_dword v47, off, s[0:3], 0
	buffer_load_dword v48, off, s[0:3], 0 offset:4
	s_waitcnt vmcnt(2)
	v_add_nc_u32_e32 v0, -1, v0
	v_cmp_eq_u32_e32 vcc_lo, 0, v0
	s_cbranch_vccnz .LBB22_192
; %bb.191:
	v_lshlrev_b32_e32 v0, 3, v0
	s_clause 0x1
	buffer_load_dword v49, v0, s[0:3], 0 offen offset:4
	buffer_load_dword v50, v0, s[0:3], 0 offen
	s_waitcnt vmcnt(1)
	buffer_store_dword v49, off, s[0:3], 0 offset:4
	s_waitcnt vmcnt(0)
	buffer_store_dword v50, off, s[0:3], 0
	buffer_store_dword v48, v0, s[0:3], 0 offen offset:4
	buffer_store_dword v47, v0, s[0:3], 0 offen
	s_clause 0x1
	buffer_load_dword v47, off, s[0:3], 0
	buffer_load_dword v48, off, s[0:3], 0 offset:4
.LBB22_192:
	s_clause 0x2b
	buffer_load_dword v49, off, s[0:3], 0 offset:8
	buffer_load_dword v50, off, s[0:3], 0 offset:12
	;; [unrolled: 1-line block ×44, first 2 shown]
	s_waitcnt vmcnt(44)
	global_store_dwordx2 v[1:2], v[47:48], off
	s_waitcnt vmcnt(42)
	global_store_dwordx2 v[3:4], v[49:50], off
	;; [unrolled: 2-line block ×23, first 2 shown]
	s_endpgm
	.section	.rodata,"a",@progbits
	.p2align	6, 0x0
	.amdhsa_kernel _ZN9rocsolver6v33100L18getri_kernel_smallILi23EdPdEEvT1_iilPiilS4_bb
		.amdhsa_group_segment_fixed_size 376
		.amdhsa_private_segment_fixed_size 192
		.amdhsa_kernarg_size 60
		.amdhsa_user_sgpr_count 6
		.amdhsa_user_sgpr_private_segment_buffer 1
		.amdhsa_user_sgpr_dispatch_ptr 0
		.amdhsa_user_sgpr_queue_ptr 0
		.amdhsa_user_sgpr_kernarg_segment_ptr 1
		.amdhsa_user_sgpr_dispatch_id 0
		.amdhsa_user_sgpr_flat_scratch_init 0
		.amdhsa_user_sgpr_private_segment_size 0
		.amdhsa_wavefront_size32 1
		.amdhsa_uses_dynamic_stack 0
		.amdhsa_system_sgpr_private_segment_wavefront_offset 1
		.amdhsa_system_sgpr_workgroup_id_x 1
		.amdhsa_system_sgpr_workgroup_id_y 0
		.amdhsa_system_sgpr_workgroup_id_z 0
		.amdhsa_system_sgpr_workgroup_info 0
		.amdhsa_system_vgpr_workitem_id 0
		.amdhsa_next_free_vgpr 95
		.amdhsa_next_free_sgpr 23
		.amdhsa_reserve_vcc 1
		.amdhsa_reserve_flat_scratch 0
		.amdhsa_float_round_mode_32 0
		.amdhsa_float_round_mode_16_64 0
		.amdhsa_float_denorm_mode_32 3
		.amdhsa_float_denorm_mode_16_64 3
		.amdhsa_dx10_clamp 1
		.amdhsa_ieee_mode 1
		.amdhsa_fp16_overflow 0
		.amdhsa_workgroup_processor_mode 1
		.amdhsa_memory_ordered 1
		.amdhsa_forward_progress 1
		.amdhsa_shared_vgpr_count 0
		.amdhsa_exception_fp_ieee_invalid_op 0
		.amdhsa_exception_fp_denorm_src 0
		.amdhsa_exception_fp_ieee_div_zero 0
		.amdhsa_exception_fp_ieee_overflow 0
		.amdhsa_exception_fp_ieee_underflow 0
		.amdhsa_exception_fp_ieee_inexact 0
		.amdhsa_exception_int_div_zero 0
	.end_amdhsa_kernel
	.section	.text._ZN9rocsolver6v33100L18getri_kernel_smallILi23EdPdEEvT1_iilPiilS4_bb,"axG",@progbits,_ZN9rocsolver6v33100L18getri_kernel_smallILi23EdPdEEvT1_iilPiilS4_bb,comdat
.Lfunc_end22:
	.size	_ZN9rocsolver6v33100L18getri_kernel_smallILi23EdPdEEvT1_iilPiilS4_bb, .Lfunc_end22-_ZN9rocsolver6v33100L18getri_kernel_smallILi23EdPdEEvT1_iilPiilS4_bb
                                        ; -- End function
	.set _ZN9rocsolver6v33100L18getri_kernel_smallILi23EdPdEEvT1_iilPiilS4_bb.num_vgpr, 95
	.set _ZN9rocsolver6v33100L18getri_kernel_smallILi23EdPdEEvT1_iilPiilS4_bb.num_agpr, 0
	.set _ZN9rocsolver6v33100L18getri_kernel_smallILi23EdPdEEvT1_iilPiilS4_bb.numbered_sgpr, 23
	.set _ZN9rocsolver6v33100L18getri_kernel_smallILi23EdPdEEvT1_iilPiilS4_bb.num_named_barrier, 0
	.set _ZN9rocsolver6v33100L18getri_kernel_smallILi23EdPdEEvT1_iilPiilS4_bb.private_seg_size, 192
	.set _ZN9rocsolver6v33100L18getri_kernel_smallILi23EdPdEEvT1_iilPiilS4_bb.uses_vcc, 1
	.set _ZN9rocsolver6v33100L18getri_kernel_smallILi23EdPdEEvT1_iilPiilS4_bb.uses_flat_scratch, 0
	.set _ZN9rocsolver6v33100L18getri_kernel_smallILi23EdPdEEvT1_iilPiilS4_bb.has_dyn_sized_stack, 0
	.set _ZN9rocsolver6v33100L18getri_kernel_smallILi23EdPdEEvT1_iilPiilS4_bb.has_recursion, 0
	.set _ZN9rocsolver6v33100L18getri_kernel_smallILi23EdPdEEvT1_iilPiilS4_bb.has_indirect_call, 0
	.section	.AMDGPU.csdata,"",@progbits
; Kernel info:
; codeLenInByte = 21208
; TotalNumSgprs: 25
; NumVgprs: 95
; ScratchSize: 192
; MemoryBound: 0
; FloatMode: 240
; IeeeMode: 1
; LDSByteSize: 376 bytes/workgroup (compile time only)
; SGPRBlocks: 0
; VGPRBlocks: 11
; NumSGPRsForWavesPerEU: 25
; NumVGPRsForWavesPerEU: 95
; Occupancy: 10
; WaveLimiterHint : 1
; COMPUTE_PGM_RSRC2:SCRATCH_EN: 1
; COMPUTE_PGM_RSRC2:USER_SGPR: 6
; COMPUTE_PGM_RSRC2:TRAP_HANDLER: 0
; COMPUTE_PGM_RSRC2:TGID_X_EN: 1
; COMPUTE_PGM_RSRC2:TGID_Y_EN: 0
; COMPUTE_PGM_RSRC2:TGID_Z_EN: 0
; COMPUTE_PGM_RSRC2:TIDIG_COMP_CNT: 0
	.section	.text._ZN9rocsolver6v33100L18getri_kernel_smallILi24EdPdEEvT1_iilPiilS4_bb,"axG",@progbits,_ZN9rocsolver6v33100L18getri_kernel_smallILi24EdPdEEvT1_iilPiilS4_bb,comdat
	.globl	_ZN9rocsolver6v33100L18getri_kernel_smallILi24EdPdEEvT1_iilPiilS4_bb ; -- Begin function _ZN9rocsolver6v33100L18getri_kernel_smallILi24EdPdEEvT1_iilPiilS4_bb
	.p2align	8
	.type	_ZN9rocsolver6v33100L18getri_kernel_smallILi24EdPdEEvT1_iilPiilS4_bb,@function
_ZN9rocsolver6v33100L18getri_kernel_smallILi24EdPdEEvT1_iilPiilS4_bb: ; @_ZN9rocsolver6v33100L18getri_kernel_smallILi24EdPdEEvT1_iilPiilS4_bb
; %bb.0:
	s_add_u32 s0, s0, s7
	s_addc_u32 s1, s1, 0
	s_mov_b32 s7, exec_lo
	v_cmpx_gt_u32_e32 24, v0
	s_cbranch_execz .LBB23_106
; %bb.1:
	s_clause 0x2
	s_load_dword s7, s[4:5], 0x38
	s_load_dwordx4 s[16:19], s[4:5], 0x10
	s_load_dwordx4 s[8:11], s[4:5], 0x28
                                        ; implicit-def: $sgpr20_sgpr21
	s_waitcnt lgkmcnt(0)
	s_bitcmp1_b32 s7, 8
	s_cselect_b32 s22, -1, 0
	s_bfe_u32 s12, s7, 0x10008
	s_ashr_i32 s7, s6, 31
	s_cmp_eq_u32 s12, 0
	s_cbranch_scc1 .LBB23_3
; %bb.2:
	s_load_dword s12, s[4:5], 0x20
	s_mul_i32 s13, s8, s7
	s_mul_hi_u32 s14, s8, s6
	s_mul_i32 s9, s9, s6
	s_add_i32 s13, s14, s13
	s_mul_i32 s8, s8, s6
	s_add_i32 s9, s13, s9
	s_lshl_b64 s[8:9], s[8:9], 2
	s_waitcnt lgkmcnt(0)
	s_ashr_i32 s13, s12, 31
	s_add_u32 s14, s18, s8
	s_addc_u32 s15, s19, s9
	s_lshl_b64 s[8:9], s[12:13], 2
	s_add_u32 s20, s14, s8
	s_addc_u32 s21, s15, s9
.LBB23_3:
	s_clause 0x1
	s_load_dwordx4 s[12:15], s[4:5], 0x0
	s_load_dword s8, s[4:5], 0x38
	s_mul_i32 s4, s16, s7
	s_mul_hi_u32 s5, s16, s6
	s_mul_i32 s9, s17, s6
	s_add_i32 s5, s5, s4
	s_mul_i32 s4, s16, s6
	s_add_i32 s5, s5, s9
	v_lshlrev_b32_e32 v51, 3, v0
	s_lshl_b64 s[4:5], s[4:5], 3
	s_waitcnt lgkmcnt(0)
	v_add3_u32 v5, s15, s15, v0
	s_ashr_i32 s17, s14, 31
	s_mov_b32 s16, s14
	s_add_u32 s9, s12, s4
	s_addc_u32 s13, s13, s5
	s_lshl_b64 s[4:5], s[16:17], 3
	v_ashrrev_i32_e32 v6, 31, v5
	s_add_u32 s4, s9, s4
	s_addc_u32 s5, s13, s5
	v_add_co_u32 v11, s9, s4, v51
	s_mov_b32 s12, s15
	s_ashr_i32 s13, s15, 31
	v_lshlrev_b64 v[3:4], 3, v[5:6]
	v_add_co_ci_u32_e64 v12, null, s5, 0, s9
	s_lshl_b64 s[12:13], s[12:13], 3
	global_load_dwordx2 v[49:50], v51, s[4:5]
	v_add_co_u32 v1, vcc_lo, v11, s12
	v_add_co_ci_u32_e64 v2, null, s13, v12, vcc_lo
	v_add_co_u32 v3, vcc_lo, s4, v3
	v_add_co_ci_u32_e64 v4, null, s5, v4, vcc_lo
	s_clause 0x1
	global_load_dwordx2 v[52:53], v[1:2], off
	global_load_dwordx2 v[54:55], v[3:4], off
	v_add_nc_u32_e32 v5, s15, v5
	s_bitcmp0_b32 s8, 0
	v_add_nc_u32_e32 v7, s15, v5
	v_ashrrev_i32_e32 v6, 31, v5
	v_add_nc_u32_e32 v9, s15, v7
	v_ashrrev_i32_e32 v8, 31, v7
	v_lshlrev_b64 v[5:6], 3, v[5:6]
	v_add_nc_u32_e32 v13, s15, v9
	v_ashrrev_i32_e32 v10, 31, v9
	v_lshlrev_b64 v[7:8], 3, v[7:8]
	v_add_co_u32 v5, vcc_lo, s4, v5
	v_add_nc_u32_e32 v15, s15, v13
	v_ashrrev_i32_e32 v14, 31, v13
	v_lshlrev_b64 v[9:10], 3, v[9:10]
	v_add_co_ci_u32_e64 v6, null, s5, v6, vcc_lo
	v_add_nc_u32_e32 v17, s15, v15
	v_ashrrev_i32_e32 v16, 31, v15
	v_lshlrev_b64 v[13:14], 3, v[13:14]
	v_add_co_u32 v7, vcc_lo, s4, v7
	v_add_nc_u32_e32 v19, s15, v17
	v_ashrrev_i32_e32 v18, 31, v17
	v_lshlrev_b64 v[15:16], 3, v[15:16]
	v_add_co_ci_u32_e64 v8, null, s5, v8, vcc_lo
	v_add_nc_u32_e32 v21, s15, v19
	v_ashrrev_i32_e32 v20, 31, v19
	v_add_co_u32 v9, vcc_lo, s4, v9
	v_lshlrev_b64 v[17:18], 3, v[17:18]
	v_add_nc_u32_e32 v23, s15, v21
	v_ashrrev_i32_e32 v22, 31, v21
	v_add_co_ci_u32_e64 v10, null, s5, v10, vcc_lo
	v_add_co_u32 v13, vcc_lo, s4, v13
	v_add_nc_u32_e32 v25, s15, v23
	v_ashrrev_i32_e32 v24, 31, v23
	v_lshlrev_b64 v[19:20], 3, v[19:20]
	v_add_co_ci_u32_e64 v14, null, s5, v14, vcc_lo
	v_add_nc_u32_e32 v27, s15, v25
	v_ashrrev_i32_e32 v26, 31, v25
	v_add_co_u32 v15, vcc_lo, s4, v15
	v_lshlrev_b64 v[21:22], 3, v[21:22]
	v_add_nc_u32_e32 v29, s15, v27
	v_ashrrev_i32_e32 v28, 31, v27
	v_add_co_ci_u32_e64 v16, null, s5, v16, vcc_lo
	v_add_co_u32 v17, vcc_lo, s4, v17
	v_add_nc_u32_e32 v31, s15, v29
	v_lshlrev_b64 v[23:24], 3, v[23:24]
	v_ashrrev_i32_e32 v30, 31, v29
	v_add_co_ci_u32_e64 v18, null, s5, v18, vcc_lo
	v_add_nc_u32_e32 v33, s15, v31
	v_add_co_u32 v19, vcc_lo, s4, v19
	v_lshlrev_b64 v[25:26], 3, v[25:26]
	v_ashrrev_i32_e32 v32, 31, v31
	v_add_nc_u32_e32 v35, s15, v33
	v_add_co_ci_u32_e64 v20, null, s5, v20, vcc_lo
	v_add_co_u32 v21, vcc_lo, s4, v21
	v_add_nc_u32_e32 v37, s15, v35
	v_lshlrev_b64 v[27:28], 3, v[27:28]
	v_ashrrev_i32_e32 v34, 31, v33
	v_add_co_ci_u32_e64 v22, null, s5, v22, vcc_lo
	v_add_nc_u32_e32 v39, s15, v37
	v_add_co_u32 v23, vcc_lo, s4, v23
	v_lshlrev_b64 v[29:30], 3, v[29:30]
	v_ashrrev_i32_e32 v36, 31, v35
	v_add_nc_u32_e32 v41, s15, v39
	v_add_co_ci_u32_e64 v24, null, s5, v24, vcc_lo
	v_add_co_u32 v25, vcc_lo, s4, v25
	v_add_nc_u32_e32 v43, s15, v41
	v_lshlrev_b64 v[31:32], 3, v[31:32]
	v_ashrrev_i32_e32 v38, 31, v37
	v_add_co_ci_u32_e64 v26, null, s5, v26, vcc_lo
	v_add_co_u32 v27, vcc_lo, s4, v27
	v_lshlrev_b64 v[33:34], 3, v[33:34]
	v_add_nc_u32_e32 v45, s15, v43
	v_ashrrev_i32_e32 v40, 31, v39
	v_add_co_ci_u32_e64 v28, null, s5, v28, vcc_lo
	v_add_co_u32 v29, vcc_lo, s4, v29
	v_lshlrev_b64 v[35:36], 3, v[35:36]
	v_ashrrev_i32_e32 v42, 31, v41
	v_add_co_ci_u32_e64 v30, null, s5, v30, vcc_lo
	v_add_co_u32 v31, vcc_lo, s4, v31
	v_lshlrev_b64 v[37:38], 3, v[37:38]
	v_ashrrev_i32_e32 v44, 31, v43
	v_add_nc_u32_e32 v47, s15, v45
	v_add_co_ci_u32_e64 v32, null, s5, v32, vcc_lo
	v_add_co_u32 v33, vcc_lo, s4, v33
	v_lshlrev_b64 v[39:40], 3, v[39:40]
	v_ashrrev_i32_e32 v46, 31, v45
	v_add_co_ci_u32_e64 v34, null, s5, v34, vcc_lo
	v_add_co_u32 v35, vcc_lo, s4, v35
	v_lshlrev_b64 v[41:42], 3, v[41:42]
	v_add_co_ci_u32_e64 v36, null, s5, v36, vcc_lo
	v_add_co_u32 v37, vcc_lo, s4, v37
	v_lshlrev_b64 v[43:44], 3, v[43:44]
	v_ashrrev_i32_e32 v48, 31, v47
	v_add_co_ci_u32_e64 v38, null, s5, v38, vcc_lo
	v_add_co_u32 v39, vcc_lo, s4, v39
	v_lshlrev_b64 v[45:46], 3, v[45:46]
	v_add_co_ci_u32_e64 v40, null, s5, v40, vcc_lo
	v_add_co_u32 v41, vcc_lo, s4, v41
	v_lshlrev_b64 v[84:85], 3, v[47:48]
	v_add_co_ci_u32_e64 v42, null, s5, v42, vcc_lo
	v_add_co_u32 v43, vcc_lo, s4, v43
	v_add_co_ci_u32_e64 v44, null, s5, v44, vcc_lo
	v_add_co_u32 v47, vcc_lo, s4, v45
	;; [unrolled: 2-line block ×3, first 2 shown]
	s_clause 0xd
	global_load_dwordx2 v[56:57], v[5:6], off
	global_load_dwordx2 v[58:59], v[7:8], off
	;; [unrolled: 1-line block ×14, first 2 shown]
	v_add_co_ci_u32_e64 v46, null, s5, v85, vcc_lo
	s_clause 0x3
	global_load_dwordx2 v[84:85], v[35:36], off
	global_load_dwordx2 v[86:87], v[37:38], off
	;; [unrolled: 1-line block ×4, first 2 shown]
	s_mov_b32 s5, -1
	s_waitcnt vmcnt(20)
	buffer_store_dword v50, off, s[0:3], 0 offset:4
	buffer_store_dword v49, off, s[0:3], 0
	s_waitcnt vmcnt(19)
	buffer_store_dword v53, off, s[0:3], 0 offset:12
	buffer_store_dword v52, off, s[0:3], 0 offset:8
	s_clause 0x1
	global_load_dwordx2 v[49:50], v[43:44], off
	global_load_dwordx2 v[52:53], v[47:48], off
	s_waitcnt vmcnt(20)
	buffer_store_dword v55, off, s[0:3], 0 offset:20
	buffer_store_dword v54, off, s[0:3], 0 offset:16
	global_load_dwordx2 v[54:55], v[45:46], off
	s_waitcnt vmcnt(20)
	buffer_store_dword v57, off, s[0:3], 0 offset:28
	buffer_store_dword v56, off, s[0:3], 0 offset:24
	s_waitcnt vmcnt(19)
	buffer_store_dword v59, off, s[0:3], 0 offset:36
	buffer_store_dword v58, off, s[0:3], 0 offset:32
	;; [unrolled: 3-line block ×21, first 2 shown]
	s_cbranch_scc1 .LBB23_104
; %bb.4:
	v_cmp_eq_u32_e64 s4, 0, v0
	s_and_saveexec_b32 s5, s4
; %bb.5:
	v_mov_b32_e32 v49, 0
	ds_write_b32 v49, v49 offset:384
; %bb.6:
	s_or_b32 exec_lo, exec_lo, s5
	v_lshl_add_u32 v49, v0, 3, 0
	s_waitcnt lgkmcnt(0)
	s_waitcnt_vscnt null, 0x0
	s_barrier
	buffer_gl0_inv
	s_mov_b32 s8, exec_lo
	s_clause 0x1
	buffer_load_dword v52, v49, s[0:3], 0 offen
	buffer_load_dword v53, v49, s[0:3], 0 offen offset:4
	s_waitcnt vmcnt(0)
	v_cmpx_eq_f64_e32 0, v[52:53]
	s_cbranch_execz .LBB23_10
; %bb.7:
	v_mov_b32_e32 v50, 0
	s_mov_b32 s9, 0
	ds_read_b32 v52, v50 offset:384
	s_waitcnt lgkmcnt(0)
	v_readfirstlane_b32 s5, v52
	v_add_nc_u32_e32 v52, 1, v0
	s_cmp_eq_u32 s5, 0
	v_cmp_gt_i32_e32 vcc_lo, s5, v52
	s_cselect_b32 s12, -1, 0
	s_or_b32 s12, s12, vcc_lo
	s_and_b32 exec_lo, exec_lo, s12
	s_cbranch_execz .LBB23_10
; %bb.8:
	v_mov_b32_e32 v53, s5
.LBB23_9:                               ; =>This Inner Loop Header: Depth=1
	ds_cmpst_rtn_b32 v53, v50, v53, v52 offset:384
	s_waitcnt lgkmcnt(0)
	v_cmp_ne_u32_e32 vcc_lo, 0, v53
	v_cmp_le_i32_e64 s5, v53, v52
	s_and_b32 s5, vcc_lo, s5
	s_and_b32 s5, exec_lo, s5
	s_or_b32 s9, s5, s9
	s_andn2_b32 exec_lo, exec_lo, s9
	s_cbranch_execnz .LBB23_9
.LBB23_10:
	s_or_b32 exec_lo, exec_lo, s8
	v_mov_b32_e32 v50, 0
	s_barrier
	buffer_gl0_inv
	ds_read_b32 v52, v50 offset:384
	s_and_saveexec_b32 s5, s4
	s_cbranch_execz .LBB23_12
; %bb.11:
	s_lshl_b64 s[8:9], s[6:7], 2
	s_add_u32 s8, s10, s8
	s_addc_u32 s9, s11, s9
	s_waitcnt lgkmcnt(0)
	global_store_dword v50, v52, s[8:9]
.LBB23_12:
	s_or_b32 exec_lo, exec_lo, s5
	s_waitcnt lgkmcnt(0)
	v_cmp_ne_u32_e32 vcc_lo, 0, v52
	s_mov_b32 s5, 0
	s_cbranch_vccnz .LBB23_104
; %bb.13:
	s_clause 0x1
	buffer_load_dword v52, v49, s[0:3], 0 offen
	buffer_load_dword v53, v49, s[0:3], 0 offen offset:4
	s_waitcnt vmcnt(0)
	v_div_scale_f64 v[54:55], null, v[52:53], v[52:53], 1.0
	v_div_scale_f64 v[60:61], vcc_lo, 1.0, v[52:53], 1.0
	v_rcp_f64_e32 v[56:57], v[54:55]
	v_fma_f64 v[58:59], -v[54:55], v[56:57], 1.0
	v_fma_f64 v[56:57], v[56:57], v[58:59], v[56:57]
	v_fma_f64 v[58:59], -v[54:55], v[56:57], 1.0
	v_fma_f64 v[56:57], v[56:57], v[58:59], v[56:57]
	v_mul_f64 v[58:59], v[60:61], v[56:57]
	v_fma_f64 v[54:55], -v[54:55], v[58:59], v[60:61]
	v_div_fmas_f64 v[54:55], v[54:55], v[56:57], v[58:59]
	v_div_fixup_f64 v[53:54], v[54:55], v[52:53], 1.0
	v_add_nc_u32_e32 v52, 0xc0, v51
	buffer_store_dword v54, v49, s[0:3], 0 offen offset:4
	buffer_store_dword v53, v49, s[0:3], 0 offen
	s_clause 0x1
	buffer_load_dword v56, off, s[0:3], 0 offset:12
	buffer_load_dword v55, off, s[0:3], 0 offset:8
	v_xor_b32_e32 v54, 0x80000000, v54
	s_waitcnt vmcnt(0)
	ds_write2_b64 v51, v[53:54], v[55:56] offset1:24
	s_waitcnt lgkmcnt(0)
	s_waitcnt_vscnt null, 0x0
	s_barrier
	buffer_gl0_inv
	s_and_saveexec_b32 s5, s4
	s_cbranch_execz .LBB23_15
; %bb.14:
	s_clause 0x1
	buffer_load_dword v53, v49, s[0:3], 0 offen
	buffer_load_dword v54, v49, s[0:3], 0 offen offset:4
	ds_read_b64 v[55:56], v52
	v_mov_b32_e32 v50, 0
	ds_read_b64 v[57:58], v50 offset:8
	s_waitcnt vmcnt(0) lgkmcnt(1)
	v_fma_f64 v[53:54], v[53:54], v[55:56], 0
	s_waitcnt lgkmcnt(0)
	v_mul_f64 v[53:54], v[53:54], v[57:58]
	buffer_store_dword v53, off, s[0:3], 0 offset:8
	buffer_store_dword v54, off, s[0:3], 0 offset:12
.LBB23_15:
	s_or_b32 exec_lo, exec_lo, s5
	s_waitcnt_vscnt null, 0x0
	s_barrier
	buffer_gl0_inv
	s_clause 0x1
	buffer_load_dword v53, off, s[0:3], 0 offset:16
	buffer_load_dword v54, off, s[0:3], 0 offset:20
	s_mov_b32 s5, exec_lo
	s_waitcnt vmcnt(0)
	ds_write_b64 v52, v[53:54]
	s_waitcnt lgkmcnt(0)
	s_barrier
	buffer_gl0_inv
	v_cmpx_gt_u32_e32 2, v0
	s_cbranch_execz .LBB23_19
; %bb.16:
	s_clause 0x1
	buffer_load_dword v53, v49, s[0:3], 0 offen
	buffer_load_dword v54, v49, s[0:3], 0 offen offset:4
	ds_read_b64 v[49:50], v52
	s_waitcnt vmcnt(0) lgkmcnt(0)
	v_fma_f64 v[49:50], v[53:54], v[49:50], 0
	s_and_saveexec_b32 s8, s4
	s_cbranch_execz .LBB23_18
; %bb.17:
	s_clause 0x1
	buffer_load_dword v53, off, s[0:3], 0 offset:8
	buffer_load_dword v54, off, s[0:3], 0 offset:12
	v_mov_b32_e32 v55, 0
	ds_read_b64 v[55:56], v55 offset:200
	s_waitcnt vmcnt(0) lgkmcnt(0)
	v_fma_f64 v[49:50], v[53:54], v[55:56], v[49:50]
.LBB23_18:
	s_or_b32 exec_lo, exec_lo, s8
	v_mov_b32_e32 v53, 0
	ds_read_b64 v[53:54], v53 offset:16
	s_waitcnt lgkmcnt(0)
	v_mul_f64 v[49:50], v[49:50], v[53:54]
	buffer_store_dword v50, off, s[0:3], 0 offset:20
	buffer_store_dword v49, off, s[0:3], 0 offset:16
.LBB23_19:
	s_or_b32 exec_lo, exec_lo, s5
	s_waitcnt_vscnt null, 0x0
	s_barrier
	buffer_gl0_inv
	s_clause 0x1
	buffer_load_dword v49, off, s[0:3], 0 offset:24
	buffer_load_dword v50, off, s[0:3], 0 offset:28
	v_add_nc_u32_e32 v53, -1, v0
	s_mov_b32 s4, exec_lo
	s_waitcnt vmcnt(0)
	ds_write_b64 v52, v[49:50]
	s_waitcnt lgkmcnt(0)
	s_barrier
	buffer_gl0_inv
	v_cmpx_gt_u32_e32 3, v0
	s_cbranch_execz .LBB23_23
; %bb.20:
	v_mov_b32_e32 v49, 0
	v_add_nc_u32_e32 v54, -1, v0
	v_add_nc_u32_e32 v55, 0xc0, v51
	v_mov_b32_e32 v50, 0
	v_mov_b32_e32 v56, v51
	s_mov_b32 s5, 0
.LBB23_21:                              ; =>This Inner Loop Header: Depth=1
	s_clause 0x1
	buffer_load_dword v57, v56, s[0:3], 0 offen
	buffer_load_dword v58, v56, s[0:3], 0 offen offset:4
	ds_read_b64 v[59:60], v55
	v_add_nc_u32_e32 v54, 1, v54
	v_add_nc_u32_e32 v55, 8, v55
	v_add_nc_u32_e32 v56, 8, v56
	v_cmp_lt_u32_e32 vcc_lo, 1, v54
	s_or_b32 s5, vcc_lo, s5
	s_waitcnt vmcnt(0) lgkmcnt(0)
	v_fma_f64 v[49:50], v[57:58], v[59:60], v[49:50]
	s_andn2_b32 exec_lo, exec_lo, s5
	s_cbranch_execnz .LBB23_21
; %bb.22:
	s_or_b32 exec_lo, exec_lo, s5
	v_mov_b32_e32 v54, 0
	ds_read_b64 v[54:55], v54 offset:24
	s_waitcnt lgkmcnt(0)
	v_mul_f64 v[49:50], v[49:50], v[54:55]
	buffer_store_dword v50, off, s[0:3], 0 offset:28
	buffer_store_dword v49, off, s[0:3], 0 offset:24
.LBB23_23:
	s_or_b32 exec_lo, exec_lo, s4
	s_waitcnt_vscnt null, 0x0
	s_barrier
	buffer_gl0_inv
	s_clause 0x1
	buffer_load_dword v49, off, s[0:3], 0 offset:32
	buffer_load_dword v50, off, s[0:3], 0 offset:36
	s_mov_b32 s4, exec_lo
	s_waitcnt vmcnt(0)
	ds_write_b64 v52, v[49:50]
	s_waitcnt lgkmcnt(0)
	s_barrier
	buffer_gl0_inv
	v_cmpx_gt_u32_e32 4, v0
	s_cbranch_execz .LBB23_27
; %bb.24:
	v_mov_b32_e32 v49, 0
	v_add_nc_u32_e32 v54, -1, v0
	v_add_nc_u32_e32 v55, 0xc0, v51
	v_mov_b32_e32 v50, 0
	v_mov_b32_e32 v56, v51
	s_mov_b32 s5, 0
.LBB23_25:                              ; =>This Inner Loop Header: Depth=1
	s_clause 0x1
	buffer_load_dword v57, v56, s[0:3], 0 offen
	buffer_load_dword v58, v56, s[0:3], 0 offen offset:4
	ds_read_b64 v[59:60], v55
	v_add_nc_u32_e32 v54, 1, v54
	v_add_nc_u32_e32 v55, 8, v55
	v_add_nc_u32_e32 v56, 8, v56
	v_cmp_lt_u32_e32 vcc_lo, 2, v54
	s_or_b32 s5, vcc_lo, s5
	s_waitcnt vmcnt(0) lgkmcnt(0)
	v_fma_f64 v[49:50], v[57:58], v[59:60], v[49:50]
	s_andn2_b32 exec_lo, exec_lo, s5
	s_cbranch_execnz .LBB23_25
; %bb.26:
	s_or_b32 exec_lo, exec_lo, s5
	v_mov_b32_e32 v54, 0
	ds_read_b64 v[54:55], v54 offset:32
	s_waitcnt lgkmcnt(0)
	v_mul_f64 v[49:50], v[49:50], v[54:55]
	buffer_store_dword v50, off, s[0:3], 0 offset:36
	buffer_store_dword v49, off, s[0:3], 0 offset:32
.LBB23_27:
	s_or_b32 exec_lo, exec_lo, s4
	s_waitcnt_vscnt null, 0x0
	s_barrier
	buffer_gl0_inv
	s_clause 0x1
	buffer_load_dword v49, off, s[0:3], 0 offset:40
	buffer_load_dword v50, off, s[0:3], 0 offset:44
	;; [unrolled: 45-line block ×20, first 2 shown]
	s_mov_b32 s4, exec_lo
	s_waitcnt vmcnt(0)
	ds_write_b64 v52, v[49:50]
	s_waitcnt lgkmcnt(0)
	s_barrier
	buffer_gl0_inv
	v_cmpx_ne_u32_e32 23, v0
	s_cbranch_execz .LBB23_103
; %bb.100:
	v_mov_b32_e32 v49, 0
	v_mov_b32_e32 v50, 0
	s_mov_b32 s5, 0
.LBB23_101:                             ; =>This Inner Loop Header: Depth=1
	s_clause 0x1
	buffer_load_dword v54, v51, s[0:3], 0 offen
	buffer_load_dword v55, v51, s[0:3], 0 offen offset:4
	ds_read_b64 v[56:57], v52
	v_add_nc_u32_e32 v53, 1, v53
	v_add_nc_u32_e32 v52, 8, v52
	v_add_nc_u32_e32 v51, 8, v51
	v_cmp_lt_u32_e32 vcc_lo, 21, v53
	s_or_b32 s5, vcc_lo, s5
	s_waitcnt vmcnt(0) lgkmcnt(0)
	v_fma_f64 v[49:50], v[54:55], v[56:57], v[49:50]
	s_andn2_b32 exec_lo, exec_lo, s5
	s_cbranch_execnz .LBB23_101
; %bb.102:
	s_or_b32 exec_lo, exec_lo, s5
	v_mov_b32_e32 v51, 0
	ds_read_b64 v[51:52], v51 offset:184
	s_waitcnt lgkmcnt(0)
	v_mul_f64 v[49:50], v[49:50], v[51:52]
	buffer_store_dword v50, off, s[0:3], 0 offset:188
	buffer_store_dword v49, off, s[0:3], 0 offset:184
.LBB23_103:
	s_or_b32 exec_lo, exec_lo, s4
	s_mov_b32 s5, -1
	s_waitcnt_vscnt null, 0x0
	s_barrier
	buffer_gl0_inv
.LBB23_104:
	s_and_b32 vcc_lo, exec_lo, s5
	s_cbranch_vccz .LBB23_106
; %bb.105:
	s_lshl_b64 s[4:5], s[6:7], 2
	v_mov_b32_e32 v49, 0
	s_add_u32 s4, s10, s4
	s_addc_u32 s5, s11, s5
	global_load_dword v49, v49, s[4:5]
	s_waitcnt vmcnt(0)
	v_cmp_ne_u32_e32 vcc_lo, 0, v49
	s_cbranch_vccz .LBB23_107
.LBB23_106:
	s_endpgm
.LBB23_107:
	v_lshl_add_u32 v49, v0, 3, 0xc0
	s_mov_b32 s4, exec_lo
	v_cmpx_eq_u32_e32 23, v0
	s_cbranch_execz .LBB23_109
; %bb.108:
	s_clause 0x1
	buffer_load_dword v50, off, s[0:3], 0 offset:176
	buffer_load_dword v51, off, s[0:3], 0 offset:180
	v_mov_b32_e32 v52, 0
	buffer_store_dword v52, off, s[0:3], 0 offset:176
	buffer_store_dword v52, off, s[0:3], 0 offset:180
	s_waitcnt vmcnt(0)
	ds_write_b64 v49, v[50:51]
.LBB23_109:
	s_or_b32 exec_lo, exec_lo, s4
	s_waitcnt lgkmcnt(0)
	s_waitcnt_vscnt null, 0x0
	s_barrier
	buffer_gl0_inv
	s_clause 0x3
	buffer_load_dword v51, off, s[0:3], 0 offset:184
	buffer_load_dword v52, off, s[0:3], 0 offset:188
	;; [unrolled: 1-line block ×4, first 2 shown]
	v_mov_b32_e32 v50, 0
	s_mov_b32 s4, exec_lo
	ds_read_b64 v[55:56], v50 offset:376
	s_waitcnt vmcnt(2) lgkmcnt(0)
	v_fma_f64 v[51:52], v[51:52], v[55:56], 0
	s_waitcnt vmcnt(0)
	v_add_f64 v[51:52], v[53:54], -v[51:52]
	buffer_store_dword v51, off, s[0:3], 0 offset:176
	buffer_store_dword v52, off, s[0:3], 0 offset:180
	v_cmpx_lt_u32_e32 21, v0
	s_cbranch_execz .LBB23_111
; %bb.110:
	s_clause 0x1
	buffer_load_dword v51, off, s[0:3], 0 offset:168
	buffer_load_dword v52, off, s[0:3], 0 offset:172
	buffer_store_dword v50, off, s[0:3], 0 offset:168
	buffer_store_dword v50, off, s[0:3], 0 offset:172
	s_waitcnt vmcnt(0)
	ds_write_b64 v49, v[51:52]
.LBB23_111:
	s_or_b32 exec_lo, exec_lo, s4
	s_waitcnt lgkmcnt(0)
	s_waitcnt_vscnt null, 0x0
	s_barrier
	buffer_gl0_inv
	s_clause 0x5
	buffer_load_dword v54, off, s[0:3], 0 offset:176
	buffer_load_dword v55, off, s[0:3], 0 offset:180
	buffer_load_dword v56, off, s[0:3], 0 offset:184
	buffer_load_dword v57, off, s[0:3], 0 offset:188
	buffer_load_dword v58, off, s[0:3], 0 offset:168
	buffer_load_dword v59, off, s[0:3], 0 offset:172
	ds_read_b128 v[50:53], v50 offset:368
	s_mov_b32 s4, exec_lo
	s_waitcnt vmcnt(4) lgkmcnt(0)
	v_fma_f64 v[50:51], v[54:55], v[50:51], 0
	s_waitcnt vmcnt(2)
	v_fma_f64 v[50:51], v[56:57], v[52:53], v[50:51]
	s_waitcnt vmcnt(0)
	v_add_f64 v[50:51], v[58:59], -v[50:51]
	buffer_store_dword v50, off, s[0:3], 0 offset:168
	buffer_store_dword v51, off, s[0:3], 0 offset:172
	v_cmpx_lt_u32_e32 20, v0
	s_cbranch_execz .LBB23_113
; %bb.112:
	s_clause 0x1
	buffer_load_dword v50, off, s[0:3], 0 offset:160
	buffer_load_dword v51, off, s[0:3], 0 offset:164
	v_mov_b32_e32 v52, 0
	buffer_store_dword v52, off, s[0:3], 0 offset:160
	buffer_store_dword v52, off, s[0:3], 0 offset:164
	s_waitcnt vmcnt(0)
	ds_write_b64 v49, v[50:51]
.LBB23_113:
	s_or_b32 exec_lo, exec_lo, s4
	s_waitcnt lgkmcnt(0)
	s_waitcnt_vscnt null, 0x0
	s_barrier
	buffer_gl0_inv
	s_clause 0x7
	buffer_load_dword v55, off, s[0:3], 0 offset:168
	buffer_load_dword v56, off, s[0:3], 0 offset:172
	;; [unrolled: 1-line block ×8, first 2 shown]
	v_mov_b32_e32 v50, 0
	ds_read2_b64 v[51:54], v50 offset0:45 offset1:46
	ds_read_b64 v[63:64], v50 offset:376
	s_mov_b32 s4, exec_lo
	s_waitcnt vmcnt(6) lgkmcnt(1)
	v_fma_f64 v[51:52], v[55:56], v[51:52], 0
	s_waitcnt vmcnt(4)
	v_fma_f64 v[51:52], v[57:58], v[53:54], v[51:52]
	s_waitcnt vmcnt(2) lgkmcnt(0)
	v_fma_f64 v[51:52], v[59:60], v[63:64], v[51:52]
	s_waitcnt vmcnt(0)
	v_add_f64 v[51:52], v[61:62], -v[51:52]
	buffer_store_dword v51, off, s[0:3], 0 offset:160
	buffer_store_dword v52, off, s[0:3], 0 offset:164
	v_cmpx_lt_u32_e32 19, v0
	s_cbranch_execz .LBB23_115
; %bb.114:
	s_clause 0x1
	buffer_load_dword v51, off, s[0:3], 0 offset:152
	buffer_load_dword v52, off, s[0:3], 0 offset:156
	buffer_store_dword v50, off, s[0:3], 0 offset:152
	buffer_store_dword v50, off, s[0:3], 0 offset:156
	s_waitcnt vmcnt(0)
	ds_write_b64 v49, v[51:52]
.LBB23_115:
	s_or_b32 exec_lo, exec_lo, s4
	s_waitcnt lgkmcnt(0)
	s_waitcnt_vscnt null, 0x0
	s_barrier
	buffer_gl0_inv
	s_clause 0x9
	buffer_load_dword v59, off, s[0:3], 0 offset:160
	buffer_load_dword v60, off, s[0:3], 0 offset:164
	;; [unrolled: 1-line block ×10, first 2 shown]
	ds_read_b128 v[51:54], v50 offset:352
	ds_read_b128 v[55:58], v50 offset:368
	s_mov_b32 s4, exec_lo
	s_waitcnt vmcnt(8) lgkmcnt(1)
	v_fma_f64 v[50:51], v[59:60], v[51:52], 0
	s_waitcnt vmcnt(6)
	v_fma_f64 v[50:51], v[61:62], v[53:54], v[50:51]
	s_waitcnt vmcnt(4) lgkmcnt(0)
	v_fma_f64 v[50:51], v[63:64], v[55:56], v[50:51]
	s_waitcnt vmcnt(2)
	v_fma_f64 v[50:51], v[65:66], v[57:58], v[50:51]
	s_waitcnt vmcnt(0)
	v_add_f64 v[50:51], v[67:68], -v[50:51]
	buffer_store_dword v50, off, s[0:3], 0 offset:152
	buffer_store_dword v51, off, s[0:3], 0 offset:156
	v_cmpx_lt_u32_e32 18, v0
	s_cbranch_execz .LBB23_117
; %bb.116:
	s_clause 0x1
	buffer_load_dword v50, off, s[0:3], 0 offset:144
	buffer_load_dword v51, off, s[0:3], 0 offset:148
	v_mov_b32_e32 v52, 0
	buffer_store_dword v52, off, s[0:3], 0 offset:144
	buffer_store_dword v52, off, s[0:3], 0 offset:148
	s_waitcnt vmcnt(0)
	ds_write_b64 v49, v[50:51]
.LBB23_117:
	s_or_b32 exec_lo, exec_lo, s4
	s_waitcnt lgkmcnt(0)
	s_waitcnt_vscnt null, 0x0
	s_barrier
	buffer_gl0_inv
	s_clause 0xb
	buffer_load_dword v59, off, s[0:3], 0 offset:152
	buffer_load_dword v60, off, s[0:3], 0 offset:156
	;; [unrolled: 1-line block ×12, first 2 shown]
	v_mov_b32_e32 v50, 0
	ds_read2_b64 v[51:54], v50 offset0:43 offset1:44
	ds_read2_b64 v[55:58], v50 offset0:45 offset1:46
	s_mov_b32 s4, exec_lo
	s_waitcnt vmcnt(10) lgkmcnt(1)
	v_fma_f64 v[51:52], v[59:60], v[51:52], 0
	s_waitcnt vmcnt(8)
	v_fma_f64 v[51:52], v[61:62], v[53:54], v[51:52]
	ds_read_b64 v[53:54], v50 offset:376
	s_waitcnt vmcnt(6) lgkmcnt(1)
	v_fma_f64 v[51:52], v[63:64], v[55:56], v[51:52]
	s_waitcnt vmcnt(4)
	v_fma_f64 v[51:52], v[65:66], v[57:58], v[51:52]
	s_waitcnt vmcnt(2) lgkmcnt(0)
	v_fma_f64 v[51:52], v[67:68], v[53:54], v[51:52]
	s_waitcnt vmcnt(0)
	v_add_f64 v[51:52], v[69:70], -v[51:52]
	buffer_store_dword v51, off, s[0:3], 0 offset:144
	buffer_store_dword v52, off, s[0:3], 0 offset:148
	v_cmpx_lt_u32_e32 17, v0
	s_cbranch_execz .LBB23_119
; %bb.118:
	s_clause 0x1
	buffer_load_dword v51, off, s[0:3], 0 offset:136
	buffer_load_dword v52, off, s[0:3], 0 offset:140
	buffer_store_dword v50, off, s[0:3], 0 offset:136
	buffer_store_dword v50, off, s[0:3], 0 offset:140
	s_waitcnt vmcnt(0)
	ds_write_b64 v49, v[51:52]
.LBB23_119:
	s_or_b32 exec_lo, exec_lo, s4
	s_waitcnt lgkmcnt(0)
	s_waitcnt_vscnt null, 0x0
	s_barrier
	buffer_gl0_inv
	s_clause 0xd
	buffer_load_dword v59, off, s[0:3], 0 offset:144
	buffer_load_dword v60, off, s[0:3], 0 offset:148
	;; [unrolled: 1-line block ×14, first 2 shown]
	ds_read_b128 v[51:54], v50 offset:336
	ds_read_b128 v[55:58], v50 offset:352
	s_mov_b32 s4, exec_lo
	s_waitcnt vmcnt(12) lgkmcnt(1)
	v_fma_f64 v[51:52], v[59:60], v[51:52], 0
	s_waitcnt vmcnt(10)
	v_fma_f64 v[51:52], v[61:62], v[53:54], v[51:52]
	s_waitcnt vmcnt(8) lgkmcnt(0)
	v_fma_f64 v[51:52], v[63:64], v[55:56], v[51:52]
	s_waitcnt vmcnt(6)
	v_fma_f64 v[54:55], v[65:66], v[57:58], v[51:52]
	ds_read_b128 v[50:53], v50 offset:368
	s_waitcnt vmcnt(4) lgkmcnt(0)
	v_fma_f64 v[50:51], v[67:68], v[50:51], v[54:55]
	s_waitcnt vmcnt(2)
	v_fma_f64 v[50:51], v[69:70], v[52:53], v[50:51]
	s_waitcnt vmcnt(0)
	v_add_f64 v[50:51], v[71:72], -v[50:51]
	buffer_store_dword v50, off, s[0:3], 0 offset:136
	buffer_store_dword v51, off, s[0:3], 0 offset:140
	v_cmpx_lt_u32_e32 16, v0
	s_cbranch_execz .LBB23_121
; %bb.120:
	s_clause 0x1
	buffer_load_dword v50, off, s[0:3], 0 offset:128
	buffer_load_dword v51, off, s[0:3], 0 offset:132
	v_mov_b32_e32 v52, 0
	buffer_store_dword v52, off, s[0:3], 0 offset:128
	buffer_store_dword v52, off, s[0:3], 0 offset:132
	s_waitcnt vmcnt(0)
	ds_write_b64 v49, v[50:51]
.LBB23_121:
	s_or_b32 exec_lo, exec_lo, s4
	s_waitcnt lgkmcnt(0)
	s_waitcnt_vscnt null, 0x0
	s_barrier
	buffer_gl0_inv
	s_clause 0xf
	buffer_load_dword v59, off, s[0:3], 0 offset:136
	buffer_load_dword v60, off, s[0:3], 0 offset:140
	;; [unrolled: 1-line block ×16, first 2 shown]
	v_mov_b32_e32 v50, 0
	ds_read2_b64 v[51:54], v50 offset0:41 offset1:42
	ds_read2_b64 v[55:58], v50 offset0:43 offset1:44
	s_mov_b32 s4, exec_lo
	s_waitcnt vmcnt(14) lgkmcnt(1)
	v_fma_f64 v[51:52], v[59:60], v[51:52], 0
	s_waitcnt vmcnt(12)
	v_fma_f64 v[51:52], v[61:62], v[53:54], v[51:52]
	s_waitcnt vmcnt(10) lgkmcnt(0)
	v_fma_f64 v[51:52], v[63:64], v[55:56], v[51:52]
	s_waitcnt vmcnt(8)
	v_fma_f64 v[55:56], v[65:66], v[57:58], v[51:52]
	ds_read2_b64 v[51:54], v50 offset0:45 offset1:46
	ds_read_b64 v[57:58], v50 offset:376
	s_waitcnt vmcnt(6) lgkmcnt(1)
	v_fma_f64 v[51:52], v[67:68], v[51:52], v[55:56]
	s_waitcnt vmcnt(4)
	v_fma_f64 v[51:52], v[69:70], v[53:54], v[51:52]
	s_waitcnt vmcnt(2) lgkmcnt(0)
	v_fma_f64 v[51:52], v[71:72], v[57:58], v[51:52]
	s_waitcnt vmcnt(0)
	v_add_f64 v[51:52], v[73:74], -v[51:52]
	buffer_store_dword v51, off, s[0:3], 0 offset:128
	buffer_store_dword v52, off, s[0:3], 0 offset:132
	v_cmpx_lt_u32_e32 15, v0
	s_cbranch_execz .LBB23_123
; %bb.122:
	s_clause 0x1
	buffer_load_dword v51, off, s[0:3], 0 offset:120
	buffer_load_dword v52, off, s[0:3], 0 offset:124
	buffer_store_dword v50, off, s[0:3], 0 offset:120
	buffer_store_dword v50, off, s[0:3], 0 offset:124
	s_waitcnt vmcnt(0)
	ds_write_b64 v49, v[51:52]
.LBB23_123:
	s_or_b32 exec_lo, exec_lo, s4
	s_waitcnt lgkmcnt(0)
	s_waitcnt_vscnt null, 0x0
	s_barrier
	buffer_gl0_inv
	s_clause 0x11
	buffer_load_dword v59, off, s[0:3], 0 offset:128
	buffer_load_dword v60, off, s[0:3], 0 offset:132
	;; [unrolled: 1-line block ×18, first 2 shown]
	ds_read_b128 v[51:54], v50 offset:320
	ds_read_b128 v[55:58], v50 offset:336
	s_mov_b32 s4, exec_lo
	s_waitcnt vmcnt(16) lgkmcnt(1)
	v_fma_f64 v[51:52], v[59:60], v[51:52], 0
	s_waitcnt vmcnt(14)
	v_fma_f64 v[51:52], v[61:62], v[53:54], v[51:52]
	s_waitcnt vmcnt(12) lgkmcnt(0)
	v_fma_f64 v[51:52], v[63:64], v[55:56], v[51:52]
	s_waitcnt vmcnt(10)
	v_fma_f64 v[59:60], v[65:66], v[57:58], v[51:52]
	ds_read_b128 v[51:54], v50 offset:352
	ds_read_b128 v[55:58], v50 offset:368
	s_waitcnt vmcnt(8) lgkmcnt(1)
	v_fma_f64 v[50:51], v[67:68], v[51:52], v[59:60]
	s_waitcnt vmcnt(6)
	v_fma_f64 v[50:51], v[69:70], v[53:54], v[50:51]
	s_waitcnt vmcnt(4) lgkmcnt(0)
	v_fma_f64 v[50:51], v[71:72], v[55:56], v[50:51]
	s_waitcnt vmcnt(2)
	v_fma_f64 v[50:51], v[73:74], v[57:58], v[50:51]
	s_waitcnt vmcnt(0)
	v_add_f64 v[50:51], v[75:76], -v[50:51]
	buffer_store_dword v50, off, s[0:3], 0 offset:120
	buffer_store_dword v51, off, s[0:3], 0 offset:124
	v_cmpx_lt_u32_e32 14, v0
	s_cbranch_execz .LBB23_125
; %bb.124:
	s_clause 0x1
	buffer_load_dword v50, off, s[0:3], 0 offset:112
	buffer_load_dword v51, off, s[0:3], 0 offset:116
	v_mov_b32_e32 v52, 0
	buffer_store_dword v52, off, s[0:3], 0 offset:112
	buffer_store_dword v52, off, s[0:3], 0 offset:116
	s_waitcnt vmcnt(0)
	ds_write_b64 v49, v[50:51]
.LBB23_125:
	s_or_b32 exec_lo, exec_lo, s4
	s_waitcnt lgkmcnt(0)
	s_waitcnt_vscnt null, 0x0
	s_barrier
	buffer_gl0_inv
	s_clause 0x13
	buffer_load_dword v55, off, s[0:3], 0 offset:120
	buffer_load_dword v56, off, s[0:3], 0 offset:124
	;; [unrolled: 1-line block ×20, first 2 shown]
	v_mov_b32_e32 v50, 0
	s_mov_b32 s4, exec_lo
	ds_read2_b64 v[51:54], v50 offset0:39 offset1:40
	s_waitcnt vmcnt(18) lgkmcnt(0)
	v_fma_f64 v[51:52], v[55:56], v[51:52], 0
	s_waitcnt vmcnt(16)
	v_fma_f64 v[55:56], v[57:58], v[53:54], v[51:52]
	ds_read2_b64 v[51:54], v50 offset0:41 offset1:42
	s_waitcnt vmcnt(14) lgkmcnt(0)
	v_fma_f64 v[51:52], v[59:60], v[51:52], v[55:56]
	s_waitcnt vmcnt(12)
	v_fma_f64 v[55:56], v[61:62], v[53:54], v[51:52]
	;; [unrolled: 5-line block ×4, first 2 shown]
	ds_read_b64 v[53:54], v50 offset:376
	s_waitcnt vmcnt(2) lgkmcnt(0)
	v_fma_f64 v[51:52], v[71:72], v[53:54], v[51:52]
	s_waitcnt vmcnt(0)
	v_add_f64 v[51:52], v[73:74], -v[51:52]
	buffer_store_dword v51, off, s[0:3], 0 offset:112
	buffer_store_dword v52, off, s[0:3], 0 offset:116
	v_cmpx_lt_u32_e32 13, v0
	s_cbranch_execz .LBB23_127
; %bb.126:
	s_clause 0x1
	buffer_load_dword v51, off, s[0:3], 0 offset:104
	buffer_load_dword v52, off, s[0:3], 0 offset:108
	buffer_store_dword v50, off, s[0:3], 0 offset:104
	buffer_store_dword v50, off, s[0:3], 0 offset:108
	s_waitcnt vmcnt(0)
	ds_write_b64 v49, v[51:52]
.LBB23_127:
	s_or_b32 exec_lo, exec_lo, s4
	s_waitcnt lgkmcnt(0)
	s_waitcnt_vscnt null, 0x0
	s_barrier
	buffer_gl0_inv
	s_clause 0x15
	buffer_load_dword v55, off, s[0:3], 0 offset:112
	buffer_load_dword v56, off, s[0:3], 0 offset:116
	;; [unrolled: 1-line block ×22, first 2 shown]
	ds_read_b128 v[51:54], v50 offset:304
	s_mov_b32 s4, exec_lo
	s_waitcnt vmcnt(20) lgkmcnt(0)
	v_fma_f64 v[51:52], v[55:56], v[51:52], 0
	s_waitcnt vmcnt(18)
	v_fma_f64 v[55:56], v[57:58], v[53:54], v[51:52]
	ds_read_b128 v[51:54], v50 offset:320
	s_waitcnt vmcnt(16) lgkmcnt(0)
	v_fma_f64 v[51:52], v[59:60], v[51:52], v[55:56]
	s_waitcnt vmcnt(14)
	v_fma_f64 v[55:56], v[61:62], v[53:54], v[51:52]
	ds_read_b128 v[51:54], v50 offset:336
	;; [unrolled: 5-line block ×4, first 2 shown]
	s_waitcnt vmcnt(4) lgkmcnt(0)
	v_fma_f64 v[50:51], v[71:72], v[50:51], v[54:55]
	s_waitcnt vmcnt(2)
	v_fma_f64 v[50:51], v[73:74], v[52:53], v[50:51]
	s_waitcnt vmcnt(0)
	v_add_f64 v[50:51], v[75:76], -v[50:51]
	buffer_store_dword v50, off, s[0:3], 0 offset:104
	buffer_store_dword v51, off, s[0:3], 0 offset:108
	v_cmpx_lt_u32_e32 12, v0
	s_cbranch_execz .LBB23_129
; %bb.128:
	s_clause 0x1
	buffer_load_dword v50, off, s[0:3], 0 offset:96
	buffer_load_dword v51, off, s[0:3], 0 offset:100
	v_mov_b32_e32 v52, 0
	buffer_store_dword v52, off, s[0:3], 0 offset:96
	buffer_store_dword v52, off, s[0:3], 0 offset:100
	s_waitcnt vmcnt(0)
	ds_write_b64 v49, v[50:51]
.LBB23_129:
	s_or_b32 exec_lo, exec_lo, s4
	s_waitcnt lgkmcnt(0)
	s_waitcnt_vscnt null, 0x0
	s_barrier
	buffer_gl0_inv
	s_clause 0x17
	buffer_load_dword v55, off, s[0:3], 0 offset:104
	buffer_load_dword v56, off, s[0:3], 0 offset:108
	;; [unrolled: 1-line block ×24, first 2 shown]
	v_mov_b32_e32 v50, 0
	s_mov_b32 s4, exec_lo
	ds_read2_b64 v[51:54], v50 offset0:37 offset1:38
	s_waitcnt vmcnt(22) lgkmcnt(0)
	v_fma_f64 v[51:52], v[55:56], v[51:52], 0
	s_waitcnt vmcnt(20)
	v_fma_f64 v[55:56], v[57:58], v[53:54], v[51:52]
	ds_read2_b64 v[51:54], v50 offset0:39 offset1:40
	s_waitcnt vmcnt(18) lgkmcnt(0)
	v_fma_f64 v[51:52], v[59:60], v[51:52], v[55:56]
	s_waitcnt vmcnt(16)
	v_fma_f64 v[55:56], v[61:62], v[53:54], v[51:52]
	;; [unrolled: 5-line block ×5, first 2 shown]
	ds_read_b64 v[53:54], v50 offset:376
	s_waitcnt vmcnt(2) lgkmcnt(0)
	v_fma_f64 v[51:52], v[75:76], v[53:54], v[51:52]
	s_waitcnt vmcnt(0)
	v_add_f64 v[51:52], v[77:78], -v[51:52]
	buffer_store_dword v52, off, s[0:3], 0 offset:100
	buffer_store_dword v51, off, s[0:3], 0 offset:96
	v_cmpx_lt_u32_e32 11, v0
	s_cbranch_execz .LBB23_131
; %bb.130:
	s_clause 0x1
	buffer_load_dword v51, off, s[0:3], 0 offset:88
	buffer_load_dword v52, off, s[0:3], 0 offset:92
	buffer_store_dword v50, off, s[0:3], 0 offset:88
	buffer_store_dword v50, off, s[0:3], 0 offset:92
	s_waitcnt vmcnt(0)
	ds_write_b64 v49, v[51:52]
.LBB23_131:
	s_or_b32 exec_lo, exec_lo, s4
	s_waitcnt lgkmcnt(0)
	s_waitcnt_vscnt null, 0x0
	s_barrier
	buffer_gl0_inv
	s_clause 0x19
	buffer_load_dword v59, off, s[0:3], 0 offset:96
	buffer_load_dword v60, off, s[0:3], 0 offset:100
	;; [unrolled: 1-line block ×26, first 2 shown]
	ds_read_b128 v[51:54], v50 offset:288
	ds_read_b128 v[55:58], v50 offset:304
	s_mov_b32 s4, exec_lo
	s_waitcnt vmcnt(24) lgkmcnt(1)
	v_fma_f64 v[51:52], v[59:60], v[51:52], 0
	s_waitcnt vmcnt(22)
	v_fma_f64 v[51:52], v[61:62], v[53:54], v[51:52]
	s_waitcnt vmcnt(20) lgkmcnt(0)
	v_fma_f64 v[51:52], v[63:64], v[55:56], v[51:52]
	s_waitcnt vmcnt(18)
	v_fma_f64 v[59:60], v[65:66], v[57:58], v[51:52]
	ds_read_b128 v[51:54], v50 offset:320
	ds_read_b128 v[55:58], v50 offset:336
	s_waitcnt vmcnt(16) lgkmcnt(1)
	v_fma_f64 v[51:52], v[67:68], v[51:52], v[59:60]
	s_waitcnt vmcnt(14)
	v_fma_f64 v[51:52], v[69:70], v[53:54], v[51:52]
	s_waitcnt vmcnt(12) lgkmcnt(0)
	v_fma_f64 v[51:52], v[71:72], v[55:56], v[51:52]
	s_waitcnt vmcnt(7)
	v_fma_f64 v[59:60], v[73:74], v[57:58], v[51:52]
	ds_read_b128 v[51:54], v50 offset:352
	ds_read_b128 v[55:58], v50 offset:368
	s_waitcnt vmcnt(6) lgkmcnt(1)
	v_fma_f64 v[50:51], v[79:80], v[51:52], v[59:60]
	s_waitcnt vmcnt(5)
	v_fma_f64 v[50:51], v[77:78], v[53:54], v[50:51]
	s_waitcnt vmcnt(4) lgkmcnt(0)
	v_fma_f64 v[50:51], v[75:76], v[55:56], v[50:51]
	s_waitcnt vmcnt(2)
	v_fma_f64 v[50:51], v[81:82], v[57:58], v[50:51]
	s_waitcnt vmcnt(0)
	v_add_f64 v[50:51], v[83:84], -v[50:51]
	buffer_store_dword v51, off, s[0:3], 0 offset:92
	buffer_store_dword v50, off, s[0:3], 0 offset:88
	v_cmpx_lt_u32_e32 10, v0
	s_cbranch_execz .LBB23_133
; %bb.132:
	s_clause 0x1
	buffer_load_dword v50, off, s[0:3], 0 offset:80
	buffer_load_dword v51, off, s[0:3], 0 offset:84
	v_mov_b32_e32 v52, 0
	buffer_store_dword v52, off, s[0:3], 0 offset:80
	buffer_store_dword v52, off, s[0:3], 0 offset:84
	s_waitcnt vmcnt(0)
	ds_write_b64 v49, v[50:51]
.LBB23_133:
	s_or_b32 exec_lo, exec_lo, s4
	s_waitcnt lgkmcnt(0)
	s_waitcnt_vscnt null, 0x0
	s_barrier
	buffer_gl0_inv
	s_clause 0x1b
	buffer_load_dword v59, off, s[0:3], 0 offset:88
	buffer_load_dword v60, off, s[0:3], 0 offset:92
	;; [unrolled: 1-line block ×28, first 2 shown]
	v_mov_b32_e32 v50, 0
	ds_read2_b64 v[51:54], v50 offset0:35 offset1:36
	ds_read2_b64 v[55:58], v50 offset0:37 offset1:38
	s_mov_b32 s4, exec_lo
	s_waitcnt vmcnt(26) lgkmcnt(1)
	v_fma_f64 v[51:52], v[59:60], v[51:52], 0
	s_waitcnt vmcnt(24)
	v_fma_f64 v[51:52], v[61:62], v[53:54], v[51:52]
	s_waitcnt vmcnt(22) lgkmcnt(0)
	v_fma_f64 v[51:52], v[63:64], v[55:56], v[51:52]
	s_waitcnt vmcnt(20)
	v_fma_f64 v[59:60], v[65:66], v[57:58], v[51:52]
	ds_read2_b64 v[51:54], v50 offset0:39 offset1:40
	ds_read2_b64 v[55:58], v50 offset0:41 offset1:42
	s_waitcnt vmcnt(18) lgkmcnt(1)
	v_fma_f64 v[51:52], v[67:68], v[51:52], v[59:60]
	s_waitcnt vmcnt(16)
	v_fma_f64 v[51:52], v[69:70], v[53:54], v[51:52]
	s_waitcnt vmcnt(14) lgkmcnt(0)
	v_fma_f64 v[51:52], v[71:72], v[55:56], v[51:52]
	s_waitcnt vmcnt(9)
	v_fma_f64 v[59:60], v[73:74], v[57:58], v[51:52]
	ds_read2_b64 v[51:54], v50 offset0:43 offset1:44
	ds_read2_b64 v[55:58], v50 offset0:45 offset1:46
	s_waitcnt vmcnt(8) lgkmcnt(1)
	v_fma_f64 v[51:52], v[79:80], v[51:52], v[59:60]
	s_waitcnt vmcnt(7)
	v_fma_f64 v[51:52], v[77:78], v[53:54], v[51:52]
	ds_read_b64 v[53:54], v50 offset:376
	s_waitcnt vmcnt(6) lgkmcnt(1)
	v_fma_f64 v[51:52], v[75:76], v[55:56], v[51:52]
	s_waitcnt vmcnt(3)
	v_fma_f64 v[51:52], v[81:82], v[57:58], v[51:52]
	s_waitcnt vmcnt(2) lgkmcnt(0)
	v_fma_f64 v[51:52], v[83:84], v[53:54], v[51:52]
	s_waitcnt vmcnt(0)
	v_add_f64 v[51:52], v[85:86], -v[51:52]
	buffer_store_dword v52, off, s[0:3], 0 offset:84
	buffer_store_dword v51, off, s[0:3], 0 offset:80
	v_cmpx_lt_u32_e32 9, v0
	s_cbranch_execz .LBB23_135
; %bb.134:
	s_clause 0x1
	buffer_load_dword v51, off, s[0:3], 0 offset:72
	buffer_load_dword v52, off, s[0:3], 0 offset:76
	buffer_store_dword v50, off, s[0:3], 0 offset:72
	buffer_store_dword v50, off, s[0:3], 0 offset:76
	s_waitcnt vmcnt(0)
	ds_write_b64 v49, v[51:52]
.LBB23_135:
	s_or_b32 exec_lo, exec_lo, s4
	s_waitcnt lgkmcnt(0)
	s_waitcnt_vscnt null, 0x0
	s_barrier
	buffer_gl0_inv
	s_clause 0x1b
	buffer_load_dword v59, off, s[0:3], 0 offset:80
	buffer_load_dword v60, off, s[0:3], 0 offset:84
	buffer_load_dword v61, off, s[0:3], 0 offset:88
	buffer_load_dword v62, off, s[0:3], 0 offset:92
	buffer_load_dword v63, off, s[0:3], 0 offset:96
	buffer_load_dword v64, off, s[0:3], 0 offset:100
	buffer_load_dword v65, off, s[0:3], 0 offset:104
	buffer_load_dword v66, off, s[0:3], 0 offset:108
	buffer_load_dword v67, off, s[0:3], 0 offset:112
	buffer_load_dword v68, off, s[0:3], 0 offset:116
	buffer_load_dword v69, off, s[0:3], 0 offset:120
	buffer_load_dword v70, off, s[0:3], 0 offset:124
	buffer_load_dword v71, off, s[0:3], 0 offset:128
	buffer_load_dword v72, off, s[0:3], 0 offset:132
	buffer_load_dword v74, off, s[0:3], 0 offset:140
	buffer_load_dword v75, off, s[0:3], 0 offset:160
	buffer_load_dword v77, off, s[0:3], 0 offset:152
	buffer_load_dword v79, off, s[0:3], 0 offset:144
	buffer_load_dword v73, off, s[0:3], 0 offset:136
	buffer_load_dword v80, off, s[0:3], 0 offset:148
	buffer_load_dword v78, off, s[0:3], 0 offset:156
	buffer_load_dword v76, off, s[0:3], 0 offset:164
	buffer_load_dword v82, off, s[0:3], 0 offset:172
	buffer_load_dword v83, off, s[0:3], 0 offset:184
	buffer_load_dword v85, off, s[0:3], 0 offset:176
	buffer_load_dword v81, off, s[0:3], 0 offset:168
	buffer_load_dword v86, off, s[0:3], 0 offset:180
	buffer_load_dword v84, off, s[0:3], 0 offset:188
	ds_read_b128 v[51:54], v50 offset:272
	s_clause 0x1
	buffer_load_dword v87, off, s[0:3], 0 offset:72
	buffer_load_dword v88, off, s[0:3], 0 offset:76
	ds_read_b128 v[55:58], v50 offset:288
	s_mov_b32 s4, exec_lo
	s_waitcnt vmcnt(28) lgkmcnt(1)
	v_fma_f64 v[51:52], v[59:60], v[51:52], 0
	s_waitcnt vmcnt(26)
	v_fma_f64 v[51:52], v[61:62], v[53:54], v[51:52]
	s_waitcnt vmcnt(24) lgkmcnt(0)
	v_fma_f64 v[51:52], v[63:64], v[55:56], v[51:52]
	s_waitcnt vmcnt(22)
	v_fma_f64 v[59:60], v[65:66], v[57:58], v[51:52]
	ds_read_b128 v[51:54], v50 offset:304
	ds_read_b128 v[55:58], v50 offset:320
	s_waitcnt vmcnt(20) lgkmcnt(1)
	v_fma_f64 v[51:52], v[67:68], v[51:52], v[59:60]
	s_waitcnt vmcnt(18)
	v_fma_f64 v[51:52], v[69:70], v[53:54], v[51:52]
	s_waitcnt vmcnt(16) lgkmcnt(0)
	v_fma_f64 v[51:52], v[71:72], v[55:56], v[51:52]
	s_waitcnt vmcnt(11)
	v_fma_f64 v[59:60], v[73:74], v[57:58], v[51:52]
	ds_read_b128 v[51:54], v50 offset:336
	ds_read_b128 v[55:58], v50 offset:352
	s_waitcnt vmcnt(10) lgkmcnt(1)
	v_fma_f64 v[51:52], v[79:80], v[51:52], v[59:60]
	s_waitcnt vmcnt(9)
	v_fma_f64 v[51:52], v[77:78], v[53:54], v[51:52]
	s_waitcnt vmcnt(8) lgkmcnt(0)
	v_fma_f64 v[51:52], v[75:76], v[55:56], v[51:52]
	s_waitcnt vmcnt(4)
	v_fma_f64 v[54:55], v[81:82], v[57:58], v[51:52]
	ds_read_b128 v[50:53], v50 offset:368
	s_waitcnt vmcnt(3) lgkmcnt(0)
	v_fma_f64 v[50:51], v[85:86], v[50:51], v[54:55]
	s_waitcnt vmcnt(2)
	v_fma_f64 v[50:51], v[83:84], v[52:53], v[50:51]
	s_waitcnt vmcnt(0)
	v_add_f64 v[50:51], v[87:88], -v[50:51]
	buffer_store_dword v51, off, s[0:3], 0 offset:76
	buffer_store_dword v50, off, s[0:3], 0 offset:72
	v_cmpx_lt_u32_e32 8, v0
	s_cbranch_execz .LBB23_137
; %bb.136:
	s_clause 0x1
	buffer_load_dword v50, off, s[0:3], 0 offset:64
	buffer_load_dword v51, off, s[0:3], 0 offset:68
	v_mov_b32_e32 v52, 0
	buffer_store_dword v52, off, s[0:3], 0 offset:64
	buffer_store_dword v52, off, s[0:3], 0 offset:68
	s_waitcnt vmcnt(0)
	ds_write_b64 v49, v[50:51]
.LBB23_137:
	s_or_b32 exec_lo, exec_lo, s4
	s_waitcnt lgkmcnt(0)
	s_waitcnt_vscnt null, 0x0
	s_barrier
	buffer_gl0_inv
	s_clause 0x1c
	buffer_load_dword v59, off, s[0:3], 0 offset:72
	buffer_load_dword v60, off, s[0:3], 0 offset:76
	;; [unrolled: 1-line block ×29, first 2 shown]
	v_mov_b32_e32 v50, 0
	buffer_load_dword v84, off, s[0:3], 0 offset:188
	s_mov_b32 s4, exec_lo
	ds_read2_b64 v[51:54], v50 offset0:33 offset1:34
	ds_read2_b64 v[55:58], v50 offset0:35 offset1:36
	s_waitcnt vmcnt(28) lgkmcnt(1)
	v_fma_f64 v[51:52], v[59:60], v[51:52], 0
	s_clause 0x1
	buffer_load_dword v59, off, s[0:3], 0 offset:64
	buffer_load_dword v60, off, s[0:3], 0 offset:68
	s_waitcnt vmcnt(28)
	v_fma_f64 v[51:52], v[61:62], v[53:54], v[51:52]
	s_waitcnt vmcnt(26) lgkmcnt(0)
	v_fma_f64 v[51:52], v[63:64], v[55:56], v[51:52]
	s_waitcnt vmcnt(24)
	v_fma_f64 v[61:62], v[65:66], v[57:58], v[51:52]
	ds_read2_b64 v[51:54], v50 offset0:37 offset1:38
	ds_read2_b64 v[55:58], v50 offset0:39 offset1:40
	s_waitcnt vmcnt(22) lgkmcnt(1)
	v_fma_f64 v[51:52], v[67:68], v[51:52], v[61:62]
	s_waitcnt vmcnt(20)
	v_fma_f64 v[51:52], v[69:70], v[53:54], v[51:52]
	s_waitcnt vmcnt(18) lgkmcnt(0)
	v_fma_f64 v[51:52], v[71:72], v[55:56], v[51:52]
	s_waitcnt vmcnt(13)
	v_fma_f64 v[61:62], v[73:74], v[57:58], v[51:52]
	ds_read2_b64 v[51:54], v50 offset0:41 offset1:42
	ds_read2_b64 v[55:58], v50 offset0:43 offset1:44
	s_waitcnt vmcnt(12) lgkmcnt(1)
	v_fma_f64 v[51:52], v[79:80], v[51:52], v[61:62]
	s_waitcnt vmcnt(11)
	v_fma_f64 v[51:52], v[77:78], v[53:54], v[51:52]
	s_waitcnt vmcnt(10) lgkmcnt(0)
	v_fma_f64 v[51:52], v[75:76], v[55:56], v[51:52]
	s_waitcnt vmcnt(5)
	v_fma_f64 v[55:56], v[81:82], v[57:58], v[51:52]
	ds_read2_b64 v[51:54], v50 offset0:45 offset1:46
	ds_read_b64 v[57:58], v50 offset:376
	s_waitcnt vmcnt(4) lgkmcnt(1)
	v_fma_f64 v[51:52], v[87:88], v[51:52], v[55:56]
	s_waitcnt vmcnt(3)
	v_fma_f64 v[51:52], v[85:86], v[53:54], v[51:52]
	s_waitcnt vmcnt(2) lgkmcnt(0)
	v_fma_f64 v[51:52], v[83:84], v[57:58], v[51:52]
	s_waitcnt vmcnt(0)
	v_add_f64 v[51:52], v[59:60], -v[51:52]
	buffer_store_dword v52, off, s[0:3], 0 offset:68
	buffer_store_dword v51, off, s[0:3], 0 offset:64
	v_cmpx_lt_u32_e32 7, v0
	s_cbranch_execz .LBB23_139
; %bb.138:
	s_clause 0x1
	buffer_load_dword v51, off, s[0:3], 0 offset:56
	buffer_load_dword v52, off, s[0:3], 0 offset:60
	buffer_store_dword v50, off, s[0:3], 0 offset:56
	buffer_store_dword v50, off, s[0:3], 0 offset:60
	s_waitcnt vmcnt(0)
	ds_write_b64 v49, v[51:52]
.LBB23_139:
	s_or_b32 exec_lo, exec_lo, s4
	s_waitcnt lgkmcnt(0)
	s_waitcnt_vscnt null, 0x0
	s_barrier
	buffer_gl0_inv
	s_clause 0x1c
	buffer_load_dword v59, off, s[0:3], 0 offset:64
	buffer_load_dword v60, off, s[0:3], 0 offset:68
	;; [unrolled: 1-line block ×29, first 2 shown]
	ds_read_b128 v[51:54], v50 offset:256
	ds_read_b128 v[55:58], v50 offset:272
	buffer_load_dword v84, off, s[0:3], 0 offset:180
	s_mov_b32 s4, exec_lo
	s_waitcnt vmcnt(28) lgkmcnt(1)
	v_fma_f64 v[51:52], v[59:60], v[51:52], 0
	s_clause 0x1
	buffer_load_dword v60, off, s[0:3], 0 offset:188
	buffer_load_dword v59, off, s[0:3], 0 offset:184
	s_waitcnt vmcnt(28)
	v_fma_f64 v[51:52], v[61:62], v[53:54], v[51:52]
	s_clause 0x1
	buffer_load_dword v61, off, s[0:3], 0 offset:56
	buffer_load_dword v62, off, s[0:3], 0 offset:60
	s_waitcnt vmcnt(28) lgkmcnt(0)
	v_fma_f64 v[51:52], v[63:64], v[55:56], v[51:52]
	s_waitcnt vmcnt(26)
	v_fma_f64 v[63:64], v[65:66], v[57:58], v[51:52]
	ds_read_b128 v[51:54], v50 offset:288
	ds_read_b128 v[55:58], v50 offset:304
	s_waitcnt vmcnt(24) lgkmcnt(1)
	v_fma_f64 v[51:52], v[67:68], v[51:52], v[63:64]
	s_waitcnt vmcnt(22)
	v_fma_f64 v[51:52], v[69:70], v[53:54], v[51:52]
	s_waitcnt vmcnt(20) lgkmcnt(0)
	v_fma_f64 v[51:52], v[71:72], v[55:56], v[51:52]
	s_waitcnt vmcnt(15)
	v_fma_f64 v[63:64], v[73:74], v[57:58], v[51:52]
	ds_read_b128 v[51:54], v50 offset:320
	ds_read_b128 v[55:58], v50 offset:336
	s_waitcnt vmcnt(14) lgkmcnt(1)
	v_fma_f64 v[51:52], v[79:80], v[51:52], v[63:64]
	s_waitcnt vmcnt(13)
	v_fma_f64 v[51:52], v[77:78], v[53:54], v[51:52]
	;; [unrolled: 10-line block ×3, first 2 shown]
	s_waitcnt vmcnt(4) lgkmcnt(0)
	v_fma_f64 v[50:51], v[83:84], v[55:56], v[50:51]
	s_waitcnt vmcnt(2)
	v_fma_f64 v[50:51], v[59:60], v[57:58], v[50:51]
	s_waitcnt vmcnt(0)
	v_add_f64 v[50:51], v[61:62], -v[50:51]
	buffer_store_dword v51, off, s[0:3], 0 offset:60
	buffer_store_dword v50, off, s[0:3], 0 offset:56
	v_cmpx_lt_u32_e32 6, v0
	s_cbranch_execz .LBB23_141
; %bb.140:
	s_clause 0x1
	buffer_load_dword v50, off, s[0:3], 0 offset:48
	buffer_load_dword v51, off, s[0:3], 0 offset:52
	v_mov_b32_e32 v52, 0
	buffer_store_dword v52, off, s[0:3], 0 offset:48
	buffer_store_dword v52, off, s[0:3], 0 offset:52
	s_waitcnt vmcnt(0)
	ds_write_b64 v49, v[50:51]
.LBB23_141:
	s_or_b32 exec_lo, exec_lo, s4
	s_waitcnt lgkmcnt(0)
	s_waitcnt_vscnt null, 0x0
	s_barrier
	buffer_gl0_inv
	s_clause 0x1c
	buffer_load_dword v59, off, s[0:3], 0 offset:56
	buffer_load_dword v60, off, s[0:3], 0 offset:60
	;; [unrolled: 1-line block ×29, first 2 shown]
	v_mov_b32_e32 v50, 0
	buffer_load_dword v84, off, s[0:3], 0 offset:172
	s_mov_b32 s4, exec_lo
	ds_read2_b64 v[51:54], v50 offset0:31 offset1:32
	ds_read2_b64 v[55:58], v50 offset0:33 offset1:34
	s_waitcnt vmcnt(28) lgkmcnt(1)
	v_fma_f64 v[51:52], v[59:60], v[51:52], 0
	s_clause 0x3
	buffer_load_dword v60, off, s[0:3], 0 offset:180
	buffer_load_dword v89, off, s[0:3], 0 offset:184
	;; [unrolled: 1-line block ×4, first 2 shown]
	s_waitcnt vmcnt(30)
	v_fma_f64 v[51:52], v[61:62], v[53:54], v[51:52]
	s_clause 0x1
	buffer_load_dword v61, off, s[0:3], 0 offset:48
	buffer_load_dword v62, off, s[0:3], 0 offset:52
	s_waitcnt vmcnt(30) lgkmcnt(0)
	v_fma_f64 v[51:52], v[63:64], v[55:56], v[51:52]
	s_waitcnt vmcnt(28)
	v_fma_f64 v[63:64], v[65:66], v[57:58], v[51:52]
	ds_read2_b64 v[51:54], v50 offset0:35 offset1:36
	ds_read2_b64 v[55:58], v50 offset0:37 offset1:38
	s_waitcnt vmcnt(26) lgkmcnt(1)
	v_fma_f64 v[51:52], v[67:68], v[51:52], v[63:64]
	s_waitcnt vmcnt(24)
	v_fma_f64 v[51:52], v[69:70], v[53:54], v[51:52]
	s_waitcnt vmcnt(22) lgkmcnt(0)
	v_fma_f64 v[51:52], v[71:72], v[55:56], v[51:52]
	s_waitcnt vmcnt(17)
	v_fma_f64 v[63:64], v[73:74], v[57:58], v[51:52]
	ds_read2_b64 v[51:54], v50 offset0:39 offset1:40
	ds_read2_b64 v[55:58], v50 offset0:41 offset1:42
	s_waitcnt vmcnt(16) lgkmcnt(1)
	v_fma_f64 v[51:52], v[79:80], v[51:52], v[63:64]
	s_waitcnt vmcnt(15)
	v_fma_f64 v[51:52], v[77:78], v[53:54], v[51:52]
	s_waitcnt vmcnt(14) lgkmcnt(0)
	v_fma_f64 v[51:52], v[75:76], v[55:56], v[51:52]
	s_waitcnt vmcnt(9)
	v_fma_f64 v[63:64], v[81:82], v[57:58], v[51:52]
	ds_read2_b64 v[51:54], v50 offset0:43 offset1:44
	ds_read2_b64 v[55:58], v50 offset0:45 offset1:46
	s_waitcnt vmcnt(8) lgkmcnt(1)
	v_fma_f64 v[51:52], v[87:88], v[51:52], v[63:64]
	s_waitcnt vmcnt(7)
	v_fma_f64 v[51:52], v[85:86], v[53:54], v[51:52]
	ds_read_b64 v[53:54], v50 offset:376
	s_waitcnt vmcnt(6) lgkmcnt(1)
	v_fma_f64 v[51:52], v[83:84], v[55:56], v[51:52]
	s_waitcnt vmcnt(3)
	v_fma_f64 v[51:52], v[59:60], v[57:58], v[51:52]
	s_waitcnt vmcnt(2) lgkmcnt(0)
	v_fma_f64 v[51:52], v[89:90], v[53:54], v[51:52]
	s_waitcnt vmcnt(0)
	v_add_f64 v[51:52], v[61:62], -v[51:52]
	buffer_store_dword v52, off, s[0:3], 0 offset:52
	buffer_store_dword v51, off, s[0:3], 0 offset:48
	v_cmpx_lt_u32_e32 5, v0
	s_cbranch_execz .LBB23_143
; %bb.142:
	s_clause 0x1
	buffer_load_dword v51, off, s[0:3], 0 offset:40
	buffer_load_dword v52, off, s[0:3], 0 offset:44
	buffer_store_dword v50, off, s[0:3], 0 offset:40
	buffer_store_dword v50, off, s[0:3], 0 offset:44
	s_waitcnt vmcnt(0)
	ds_write_b64 v49, v[51:52]
.LBB23_143:
	s_or_b32 exec_lo, exec_lo, s4
	s_waitcnt lgkmcnt(0)
	s_waitcnt_vscnt null, 0x0
	s_barrier
	buffer_gl0_inv
	s_clause 0x1c
	buffer_load_dword v59, off, s[0:3], 0 offset:48
	buffer_load_dword v60, off, s[0:3], 0 offset:52
	;; [unrolled: 1-line block ×29, first 2 shown]
	ds_read_b128 v[51:54], v50 offset:240
	ds_read_b128 v[55:58], v50 offset:256
	buffer_load_dword v84, off, s[0:3], 0 offset:164
	s_mov_b32 s4, exec_lo
	s_waitcnt vmcnt(28) lgkmcnt(1)
	v_fma_f64 v[51:52], v[59:60], v[51:52], 0
	s_clause 0x5
	buffer_load_dword v60, off, s[0:3], 0 offset:172
	buffer_load_dword v89, off, s[0:3], 0 offset:184
	;; [unrolled: 1-line block ×6, first 2 shown]
	s_waitcnt vmcnt(32)
	v_fma_f64 v[51:52], v[61:62], v[53:54], v[51:52]
	s_waitcnt vmcnt(30) lgkmcnt(0)
	v_fma_f64 v[51:52], v[63:64], v[55:56], v[51:52]
	s_waitcnt vmcnt(28)
	v_fma_f64 v[61:62], v[65:66], v[57:58], v[51:52]
	ds_read_b128 v[51:54], v50 offset:272
	s_clause 0x1
	buffer_load_dword v63, off, s[0:3], 0 offset:40
	buffer_load_dword v64, off, s[0:3], 0 offset:44
	ds_read_b128 v[55:58], v50 offset:288
	s_waitcnt vmcnt(28) lgkmcnt(1)
	v_fma_f64 v[51:52], v[67:68], v[51:52], v[61:62]
	s_waitcnt vmcnt(26)
	v_fma_f64 v[51:52], v[69:70], v[53:54], v[51:52]
	s_waitcnt vmcnt(24) lgkmcnt(0)
	v_fma_f64 v[51:52], v[71:72], v[55:56], v[51:52]
	s_waitcnt vmcnt(19)
	v_fma_f64 v[61:62], v[73:74], v[57:58], v[51:52]
	ds_read_b128 v[51:54], v50 offset:304
	ds_read_b128 v[55:58], v50 offset:320
	s_waitcnt vmcnt(18) lgkmcnt(1)
	v_fma_f64 v[51:52], v[79:80], v[51:52], v[61:62]
	s_waitcnt vmcnt(17)
	v_fma_f64 v[51:52], v[77:78], v[53:54], v[51:52]
	s_waitcnt vmcnt(16) lgkmcnt(0)
	v_fma_f64 v[51:52], v[75:76], v[55:56], v[51:52]
	s_waitcnt vmcnt(11)
	v_fma_f64 v[61:62], v[81:82], v[57:58], v[51:52]
	ds_read_b128 v[51:54], v50 offset:336
	;; [unrolled: 10-line block ×3, first 2 shown]
	s_waitcnt vmcnt(3) lgkmcnt(0)
	v_fma_f64 v[50:51], v[91:92], v[50:51], v[54:55]
	s_waitcnt vmcnt(2)
	v_fma_f64 v[50:51], v[89:90], v[52:53], v[50:51]
	s_waitcnt vmcnt(0)
	v_add_f64 v[50:51], v[63:64], -v[50:51]
	buffer_store_dword v51, off, s[0:3], 0 offset:44
	buffer_store_dword v50, off, s[0:3], 0 offset:40
	v_cmpx_lt_u32_e32 4, v0
	s_cbranch_execz .LBB23_145
; %bb.144:
	s_clause 0x1
	buffer_load_dword v50, off, s[0:3], 0 offset:32
	buffer_load_dword v51, off, s[0:3], 0 offset:36
	v_mov_b32_e32 v52, 0
	buffer_store_dword v52, off, s[0:3], 0 offset:32
	buffer_store_dword v52, off, s[0:3], 0 offset:36
	s_waitcnt vmcnt(0)
	ds_write_b64 v49, v[50:51]
.LBB23_145:
	s_or_b32 exec_lo, exec_lo, s4
	s_waitcnt lgkmcnt(0)
	s_waitcnt_vscnt null, 0x0
	s_barrier
	buffer_gl0_inv
	s_clause 0x1c
	buffer_load_dword v59, off, s[0:3], 0 offset:40
	buffer_load_dword v60, off, s[0:3], 0 offset:44
	;; [unrolled: 1-line block ×29, first 2 shown]
	v_mov_b32_e32 v50, 0
	buffer_load_dword v84, off, s[0:3], 0 offset:156
	s_mov_b32 s4, exec_lo
	ds_read2_b64 v[51:54], v50 offset0:29 offset1:30
	ds_read2_b64 v[55:58], v50 offset0:31 offset1:32
	s_waitcnt vmcnt(28) lgkmcnt(1)
	v_fma_f64 v[51:52], v[59:60], v[51:52], 0
	s_clause 0x7
	buffer_load_dword v60, off, s[0:3], 0 offset:164
	buffer_load_dword v89, off, s[0:3], 0 offset:184
	;; [unrolled: 1-line block ×8, first 2 shown]
	s_waitcnt vmcnt(34)
	v_fma_f64 v[51:52], v[61:62], v[53:54], v[51:52]
	s_waitcnt vmcnt(32) lgkmcnt(0)
	v_fma_f64 v[51:52], v[63:64], v[55:56], v[51:52]
	s_waitcnt vmcnt(30)
	v_fma_f64 v[61:62], v[65:66], v[57:58], v[51:52]
	ds_read2_b64 v[51:54], v50 offset0:33 offset1:34
	ds_read2_b64 v[55:58], v50 offset0:35 offset1:36
	s_waitcnt vmcnt(28) lgkmcnt(1)
	v_fma_f64 v[51:52], v[67:68], v[51:52], v[61:62]
	s_clause 0x1
	buffer_load_dword v61, off, s[0:3], 0 offset:32
	buffer_load_dword v62, off, s[0:3], 0 offset:36
	s_waitcnt vmcnt(28)
	v_fma_f64 v[51:52], v[69:70], v[53:54], v[51:52]
	s_waitcnt vmcnt(26) lgkmcnt(0)
	v_fma_f64 v[51:52], v[71:72], v[55:56], v[51:52]
	s_waitcnt vmcnt(21)
	v_fma_f64 v[63:64], v[73:74], v[57:58], v[51:52]
	ds_read2_b64 v[51:54], v50 offset0:37 offset1:38
	ds_read2_b64 v[55:58], v50 offset0:39 offset1:40
	s_waitcnt vmcnt(20) lgkmcnt(1)
	v_fma_f64 v[51:52], v[79:80], v[51:52], v[63:64]
	s_waitcnt vmcnt(19)
	v_fma_f64 v[51:52], v[77:78], v[53:54], v[51:52]
	s_waitcnt vmcnt(18) lgkmcnt(0)
	v_fma_f64 v[51:52], v[75:76], v[55:56], v[51:52]
	s_waitcnt vmcnt(13)
	v_fma_f64 v[63:64], v[81:82], v[57:58], v[51:52]
	ds_read2_b64 v[51:54], v50 offset0:41 offset1:42
	ds_read2_b64 v[55:58], v50 offset0:43 offset1:44
	s_waitcnt vmcnt(12) lgkmcnt(1)
	v_fma_f64 v[51:52], v[87:88], v[51:52], v[63:64]
	s_waitcnt vmcnt(11)
	v_fma_f64 v[51:52], v[85:86], v[53:54], v[51:52]
	s_waitcnt vmcnt(10) lgkmcnt(0)
	v_fma_f64 v[51:52], v[83:84], v[55:56], v[51:52]
	s_waitcnt vmcnt(5)
	v_fma_f64 v[55:56], v[59:60], v[57:58], v[51:52]
	ds_read2_b64 v[51:54], v50 offset0:45 offset1:46
	ds_read_b64 v[57:58], v50 offset:376
	s_waitcnt vmcnt(4) lgkmcnt(1)
	v_fma_f64 v[51:52], v[93:94], v[51:52], v[55:56]
	s_waitcnt vmcnt(3)
	v_fma_f64 v[51:52], v[91:92], v[53:54], v[51:52]
	s_waitcnt vmcnt(2) lgkmcnt(0)
	v_fma_f64 v[51:52], v[89:90], v[57:58], v[51:52]
	s_waitcnt vmcnt(0)
	v_add_f64 v[51:52], v[61:62], -v[51:52]
	buffer_store_dword v52, off, s[0:3], 0 offset:36
	buffer_store_dword v51, off, s[0:3], 0 offset:32
	v_cmpx_lt_u32_e32 3, v0
	s_cbranch_execz .LBB23_147
; %bb.146:
	s_clause 0x1
	buffer_load_dword v51, off, s[0:3], 0 offset:24
	buffer_load_dword v52, off, s[0:3], 0 offset:28
	buffer_store_dword v50, off, s[0:3], 0 offset:24
	buffer_store_dword v50, off, s[0:3], 0 offset:28
	s_waitcnt vmcnt(0)
	ds_write_b64 v49, v[51:52]
.LBB23_147:
	s_or_b32 exec_lo, exec_lo, s4
	s_waitcnt lgkmcnt(0)
	s_waitcnt_vscnt null, 0x0
	s_barrier
	buffer_gl0_inv
	s_clause 0x1c
	buffer_load_dword v59, off, s[0:3], 0 offset:32
	buffer_load_dword v60, off, s[0:3], 0 offset:36
	;; [unrolled: 1-line block ×29, first 2 shown]
	ds_read_b128 v[51:54], v50 offset:224
	ds_read_b128 v[55:58], v50 offset:240
	buffer_load_dword v84, off, s[0:3], 0 offset:148
	s_mov_b32 s4, exec_lo
	s_waitcnt vmcnt(28) lgkmcnt(1)
	v_fma_f64 v[51:52], v[59:60], v[51:52], 0
	s_clause 0x7
	buffer_load_dword v60, off, s[0:3], 0 offset:156
	buffer_load_dword v89, off, s[0:3], 0 offset:176
	;; [unrolled: 1-line block ×8, first 2 shown]
	s_waitcnt vmcnt(34)
	v_fma_f64 v[51:52], v[61:62], v[53:54], v[51:52]
	s_waitcnt vmcnt(32) lgkmcnt(0)
	v_fma_f64 v[51:52], v[63:64], v[55:56], v[51:52]
	s_waitcnt vmcnt(30)
	v_fma_f64 v[61:62], v[65:66], v[57:58], v[51:52]
	ds_read_b128 v[51:54], v50 offset:256
	ds_read_b128 v[55:58], v50 offset:272
	s_waitcnt vmcnt(28) lgkmcnt(1)
	v_fma_f64 v[51:52], v[67:68], v[51:52], v[61:62]
	s_clause 0x3
	buffer_load_dword v62, off, s[0:3], 0 offset:188
	buffer_load_dword v61, off, s[0:3], 0 offset:184
	;; [unrolled: 1-line block ×4, first 2 shown]
	s_waitcnt vmcnt(30)
	v_fma_f64 v[51:52], v[69:70], v[53:54], v[51:52]
	s_waitcnt vmcnt(28) lgkmcnt(0)
	v_fma_f64 v[51:52], v[71:72], v[55:56], v[51:52]
	s_waitcnt vmcnt(23)
	v_fma_f64 v[65:66], v[73:74], v[57:58], v[51:52]
	ds_read_b128 v[51:54], v50 offset:288
	ds_read_b128 v[55:58], v50 offset:304
	s_waitcnt vmcnt(22) lgkmcnt(1)
	v_fma_f64 v[51:52], v[79:80], v[51:52], v[65:66]
	s_waitcnt vmcnt(21)
	v_fma_f64 v[51:52], v[77:78], v[53:54], v[51:52]
	s_waitcnt vmcnt(20) lgkmcnt(0)
	v_fma_f64 v[51:52], v[75:76], v[55:56], v[51:52]
	s_waitcnt vmcnt(15)
	v_fma_f64 v[65:66], v[81:82], v[57:58], v[51:52]
	ds_read_b128 v[51:54], v50 offset:320
	ds_read_b128 v[55:58], v50 offset:336
	s_waitcnt vmcnt(14) lgkmcnt(1)
	v_fma_f64 v[51:52], v[87:88], v[51:52], v[65:66]
	;; [unrolled: 10-line block ×3, first 2 shown]
	s_waitcnt vmcnt(5)
	v_fma_f64 v[50:51], v[91:92], v[53:54], v[50:51]
	s_waitcnt vmcnt(4) lgkmcnt(0)
	v_fma_f64 v[50:51], v[89:90], v[55:56], v[50:51]
	s_waitcnt vmcnt(2)
	v_fma_f64 v[50:51], v[61:62], v[57:58], v[50:51]
	s_waitcnt vmcnt(0)
	v_add_f64 v[50:51], v[63:64], -v[50:51]
	buffer_store_dword v51, off, s[0:3], 0 offset:28
	buffer_store_dword v50, off, s[0:3], 0 offset:24
	v_cmpx_lt_u32_e32 2, v0
	s_cbranch_execz .LBB23_149
; %bb.148:
	s_clause 0x1
	buffer_load_dword v50, off, s[0:3], 0 offset:16
	buffer_load_dword v51, off, s[0:3], 0 offset:20
	v_mov_b32_e32 v52, 0
	buffer_store_dword v52, off, s[0:3], 0 offset:16
	buffer_store_dword v52, off, s[0:3], 0 offset:20
	s_waitcnt vmcnt(0)
	ds_write_b64 v49, v[50:51]
.LBB23_149:
	s_or_b32 exec_lo, exec_lo, s4
	s_waitcnt lgkmcnt(0)
	s_waitcnt_vscnt null, 0x0
	s_barrier
	buffer_gl0_inv
	s_clause 0x1c
	buffer_load_dword v59, off, s[0:3], 0 offset:24
	buffer_load_dword v60, off, s[0:3], 0 offset:28
	;; [unrolled: 1-line block ×29, first 2 shown]
	v_mov_b32_e32 v50, 0
	buffer_load_dword v84, off, s[0:3], 0 offset:140
	s_mov_b32 s4, exec_lo
	ds_read2_b64 v[51:54], v50 offset0:27 offset1:28
	ds_read2_b64 v[55:58], v50 offset0:29 offset1:30
	s_waitcnt vmcnt(28) lgkmcnt(1)
	v_fma_f64 v[51:52], v[59:60], v[51:52], 0
	s_clause 0x7
	buffer_load_dword v60, off, s[0:3], 0 offset:148
	buffer_load_dword v89, off, s[0:3], 0 offset:168
	;; [unrolled: 1-line block ×8, first 2 shown]
	s_waitcnt vmcnt(34)
	v_fma_f64 v[51:52], v[61:62], v[53:54], v[51:52]
	s_waitcnt vmcnt(32) lgkmcnt(0)
	v_fma_f64 v[51:52], v[63:64], v[55:56], v[51:52]
	s_waitcnt vmcnt(30)
	v_fma_f64 v[61:62], v[65:66], v[57:58], v[51:52]
	ds_read2_b64 v[51:54], v50 offset0:31 offset1:32
	ds_read2_b64 v[55:58], v50 offset0:33 offset1:34
	s_waitcnt vmcnt(28) lgkmcnt(1)
	v_fma_f64 v[51:52], v[67:68], v[51:52], v[61:62]
	s_clause 0x5
	buffer_load_dword v62, off, s[0:3], 0 offset:180
	buffer_load_dword v63, off, s[0:3], 0 offset:184
	;; [unrolled: 1-line block ×6, first 2 shown]
	s_waitcnt vmcnt(32)
	v_fma_f64 v[51:52], v[69:70], v[53:54], v[51:52]
	s_waitcnt vmcnt(30) lgkmcnt(0)
	v_fma_f64 v[51:52], v[71:72], v[55:56], v[51:52]
	s_waitcnt vmcnt(25)
	v_fma_f64 v[67:68], v[73:74], v[57:58], v[51:52]
	ds_read2_b64 v[51:54], v50 offset0:35 offset1:36
	ds_read2_b64 v[55:58], v50 offset0:37 offset1:38
	s_waitcnt vmcnt(24) lgkmcnt(1)
	v_fma_f64 v[51:52], v[79:80], v[51:52], v[67:68]
	s_waitcnt vmcnt(23)
	v_fma_f64 v[51:52], v[77:78], v[53:54], v[51:52]
	s_waitcnt vmcnt(22) lgkmcnt(0)
	v_fma_f64 v[51:52], v[75:76], v[55:56], v[51:52]
	s_waitcnt vmcnt(17)
	v_fma_f64 v[67:68], v[81:82], v[57:58], v[51:52]
	ds_read2_b64 v[51:54], v50 offset0:39 offset1:40
	ds_read2_b64 v[55:58], v50 offset0:41 offset1:42
	s_waitcnt vmcnt(16) lgkmcnt(1)
	v_fma_f64 v[51:52], v[87:88], v[51:52], v[67:68]
	;; [unrolled: 10-line block ×3, first 2 shown]
	s_waitcnt vmcnt(7)
	v_fma_f64 v[51:52], v[91:92], v[53:54], v[51:52]
	ds_read_b64 v[53:54], v50 offset:376
	s_waitcnt vmcnt(6) lgkmcnt(1)
	v_fma_f64 v[51:52], v[89:90], v[55:56], v[51:52]
	s_waitcnt vmcnt(3)
	v_fma_f64 v[51:52], v[61:62], v[57:58], v[51:52]
	s_waitcnt vmcnt(2) lgkmcnt(0)
	v_fma_f64 v[51:52], v[63:64], v[53:54], v[51:52]
	s_waitcnt vmcnt(0)
	v_add_f64 v[51:52], v[65:66], -v[51:52]
	buffer_store_dword v52, off, s[0:3], 0 offset:20
	buffer_store_dword v51, off, s[0:3], 0 offset:16
	v_cmpx_lt_u32_e32 1, v0
	s_cbranch_execz .LBB23_151
; %bb.150:
	s_clause 0x1
	buffer_load_dword v51, off, s[0:3], 0 offset:8
	buffer_load_dword v52, off, s[0:3], 0 offset:12
	buffer_store_dword v50, off, s[0:3], 0 offset:8
	buffer_store_dword v50, off, s[0:3], 0 offset:12
	s_waitcnt vmcnt(0)
	ds_write_b64 v49, v[51:52]
.LBB23_151:
	s_or_b32 exec_lo, exec_lo, s4
	s_waitcnt lgkmcnt(0)
	s_waitcnt_vscnt null, 0x0
	s_barrier
	buffer_gl0_inv
	s_clause 0x1c
	buffer_load_dword v59, off, s[0:3], 0 offset:16
	buffer_load_dword v60, off, s[0:3], 0 offset:20
	;; [unrolled: 1-line block ×29, first 2 shown]
	ds_read_b128 v[51:54], v50 offset:208
	ds_read_b128 v[55:58], v50 offset:224
	buffer_load_dword v84, off, s[0:3], 0 offset:132
	s_mov_b32 s4, exec_lo
	s_waitcnt vmcnt(28) lgkmcnt(1)
	v_fma_f64 v[51:52], v[59:60], v[51:52], 0
	s_clause 0x7
	buffer_load_dword v60, off, s[0:3], 0 offset:140
	buffer_load_dword v89, off, s[0:3], 0 offset:160
	;; [unrolled: 1-line block ×8, first 2 shown]
	s_waitcnt vmcnt(34)
	v_fma_f64 v[51:52], v[61:62], v[53:54], v[51:52]
	s_waitcnt vmcnt(32) lgkmcnt(0)
	v_fma_f64 v[51:52], v[63:64], v[55:56], v[51:52]
	s_waitcnt vmcnt(30)
	v_fma_f64 v[61:62], v[65:66], v[57:58], v[51:52]
	ds_read_b128 v[51:54], v50 offset:240
	ds_read_b128 v[55:58], v50 offset:256
	s_waitcnt vmcnt(28) lgkmcnt(1)
	v_fma_f64 v[51:52], v[67:68], v[51:52], v[61:62]
	s_clause 0x5
	buffer_load_dword v62, off, s[0:3], 0 offset:172
	buffer_load_dword v63, off, s[0:3], 0 offset:184
	;; [unrolled: 1-line block ×6, first 2 shown]
	s_waitcnt vmcnt(32)
	v_fma_f64 v[51:52], v[69:70], v[53:54], v[51:52]
	s_waitcnt vmcnt(30) lgkmcnt(0)
	v_fma_f64 v[51:52], v[71:72], v[55:56], v[51:52]
	s_waitcnt vmcnt(25)
	v_fma_f64 v[67:68], v[73:74], v[57:58], v[51:52]
	ds_read_b128 v[51:54], v50 offset:272
	s_clause 0x1
	buffer_load_dword v69, off, s[0:3], 0 offset:8
	buffer_load_dword v70, off, s[0:3], 0 offset:12
	ds_read_b128 v[55:58], v50 offset:288
	s_waitcnt vmcnt(26) lgkmcnt(1)
	v_fma_f64 v[51:52], v[79:80], v[51:52], v[67:68]
	s_waitcnt vmcnt(25)
	v_fma_f64 v[51:52], v[77:78], v[53:54], v[51:52]
	s_waitcnt vmcnt(24) lgkmcnt(0)
	v_fma_f64 v[51:52], v[75:76], v[55:56], v[51:52]
	s_waitcnt vmcnt(19)
	v_fma_f64 v[67:68], v[81:82], v[57:58], v[51:52]
	ds_read_b128 v[51:54], v50 offset:304
	ds_read_b128 v[55:58], v50 offset:320
	s_waitcnt vmcnt(18) lgkmcnt(1)
	v_fma_f64 v[51:52], v[87:88], v[51:52], v[67:68]
	s_waitcnt vmcnt(17)
	v_fma_f64 v[51:52], v[85:86], v[53:54], v[51:52]
	s_waitcnt vmcnt(16) lgkmcnt(0)
	v_fma_f64 v[51:52], v[83:84], v[55:56], v[51:52]
	s_waitcnt vmcnt(11)
	v_fma_f64 v[59:60], v[59:60], v[57:58], v[51:52]
	ds_read_b128 v[51:54], v50 offset:336
	;; [unrolled: 10-line block ×3, first 2 shown]
	s_waitcnt vmcnt(3) lgkmcnt(0)
	v_fma_f64 v[50:51], v[65:66], v[50:51], v[54:55]
	s_waitcnt vmcnt(2)
	v_fma_f64 v[50:51], v[63:64], v[52:53], v[50:51]
	s_waitcnt vmcnt(0)
	v_add_f64 v[50:51], v[69:70], -v[50:51]
	buffer_store_dword v51, off, s[0:3], 0 offset:12
	buffer_store_dword v50, off, s[0:3], 0 offset:8
	v_cmpx_ne_u32_e32 0, v0
	s_cbranch_execz .LBB23_153
; %bb.152:
	s_clause 0x1
	buffer_load_dword v50, off, s[0:3], 0
	buffer_load_dword v51, off, s[0:3], 0 offset:4
	v_mov_b32_e32 v0, 0
	buffer_store_dword v0, off, s[0:3], 0
	buffer_store_dword v0, off, s[0:3], 0 offset:4
	s_waitcnt vmcnt(0)
	ds_write_b64 v49, v[50:51]
.LBB23_153:
	s_or_b32 exec_lo, exec_lo, s4
	s_waitcnt lgkmcnt(0)
	s_waitcnt_vscnt null, 0x0
	s_barrier
	buffer_gl0_inv
	s_clause 0x1c
	buffer_load_dword v57, off, s[0:3], 0 offset:8
	buffer_load_dword v58, off, s[0:3], 0 offset:12
	;; [unrolled: 1-line block ×29, first 2 shown]
	v_mov_b32_e32 v0, 0
	buffer_load_dword v82, off, s[0:3], 0 offset:124
	s_and_b32 vcc_lo, exec_lo, s22
	ds_read2_b64 v[49:52], v0 offset0:25 offset1:26
	ds_read2_b64 v[53:56], v0 offset0:27 offset1:28
	s_clause 0x7
	buffer_load_dword v88, off, s[0:3], 0 offset:132
	buffer_load_dword v89, off, s[0:3], 0 offset:152
	buffer_load_dword v91, off, s[0:3], 0 offset:144
	buffer_load_dword v93, off, s[0:3], 0 offset:136
	buffer_load_dword v87, off, s[0:3], 0 offset:128
	buffer_load_dword v94, off, s[0:3], 0 offset:140
	buffer_load_dword v92, off, s[0:3], 0 offset:148
	buffer_load_dword v90, off, s[0:3], 0 offset:156
	s_waitcnt vmcnt(36) lgkmcnt(1)
	v_fma_f64 v[49:50], v[57:58], v[49:50], 0
	s_waitcnt vmcnt(34)
	v_fma_f64 v[49:50], v[59:60], v[51:52], v[49:50]
	s_waitcnt vmcnt(32) lgkmcnt(0)
	v_fma_f64 v[49:50], v[61:62], v[53:54], v[49:50]
	s_waitcnt vmcnt(30)
	v_fma_f64 v[57:58], v[63:64], v[55:56], v[49:50]
	ds_read2_b64 v[49:52], v0 offset0:29 offset1:30
	ds_read2_b64 v[53:56], v0 offset0:31 offset1:32
	s_waitcnt vmcnt(28) lgkmcnt(1)
	v_fma_f64 v[57:58], v[65:66], v[49:50], v[57:58]
	s_clause 0x6
	buffer_load_dword v60, off, s[0:3], 0 offset:164
	buffer_load_dword v61, off, s[0:3], 0 offset:184
	;; [unrolled: 1-line block ×7, first 2 shown]
	s_waitcnt vmcnt(33)
	v_fma_f64 v[50:51], v[67:68], v[51:52], v[57:58]
	s_waitcnt vmcnt(31) lgkmcnt(0)
	v_fma_f64 v[51:52], v[69:70], v[53:54], v[50:51]
	buffer_load_dword v50, off, s[0:3], 0 offset:180
	s_waitcnt vmcnt(27)
	v_fma_f64 v[65:66], v[71:72], v[55:56], v[51:52]
	ds_read2_b64 v[51:54], v0 offset0:33 offset1:34
	ds_read2_b64 v[55:58], v0 offset0:35 offset1:36
	s_waitcnt vmcnt(26) lgkmcnt(1)
	v_fma_f64 v[51:52], v[77:78], v[51:52], v[65:66]
	s_clause 0x1
	buffer_load_dword v65, off, s[0:3], 0
	buffer_load_dword v66, off, s[0:3], 0 offset:4
	s_waitcnt vmcnt(27)
	v_fma_f64 v[51:52], v[75:76], v[53:54], v[51:52]
	s_waitcnt vmcnt(26) lgkmcnt(0)
	v_fma_f64 v[51:52], v[73:74], v[55:56], v[51:52]
	s_waitcnt vmcnt(21)
	v_fma_f64 v[67:68], v[79:80], v[57:58], v[51:52]
	ds_read2_b64 v[51:54], v0 offset0:37 offset1:38
	ds_read2_b64 v[55:58], v0 offset0:39 offset1:40
	s_waitcnt vmcnt(20) lgkmcnt(1)
	v_fma_f64 v[51:52], v[85:86], v[51:52], v[67:68]
	s_waitcnt vmcnt(19)
	v_fma_f64 v[51:52], v[83:84], v[53:54], v[51:52]
	s_waitcnt vmcnt(18) lgkmcnt(0)
	v_fma_f64 v[51:52], v[81:82], v[55:56], v[51:52]
	s_waitcnt vmcnt(13)
	v_fma_f64 v[67:68], v[87:88], v[57:58], v[51:52]
	ds_read2_b64 v[51:54], v0 offset0:41 offset1:42
	ds_read2_b64 v[55:58], v0 offset0:43 offset1:44
	s_waitcnt vmcnt(12) lgkmcnt(1)
	v_fma_f64 v[51:52], v[93:94], v[51:52], v[67:68]
	s_waitcnt vmcnt(11)
	v_fma_f64 v[51:52], v[91:92], v[53:54], v[51:52]
	s_waitcnt vmcnt(10) lgkmcnt(0)
	v_fma_f64 v[51:52], v[89:90], v[55:56], v[51:52]
	s_waitcnt vmcnt(5)
	v_fma_f64 v[55:56], v[59:60], v[57:58], v[51:52]
	ds_read2_b64 v[51:54], v0 offset0:45 offset1:46
	ds_read_b64 v[57:58], v0 offset:376
	s_waitcnt vmcnt(4) lgkmcnt(1)
	v_fma_f64 v[51:52], v[63:64], v[51:52], v[55:56]
	s_waitcnt vmcnt(2)
	v_fma_f64 v[51:52], v[49:50], v[53:54], v[51:52]
	s_waitcnt lgkmcnt(0)
	v_fma_f64 v[51:52], v[61:62], v[57:58], v[51:52]
	s_waitcnt vmcnt(0)
	v_add_f64 v[51:52], v[65:66], -v[51:52]
	buffer_store_dword v52, off, s[0:3], 0 offset:4
	buffer_store_dword v51, off, s[0:3], 0
	s_cbranch_vccz .LBB23_200
; %bb.154:
	global_load_dword v0, v0, s[20:21] offset:88
	s_waitcnt vmcnt(0)
	v_add_nc_u32_e32 v0, -1, v0
	v_cmp_ne_u32_e32 vcc_lo, 22, v0
	s_cbranch_vccz .LBB23_156
; %bb.155:
	v_lshlrev_b32_e32 v0, 3, v0
	s_clause 0x1
	buffer_load_dword v51, v0, s[0:3], 0 offen offset:4
	buffer_load_dword v52, v0, s[0:3], 0 offen
	s_waitcnt vmcnt(1)
	buffer_store_dword v51, off, s[0:3], 0 offset:180
	s_waitcnt vmcnt(0)
	buffer_store_dword v52, off, s[0:3], 0 offset:176
	buffer_store_dword v50, v0, s[0:3], 0 offen offset:4
	buffer_store_dword v49, v0, s[0:3], 0 offen
.LBB23_156:
	v_mov_b32_e32 v0, 0
	global_load_dword v49, v0, s[20:21] offset:84
	s_waitcnt vmcnt(0)
	v_add_nc_u32_e32 v49, -1, v49
	v_cmp_eq_u32_e32 vcc_lo, 21, v49
	s_cbranch_vccnz .LBB23_158
; %bb.157:
	v_lshlrev_b32_e32 v49, 3, v49
	s_clause 0x3
	buffer_load_dword v50, v49, s[0:3], 0 offen
	buffer_load_dword v51, v49, s[0:3], 0 offen offset:4
	buffer_load_dword v52, off, s[0:3], 0 offset:168
	buffer_load_dword v53, off, s[0:3], 0 offset:172
	s_waitcnt vmcnt(3)
	buffer_store_dword v50, off, s[0:3], 0 offset:168
	s_waitcnt vmcnt(2)
	buffer_store_dword v51, off, s[0:3], 0 offset:172
	s_waitcnt vmcnt(1)
	buffer_store_dword v52, v49, s[0:3], 0 offen
	s_waitcnt vmcnt(0)
	buffer_store_dword v53, v49, s[0:3], 0 offen offset:4
.LBB23_158:
	global_load_dword v0, v0, s[20:21] offset:80
	s_waitcnt vmcnt(0)
	v_add_nc_u32_e32 v0, -1, v0
	v_cmp_eq_u32_e32 vcc_lo, 20, v0
	s_cbranch_vccnz .LBB23_160
; %bb.159:
	v_lshlrev_b32_e32 v0, 3, v0
	s_clause 0x3
	buffer_load_dword v49, v0, s[0:3], 0 offen
	buffer_load_dword v50, v0, s[0:3], 0 offen offset:4
	buffer_load_dword v51, off, s[0:3], 0 offset:164
	buffer_load_dword v52, off, s[0:3], 0 offset:160
	s_waitcnt vmcnt(3)
	buffer_store_dword v49, off, s[0:3], 0 offset:160
	s_waitcnt vmcnt(2)
	buffer_store_dword v50, off, s[0:3], 0 offset:164
	s_waitcnt vmcnt(1)
	buffer_store_dword v51, v0, s[0:3], 0 offen offset:4
	s_waitcnt vmcnt(0)
	buffer_store_dword v52, v0, s[0:3], 0 offen
.LBB23_160:
	v_mov_b32_e32 v0, 0
	global_load_dword v49, v0, s[20:21] offset:76
	s_waitcnt vmcnt(0)
	v_add_nc_u32_e32 v49, -1, v49
	v_cmp_eq_u32_e32 vcc_lo, 19, v49
	s_cbranch_vccnz .LBB23_162
; %bb.161:
	v_lshlrev_b32_e32 v49, 3, v49
	s_clause 0x3
	buffer_load_dword v50, v49, s[0:3], 0 offen
	buffer_load_dword v51, v49, s[0:3], 0 offen offset:4
	buffer_load_dword v52, off, s[0:3], 0 offset:152
	buffer_load_dword v53, off, s[0:3], 0 offset:156
	s_waitcnt vmcnt(3)
	buffer_store_dword v50, off, s[0:3], 0 offset:152
	s_waitcnt vmcnt(2)
	buffer_store_dword v51, off, s[0:3], 0 offset:156
	s_waitcnt vmcnt(1)
	buffer_store_dword v52, v49, s[0:3], 0 offen
	s_waitcnt vmcnt(0)
	buffer_store_dword v53, v49, s[0:3], 0 offen offset:4
.LBB23_162:
	global_load_dword v0, v0, s[20:21] offset:72
	s_waitcnt vmcnt(0)
	v_add_nc_u32_e32 v0, -1, v0
	v_cmp_eq_u32_e32 vcc_lo, 18, v0
	s_cbranch_vccnz .LBB23_164
; %bb.163:
	v_lshlrev_b32_e32 v0, 3, v0
	s_clause 0x3
	buffer_load_dword v49, v0, s[0:3], 0 offen
	buffer_load_dword v50, v0, s[0:3], 0 offen offset:4
	buffer_load_dword v51, off, s[0:3], 0 offset:148
	buffer_load_dword v52, off, s[0:3], 0 offset:144
	s_waitcnt vmcnt(3)
	buffer_store_dword v49, off, s[0:3], 0 offset:144
	s_waitcnt vmcnt(2)
	buffer_store_dword v50, off, s[0:3], 0 offset:148
	s_waitcnt vmcnt(1)
	buffer_store_dword v51, v0, s[0:3], 0 offen offset:4
	s_waitcnt vmcnt(0)
	buffer_store_dword v52, v0, s[0:3], 0 offen
.LBB23_164:
	v_mov_b32_e32 v0, 0
	global_load_dword v49, v0, s[20:21] offset:68
	s_waitcnt vmcnt(0)
	v_add_nc_u32_e32 v49, -1, v49
	v_cmp_eq_u32_e32 vcc_lo, 17, v49
	s_cbranch_vccnz .LBB23_166
; %bb.165:
	v_lshlrev_b32_e32 v49, 3, v49
	s_clause 0x3
	buffer_load_dword v50, v49, s[0:3], 0 offen
	buffer_load_dword v51, v49, s[0:3], 0 offen offset:4
	buffer_load_dword v52, off, s[0:3], 0 offset:136
	buffer_load_dword v53, off, s[0:3], 0 offset:140
	s_waitcnt vmcnt(3)
	buffer_store_dword v50, off, s[0:3], 0 offset:136
	s_waitcnt vmcnt(2)
	buffer_store_dword v51, off, s[0:3], 0 offset:140
	s_waitcnt vmcnt(1)
	buffer_store_dword v52, v49, s[0:3], 0 offen
	s_waitcnt vmcnt(0)
	buffer_store_dword v53, v49, s[0:3], 0 offen offset:4
.LBB23_166:
	global_load_dword v0, v0, s[20:21] offset:64
	s_waitcnt vmcnt(0)
	v_add_nc_u32_e32 v0, -1, v0
	v_cmp_eq_u32_e32 vcc_lo, 16, v0
	s_cbranch_vccnz .LBB23_168
; %bb.167:
	v_lshlrev_b32_e32 v0, 3, v0
	s_clause 0x3
	buffer_load_dword v49, v0, s[0:3], 0 offen
	buffer_load_dword v50, v0, s[0:3], 0 offen offset:4
	buffer_load_dword v51, off, s[0:3], 0 offset:132
	buffer_load_dword v52, off, s[0:3], 0 offset:128
	s_waitcnt vmcnt(3)
	buffer_store_dword v49, off, s[0:3], 0 offset:128
	s_waitcnt vmcnt(2)
	buffer_store_dword v50, off, s[0:3], 0 offset:132
	s_waitcnt vmcnt(1)
	buffer_store_dword v51, v0, s[0:3], 0 offen offset:4
	s_waitcnt vmcnt(0)
	buffer_store_dword v52, v0, s[0:3], 0 offen
.LBB23_168:
	v_mov_b32_e32 v0, 0
	global_load_dword v49, v0, s[20:21] offset:60
	s_waitcnt vmcnt(0)
	v_add_nc_u32_e32 v49, -1, v49
	v_cmp_eq_u32_e32 vcc_lo, 15, v49
	s_cbranch_vccnz .LBB23_170
; %bb.169:
	v_lshlrev_b32_e32 v49, 3, v49
	s_clause 0x3
	buffer_load_dword v50, v49, s[0:3], 0 offen
	buffer_load_dword v51, v49, s[0:3], 0 offen offset:4
	buffer_load_dword v52, off, s[0:3], 0 offset:120
	buffer_load_dword v53, off, s[0:3], 0 offset:124
	s_waitcnt vmcnt(3)
	buffer_store_dword v50, off, s[0:3], 0 offset:120
	s_waitcnt vmcnt(2)
	buffer_store_dword v51, off, s[0:3], 0 offset:124
	s_waitcnt vmcnt(1)
	buffer_store_dword v52, v49, s[0:3], 0 offen
	s_waitcnt vmcnt(0)
	buffer_store_dword v53, v49, s[0:3], 0 offen offset:4
.LBB23_170:
	global_load_dword v0, v0, s[20:21] offset:56
	s_waitcnt vmcnt(0)
	v_add_nc_u32_e32 v0, -1, v0
	v_cmp_eq_u32_e32 vcc_lo, 14, v0
	s_cbranch_vccnz .LBB23_172
; %bb.171:
	v_lshlrev_b32_e32 v0, 3, v0
	s_clause 0x3
	buffer_load_dword v49, v0, s[0:3], 0 offen
	buffer_load_dword v50, v0, s[0:3], 0 offen offset:4
	buffer_load_dword v51, off, s[0:3], 0 offset:116
	buffer_load_dword v52, off, s[0:3], 0 offset:112
	s_waitcnt vmcnt(3)
	buffer_store_dword v49, off, s[0:3], 0 offset:112
	s_waitcnt vmcnt(2)
	buffer_store_dword v50, off, s[0:3], 0 offset:116
	s_waitcnt vmcnt(1)
	buffer_store_dword v51, v0, s[0:3], 0 offen offset:4
	s_waitcnt vmcnt(0)
	buffer_store_dword v52, v0, s[0:3], 0 offen
.LBB23_172:
	v_mov_b32_e32 v0, 0
	global_load_dword v49, v0, s[20:21] offset:52
	s_waitcnt vmcnt(0)
	v_add_nc_u32_e32 v49, -1, v49
	v_cmp_eq_u32_e32 vcc_lo, 13, v49
	s_cbranch_vccnz .LBB23_174
; %bb.173:
	v_lshlrev_b32_e32 v49, 3, v49
	s_clause 0x3
	buffer_load_dword v50, v49, s[0:3], 0 offen
	buffer_load_dword v51, v49, s[0:3], 0 offen offset:4
	buffer_load_dword v52, off, s[0:3], 0 offset:104
	buffer_load_dword v53, off, s[0:3], 0 offset:108
	s_waitcnt vmcnt(3)
	buffer_store_dword v50, off, s[0:3], 0 offset:104
	s_waitcnt vmcnt(2)
	buffer_store_dword v51, off, s[0:3], 0 offset:108
	s_waitcnt vmcnt(1)
	buffer_store_dword v52, v49, s[0:3], 0 offen
	s_waitcnt vmcnt(0)
	buffer_store_dword v53, v49, s[0:3], 0 offen offset:4
.LBB23_174:
	global_load_dword v0, v0, s[20:21] offset:48
	s_waitcnt vmcnt(0)
	v_add_nc_u32_e32 v0, -1, v0
	v_cmp_eq_u32_e32 vcc_lo, 12, v0
	s_cbranch_vccnz .LBB23_176
; %bb.175:
	v_lshlrev_b32_e32 v0, 3, v0
	s_clause 0x3
	buffer_load_dword v49, v0, s[0:3], 0 offen
	buffer_load_dword v50, v0, s[0:3], 0 offen offset:4
	buffer_load_dword v51, off, s[0:3], 0 offset:100
	buffer_load_dword v52, off, s[0:3], 0 offset:96
	s_waitcnt vmcnt(3)
	buffer_store_dword v49, off, s[0:3], 0 offset:96
	s_waitcnt vmcnt(2)
	buffer_store_dword v50, off, s[0:3], 0 offset:100
	s_waitcnt vmcnt(1)
	buffer_store_dword v51, v0, s[0:3], 0 offen offset:4
	s_waitcnt vmcnt(0)
	buffer_store_dword v52, v0, s[0:3], 0 offen
.LBB23_176:
	v_mov_b32_e32 v0, 0
	global_load_dword v49, v0, s[20:21] offset:44
	s_waitcnt vmcnt(0)
	v_add_nc_u32_e32 v49, -1, v49
	v_cmp_eq_u32_e32 vcc_lo, 11, v49
	s_cbranch_vccnz .LBB23_178
; %bb.177:
	v_lshlrev_b32_e32 v49, 3, v49
	s_clause 0x3
	buffer_load_dword v50, v49, s[0:3], 0 offen
	buffer_load_dword v51, v49, s[0:3], 0 offen offset:4
	buffer_load_dword v52, off, s[0:3], 0 offset:88
	buffer_load_dword v53, off, s[0:3], 0 offset:92
	s_waitcnt vmcnt(3)
	buffer_store_dword v50, off, s[0:3], 0 offset:88
	s_waitcnt vmcnt(2)
	buffer_store_dword v51, off, s[0:3], 0 offset:92
	s_waitcnt vmcnt(1)
	buffer_store_dword v52, v49, s[0:3], 0 offen
	s_waitcnt vmcnt(0)
	buffer_store_dword v53, v49, s[0:3], 0 offen offset:4
.LBB23_178:
	global_load_dword v0, v0, s[20:21] offset:40
	s_waitcnt vmcnt(0)
	v_add_nc_u32_e32 v0, -1, v0
	v_cmp_eq_u32_e32 vcc_lo, 10, v0
	s_cbranch_vccnz .LBB23_180
; %bb.179:
	v_lshlrev_b32_e32 v0, 3, v0
	s_clause 0x3
	buffer_load_dword v49, v0, s[0:3], 0 offen
	buffer_load_dword v50, v0, s[0:3], 0 offen offset:4
	buffer_load_dword v51, off, s[0:3], 0 offset:84
	buffer_load_dword v52, off, s[0:3], 0 offset:80
	s_waitcnt vmcnt(3)
	buffer_store_dword v49, off, s[0:3], 0 offset:80
	s_waitcnt vmcnt(2)
	buffer_store_dword v50, off, s[0:3], 0 offset:84
	s_waitcnt vmcnt(1)
	buffer_store_dword v51, v0, s[0:3], 0 offen offset:4
	s_waitcnt vmcnt(0)
	buffer_store_dword v52, v0, s[0:3], 0 offen
.LBB23_180:
	v_mov_b32_e32 v0, 0
	global_load_dword v49, v0, s[20:21] offset:36
	s_waitcnt vmcnt(0)
	v_add_nc_u32_e32 v49, -1, v49
	v_cmp_eq_u32_e32 vcc_lo, 9, v49
	s_cbranch_vccnz .LBB23_182
; %bb.181:
	v_lshlrev_b32_e32 v49, 3, v49
	s_clause 0x3
	buffer_load_dword v50, v49, s[0:3], 0 offen
	buffer_load_dword v51, v49, s[0:3], 0 offen offset:4
	buffer_load_dword v52, off, s[0:3], 0 offset:72
	buffer_load_dword v53, off, s[0:3], 0 offset:76
	s_waitcnt vmcnt(3)
	buffer_store_dword v50, off, s[0:3], 0 offset:72
	s_waitcnt vmcnt(2)
	buffer_store_dword v51, off, s[0:3], 0 offset:76
	s_waitcnt vmcnt(1)
	buffer_store_dword v52, v49, s[0:3], 0 offen
	s_waitcnt vmcnt(0)
	buffer_store_dword v53, v49, s[0:3], 0 offen offset:4
.LBB23_182:
	global_load_dword v0, v0, s[20:21] offset:32
	s_waitcnt vmcnt(0)
	v_add_nc_u32_e32 v0, -1, v0
	v_cmp_eq_u32_e32 vcc_lo, 8, v0
	s_cbranch_vccnz .LBB23_184
; %bb.183:
	v_lshlrev_b32_e32 v0, 3, v0
	s_clause 0x3
	buffer_load_dword v49, v0, s[0:3], 0 offen
	buffer_load_dword v50, v0, s[0:3], 0 offen offset:4
	buffer_load_dword v51, off, s[0:3], 0 offset:68
	buffer_load_dword v52, off, s[0:3], 0 offset:64
	s_waitcnt vmcnt(3)
	buffer_store_dword v49, off, s[0:3], 0 offset:64
	s_waitcnt vmcnt(2)
	buffer_store_dword v50, off, s[0:3], 0 offset:68
	s_waitcnt vmcnt(1)
	buffer_store_dword v51, v0, s[0:3], 0 offen offset:4
	s_waitcnt vmcnt(0)
	buffer_store_dword v52, v0, s[0:3], 0 offen
.LBB23_184:
	v_mov_b32_e32 v0, 0
	global_load_dword v49, v0, s[20:21] offset:28
	s_waitcnt vmcnt(0)
	v_add_nc_u32_e32 v49, -1, v49
	v_cmp_eq_u32_e32 vcc_lo, 7, v49
	s_cbranch_vccnz .LBB23_186
; %bb.185:
	v_lshlrev_b32_e32 v49, 3, v49
	s_clause 0x3
	buffer_load_dword v50, v49, s[0:3], 0 offen
	buffer_load_dword v51, v49, s[0:3], 0 offen offset:4
	buffer_load_dword v52, off, s[0:3], 0 offset:56
	buffer_load_dword v53, off, s[0:3], 0 offset:60
	s_waitcnt vmcnt(3)
	buffer_store_dword v50, off, s[0:3], 0 offset:56
	s_waitcnt vmcnt(2)
	buffer_store_dword v51, off, s[0:3], 0 offset:60
	s_waitcnt vmcnt(1)
	buffer_store_dword v52, v49, s[0:3], 0 offen
	s_waitcnt vmcnt(0)
	buffer_store_dword v53, v49, s[0:3], 0 offen offset:4
.LBB23_186:
	global_load_dword v0, v0, s[20:21] offset:24
	s_waitcnt vmcnt(0)
	v_add_nc_u32_e32 v0, -1, v0
	v_cmp_eq_u32_e32 vcc_lo, 6, v0
	s_cbranch_vccnz .LBB23_188
; %bb.187:
	v_lshlrev_b32_e32 v0, 3, v0
	s_clause 0x3
	buffer_load_dword v49, v0, s[0:3], 0 offen
	buffer_load_dword v50, v0, s[0:3], 0 offen offset:4
	buffer_load_dword v51, off, s[0:3], 0 offset:52
	buffer_load_dword v52, off, s[0:3], 0 offset:48
	s_waitcnt vmcnt(3)
	buffer_store_dword v49, off, s[0:3], 0 offset:48
	s_waitcnt vmcnt(2)
	buffer_store_dword v50, off, s[0:3], 0 offset:52
	s_waitcnt vmcnt(1)
	buffer_store_dword v51, v0, s[0:3], 0 offen offset:4
	s_waitcnt vmcnt(0)
	buffer_store_dword v52, v0, s[0:3], 0 offen
.LBB23_188:
	v_mov_b32_e32 v0, 0
	global_load_dword v49, v0, s[20:21] offset:20
	s_waitcnt vmcnt(0)
	v_add_nc_u32_e32 v49, -1, v49
	v_cmp_eq_u32_e32 vcc_lo, 5, v49
	s_cbranch_vccnz .LBB23_190
; %bb.189:
	v_lshlrev_b32_e32 v49, 3, v49
	s_clause 0x3
	buffer_load_dword v50, v49, s[0:3], 0 offen
	buffer_load_dword v51, v49, s[0:3], 0 offen offset:4
	buffer_load_dword v52, off, s[0:3], 0 offset:40
	buffer_load_dword v53, off, s[0:3], 0 offset:44
	s_waitcnt vmcnt(3)
	buffer_store_dword v50, off, s[0:3], 0 offset:40
	s_waitcnt vmcnt(2)
	buffer_store_dword v51, off, s[0:3], 0 offset:44
	s_waitcnt vmcnt(1)
	buffer_store_dword v52, v49, s[0:3], 0 offen
	s_waitcnt vmcnt(0)
	buffer_store_dword v53, v49, s[0:3], 0 offen offset:4
.LBB23_190:
	global_load_dword v0, v0, s[20:21] offset:16
	s_waitcnt vmcnt(0)
	v_add_nc_u32_e32 v0, -1, v0
	v_cmp_eq_u32_e32 vcc_lo, 4, v0
	s_cbranch_vccnz .LBB23_192
; %bb.191:
	v_lshlrev_b32_e32 v0, 3, v0
	s_clause 0x3
	buffer_load_dword v49, v0, s[0:3], 0 offen
	buffer_load_dword v50, v0, s[0:3], 0 offen offset:4
	buffer_load_dword v51, off, s[0:3], 0 offset:36
	buffer_load_dword v52, off, s[0:3], 0 offset:32
	s_waitcnt vmcnt(3)
	buffer_store_dword v49, off, s[0:3], 0 offset:32
	s_waitcnt vmcnt(2)
	buffer_store_dword v50, off, s[0:3], 0 offset:36
	s_waitcnt vmcnt(1)
	buffer_store_dword v51, v0, s[0:3], 0 offen offset:4
	s_waitcnt vmcnt(0)
	buffer_store_dword v52, v0, s[0:3], 0 offen
.LBB23_192:
	v_mov_b32_e32 v0, 0
	global_load_dword v49, v0, s[20:21] offset:12
	s_waitcnt vmcnt(0)
	v_add_nc_u32_e32 v49, -1, v49
	v_cmp_eq_u32_e32 vcc_lo, 3, v49
	s_cbranch_vccnz .LBB23_194
; %bb.193:
	v_lshlrev_b32_e32 v49, 3, v49
	s_clause 0x3
	buffer_load_dword v50, v49, s[0:3], 0 offen
	buffer_load_dword v51, v49, s[0:3], 0 offen offset:4
	buffer_load_dword v52, off, s[0:3], 0 offset:24
	buffer_load_dword v53, off, s[0:3], 0 offset:28
	s_waitcnt vmcnt(3)
	buffer_store_dword v50, off, s[0:3], 0 offset:24
	s_waitcnt vmcnt(2)
	buffer_store_dword v51, off, s[0:3], 0 offset:28
	s_waitcnt vmcnt(1)
	buffer_store_dword v52, v49, s[0:3], 0 offen
	s_waitcnt vmcnt(0)
	buffer_store_dword v53, v49, s[0:3], 0 offen offset:4
.LBB23_194:
	global_load_dword v0, v0, s[20:21] offset:8
	s_waitcnt vmcnt(0)
	v_add_nc_u32_e32 v0, -1, v0
	v_cmp_eq_u32_e32 vcc_lo, 2, v0
	s_cbranch_vccnz .LBB23_196
; %bb.195:
	v_lshlrev_b32_e32 v0, 3, v0
	s_clause 0x3
	buffer_load_dword v49, v0, s[0:3], 0 offen
	buffer_load_dword v50, v0, s[0:3], 0 offen offset:4
	buffer_load_dword v51, off, s[0:3], 0 offset:20
	buffer_load_dword v52, off, s[0:3], 0 offset:16
	s_waitcnt vmcnt(3)
	buffer_store_dword v49, off, s[0:3], 0 offset:16
	s_waitcnt vmcnt(2)
	buffer_store_dword v50, off, s[0:3], 0 offset:20
	s_waitcnt vmcnt(1)
	buffer_store_dword v51, v0, s[0:3], 0 offen offset:4
	s_waitcnt vmcnt(0)
	buffer_store_dword v52, v0, s[0:3], 0 offen
.LBB23_196:
	v_mov_b32_e32 v0, 0
	global_load_dword v49, v0, s[20:21] offset:4
	s_waitcnt vmcnt(0)
	v_add_nc_u32_e32 v49, -1, v49
	v_cmp_eq_u32_e32 vcc_lo, 1, v49
	s_cbranch_vccnz .LBB23_198
; %bb.197:
	v_lshlrev_b32_e32 v49, 3, v49
	s_clause 0x3
	buffer_load_dword v50, v49, s[0:3], 0 offen
	buffer_load_dword v51, v49, s[0:3], 0 offen offset:4
	buffer_load_dword v52, off, s[0:3], 0 offset:8
	buffer_load_dword v53, off, s[0:3], 0 offset:12
	s_waitcnt vmcnt(3)
	buffer_store_dword v50, off, s[0:3], 0 offset:8
	s_waitcnt vmcnt(2)
	buffer_store_dword v51, off, s[0:3], 0 offset:12
	s_waitcnt vmcnt(1)
	buffer_store_dword v52, v49, s[0:3], 0 offen
	s_waitcnt vmcnt(0)
	buffer_store_dword v53, v49, s[0:3], 0 offen offset:4
.LBB23_198:
	global_load_dword v0, v0, s[20:21]
	s_clause 0x1
	buffer_load_dword v51, off, s[0:3], 0
	buffer_load_dword v52, off, s[0:3], 0 offset:4
	s_waitcnt vmcnt(2)
	v_add_nc_u32_e32 v0, -1, v0
	v_cmp_eq_u32_e32 vcc_lo, 0, v0
	s_cbranch_vccnz .LBB23_200
; %bb.199:
	v_lshlrev_b32_e32 v0, 3, v0
	s_clause 0x1
	buffer_load_dword v49, v0, s[0:3], 0 offen offset:4
	buffer_load_dword v50, v0, s[0:3], 0 offen
	s_waitcnt vmcnt(1)
	buffer_store_dword v49, off, s[0:3], 0 offset:4
	s_waitcnt vmcnt(0)
	buffer_store_dword v50, off, s[0:3], 0
	buffer_store_dword v52, v0, s[0:3], 0 offen offset:4
	buffer_store_dword v51, v0, s[0:3], 0 offen
	s_clause 0x1
	buffer_load_dword v51, off, s[0:3], 0
	buffer_load_dword v52, off, s[0:3], 0 offset:4
.LBB23_200:
	s_waitcnt vmcnt(0)
	global_store_dwordx2 v[11:12], v[51:52], off
	s_clause 0x2d
	buffer_load_dword v11, off, s[0:3], 0 offset:8
	buffer_load_dword v12, off, s[0:3], 0 offset:12
	;; [unrolled: 1-line block ×46, first 2 shown]
	s_waitcnt vmcnt(44)
	global_store_dwordx2 v[1:2], v[11:12], off
	s_waitcnt vmcnt(42)
	global_store_dwordx2 v[3:4], v[49:50], off
	;; [unrolled: 2-line block ×23, first 2 shown]
	s_endpgm
	.section	.rodata,"a",@progbits
	.p2align	6, 0x0
	.amdhsa_kernel _ZN9rocsolver6v33100L18getri_kernel_smallILi24EdPdEEvT1_iilPiilS4_bb
		.amdhsa_group_segment_fixed_size 392
		.amdhsa_private_segment_fixed_size 208
		.amdhsa_kernarg_size 60
		.amdhsa_user_sgpr_count 6
		.amdhsa_user_sgpr_private_segment_buffer 1
		.amdhsa_user_sgpr_dispatch_ptr 0
		.amdhsa_user_sgpr_queue_ptr 0
		.amdhsa_user_sgpr_kernarg_segment_ptr 1
		.amdhsa_user_sgpr_dispatch_id 0
		.amdhsa_user_sgpr_flat_scratch_init 0
		.amdhsa_user_sgpr_private_segment_size 0
		.amdhsa_wavefront_size32 1
		.amdhsa_uses_dynamic_stack 0
		.amdhsa_system_sgpr_private_segment_wavefront_offset 1
		.amdhsa_system_sgpr_workgroup_id_x 1
		.amdhsa_system_sgpr_workgroup_id_y 0
		.amdhsa_system_sgpr_workgroup_id_z 0
		.amdhsa_system_sgpr_workgroup_info 0
		.amdhsa_system_vgpr_workitem_id 0
		.amdhsa_next_free_vgpr 95
		.amdhsa_next_free_sgpr 23
		.amdhsa_reserve_vcc 1
		.amdhsa_reserve_flat_scratch 0
		.amdhsa_float_round_mode_32 0
		.amdhsa_float_round_mode_16_64 0
		.amdhsa_float_denorm_mode_32 3
		.amdhsa_float_denorm_mode_16_64 3
		.amdhsa_dx10_clamp 1
		.amdhsa_ieee_mode 1
		.amdhsa_fp16_overflow 0
		.amdhsa_workgroup_processor_mode 1
		.amdhsa_memory_ordered 1
		.amdhsa_forward_progress 1
		.amdhsa_shared_vgpr_count 0
		.amdhsa_exception_fp_ieee_invalid_op 0
		.amdhsa_exception_fp_denorm_src 0
		.amdhsa_exception_fp_ieee_div_zero 0
		.amdhsa_exception_fp_ieee_overflow 0
		.amdhsa_exception_fp_ieee_underflow 0
		.amdhsa_exception_fp_ieee_inexact 0
		.amdhsa_exception_int_div_zero 0
	.end_amdhsa_kernel
	.section	.text._ZN9rocsolver6v33100L18getri_kernel_smallILi24EdPdEEvT1_iilPiilS4_bb,"axG",@progbits,_ZN9rocsolver6v33100L18getri_kernel_smallILi24EdPdEEvT1_iilPiilS4_bb,comdat
.Lfunc_end23:
	.size	_ZN9rocsolver6v33100L18getri_kernel_smallILi24EdPdEEvT1_iilPiilS4_bb, .Lfunc_end23-_ZN9rocsolver6v33100L18getri_kernel_smallILi24EdPdEEvT1_iilPiilS4_bb
                                        ; -- End function
	.set _ZN9rocsolver6v33100L18getri_kernel_smallILi24EdPdEEvT1_iilPiilS4_bb.num_vgpr, 95
	.set _ZN9rocsolver6v33100L18getri_kernel_smallILi24EdPdEEvT1_iilPiilS4_bb.num_agpr, 0
	.set _ZN9rocsolver6v33100L18getri_kernel_smallILi24EdPdEEvT1_iilPiilS4_bb.numbered_sgpr, 23
	.set _ZN9rocsolver6v33100L18getri_kernel_smallILi24EdPdEEvT1_iilPiilS4_bb.num_named_barrier, 0
	.set _ZN9rocsolver6v33100L18getri_kernel_smallILi24EdPdEEvT1_iilPiilS4_bb.private_seg_size, 208
	.set _ZN9rocsolver6v33100L18getri_kernel_smallILi24EdPdEEvT1_iilPiilS4_bb.uses_vcc, 1
	.set _ZN9rocsolver6v33100L18getri_kernel_smallILi24EdPdEEvT1_iilPiilS4_bb.uses_flat_scratch, 0
	.set _ZN9rocsolver6v33100L18getri_kernel_smallILi24EdPdEEvT1_iilPiilS4_bb.has_dyn_sized_stack, 0
	.set _ZN9rocsolver6v33100L18getri_kernel_smallILi24EdPdEEvT1_iilPiilS4_bb.has_recursion, 0
	.set _ZN9rocsolver6v33100L18getri_kernel_smallILi24EdPdEEvT1_iilPiilS4_bb.has_indirect_call, 0
	.section	.AMDGPU.csdata,"",@progbits
; Kernel info:
; codeLenInByte = 22516
; TotalNumSgprs: 25
; NumVgprs: 95
; ScratchSize: 208
; MemoryBound: 0
; FloatMode: 240
; IeeeMode: 1
; LDSByteSize: 392 bytes/workgroup (compile time only)
; SGPRBlocks: 0
; VGPRBlocks: 11
; NumSGPRsForWavesPerEU: 25
; NumVGPRsForWavesPerEU: 95
; Occupancy: 10
; WaveLimiterHint : 1
; COMPUTE_PGM_RSRC2:SCRATCH_EN: 1
; COMPUTE_PGM_RSRC2:USER_SGPR: 6
; COMPUTE_PGM_RSRC2:TRAP_HANDLER: 0
; COMPUTE_PGM_RSRC2:TGID_X_EN: 1
; COMPUTE_PGM_RSRC2:TGID_Y_EN: 0
; COMPUTE_PGM_RSRC2:TGID_Z_EN: 0
; COMPUTE_PGM_RSRC2:TIDIG_COMP_CNT: 0
	.section	.text._ZN9rocsolver6v33100L18getri_kernel_smallILi25EdPdEEvT1_iilPiilS4_bb,"axG",@progbits,_ZN9rocsolver6v33100L18getri_kernel_smallILi25EdPdEEvT1_iilPiilS4_bb,comdat
	.globl	_ZN9rocsolver6v33100L18getri_kernel_smallILi25EdPdEEvT1_iilPiilS4_bb ; -- Begin function _ZN9rocsolver6v33100L18getri_kernel_smallILi25EdPdEEvT1_iilPiilS4_bb
	.p2align	8
	.type	_ZN9rocsolver6v33100L18getri_kernel_smallILi25EdPdEEvT1_iilPiilS4_bb,@function
_ZN9rocsolver6v33100L18getri_kernel_smallILi25EdPdEEvT1_iilPiilS4_bb: ; @_ZN9rocsolver6v33100L18getri_kernel_smallILi25EdPdEEvT1_iilPiilS4_bb
; %bb.0:
	s_add_u32 s0, s0, s7
	s_addc_u32 s1, s1, 0
	s_mov_b32 s7, exec_lo
	v_cmpx_gt_u32_e32 25, v0
	s_cbranch_execz .LBB24_110
; %bb.1:
	s_clause 0x2
	s_load_dword s7, s[4:5], 0x38
	s_load_dwordx4 s[16:19], s[4:5], 0x10
	s_load_dwordx4 s[8:11], s[4:5], 0x28
                                        ; implicit-def: $sgpr20_sgpr21
	s_waitcnt lgkmcnt(0)
	s_bitcmp1_b32 s7, 8
	s_cselect_b32 s22, -1, 0
	s_bfe_u32 s12, s7, 0x10008
	s_ashr_i32 s7, s6, 31
	s_cmp_eq_u32 s12, 0
	s_cbranch_scc1 .LBB24_3
; %bb.2:
	s_load_dword s12, s[4:5], 0x20
	s_mul_i32 s13, s8, s7
	s_mul_hi_u32 s14, s8, s6
	s_mul_i32 s9, s9, s6
	s_add_i32 s13, s14, s13
	s_mul_i32 s8, s8, s6
	s_add_i32 s9, s13, s9
	s_lshl_b64 s[8:9], s[8:9], 2
	s_waitcnt lgkmcnt(0)
	s_ashr_i32 s13, s12, 31
	s_add_u32 s14, s18, s8
	s_addc_u32 s15, s19, s9
	s_lshl_b64 s[8:9], s[12:13], 2
	s_add_u32 s20, s14, s8
	s_addc_u32 s21, s15, s9
.LBB24_3:
	s_clause 0x1
	s_load_dwordx4 s[12:15], s[4:5], 0x0
	s_load_dword s8, s[4:5], 0x38
	s_mul_i32 s4, s16, s7
	s_mul_hi_u32 s5, s16, s6
	s_mul_i32 s9, s17, s6
	s_add_i32 s5, s5, s4
	s_mul_i32 s4, s16, s6
	s_add_i32 s5, s5, s9
	v_lshlrev_b32_e32 v53, 3, v0
	s_lshl_b64 s[4:5], s[4:5], 3
	s_waitcnt lgkmcnt(0)
	v_add3_u32 v1, s15, s15, v0
	s_ashr_i32 s17, s14, 31
	s_mov_b32 s16, s14
	s_add_u32 s9, s12, s4
	s_addc_u32 s13, s13, s5
	v_add_nc_u32_e32 v5, s15, v1
	s_lshl_b64 s[4:5], s[16:17], 3
	v_ashrrev_i32_e32 v2, 31, v1
	s_add_u32 s4, s9, s4
	s_addc_u32 s5, s13, s5
	v_add_nc_u32_e32 v11, s15, v5
	v_ashrrev_i32_e32 v6, 31, v5
	v_add_co_u32 v9, s9, s4, v53
	s_mov_b32 s12, s15
	v_ashrrev_i32_e32 v12, 31, v11
	s_ashr_i32 s13, s15, 31
	v_lshlrev_b64 v[1:2], 3, v[1:2]
	v_add_co_ci_u32_e64 v10, null, s5, 0, s9
	s_lshl_b64 s[12:13], s[12:13], 3
	v_lshlrev_b64 v[5:6], 3, v[5:6]
	v_add_co_u32 v3, vcc_lo, v9, s12
	v_lshlrev_b64 v[7:8], 3, v[11:12]
	v_add_co_ci_u32_e64 v4, null, s13, v10, vcc_lo
	v_add_co_u32 v1, vcc_lo, s4, v1
	v_add_co_ci_u32_e64 v2, null, s5, v2, vcc_lo
	v_add_co_u32 v5, vcc_lo, s4, v5
	v_add_co_ci_u32_e64 v6, null, s5, v6, vcc_lo
	v_add_co_u32 v7, vcc_lo, s4, v7
	v_add_co_ci_u32_e64 v8, null, s5, v8, vcc_lo
	s_clause 0x4
	global_load_dwordx2 v[51:52], v53, s[4:5]
	global_load_dwordx2 v[54:55], v[3:4], off
	global_load_dwordx2 v[56:57], v[1:2], off
	;; [unrolled: 1-line block ×4, first 2 shown]
	v_add_nc_u32_e32 v11, s15, v11
	s_bitcmp0_b32 s8, 0
	v_add_nc_u32_e32 v13, s15, v11
	v_ashrrev_i32_e32 v12, 31, v11
	v_add_nc_u32_e32 v15, s15, v13
	v_ashrrev_i32_e32 v14, 31, v13
	v_lshlrev_b64 v[11:12], 3, v[11:12]
	v_add_nc_u32_e32 v17, s15, v15
	v_ashrrev_i32_e32 v16, 31, v15
	v_lshlrev_b64 v[13:14], 3, v[13:14]
	v_add_co_u32 v11, vcc_lo, s4, v11
	v_add_nc_u32_e32 v19, s15, v17
	v_ashrrev_i32_e32 v18, 31, v17
	v_lshlrev_b64 v[15:16], 3, v[15:16]
	v_add_co_ci_u32_e64 v12, null, s5, v12, vcc_lo
	v_add_nc_u32_e32 v21, s15, v19
	v_ashrrev_i32_e32 v20, 31, v19
	v_lshlrev_b64 v[17:18], 3, v[17:18]
	v_add_co_u32 v13, vcc_lo, s4, v13
	v_add_nc_u32_e32 v23, s15, v21
	v_ashrrev_i32_e32 v22, 31, v21
	v_lshlrev_b64 v[19:20], 3, v[19:20]
	v_add_co_ci_u32_e64 v14, null, s5, v14, vcc_lo
	v_add_nc_u32_e32 v25, s15, v23
	v_ashrrev_i32_e32 v24, 31, v23
	v_add_co_u32 v15, vcc_lo, s4, v15
	v_lshlrev_b64 v[21:22], 3, v[21:22]
	v_add_nc_u32_e32 v27, s15, v25
	v_ashrrev_i32_e32 v26, 31, v25
	v_add_co_ci_u32_e64 v16, null, s5, v16, vcc_lo
	v_add_co_u32 v17, vcc_lo, s4, v17
	v_add_nc_u32_e32 v29, s15, v27
	v_ashrrev_i32_e32 v28, 31, v27
	v_lshlrev_b64 v[23:24], 3, v[23:24]
	v_add_co_ci_u32_e64 v18, null, s5, v18, vcc_lo
	v_add_nc_u32_e32 v31, s15, v29
	v_ashrrev_i32_e32 v30, 31, v29
	v_add_co_u32 v19, vcc_lo, s4, v19
	v_lshlrev_b64 v[25:26], 3, v[25:26]
	v_add_nc_u32_e32 v33, s15, v31
	v_ashrrev_i32_e32 v32, 31, v31
	v_add_co_ci_u32_e64 v20, null, s5, v20, vcc_lo
	v_add_co_u32 v21, vcc_lo, s4, v21
	v_add_nc_u32_e32 v35, s15, v33
	v_lshlrev_b64 v[27:28], 3, v[27:28]
	v_ashrrev_i32_e32 v34, 31, v33
	v_add_co_ci_u32_e64 v22, null, s5, v22, vcc_lo
	v_add_nc_u32_e32 v37, s15, v35
	v_add_co_u32 v23, vcc_lo, s4, v23
	v_lshlrev_b64 v[29:30], 3, v[29:30]
	v_ashrrev_i32_e32 v36, 31, v35
	v_add_nc_u32_e32 v39, s15, v37
	v_add_co_ci_u32_e64 v24, null, s5, v24, vcc_lo
	v_add_co_u32 v25, vcc_lo, s4, v25
	v_add_nc_u32_e32 v41, s15, v39
	v_lshlrev_b64 v[31:32], 3, v[31:32]
	v_ashrrev_i32_e32 v38, 31, v37
	v_add_co_ci_u32_e64 v26, null, s5, v26, vcc_lo
	v_add_nc_u32_e32 v43, s15, v41
	v_add_co_u32 v27, vcc_lo, s4, v27
	v_lshlrev_b64 v[33:34], 3, v[33:34]
	v_ashrrev_i32_e32 v40, 31, v39
	v_add_nc_u32_e32 v45, s15, v43
	v_add_co_ci_u32_e64 v28, null, s5, v28, vcc_lo
	v_add_co_u32 v29, vcc_lo, s4, v29
	v_add_nc_u32_e32 v47, s15, v45
	v_lshlrev_b64 v[35:36], 3, v[35:36]
	v_ashrrev_i32_e32 v42, 31, v41
	v_add_co_ci_u32_e64 v30, null, s5, v30, vcc_lo
	v_add_co_u32 v31, vcc_lo, s4, v31
	v_lshlrev_b64 v[37:38], 3, v[37:38]
	v_ashrrev_i32_e32 v44, 31, v43
	v_add_co_ci_u32_e64 v32, null, s5, v32, vcc_lo
	v_add_co_u32 v33, vcc_lo, s4, v33
	v_lshlrev_b64 v[39:40], 3, v[39:40]
	v_add_nc_u32_e32 v49, s15, v47
	v_ashrrev_i32_e32 v46, 31, v45
	v_add_co_ci_u32_e64 v34, null, s5, v34, vcc_lo
	v_add_co_u32 v35, vcc_lo, s4, v35
	v_lshlrev_b64 v[41:42], 3, v[41:42]
	v_ashrrev_i32_e32 v48, 31, v47
	v_add_co_ci_u32_e64 v36, null, s5, v36, vcc_lo
	v_add_co_u32 v37, vcc_lo, s4, v37
	v_lshlrev_b64 v[43:44], 3, v[43:44]
	;; [unrolled: 4-line block ×3, first 2 shown]
	v_add_co_ci_u32_e64 v40, null, s5, v40, vcc_lo
	v_add_co_u32 v41, vcc_lo, s4, v41
	v_lshlrev_b64 v[47:48], 3, v[47:48]
	v_add_co_ci_u32_e64 v42, null, s5, v42, vcc_lo
	v_add_co_u32 v43, vcc_lo, s4, v43
	v_lshlrev_b64 v[86:87], 3, v[49:50]
	v_add_co_ci_u32_e64 v44, null, s5, v44, vcc_lo
	v_add_co_u32 v45, vcc_lo, s4, v45
	v_add_co_ci_u32_e64 v46, null, s5, v46, vcc_lo
	v_add_co_u32 v49, vcc_lo, s4, v47
	;; [unrolled: 2-line block ×3, first 2 shown]
	s_clause 0xb
	global_load_dwordx2 v[62:63], v[11:12], off
	global_load_dwordx2 v[64:65], v[13:14], off
	;; [unrolled: 1-line block ×12, first 2 shown]
	v_add_co_ci_u32_e64 v48, null, s5, v87, vcc_lo
	s_mov_b32 s5, -1
	s_waitcnt vmcnt(16)
	buffer_store_dword v52, off, s[0:3], 0 offset:4
	buffer_store_dword v51, off, s[0:3], 0
	s_clause 0x3
	global_load_dwordx2 v[51:52], v[35:36], off
	global_load_dwordx2 v[86:87], v[37:38], off
	;; [unrolled: 1-line block ×4, first 2 shown]
	s_waitcnt vmcnt(19)
	buffer_store_dword v55, off, s[0:3], 0 offset:12
	buffer_store_dword v54, off, s[0:3], 0 offset:8
	global_load_dwordx2 v[54:55], v[43:44], off
	s_waitcnt vmcnt(19)
	buffer_store_dword v57, off, s[0:3], 0 offset:20
	buffer_store_dword v56, off, s[0:3], 0 offset:16
	s_waitcnt vmcnt(18)
	buffer_store_dword v59, off, s[0:3], 0 offset:28
	buffer_store_dword v58, off, s[0:3], 0 offset:24
	s_clause 0x1
	global_load_dwordx2 v[56:57], v[45:46], off
	global_load_dwordx2 v[58:59], v[49:50], off
	s_waitcnt vmcnt(19)
	buffer_store_dword v61, off, s[0:3], 0 offset:36
	buffer_store_dword v60, off, s[0:3], 0 offset:32
	global_load_dwordx2 v[60:61], v[47:48], off
	s_waitcnt vmcnt(19)
	buffer_store_dword v63, off, s[0:3], 0 offset:44
	buffer_store_dword v62, off, s[0:3], 0 offset:40
	s_waitcnt vmcnt(18)
	buffer_store_dword v65, off, s[0:3], 0 offset:52
	buffer_store_dword v64, off, s[0:3], 0 offset:48
	;; [unrolled: 3-line block ×20, first 2 shown]
	s_cbranch_scc1 .LBB24_108
; %bb.4:
	v_cmp_eq_u32_e64 s4, 0, v0
	s_and_saveexec_b32 s5, s4
; %bb.5:
	v_mov_b32_e32 v51, 0
	ds_write_b32 v51, v51 offset:200
; %bb.6:
	s_or_b32 exec_lo, exec_lo, s5
	v_lshl_add_u32 v51, v0, 3, 0
	s_waitcnt lgkmcnt(0)
	s_waitcnt_vscnt null, 0x0
	s_barrier
	buffer_gl0_inv
	s_mov_b32 s8, exec_lo
	s_clause 0x1
	buffer_load_dword v54, v51, s[0:3], 0 offen
	buffer_load_dword v55, v51, s[0:3], 0 offen offset:4
	s_waitcnt vmcnt(0)
	v_cmpx_eq_f64_e32 0, v[54:55]
	s_cbranch_execz .LBB24_10
; %bb.7:
	v_mov_b32_e32 v52, 0
	s_mov_b32 s9, 0
	ds_read_b32 v54, v52 offset:200
	s_waitcnt lgkmcnt(0)
	v_readfirstlane_b32 s5, v54
	v_add_nc_u32_e32 v54, 1, v0
	s_cmp_eq_u32 s5, 0
	v_cmp_gt_i32_e32 vcc_lo, s5, v54
	s_cselect_b32 s12, -1, 0
	s_or_b32 s12, s12, vcc_lo
	s_and_b32 exec_lo, exec_lo, s12
	s_cbranch_execz .LBB24_10
; %bb.8:
	v_mov_b32_e32 v55, s5
.LBB24_9:                               ; =>This Inner Loop Header: Depth=1
	ds_cmpst_rtn_b32 v55, v52, v55, v54 offset:200
	s_waitcnt lgkmcnt(0)
	v_cmp_ne_u32_e32 vcc_lo, 0, v55
	v_cmp_le_i32_e64 s5, v55, v54
	s_and_b32 s5, vcc_lo, s5
	s_and_b32 s5, exec_lo, s5
	s_or_b32 s9, s5, s9
	s_andn2_b32 exec_lo, exec_lo, s9
	s_cbranch_execnz .LBB24_9
.LBB24_10:
	s_or_b32 exec_lo, exec_lo, s8
	v_mov_b32_e32 v52, 0
	s_barrier
	buffer_gl0_inv
	ds_read_b32 v54, v52 offset:200
	s_and_saveexec_b32 s5, s4
	s_cbranch_execz .LBB24_12
; %bb.11:
	s_lshl_b64 s[8:9], s[6:7], 2
	s_add_u32 s8, s10, s8
	s_addc_u32 s9, s11, s9
	s_waitcnt lgkmcnt(0)
	global_store_dword v52, v54, s[8:9]
.LBB24_12:
	s_or_b32 exec_lo, exec_lo, s5
	s_waitcnt lgkmcnt(0)
	v_cmp_ne_u32_e32 vcc_lo, 0, v54
	s_mov_b32 s5, 0
	s_cbranch_vccnz .LBB24_108
; %bb.13:
	s_clause 0x1
	buffer_load_dword v54, v51, s[0:3], 0 offen
	buffer_load_dword v55, v51, s[0:3], 0 offen offset:4
	s_waitcnt vmcnt(0)
	v_div_scale_f64 v[56:57], null, v[54:55], v[54:55], 1.0
	v_div_scale_f64 v[62:63], vcc_lo, 1.0, v[54:55], 1.0
	v_rcp_f64_e32 v[58:59], v[56:57]
	v_fma_f64 v[60:61], -v[56:57], v[58:59], 1.0
	v_fma_f64 v[58:59], v[58:59], v[60:61], v[58:59]
	v_fma_f64 v[60:61], -v[56:57], v[58:59], 1.0
	v_fma_f64 v[58:59], v[58:59], v[60:61], v[58:59]
	v_mul_f64 v[60:61], v[62:63], v[58:59]
	v_fma_f64 v[56:57], -v[56:57], v[60:61], v[62:63]
	v_div_fmas_f64 v[56:57], v[56:57], v[58:59], v[60:61]
	v_div_fixup_f64 v[55:56], v[56:57], v[54:55], 1.0
	v_add_nc_u32_e32 v54, 0xd0, v53
	buffer_store_dword v56, v51, s[0:3], 0 offen offset:4
	buffer_store_dword v55, v51, s[0:3], 0 offen
	s_clause 0x1
	buffer_load_dword v58, off, s[0:3], 0 offset:12
	buffer_load_dword v57, off, s[0:3], 0 offset:8
	v_xor_b32_e32 v56, 0x80000000, v56
	s_waitcnt vmcnt(0)
	ds_write2_b64 v53, v[55:56], v[57:58] offset1:26
	s_waitcnt lgkmcnt(0)
	s_waitcnt_vscnt null, 0x0
	s_barrier
	buffer_gl0_inv
	s_and_saveexec_b32 s5, s4
	s_cbranch_execz .LBB24_15
; %bb.14:
	s_clause 0x1
	buffer_load_dword v55, v51, s[0:3], 0 offen
	buffer_load_dword v56, v51, s[0:3], 0 offen offset:4
	ds_read_b64 v[57:58], v54
	v_mov_b32_e32 v52, 0
	ds_read_b64 v[59:60], v52 offset:8
	s_waitcnt vmcnt(0) lgkmcnt(1)
	v_fma_f64 v[55:56], v[55:56], v[57:58], 0
	s_waitcnt lgkmcnt(0)
	v_mul_f64 v[55:56], v[55:56], v[59:60]
	buffer_store_dword v55, off, s[0:3], 0 offset:8
	buffer_store_dword v56, off, s[0:3], 0 offset:12
.LBB24_15:
	s_or_b32 exec_lo, exec_lo, s5
	s_waitcnt_vscnt null, 0x0
	s_barrier
	buffer_gl0_inv
	s_clause 0x1
	buffer_load_dword v55, off, s[0:3], 0 offset:16
	buffer_load_dword v56, off, s[0:3], 0 offset:20
	s_mov_b32 s5, exec_lo
	s_waitcnt vmcnt(0)
	ds_write_b64 v54, v[55:56]
	s_waitcnt lgkmcnt(0)
	s_barrier
	buffer_gl0_inv
	v_cmpx_gt_u32_e32 2, v0
	s_cbranch_execz .LBB24_19
; %bb.16:
	s_clause 0x1
	buffer_load_dword v55, v51, s[0:3], 0 offen
	buffer_load_dword v56, v51, s[0:3], 0 offen offset:4
	ds_read_b64 v[51:52], v54
	s_waitcnt vmcnt(0) lgkmcnt(0)
	v_fma_f64 v[51:52], v[55:56], v[51:52], 0
	s_and_saveexec_b32 s8, s4
	s_cbranch_execz .LBB24_18
; %bb.17:
	s_clause 0x1
	buffer_load_dword v55, off, s[0:3], 0 offset:8
	buffer_load_dword v56, off, s[0:3], 0 offset:12
	v_mov_b32_e32 v57, 0
	ds_read_b64 v[57:58], v57 offset:216
	s_waitcnt vmcnt(0) lgkmcnt(0)
	v_fma_f64 v[51:52], v[55:56], v[57:58], v[51:52]
.LBB24_18:
	s_or_b32 exec_lo, exec_lo, s8
	v_mov_b32_e32 v55, 0
	ds_read_b64 v[55:56], v55 offset:16
	s_waitcnt lgkmcnt(0)
	v_mul_f64 v[51:52], v[51:52], v[55:56]
	buffer_store_dword v52, off, s[0:3], 0 offset:20
	buffer_store_dword v51, off, s[0:3], 0 offset:16
.LBB24_19:
	s_or_b32 exec_lo, exec_lo, s5
	s_waitcnt_vscnt null, 0x0
	s_barrier
	buffer_gl0_inv
	s_clause 0x1
	buffer_load_dword v51, off, s[0:3], 0 offset:24
	buffer_load_dword v52, off, s[0:3], 0 offset:28
	v_add_nc_u32_e32 v55, -1, v0
	s_mov_b32 s4, exec_lo
	s_waitcnt vmcnt(0)
	ds_write_b64 v54, v[51:52]
	s_waitcnt lgkmcnt(0)
	s_barrier
	buffer_gl0_inv
	v_cmpx_gt_u32_e32 3, v0
	s_cbranch_execz .LBB24_23
; %bb.20:
	v_mov_b32_e32 v51, 0
	v_add_nc_u32_e32 v56, -1, v0
	v_add_nc_u32_e32 v57, 0xd0, v53
	v_mov_b32_e32 v52, 0
	v_mov_b32_e32 v58, v53
	s_mov_b32 s5, 0
.LBB24_21:                              ; =>This Inner Loop Header: Depth=1
	s_clause 0x1
	buffer_load_dword v59, v58, s[0:3], 0 offen
	buffer_load_dword v60, v58, s[0:3], 0 offen offset:4
	ds_read_b64 v[61:62], v57
	v_add_nc_u32_e32 v56, 1, v56
	v_add_nc_u32_e32 v57, 8, v57
	v_add_nc_u32_e32 v58, 8, v58
	v_cmp_lt_u32_e32 vcc_lo, 1, v56
	s_or_b32 s5, vcc_lo, s5
	s_waitcnt vmcnt(0) lgkmcnt(0)
	v_fma_f64 v[51:52], v[59:60], v[61:62], v[51:52]
	s_andn2_b32 exec_lo, exec_lo, s5
	s_cbranch_execnz .LBB24_21
; %bb.22:
	s_or_b32 exec_lo, exec_lo, s5
	v_mov_b32_e32 v56, 0
	ds_read_b64 v[56:57], v56 offset:24
	s_waitcnt lgkmcnt(0)
	v_mul_f64 v[51:52], v[51:52], v[56:57]
	buffer_store_dword v52, off, s[0:3], 0 offset:28
	buffer_store_dword v51, off, s[0:3], 0 offset:24
.LBB24_23:
	s_or_b32 exec_lo, exec_lo, s4
	s_waitcnt_vscnt null, 0x0
	s_barrier
	buffer_gl0_inv
	s_clause 0x1
	buffer_load_dword v51, off, s[0:3], 0 offset:32
	buffer_load_dword v52, off, s[0:3], 0 offset:36
	s_mov_b32 s4, exec_lo
	s_waitcnt vmcnt(0)
	ds_write_b64 v54, v[51:52]
	s_waitcnt lgkmcnt(0)
	s_barrier
	buffer_gl0_inv
	v_cmpx_gt_u32_e32 4, v0
	s_cbranch_execz .LBB24_27
; %bb.24:
	v_mov_b32_e32 v51, 0
	v_add_nc_u32_e32 v56, -1, v0
	v_add_nc_u32_e32 v57, 0xd0, v53
	v_mov_b32_e32 v52, 0
	v_mov_b32_e32 v58, v53
	s_mov_b32 s5, 0
.LBB24_25:                              ; =>This Inner Loop Header: Depth=1
	s_clause 0x1
	buffer_load_dword v59, v58, s[0:3], 0 offen
	buffer_load_dword v60, v58, s[0:3], 0 offen offset:4
	ds_read_b64 v[61:62], v57
	v_add_nc_u32_e32 v56, 1, v56
	v_add_nc_u32_e32 v57, 8, v57
	v_add_nc_u32_e32 v58, 8, v58
	v_cmp_lt_u32_e32 vcc_lo, 2, v56
	s_or_b32 s5, vcc_lo, s5
	s_waitcnt vmcnt(0) lgkmcnt(0)
	v_fma_f64 v[51:52], v[59:60], v[61:62], v[51:52]
	s_andn2_b32 exec_lo, exec_lo, s5
	s_cbranch_execnz .LBB24_25
; %bb.26:
	s_or_b32 exec_lo, exec_lo, s5
	v_mov_b32_e32 v56, 0
	ds_read_b64 v[56:57], v56 offset:32
	s_waitcnt lgkmcnt(0)
	v_mul_f64 v[51:52], v[51:52], v[56:57]
	buffer_store_dword v52, off, s[0:3], 0 offset:36
	buffer_store_dword v51, off, s[0:3], 0 offset:32
.LBB24_27:
	s_or_b32 exec_lo, exec_lo, s4
	s_waitcnt_vscnt null, 0x0
	s_barrier
	buffer_gl0_inv
	s_clause 0x1
	buffer_load_dword v51, off, s[0:3], 0 offset:40
	buffer_load_dword v52, off, s[0:3], 0 offset:44
	;; [unrolled: 45-line block ×20, first 2 shown]
	s_mov_b32 s4, exec_lo
	s_waitcnt vmcnt(0)
	ds_write_b64 v54, v[51:52]
	s_waitcnt lgkmcnt(0)
	s_barrier
	buffer_gl0_inv
	v_cmpx_gt_u32_e32 23, v0
	s_cbranch_execz .LBB24_103
; %bb.100:
	v_mov_b32_e32 v51, 0
	v_add_nc_u32_e32 v56, -1, v0
	v_add_nc_u32_e32 v57, 0xd0, v53
	v_mov_b32_e32 v52, 0
	v_mov_b32_e32 v58, v53
	s_mov_b32 s5, 0
.LBB24_101:                             ; =>This Inner Loop Header: Depth=1
	s_clause 0x1
	buffer_load_dword v59, v58, s[0:3], 0 offen
	buffer_load_dword v60, v58, s[0:3], 0 offen offset:4
	ds_read_b64 v[61:62], v57
	v_add_nc_u32_e32 v56, 1, v56
	v_add_nc_u32_e32 v57, 8, v57
	;; [unrolled: 1-line block ×3, first 2 shown]
	v_cmp_lt_u32_e32 vcc_lo, 21, v56
	s_or_b32 s5, vcc_lo, s5
	s_waitcnt vmcnt(0) lgkmcnt(0)
	v_fma_f64 v[51:52], v[59:60], v[61:62], v[51:52]
	s_andn2_b32 exec_lo, exec_lo, s5
	s_cbranch_execnz .LBB24_101
; %bb.102:
	s_or_b32 exec_lo, exec_lo, s5
	v_mov_b32_e32 v56, 0
	ds_read_b64 v[56:57], v56 offset:184
	s_waitcnt lgkmcnt(0)
	v_mul_f64 v[51:52], v[51:52], v[56:57]
	buffer_store_dword v52, off, s[0:3], 0 offset:188
	buffer_store_dword v51, off, s[0:3], 0 offset:184
.LBB24_103:
	s_or_b32 exec_lo, exec_lo, s4
	s_waitcnt_vscnt null, 0x0
	s_barrier
	buffer_gl0_inv
	s_clause 0x1
	buffer_load_dword v51, off, s[0:3], 0 offset:192
	buffer_load_dword v52, off, s[0:3], 0 offset:196
	s_mov_b32 s4, exec_lo
	s_waitcnt vmcnt(0)
	ds_write_b64 v54, v[51:52]
	s_waitcnt lgkmcnt(0)
	s_barrier
	buffer_gl0_inv
	v_cmpx_ne_u32_e32 24, v0
	s_cbranch_execz .LBB24_107
; %bb.104:
	v_mov_b32_e32 v51, 0
	v_mov_b32_e32 v52, 0
	s_mov_b32 s5, 0
.LBB24_105:                             ; =>This Inner Loop Header: Depth=1
	s_clause 0x1
	buffer_load_dword v56, v53, s[0:3], 0 offen
	buffer_load_dword v57, v53, s[0:3], 0 offen offset:4
	ds_read_b64 v[58:59], v54
	v_add_nc_u32_e32 v55, 1, v55
	v_add_nc_u32_e32 v54, 8, v54
	v_add_nc_u32_e32 v53, 8, v53
	v_cmp_lt_u32_e32 vcc_lo, 22, v55
	s_or_b32 s5, vcc_lo, s5
	s_waitcnt vmcnt(0) lgkmcnt(0)
	v_fma_f64 v[51:52], v[56:57], v[58:59], v[51:52]
	s_andn2_b32 exec_lo, exec_lo, s5
	s_cbranch_execnz .LBB24_105
; %bb.106:
	s_or_b32 exec_lo, exec_lo, s5
	v_mov_b32_e32 v53, 0
	ds_read_b64 v[53:54], v53 offset:192
	s_waitcnt lgkmcnt(0)
	v_mul_f64 v[51:52], v[51:52], v[53:54]
	buffer_store_dword v52, off, s[0:3], 0 offset:196
	buffer_store_dword v51, off, s[0:3], 0 offset:192
.LBB24_107:
	s_or_b32 exec_lo, exec_lo, s4
	s_mov_b32 s5, -1
	s_waitcnt_vscnt null, 0x0
	s_barrier
	buffer_gl0_inv
.LBB24_108:
	s_and_b32 vcc_lo, exec_lo, s5
	s_cbranch_vccz .LBB24_110
; %bb.109:
	s_lshl_b64 s[4:5], s[6:7], 2
	v_mov_b32_e32 v51, 0
	s_add_u32 s4, s10, s4
	s_addc_u32 s5, s11, s5
	global_load_dword v51, v51, s[4:5]
	s_waitcnt vmcnt(0)
	v_cmp_ne_u32_e32 vcc_lo, 0, v51
	s_cbranch_vccz .LBB24_111
.LBB24_110:
	s_endpgm
.LBB24_111:
	v_lshl_add_u32 v51, v0, 3, 0xd0
	s_mov_b32 s4, exec_lo
	v_cmpx_eq_u32_e32 24, v0
	s_cbranch_execz .LBB24_113
; %bb.112:
	s_clause 0x1
	buffer_load_dword v52, off, s[0:3], 0 offset:184
	buffer_load_dword v53, off, s[0:3], 0 offset:188
	v_mov_b32_e32 v54, 0
	buffer_store_dword v54, off, s[0:3], 0 offset:184
	buffer_store_dword v54, off, s[0:3], 0 offset:188
	s_waitcnt vmcnt(0)
	ds_write_b64 v51, v[52:53]
.LBB24_113:
	s_or_b32 exec_lo, exec_lo, s4
	s_waitcnt lgkmcnt(0)
	s_waitcnt_vscnt null, 0x0
	s_barrier
	buffer_gl0_inv
	s_clause 0x3
	buffer_load_dword v53, off, s[0:3], 0 offset:192
	buffer_load_dword v54, off, s[0:3], 0 offset:196
	;; [unrolled: 1-line block ×4, first 2 shown]
	v_mov_b32_e32 v52, 0
	s_mov_b32 s4, exec_lo
	ds_read_b64 v[57:58], v52 offset:400
	s_waitcnt vmcnt(2) lgkmcnt(0)
	v_fma_f64 v[53:54], v[53:54], v[57:58], 0
	s_waitcnt vmcnt(0)
	v_add_f64 v[53:54], v[55:56], -v[53:54]
	buffer_store_dword v53, off, s[0:3], 0 offset:184
	buffer_store_dword v54, off, s[0:3], 0 offset:188
	v_cmpx_lt_u32_e32 22, v0
	s_cbranch_execz .LBB24_115
; %bb.114:
	s_clause 0x1
	buffer_load_dword v53, off, s[0:3], 0 offset:176
	buffer_load_dword v54, off, s[0:3], 0 offset:180
	buffer_store_dword v52, off, s[0:3], 0 offset:176
	buffer_store_dword v52, off, s[0:3], 0 offset:180
	s_waitcnt vmcnt(0)
	ds_write_b64 v51, v[53:54]
.LBB24_115:
	s_or_b32 exec_lo, exec_lo, s4
	s_waitcnt lgkmcnt(0)
	s_waitcnt_vscnt null, 0x0
	s_barrier
	buffer_gl0_inv
	s_clause 0x5
	buffer_load_dword v56, off, s[0:3], 0 offset:184
	buffer_load_dword v57, off, s[0:3], 0 offset:188
	;; [unrolled: 1-line block ×6, first 2 shown]
	ds_read2_b64 v[52:55], v52 offset0:49 offset1:50
	s_mov_b32 s4, exec_lo
	s_waitcnt vmcnt(4) lgkmcnt(0)
	v_fma_f64 v[52:53], v[56:57], v[52:53], 0
	s_waitcnt vmcnt(2)
	v_fma_f64 v[52:53], v[58:59], v[54:55], v[52:53]
	s_waitcnt vmcnt(0)
	v_add_f64 v[52:53], v[60:61], -v[52:53]
	buffer_store_dword v52, off, s[0:3], 0 offset:176
	buffer_store_dword v53, off, s[0:3], 0 offset:180
	v_cmpx_lt_u32_e32 21, v0
	s_cbranch_execz .LBB24_117
; %bb.116:
	s_clause 0x1
	buffer_load_dword v52, off, s[0:3], 0 offset:168
	buffer_load_dword v53, off, s[0:3], 0 offset:172
	v_mov_b32_e32 v54, 0
	buffer_store_dword v54, off, s[0:3], 0 offset:168
	buffer_store_dword v54, off, s[0:3], 0 offset:172
	s_waitcnt vmcnt(0)
	ds_write_b64 v51, v[52:53]
.LBB24_117:
	s_or_b32 exec_lo, exec_lo, s4
	s_waitcnt lgkmcnt(0)
	s_waitcnt_vscnt null, 0x0
	s_barrier
	buffer_gl0_inv
	s_clause 0x7
	buffer_load_dword v57, off, s[0:3], 0 offset:176
	buffer_load_dword v58, off, s[0:3], 0 offset:180
	;; [unrolled: 1-line block ×8, first 2 shown]
	v_mov_b32_e32 v52, 0
	ds_read_b128 v[53:56], v52 offset:384
	ds_read_b64 v[65:66], v52 offset:400
	s_mov_b32 s4, exec_lo
	s_waitcnt vmcnt(6) lgkmcnt(1)
	v_fma_f64 v[53:54], v[57:58], v[53:54], 0
	s_waitcnt vmcnt(4)
	v_fma_f64 v[53:54], v[59:60], v[55:56], v[53:54]
	s_waitcnt vmcnt(2) lgkmcnt(0)
	v_fma_f64 v[53:54], v[61:62], v[65:66], v[53:54]
	s_waitcnt vmcnt(0)
	v_add_f64 v[53:54], v[63:64], -v[53:54]
	buffer_store_dword v53, off, s[0:3], 0 offset:168
	buffer_store_dword v54, off, s[0:3], 0 offset:172
	v_cmpx_lt_u32_e32 20, v0
	s_cbranch_execz .LBB24_119
; %bb.118:
	s_clause 0x1
	buffer_load_dword v53, off, s[0:3], 0 offset:160
	buffer_load_dword v54, off, s[0:3], 0 offset:164
	buffer_store_dword v52, off, s[0:3], 0 offset:160
	buffer_store_dword v52, off, s[0:3], 0 offset:164
	s_waitcnt vmcnt(0)
	ds_write_b64 v51, v[53:54]
.LBB24_119:
	s_or_b32 exec_lo, exec_lo, s4
	s_waitcnt lgkmcnt(0)
	s_waitcnt_vscnt null, 0x0
	s_barrier
	buffer_gl0_inv
	s_clause 0x9
	buffer_load_dword v61, off, s[0:3], 0 offset:168
	buffer_load_dword v62, off, s[0:3], 0 offset:172
	;; [unrolled: 1-line block ×10, first 2 shown]
	ds_read2_b64 v[53:56], v52 offset0:47 offset1:48
	ds_read2_b64 v[57:60], v52 offset0:49 offset1:50
	s_mov_b32 s4, exec_lo
	s_waitcnt vmcnt(8) lgkmcnt(1)
	v_fma_f64 v[52:53], v[61:62], v[53:54], 0
	s_waitcnt vmcnt(6)
	v_fma_f64 v[52:53], v[63:64], v[55:56], v[52:53]
	s_waitcnt vmcnt(4) lgkmcnt(0)
	v_fma_f64 v[52:53], v[65:66], v[57:58], v[52:53]
	s_waitcnt vmcnt(2)
	v_fma_f64 v[52:53], v[67:68], v[59:60], v[52:53]
	s_waitcnt vmcnt(0)
	v_add_f64 v[52:53], v[69:70], -v[52:53]
	buffer_store_dword v52, off, s[0:3], 0 offset:160
	buffer_store_dword v53, off, s[0:3], 0 offset:164
	v_cmpx_lt_u32_e32 19, v0
	s_cbranch_execz .LBB24_121
; %bb.120:
	s_clause 0x1
	buffer_load_dword v52, off, s[0:3], 0 offset:152
	buffer_load_dword v53, off, s[0:3], 0 offset:156
	v_mov_b32_e32 v54, 0
	buffer_store_dword v54, off, s[0:3], 0 offset:152
	buffer_store_dword v54, off, s[0:3], 0 offset:156
	s_waitcnt vmcnt(0)
	ds_write_b64 v51, v[52:53]
.LBB24_121:
	s_or_b32 exec_lo, exec_lo, s4
	s_waitcnt lgkmcnt(0)
	s_waitcnt_vscnt null, 0x0
	s_barrier
	buffer_gl0_inv
	s_clause 0xb
	buffer_load_dword v61, off, s[0:3], 0 offset:160
	buffer_load_dword v62, off, s[0:3], 0 offset:164
	;; [unrolled: 1-line block ×12, first 2 shown]
	v_mov_b32_e32 v52, 0
	ds_read_b128 v[53:56], v52 offset:368
	ds_read_b128 v[57:60], v52 offset:384
	s_mov_b32 s4, exec_lo
	s_waitcnt vmcnt(10) lgkmcnt(1)
	v_fma_f64 v[53:54], v[61:62], v[53:54], 0
	s_waitcnt vmcnt(8)
	v_fma_f64 v[53:54], v[63:64], v[55:56], v[53:54]
	ds_read_b64 v[55:56], v52 offset:400
	s_waitcnt vmcnt(6) lgkmcnt(1)
	v_fma_f64 v[53:54], v[65:66], v[57:58], v[53:54]
	s_waitcnt vmcnt(4)
	v_fma_f64 v[53:54], v[67:68], v[59:60], v[53:54]
	s_waitcnt vmcnt(2) lgkmcnt(0)
	v_fma_f64 v[53:54], v[69:70], v[55:56], v[53:54]
	s_waitcnt vmcnt(0)
	v_add_f64 v[53:54], v[71:72], -v[53:54]
	buffer_store_dword v53, off, s[0:3], 0 offset:152
	buffer_store_dword v54, off, s[0:3], 0 offset:156
	v_cmpx_lt_u32_e32 18, v0
	s_cbranch_execz .LBB24_123
; %bb.122:
	s_clause 0x1
	buffer_load_dword v53, off, s[0:3], 0 offset:144
	buffer_load_dword v54, off, s[0:3], 0 offset:148
	buffer_store_dword v52, off, s[0:3], 0 offset:144
	buffer_store_dword v52, off, s[0:3], 0 offset:148
	s_waitcnt vmcnt(0)
	ds_write_b64 v51, v[53:54]
.LBB24_123:
	s_or_b32 exec_lo, exec_lo, s4
	s_waitcnt lgkmcnt(0)
	s_waitcnt_vscnt null, 0x0
	s_barrier
	buffer_gl0_inv
	s_clause 0xd
	buffer_load_dword v61, off, s[0:3], 0 offset:152
	buffer_load_dword v62, off, s[0:3], 0 offset:156
	;; [unrolled: 1-line block ×14, first 2 shown]
	ds_read2_b64 v[53:56], v52 offset0:45 offset1:46
	ds_read2_b64 v[57:60], v52 offset0:47 offset1:48
	s_mov_b32 s4, exec_lo
	s_waitcnt vmcnt(12) lgkmcnt(1)
	v_fma_f64 v[53:54], v[61:62], v[53:54], 0
	s_waitcnt vmcnt(10)
	v_fma_f64 v[53:54], v[63:64], v[55:56], v[53:54]
	s_waitcnt vmcnt(8) lgkmcnt(0)
	v_fma_f64 v[53:54], v[65:66], v[57:58], v[53:54]
	s_waitcnt vmcnt(6)
	v_fma_f64 v[56:57], v[67:68], v[59:60], v[53:54]
	ds_read2_b64 v[52:55], v52 offset0:49 offset1:50
	s_waitcnt vmcnt(4) lgkmcnt(0)
	v_fma_f64 v[52:53], v[69:70], v[52:53], v[56:57]
	s_waitcnt vmcnt(2)
	v_fma_f64 v[52:53], v[71:72], v[54:55], v[52:53]
	s_waitcnt vmcnt(0)
	v_add_f64 v[52:53], v[73:74], -v[52:53]
	buffer_store_dword v52, off, s[0:3], 0 offset:144
	buffer_store_dword v53, off, s[0:3], 0 offset:148
	v_cmpx_lt_u32_e32 17, v0
	s_cbranch_execz .LBB24_125
; %bb.124:
	s_clause 0x1
	buffer_load_dword v52, off, s[0:3], 0 offset:136
	buffer_load_dword v53, off, s[0:3], 0 offset:140
	v_mov_b32_e32 v54, 0
	buffer_store_dword v54, off, s[0:3], 0 offset:136
	buffer_store_dword v54, off, s[0:3], 0 offset:140
	s_waitcnt vmcnt(0)
	ds_write_b64 v51, v[52:53]
.LBB24_125:
	s_or_b32 exec_lo, exec_lo, s4
	s_waitcnt lgkmcnt(0)
	s_waitcnt_vscnt null, 0x0
	s_barrier
	buffer_gl0_inv
	s_clause 0xf
	buffer_load_dword v61, off, s[0:3], 0 offset:144
	buffer_load_dword v62, off, s[0:3], 0 offset:148
	;; [unrolled: 1-line block ×16, first 2 shown]
	v_mov_b32_e32 v52, 0
	ds_read_b128 v[53:56], v52 offset:352
	ds_read_b128 v[57:60], v52 offset:368
	s_mov_b32 s4, exec_lo
	s_waitcnt vmcnt(14) lgkmcnt(1)
	v_fma_f64 v[53:54], v[61:62], v[53:54], 0
	s_waitcnt vmcnt(12)
	v_fma_f64 v[53:54], v[63:64], v[55:56], v[53:54]
	s_waitcnt vmcnt(10) lgkmcnt(0)
	v_fma_f64 v[53:54], v[65:66], v[57:58], v[53:54]
	s_waitcnt vmcnt(8)
	v_fma_f64 v[57:58], v[67:68], v[59:60], v[53:54]
	ds_read_b128 v[53:56], v52 offset:384
	ds_read_b64 v[59:60], v52 offset:400
	s_waitcnt vmcnt(6) lgkmcnt(1)
	v_fma_f64 v[53:54], v[69:70], v[53:54], v[57:58]
	s_waitcnt vmcnt(4)
	v_fma_f64 v[53:54], v[71:72], v[55:56], v[53:54]
	s_waitcnt vmcnt(2) lgkmcnt(0)
	v_fma_f64 v[53:54], v[73:74], v[59:60], v[53:54]
	s_waitcnt vmcnt(0)
	v_add_f64 v[53:54], v[75:76], -v[53:54]
	buffer_store_dword v53, off, s[0:3], 0 offset:136
	buffer_store_dword v54, off, s[0:3], 0 offset:140
	v_cmpx_lt_u32_e32 16, v0
	s_cbranch_execz .LBB24_127
; %bb.126:
	s_clause 0x1
	buffer_load_dword v53, off, s[0:3], 0 offset:128
	buffer_load_dword v54, off, s[0:3], 0 offset:132
	buffer_store_dword v52, off, s[0:3], 0 offset:128
	buffer_store_dword v52, off, s[0:3], 0 offset:132
	s_waitcnt vmcnt(0)
	ds_write_b64 v51, v[53:54]
.LBB24_127:
	s_or_b32 exec_lo, exec_lo, s4
	s_waitcnt lgkmcnt(0)
	s_waitcnt_vscnt null, 0x0
	s_barrier
	buffer_gl0_inv
	s_clause 0x11
	buffer_load_dword v57, off, s[0:3], 0 offset:136
	buffer_load_dword v58, off, s[0:3], 0 offset:140
	;; [unrolled: 1-line block ×18, first 2 shown]
	ds_read2_b64 v[53:56], v52 offset0:43 offset1:44
	s_mov_b32 s4, exec_lo
	s_waitcnt vmcnt(16) lgkmcnt(0)
	v_fma_f64 v[53:54], v[57:58], v[53:54], 0
	s_waitcnt vmcnt(14)
	v_fma_f64 v[57:58], v[59:60], v[55:56], v[53:54]
	ds_read2_b64 v[53:56], v52 offset0:45 offset1:46
	s_waitcnt vmcnt(12) lgkmcnt(0)
	v_fma_f64 v[53:54], v[61:62], v[53:54], v[57:58]
	s_waitcnt vmcnt(10)
	v_fma_f64 v[57:58], v[63:64], v[55:56], v[53:54]
	ds_read2_b64 v[53:56], v52 offset0:47 offset1:48
	s_waitcnt vmcnt(8) lgkmcnt(0)
	v_fma_f64 v[53:54], v[65:66], v[53:54], v[57:58]
	s_waitcnt vmcnt(6)
	v_fma_f64 v[56:57], v[67:68], v[55:56], v[53:54]
	ds_read2_b64 v[52:55], v52 offset0:49 offset1:50
	s_waitcnt vmcnt(4) lgkmcnt(0)
	v_fma_f64 v[52:53], v[69:70], v[52:53], v[56:57]
	s_waitcnt vmcnt(2)
	v_fma_f64 v[52:53], v[71:72], v[54:55], v[52:53]
	s_waitcnt vmcnt(0)
	v_add_f64 v[52:53], v[73:74], -v[52:53]
	buffer_store_dword v52, off, s[0:3], 0 offset:128
	buffer_store_dword v53, off, s[0:3], 0 offset:132
	v_cmpx_lt_u32_e32 15, v0
	s_cbranch_execz .LBB24_129
; %bb.128:
	s_clause 0x1
	buffer_load_dword v52, off, s[0:3], 0 offset:120
	buffer_load_dword v53, off, s[0:3], 0 offset:124
	v_mov_b32_e32 v54, 0
	buffer_store_dword v54, off, s[0:3], 0 offset:120
	buffer_store_dword v54, off, s[0:3], 0 offset:124
	s_waitcnt vmcnt(0)
	ds_write_b64 v51, v[52:53]
.LBB24_129:
	s_or_b32 exec_lo, exec_lo, s4
	s_waitcnt lgkmcnt(0)
	s_waitcnt_vscnt null, 0x0
	s_barrier
	buffer_gl0_inv
	s_clause 0x13
	buffer_load_dword v57, off, s[0:3], 0 offset:128
	buffer_load_dword v58, off, s[0:3], 0 offset:132
	;; [unrolled: 1-line block ×20, first 2 shown]
	v_mov_b32_e32 v52, 0
	s_mov_b32 s4, exec_lo
	ds_read_b128 v[53:56], v52 offset:336
	s_waitcnt vmcnt(18) lgkmcnt(0)
	v_fma_f64 v[53:54], v[57:58], v[53:54], 0
	s_waitcnt vmcnt(16)
	v_fma_f64 v[57:58], v[59:60], v[55:56], v[53:54]
	ds_read_b128 v[53:56], v52 offset:352
	s_waitcnt vmcnt(14) lgkmcnt(0)
	v_fma_f64 v[53:54], v[61:62], v[53:54], v[57:58]
	s_waitcnt vmcnt(12)
	v_fma_f64 v[57:58], v[63:64], v[55:56], v[53:54]
	;; [unrolled: 5-line block ×4, first 2 shown]
	ds_read_b64 v[55:56], v52 offset:400
	s_waitcnt vmcnt(2) lgkmcnt(0)
	v_fma_f64 v[53:54], v[73:74], v[55:56], v[53:54]
	s_waitcnt vmcnt(0)
	v_add_f64 v[53:54], v[75:76], -v[53:54]
	buffer_store_dword v53, off, s[0:3], 0 offset:120
	buffer_store_dword v54, off, s[0:3], 0 offset:124
	v_cmpx_lt_u32_e32 14, v0
	s_cbranch_execz .LBB24_131
; %bb.130:
	s_clause 0x1
	buffer_load_dword v53, off, s[0:3], 0 offset:112
	buffer_load_dword v54, off, s[0:3], 0 offset:116
	buffer_store_dword v52, off, s[0:3], 0 offset:112
	buffer_store_dword v52, off, s[0:3], 0 offset:116
	s_waitcnt vmcnt(0)
	ds_write_b64 v51, v[53:54]
.LBB24_131:
	s_or_b32 exec_lo, exec_lo, s4
	s_waitcnt lgkmcnt(0)
	s_waitcnt_vscnt null, 0x0
	s_barrier
	buffer_gl0_inv
	s_clause 0x15
	buffer_load_dword v57, off, s[0:3], 0 offset:120
	buffer_load_dword v58, off, s[0:3], 0 offset:124
	;; [unrolled: 1-line block ×22, first 2 shown]
	ds_read2_b64 v[53:56], v52 offset0:41 offset1:42
	s_mov_b32 s4, exec_lo
	s_waitcnt vmcnt(20) lgkmcnt(0)
	v_fma_f64 v[53:54], v[57:58], v[53:54], 0
	s_waitcnt vmcnt(18)
	v_fma_f64 v[57:58], v[59:60], v[55:56], v[53:54]
	ds_read2_b64 v[53:56], v52 offset0:43 offset1:44
	s_waitcnt vmcnt(16) lgkmcnt(0)
	v_fma_f64 v[53:54], v[61:62], v[53:54], v[57:58]
	s_waitcnt vmcnt(14)
	v_fma_f64 v[57:58], v[63:64], v[55:56], v[53:54]
	ds_read2_b64 v[53:56], v52 offset0:45 offset1:46
	;; [unrolled: 5-line block ×4, first 2 shown]
	s_waitcnt vmcnt(4) lgkmcnt(0)
	v_fma_f64 v[52:53], v[73:74], v[52:53], v[56:57]
	s_waitcnt vmcnt(2)
	v_fma_f64 v[52:53], v[75:76], v[54:55], v[52:53]
	s_waitcnt vmcnt(0)
	v_add_f64 v[52:53], v[77:78], -v[52:53]
	buffer_store_dword v52, off, s[0:3], 0 offset:112
	buffer_store_dword v53, off, s[0:3], 0 offset:116
	v_cmpx_lt_u32_e32 13, v0
	s_cbranch_execz .LBB24_133
; %bb.132:
	s_clause 0x1
	buffer_load_dword v52, off, s[0:3], 0 offset:104
	buffer_load_dword v53, off, s[0:3], 0 offset:108
	v_mov_b32_e32 v54, 0
	buffer_store_dword v54, off, s[0:3], 0 offset:104
	buffer_store_dword v54, off, s[0:3], 0 offset:108
	s_waitcnt vmcnt(0)
	ds_write_b64 v51, v[52:53]
.LBB24_133:
	s_or_b32 exec_lo, exec_lo, s4
	s_waitcnt lgkmcnt(0)
	s_waitcnt_vscnt null, 0x0
	s_barrier
	buffer_gl0_inv
	s_clause 0x17
	buffer_load_dword v61, off, s[0:3], 0 offset:112
	buffer_load_dword v62, off, s[0:3], 0 offset:116
	;; [unrolled: 1-line block ×24, first 2 shown]
	v_mov_b32_e32 v52, 0
	ds_read_b128 v[53:56], v52 offset:320
	ds_read_b128 v[57:60], v52 offset:336
	s_mov_b32 s4, exec_lo
	s_waitcnt vmcnt(22) lgkmcnt(1)
	v_fma_f64 v[53:54], v[61:62], v[53:54], 0
	s_waitcnt vmcnt(20)
	v_fma_f64 v[53:54], v[63:64], v[55:56], v[53:54]
	s_waitcnt vmcnt(18) lgkmcnt(0)
	v_fma_f64 v[53:54], v[65:66], v[57:58], v[53:54]
	s_waitcnt vmcnt(16)
	v_fma_f64 v[61:62], v[67:68], v[59:60], v[53:54]
	ds_read_b128 v[53:56], v52 offset:352
	ds_read_b128 v[57:60], v52 offset:368
	s_waitcnt vmcnt(14) lgkmcnt(1)
	v_fma_f64 v[53:54], v[69:70], v[53:54], v[61:62]
	s_waitcnt vmcnt(12)
	v_fma_f64 v[53:54], v[71:72], v[55:56], v[53:54]
	s_waitcnt vmcnt(10) lgkmcnt(0)
	v_fma_f64 v[53:54], v[73:74], v[57:58], v[53:54]
	s_waitcnt vmcnt(5)
	v_fma_f64 v[57:58], v[75:76], v[59:60], v[53:54]
	ds_read_b128 v[53:56], v52 offset:384
	ds_read_b64 v[59:60], v52 offset:400
	s_waitcnt vmcnt(4) lgkmcnt(1)
	v_fma_f64 v[53:54], v[81:82], v[53:54], v[57:58]
	s_waitcnt vmcnt(3)
	v_fma_f64 v[53:54], v[79:80], v[55:56], v[53:54]
	s_waitcnt vmcnt(2) lgkmcnt(0)
	v_fma_f64 v[53:54], v[77:78], v[59:60], v[53:54]
	s_waitcnt vmcnt(0)
	v_add_f64 v[53:54], v[83:84], -v[53:54]
	buffer_store_dword v54, off, s[0:3], 0 offset:108
	buffer_store_dword v53, off, s[0:3], 0 offset:104
	v_cmpx_lt_u32_e32 12, v0
	s_cbranch_execz .LBB24_135
; %bb.134:
	s_clause 0x1
	buffer_load_dword v53, off, s[0:3], 0 offset:96
	buffer_load_dword v54, off, s[0:3], 0 offset:100
	buffer_store_dword v52, off, s[0:3], 0 offset:96
	buffer_store_dword v52, off, s[0:3], 0 offset:100
	s_waitcnt vmcnt(0)
	ds_write_b64 v51, v[53:54]
.LBB24_135:
	s_or_b32 exec_lo, exec_lo, s4
	s_waitcnt lgkmcnt(0)
	s_waitcnt_vscnt null, 0x0
	s_barrier
	buffer_gl0_inv
	s_clause 0x19
	buffer_load_dword v61, off, s[0:3], 0 offset:104
	buffer_load_dword v62, off, s[0:3], 0 offset:108
	;; [unrolled: 1-line block ×26, first 2 shown]
	ds_read2_b64 v[53:56], v52 offset0:39 offset1:40
	ds_read2_b64 v[57:60], v52 offset0:41 offset1:42
	s_mov_b32 s4, exec_lo
	s_waitcnt vmcnt(24) lgkmcnt(1)
	v_fma_f64 v[53:54], v[61:62], v[53:54], 0
	s_waitcnt vmcnt(22)
	v_fma_f64 v[53:54], v[63:64], v[55:56], v[53:54]
	s_waitcnt vmcnt(20) lgkmcnt(0)
	v_fma_f64 v[53:54], v[65:66], v[57:58], v[53:54]
	s_waitcnt vmcnt(18)
	v_fma_f64 v[61:62], v[67:68], v[59:60], v[53:54]
	ds_read2_b64 v[53:56], v52 offset0:43 offset1:44
	ds_read2_b64 v[57:60], v52 offset0:45 offset1:46
	s_waitcnt vmcnt(16) lgkmcnt(1)
	v_fma_f64 v[53:54], v[69:70], v[53:54], v[61:62]
	s_waitcnt vmcnt(14)
	v_fma_f64 v[53:54], v[71:72], v[55:56], v[53:54]
	s_waitcnt vmcnt(12) lgkmcnt(0)
	v_fma_f64 v[53:54], v[73:74], v[57:58], v[53:54]
	s_waitcnt vmcnt(7)
	v_fma_f64 v[61:62], v[75:76], v[59:60], v[53:54]
	ds_read2_b64 v[53:56], v52 offset0:47 offset1:48
	ds_read2_b64 v[57:60], v52 offset0:49 offset1:50
	s_waitcnt vmcnt(6) lgkmcnt(1)
	v_fma_f64 v[52:53], v[81:82], v[53:54], v[61:62]
	s_waitcnt vmcnt(5)
	v_fma_f64 v[52:53], v[79:80], v[55:56], v[52:53]
	s_waitcnt vmcnt(4) lgkmcnt(0)
	v_fma_f64 v[52:53], v[77:78], v[57:58], v[52:53]
	s_waitcnt vmcnt(2)
	v_fma_f64 v[52:53], v[83:84], v[59:60], v[52:53]
	s_waitcnt vmcnt(0)
	v_add_f64 v[52:53], v[85:86], -v[52:53]
	buffer_store_dword v53, off, s[0:3], 0 offset:100
	buffer_store_dword v52, off, s[0:3], 0 offset:96
	v_cmpx_lt_u32_e32 11, v0
	s_cbranch_execz .LBB24_137
; %bb.136:
	s_clause 0x1
	buffer_load_dword v52, off, s[0:3], 0 offset:88
	buffer_load_dword v53, off, s[0:3], 0 offset:92
	v_mov_b32_e32 v54, 0
	buffer_store_dword v54, off, s[0:3], 0 offset:88
	buffer_store_dword v54, off, s[0:3], 0 offset:92
	s_waitcnt vmcnt(0)
	ds_write_b64 v51, v[52:53]
.LBB24_137:
	s_or_b32 exec_lo, exec_lo, s4
	s_waitcnt lgkmcnt(0)
	s_waitcnt_vscnt null, 0x0
	s_barrier
	buffer_gl0_inv
	s_clause 0x1b
	buffer_load_dword v61, off, s[0:3], 0 offset:96
	buffer_load_dword v62, off, s[0:3], 0 offset:100
	;; [unrolled: 1-line block ×28, first 2 shown]
	v_mov_b32_e32 v52, 0
	ds_read_b128 v[53:56], v52 offset:304
	ds_read_b128 v[57:60], v52 offset:320
	s_mov_b32 s4, exec_lo
	s_waitcnt vmcnt(26) lgkmcnt(1)
	v_fma_f64 v[53:54], v[61:62], v[53:54], 0
	s_waitcnt vmcnt(24)
	v_fma_f64 v[53:54], v[63:64], v[55:56], v[53:54]
	s_waitcnt vmcnt(22) lgkmcnt(0)
	v_fma_f64 v[53:54], v[65:66], v[57:58], v[53:54]
	s_waitcnt vmcnt(20)
	v_fma_f64 v[61:62], v[67:68], v[59:60], v[53:54]
	ds_read_b128 v[53:56], v52 offset:336
	ds_read_b128 v[57:60], v52 offset:352
	s_waitcnt vmcnt(18) lgkmcnt(1)
	v_fma_f64 v[53:54], v[69:70], v[53:54], v[61:62]
	s_waitcnt vmcnt(16)
	v_fma_f64 v[53:54], v[71:72], v[55:56], v[53:54]
	s_waitcnt vmcnt(14) lgkmcnt(0)
	v_fma_f64 v[53:54], v[73:74], v[57:58], v[53:54]
	s_waitcnt vmcnt(9)
	v_fma_f64 v[61:62], v[75:76], v[59:60], v[53:54]
	ds_read_b128 v[53:56], v52 offset:368
	ds_read_b128 v[57:60], v52 offset:384
	s_waitcnt vmcnt(8) lgkmcnt(1)
	v_fma_f64 v[53:54], v[81:82], v[53:54], v[61:62]
	s_waitcnt vmcnt(7)
	v_fma_f64 v[53:54], v[79:80], v[55:56], v[53:54]
	ds_read_b64 v[55:56], v52 offset:400
	s_waitcnt vmcnt(6) lgkmcnt(1)
	v_fma_f64 v[53:54], v[77:78], v[57:58], v[53:54]
	s_waitcnt vmcnt(3)
	v_fma_f64 v[53:54], v[83:84], v[59:60], v[53:54]
	s_waitcnt vmcnt(2) lgkmcnt(0)
	v_fma_f64 v[53:54], v[85:86], v[55:56], v[53:54]
	s_waitcnt vmcnt(0)
	v_add_f64 v[53:54], v[87:88], -v[53:54]
	buffer_store_dword v54, off, s[0:3], 0 offset:92
	buffer_store_dword v53, off, s[0:3], 0 offset:88
	v_cmpx_lt_u32_e32 10, v0
	s_cbranch_execz .LBB24_139
; %bb.138:
	s_clause 0x1
	buffer_load_dword v53, off, s[0:3], 0 offset:80
	buffer_load_dword v54, off, s[0:3], 0 offset:84
	buffer_store_dword v52, off, s[0:3], 0 offset:80
	buffer_store_dword v52, off, s[0:3], 0 offset:84
	s_waitcnt vmcnt(0)
	ds_write_b64 v51, v[53:54]
.LBB24_139:
	s_or_b32 exec_lo, exec_lo, s4
	s_waitcnt lgkmcnt(0)
	s_waitcnt_vscnt null, 0x0
	s_barrier
	buffer_gl0_inv
	s_clause 0x1b
	buffer_load_dword v61, off, s[0:3], 0 offset:88
	buffer_load_dword v62, off, s[0:3], 0 offset:92
	;; [unrolled: 1-line block ×28, first 2 shown]
	ds_read2_b64 v[53:56], v52 offset0:37 offset1:38
	s_clause 0x1
	buffer_load_dword v89, off, s[0:3], 0 offset:80
	buffer_load_dword v90, off, s[0:3], 0 offset:84
	ds_read2_b64 v[57:60], v52 offset0:39 offset1:40
	s_mov_b32 s4, exec_lo
	s_waitcnt vmcnt(28) lgkmcnt(1)
	v_fma_f64 v[53:54], v[61:62], v[53:54], 0
	s_waitcnt vmcnt(26)
	v_fma_f64 v[53:54], v[63:64], v[55:56], v[53:54]
	s_waitcnt vmcnt(24) lgkmcnt(0)
	v_fma_f64 v[53:54], v[65:66], v[57:58], v[53:54]
	s_waitcnt vmcnt(22)
	v_fma_f64 v[61:62], v[67:68], v[59:60], v[53:54]
	ds_read2_b64 v[53:56], v52 offset0:41 offset1:42
	ds_read2_b64 v[57:60], v52 offset0:43 offset1:44
	s_waitcnt vmcnt(20) lgkmcnt(1)
	v_fma_f64 v[53:54], v[69:70], v[53:54], v[61:62]
	s_waitcnt vmcnt(18)
	v_fma_f64 v[53:54], v[71:72], v[55:56], v[53:54]
	s_waitcnt vmcnt(16) lgkmcnt(0)
	v_fma_f64 v[53:54], v[73:74], v[57:58], v[53:54]
	s_waitcnt vmcnt(11)
	v_fma_f64 v[61:62], v[75:76], v[59:60], v[53:54]
	ds_read2_b64 v[53:56], v52 offset0:45 offset1:46
	ds_read2_b64 v[57:60], v52 offset0:47 offset1:48
	s_waitcnt vmcnt(10) lgkmcnt(1)
	v_fma_f64 v[53:54], v[81:82], v[53:54], v[61:62]
	s_waitcnt vmcnt(9)
	v_fma_f64 v[53:54], v[79:80], v[55:56], v[53:54]
	s_waitcnt vmcnt(8) lgkmcnt(0)
	v_fma_f64 v[53:54], v[77:78], v[57:58], v[53:54]
	s_waitcnt vmcnt(4)
	v_fma_f64 v[56:57], v[83:84], v[59:60], v[53:54]
	ds_read2_b64 v[52:55], v52 offset0:49 offset1:50
	s_waitcnt vmcnt(3) lgkmcnt(0)
	v_fma_f64 v[52:53], v[87:88], v[52:53], v[56:57]
	s_waitcnt vmcnt(2)
	v_fma_f64 v[52:53], v[85:86], v[54:55], v[52:53]
	s_waitcnt vmcnt(0)
	v_add_f64 v[52:53], v[89:90], -v[52:53]
	buffer_store_dword v53, off, s[0:3], 0 offset:84
	buffer_store_dword v52, off, s[0:3], 0 offset:80
	v_cmpx_lt_u32_e32 9, v0
	s_cbranch_execz .LBB24_141
; %bb.140:
	s_clause 0x1
	buffer_load_dword v52, off, s[0:3], 0 offset:72
	buffer_load_dword v53, off, s[0:3], 0 offset:76
	v_mov_b32_e32 v54, 0
	buffer_store_dword v54, off, s[0:3], 0 offset:72
	buffer_store_dword v54, off, s[0:3], 0 offset:76
	s_waitcnt vmcnt(0)
	ds_write_b64 v51, v[52:53]
.LBB24_141:
	s_or_b32 exec_lo, exec_lo, s4
	s_waitcnt lgkmcnt(0)
	s_waitcnt_vscnt null, 0x0
	s_barrier
	buffer_gl0_inv
	s_clause 0x1c
	buffer_load_dword v61, off, s[0:3], 0 offset:80
	buffer_load_dword v62, off, s[0:3], 0 offset:84
	;; [unrolled: 1-line block ×29, first 2 shown]
	v_mov_b32_e32 v52, 0
	buffer_load_dword v86, off, s[0:3], 0 offset:196
	s_mov_b32 s4, exec_lo
	ds_read_b128 v[53:56], v52 offset:288
	ds_read_b128 v[57:60], v52 offset:304
	s_waitcnt vmcnt(28) lgkmcnt(1)
	v_fma_f64 v[53:54], v[61:62], v[53:54], 0
	s_clause 0x1
	buffer_load_dword v61, off, s[0:3], 0 offset:72
	buffer_load_dword v62, off, s[0:3], 0 offset:76
	s_waitcnt vmcnt(28)
	v_fma_f64 v[53:54], v[63:64], v[55:56], v[53:54]
	s_waitcnt vmcnt(26) lgkmcnt(0)
	v_fma_f64 v[53:54], v[65:66], v[57:58], v[53:54]
	s_waitcnt vmcnt(24)
	v_fma_f64 v[63:64], v[67:68], v[59:60], v[53:54]
	ds_read_b128 v[53:56], v52 offset:320
	ds_read_b128 v[57:60], v52 offset:336
	s_waitcnt vmcnt(22) lgkmcnt(1)
	v_fma_f64 v[53:54], v[69:70], v[53:54], v[63:64]
	s_waitcnt vmcnt(20)
	v_fma_f64 v[53:54], v[71:72], v[55:56], v[53:54]
	s_waitcnt vmcnt(18) lgkmcnt(0)
	v_fma_f64 v[53:54], v[73:74], v[57:58], v[53:54]
	s_waitcnt vmcnt(13)
	v_fma_f64 v[63:64], v[75:76], v[59:60], v[53:54]
	ds_read_b128 v[53:56], v52 offset:352
	ds_read_b128 v[57:60], v52 offset:368
	s_waitcnt vmcnt(12) lgkmcnt(1)
	v_fma_f64 v[53:54], v[81:82], v[53:54], v[63:64]
	s_waitcnt vmcnt(11)
	v_fma_f64 v[53:54], v[79:80], v[55:56], v[53:54]
	s_waitcnt vmcnt(10) lgkmcnt(0)
	v_fma_f64 v[53:54], v[77:78], v[57:58], v[53:54]
	s_waitcnt vmcnt(5)
	v_fma_f64 v[57:58], v[83:84], v[59:60], v[53:54]
	ds_read_b128 v[53:56], v52 offset:384
	ds_read_b64 v[59:60], v52 offset:400
	s_waitcnt vmcnt(4) lgkmcnt(1)
	v_fma_f64 v[53:54], v[89:90], v[53:54], v[57:58]
	s_waitcnt vmcnt(3)
	v_fma_f64 v[53:54], v[87:88], v[55:56], v[53:54]
	s_waitcnt vmcnt(2) lgkmcnt(0)
	v_fma_f64 v[53:54], v[85:86], v[59:60], v[53:54]
	s_waitcnt vmcnt(0)
	v_add_f64 v[53:54], v[61:62], -v[53:54]
	buffer_store_dword v54, off, s[0:3], 0 offset:76
	buffer_store_dword v53, off, s[0:3], 0 offset:72
	v_cmpx_lt_u32_e32 8, v0
	s_cbranch_execz .LBB24_143
; %bb.142:
	s_clause 0x1
	buffer_load_dword v53, off, s[0:3], 0 offset:64
	buffer_load_dword v54, off, s[0:3], 0 offset:68
	buffer_store_dword v52, off, s[0:3], 0 offset:64
	buffer_store_dword v52, off, s[0:3], 0 offset:68
	s_waitcnt vmcnt(0)
	ds_write_b64 v51, v[53:54]
.LBB24_143:
	s_or_b32 exec_lo, exec_lo, s4
	s_waitcnt lgkmcnt(0)
	s_waitcnt_vscnt null, 0x0
	s_barrier
	buffer_gl0_inv
	s_clause 0x1c
	buffer_load_dword v61, off, s[0:3], 0 offset:72
	buffer_load_dword v62, off, s[0:3], 0 offset:76
	buffer_load_dword v63, off, s[0:3], 0 offset:80
	buffer_load_dword v64, off, s[0:3], 0 offset:84
	buffer_load_dword v65, off, s[0:3], 0 offset:88
	buffer_load_dword v66, off, s[0:3], 0 offset:92
	buffer_load_dword v67, off, s[0:3], 0 offset:96
	buffer_load_dword v68, off, s[0:3], 0 offset:100
	buffer_load_dword v69, off, s[0:3], 0 offset:104
	buffer_load_dword v70, off, s[0:3], 0 offset:108
	buffer_load_dword v71, off, s[0:3], 0 offset:112
	buffer_load_dword v72, off, s[0:3], 0 offset:116
	buffer_load_dword v73, off, s[0:3], 0 offset:120
	buffer_load_dword v74, off, s[0:3], 0 offset:124
	buffer_load_dword v76, off, s[0:3], 0 offset:132
	buffer_load_dword v77, off, s[0:3], 0 offset:152
	buffer_load_dword v79, off, s[0:3], 0 offset:144
	buffer_load_dword v81, off, s[0:3], 0 offset:136
	buffer_load_dword v75, off, s[0:3], 0 offset:128
	buffer_load_dword v82, off, s[0:3], 0 offset:140
	buffer_load_dword v80, off, s[0:3], 0 offset:148
	buffer_load_dword v78, off, s[0:3], 0 offset:156
	buffer_load_dword v84, off, s[0:3], 0 offset:164
	buffer_load_dword v85, off, s[0:3], 0 offset:184
	buffer_load_dword v87, off, s[0:3], 0 offset:176
	buffer_load_dword v89, off, s[0:3], 0 offset:168
	buffer_load_dword v83, off, s[0:3], 0 offset:160
	buffer_load_dword v90, off, s[0:3], 0 offset:172
	buffer_load_dword v88, off, s[0:3], 0 offset:180
	ds_read2_b64 v[53:56], v52 offset0:35 offset1:36
	ds_read2_b64 v[57:60], v52 offset0:37 offset1:38
	buffer_load_dword v86, off, s[0:3], 0 offset:188
	s_mov_b32 s4, exec_lo
	s_waitcnt vmcnt(28) lgkmcnt(1)
	v_fma_f64 v[53:54], v[61:62], v[53:54], 0
	s_clause 0x1
	buffer_load_dword v62, off, s[0:3], 0 offset:196
	buffer_load_dword v61, off, s[0:3], 0 offset:192
	s_waitcnt vmcnt(28)
	v_fma_f64 v[53:54], v[63:64], v[55:56], v[53:54]
	s_clause 0x1
	buffer_load_dword v63, off, s[0:3], 0 offset:64
	buffer_load_dword v64, off, s[0:3], 0 offset:68
	s_waitcnt vmcnt(28) lgkmcnt(0)
	v_fma_f64 v[53:54], v[65:66], v[57:58], v[53:54]
	s_waitcnt vmcnt(26)
	v_fma_f64 v[65:66], v[67:68], v[59:60], v[53:54]
	ds_read2_b64 v[53:56], v52 offset0:39 offset1:40
	ds_read2_b64 v[57:60], v52 offset0:41 offset1:42
	s_waitcnt vmcnt(24) lgkmcnt(1)
	v_fma_f64 v[53:54], v[69:70], v[53:54], v[65:66]
	s_waitcnt vmcnt(22)
	v_fma_f64 v[53:54], v[71:72], v[55:56], v[53:54]
	s_waitcnt vmcnt(20) lgkmcnt(0)
	v_fma_f64 v[53:54], v[73:74], v[57:58], v[53:54]
	s_waitcnt vmcnt(15)
	v_fma_f64 v[65:66], v[75:76], v[59:60], v[53:54]
	ds_read2_b64 v[53:56], v52 offset0:43 offset1:44
	ds_read2_b64 v[57:60], v52 offset0:45 offset1:46
	s_waitcnt vmcnt(14) lgkmcnt(1)
	v_fma_f64 v[53:54], v[81:82], v[53:54], v[65:66]
	s_waitcnt vmcnt(13)
	v_fma_f64 v[53:54], v[79:80], v[55:56], v[53:54]
	;; [unrolled: 10-line block ×3, first 2 shown]
	s_waitcnt vmcnt(4) lgkmcnt(0)
	v_fma_f64 v[52:53], v[85:86], v[57:58], v[52:53]
	s_waitcnt vmcnt(2)
	v_fma_f64 v[52:53], v[61:62], v[59:60], v[52:53]
	s_waitcnt vmcnt(0)
	v_add_f64 v[52:53], v[63:64], -v[52:53]
	buffer_store_dword v53, off, s[0:3], 0 offset:68
	buffer_store_dword v52, off, s[0:3], 0 offset:64
	v_cmpx_lt_u32_e32 7, v0
	s_cbranch_execz .LBB24_145
; %bb.144:
	s_clause 0x1
	buffer_load_dword v52, off, s[0:3], 0 offset:56
	buffer_load_dword v53, off, s[0:3], 0 offset:60
	v_mov_b32_e32 v54, 0
	buffer_store_dword v54, off, s[0:3], 0 offset:56
	buffer_store_dword v54, off, s[0:3], 0 offset:60
	s_waitcnt vmcnt(0)
	ds_write_b64 v51, v[52:53]
.LBB24_145:
	s_or_b32 exec_lo, exec_lo, s4
	s_waitcnt lgkmcnt(0)
	s_waitcnt_vscnt null, 0x0
	s_barrier
	buffer_gl0_inv
	s_clause 0x1c
	buffer_load_dword v61, off, s[0:3], 0 offset:64
	buffer_load_dword v62, off, s[0:3], 0 offset:68
	;; [unrolled: 1-line block ×29, first 2 shown]
	v_mov_b32_e32 v52, 0
	buffer_load_dword v86, off, s[0:3], 0 offset:180
	s_mov_b32 s4, exec_lo
	ds_read_b128 v[53:56], v52 offset:272
	ds_read_b128 v[57:60], v52 offset:288
	s_waitcnt vmcnt(28) lgkmcnt(1)
	v_fma_f64 v[53:54], v[61:62], v[53:54], 0
	s_clause 0x3
	buffer_load_dword v62, off, s[0:3], 0 offset:188
	buffer_load_dword v91, off, s[0:3], 0 offset:192
	;; [unrolled: 1-line block ×4, first 2 shown]
	s_waitcnt vmcnt(30)
	v_fma_f64 v[53:54], v[63:64], v[55:56], v[53:54]
	s_clause 0x1
	buffer_load_dword v63, off, s[0:3], 0 offset:56
	buffer_load_dword v64, off, s[0:3], 0 offset:60
	s_waitcnt vmcnt(30) lgkmcnt(0)
	v_fma_f64 v[53:54], v[65:66], v[57:58], v[53:54]
	s_waitcnt vmcnt(28)
	v_fma_f64 v[65:66], v[67:68], v[59:60], v[53:54]
	ds_read_b128 v[53:56], v52 offset:304
	ds_read_b128 v[57:60], v52 offset:320
	s_waitcnt vmcnt(26) lgkmcnt(1)
	v_fma_f64 v[53:54], v[69:70], v[53:54], v[65:66]
	s_waitcnt vmcnt(24)
	v_fma_f64 v[53:54], v[71:72], v[55:56], v[53:54]
	s_waitcnt vmcnt(22) lgkmcnt(0)
	v_fma_f64 v[53:54], v[73:74], v[57:58], v[53:54]
	s_waitcnt vmcnt(17)
	v_fma_f64 v[65:66], v[75:76], v[59:60], v[53:54]
	ds_read_b128 v[53:56], v52 offset:336
	ds_read_b128 v[57:60], v52 offset:352
	s_waitcnt vmcnt(16) lgkmcnt(1)
	v_fma_f64 v[53:54], v[81:82], v[53:54], v[65:66]
	s_waitcnt vmcnt(15)
	v_fma_f64 v[53:54], v[79:80], v[55:56], v[53:54]
	;; [unrolled: 10-line block ×3, first 2 shown]
	ds_read_b64 v[55:56], v52 offset:400
	s_waitcnt vmcnt(6) lgkmcnt(1)
	v_fma_f64 v[53:54], v[85:86], v[57:58], v[53:54]
	s_waitcnt vmcnt(3)
	v_fma_f64 v[53:54], v[61:62], v[59:60], v[53:54]
	s_waitcnt vmcnt(2) lgkmcnt(0)
	v_fma_f64 v[53:54], v[91:92], v[55:56], v[53:54]
	s_waitcnt vmcnt(0)
	v_add_f64 v[53:54], v[63:64], -v[53:54]
	buffer_store_dword v54, off, s[0:3], 0 offset:60
	buffer_store_dword v53, off, s[0:3], 0 offset:56
	v_cmpx_lt_u32_e32 6, v0
	s_cbranch_execz .LBB24_147
; %bb.146:
	s_clause 0x1
	buffer_load_dword v53, off, s[0:3], 0 offset:48
	buffer_load_dword v54, off, s[0:3], 0 offset:52
	buffer_store_dword v52, off, s[0:3], 0 offset:48
	buffer_store_dword v52, off, s[0:3], 0 offset:52
	s_waitcnt vmcnt(0)
	ds_write_b64 v51, v[53:54]
.LBB24_147:
	s_or_b32 exec_lo, exec_lo, s4
	s_waitcnt lgkmcnt(0)
	s_waitcnt_vscnt null, 0x0
	s_barrier
	buffer_gl0_inv
	s_clause 0x1c
	buffer_load_dword v61, off, s[0:3], 0 offset:56
	buffer_load_dword v62, off, s[0:3], 0 offset:60
	;; [unrolled: 1-line block ×29, first 2 shown]
	ds_read2_b64 v[53:56], v52 offset0:33 offset1:34
	ds_read2_b64 v[57:60], v52 offset0:35 offset1:36
	buffer_load_dword v86, off, s[0:3], 0 offset:172
	s_mov_b32 s4, exec_lo
	s_waitcnt vmcnt(28) lgkmcnt(1)
	v_fma_f64 v[53:54], v[61:62], v[53:54], 0
	s_clause 0x5
	buffer_load_dword v62, off, s[0:3], 0 offset:180
	buffer_load_dword v91, off, s[0:3], 0 offset:192
	;; [unrolled: 1-line block ×6, first 2 shown]
	s_waitcnt vmcnt(32)
	v_fma_f64 v[53:54], v[63:64], v[55:56], v[53:54]
	s_waitcnt vmcnt(30) lgkmcnt(0)
	v_fma_f64 v[53:54], v[65:66], v[57:58], v[53:54]
	s_waitcnt vmcnt(28)
	v_fma_f64 v[63:64], v[67:68], v[59:60], v[53:54]
	ds_read2_b64 v[53:56], v52 offset0:37 offset1:38
	s_clause 0x1
	buffer_load_dword v65, off, s[0:3], 0 offset:48
	buffer_load_dword v66, off, s[0:3], 0 offset:52
	ds_read2_b64 v[57:60], v52 offset0:39 offset1:40
	s_waitcnt vmcnt(28) lgkmcnt(1)
	v_fma_f64 v[53:54], v[69:70], v[53:54], v[63:64]
	s_waitcnt vmcnt(26)
	v_fma_f64 v[53:54], v[71:72], v[55:56], v[53:54]
	s_waitcnt vmcnt(24) lgkmcnt(0)
	v_fma_f64 v[53:54], v[73:74], v[57:58], v[53:54]
	s_waitcnt vmcnt(19)
	v_fma_f64 v[63:64], v[75:76], v[59:60], v[53:54]
	ds_read2_b64 v[53:56], v52 offset0:41 offset1:42
	ds_read2_b64 v[57:60], v52 offset0:43 offset1:44
	s_waitcnt vmcnt(18) lgkmcnt(1)
	v_fma_f64 v[53:54], v[81:82], v[53:54], v[63:64]
	s_waitcnt vmcnt(17)
	v_fma_f64 v[53:54], v[79:80], v[55:56], v[53:54]
	s_waitcnt vmcnt(16) lgkmcnt(0)
	v_fma_f64 v[53:54], v[77:78], v[57:58], v[53:54]
	s_waitcnt vmcnt(11)
	v_fma_f64 v[63:64], v[83:84], v[59:60], v[53:54]
	ds_read2_b64 v[53:56], v52 offset0:45 offset1:46
	ds_read2_b64 v[57:60], v52 offset0:47 offset1:48
	s_waitcnt vmcnt(10) lgkmcnt(1)
	v_fma_f64 v[53:54], v[89:90], v[53:54], v[63:64]
	s_waitcnt vmcnt(9)
	v_fma_f64 v[53:54], v[87:88], v[55:56], v[53:54]
	s_waitcnt vmcnt(8) lgkmcnt(0)
	v_fma_f64 v[53:54], v[85:86], v[57:58], v[53:54]
	s_waitcnt vmcnt(4)
	v_fma_f64 v[56:57], v[61:62], v[59:60], v[53:54]
	ds_read2_b64 v[52:55], v52 offset0:49 offset1:50
	s_waitcnt vmcnt(3) lgkmcnt(0)
	v_fma_f64 v[52:53], v[93:94], v[52:53], v[56:57]
	s_waitcnt vmcnt(2)
	v_fma_f64 v[52:53], v[91:92], v[54:55], v[52:53]
	s_waitcnt vmcnt(0)
	v_add_f64 v[52:53], v[65:66], -v[52:53]
	buffer_store_dword v53, off, s[0:3], 0 offset:52
	buffer_store_dword v52, off, s[0:3], 0 offset:48
	v_cmpx_lt_u32_e32 5, v0
	s_cbranch_execz .LBB24_149
; %bb.148:
	s_clause 0x1
	buffer_load_dword v52, off, s[0:3], 0 offset:40
	buffer_load_dword v53, off, s[0:3], 0 offset:44
	v_mov_b32_e32 v54, 0
	buffer_store_dword v54, off, s[0:3], 0 offset:40
	buffer_store_dword v54, off, s[0:3], 0 offset:44
	s_waitcnt vmcnt(0)
	ds_write_b64 v51, v[52:53]
.LBB24_149:
	s_or_b32 exec_lo, exec_lo, s4
	s_waitcnt lgkmcnt(0)
	s_waitcnt_vscnt null, 0x0
	s_barrier
	buffer_gl0_inv
	s_clause 0x1c
	buffer_load_dword v61, off, s[0:3], 0 offset:48
	buffer_load_dword v62, off, s[0:3], 0 offset:52
	;; [unrolled: 1-line block ×29, first 2 shown]
	v_mov_b32_e32 v52, 0
	buffer_load_dword v86, off, s[0:3], 0 offset:164
	s_mov_b32 s4, exec_lo
	ds_read_b128 v[53:56], v52 offset:256
	ds_read_b128 v[57:60], v52 offset:272
	s_waitcnt vmcnt(28) lgkmcnt(1)
	v_fma_f64 v[53:54], v[61:62], v[53:54], 0
	s_clause 0x7
	buffer_load_dword v62, off, s[0:3], 0 offset:172
	buffer_load_dword v91, off, s[0:3], 0 offset:192
	;; [unrolled: 1-line block ×8, first 2 shown]
	s_waitcnt vmcnt(34)
	v_fma_f64 v[53:54], v[63:64], v[55:56], v[53:54]
	s_waitcnt vmcnt(32) lgkmcnt(0)
	v_fma_f64 v[53:54], v[65:66], v[57:58], v[53:54]
	s_waitcnt vmcnt(30)
	v_fma_f64 v[63:64], v[67:68], v[59:60], v[53:54]
	ds_read_b128 v[53:56], v52 offset:288
	ds_read_b128 v[57:60], v52 offset:304
	s_waitcnt vmcnt(28) lgkmcnt(1)
	v_fma_f64 v[53:54], v[69:70], v[53:54], v[63:64]
	s_clause 0x1
	buffer_load_dword v63, off, s[0:3], 0 offset:40
	buffer_load_dword v64, off, s[0:3], 0 offset:44
	s_waitcnt vmcnt(28)
	v_fma_f64 v[53:54], v[71:72], v[55:56], v[53:54]
	s_waitcnt vmcnt(26) lgkmcnt(0)
	v_fma_f64 v[53:54], v[73:74], v[57:58], v[53:54]
	s_waitcnt vmcnt(21)
	v_fma_f64 v[65:66], v[75:76], v[59:60], v[53:54]
	ds_read_b128 v[53:56], v52 offset:320
	ds_read_b128 v[57:60], v52 offset:336
	s_waitcnt vmcnt(20) lgkmcnt(1)
	v_fma_f64 v[53:54], v[81:82], v[53:54], v[65:66]
	s_waitcnt vmcnt(19)
	v_fma_f64 v[53:54], v[79:80], v[55:56], v[53:54]
	s_waitcnt vmcnt(18) lgkmcnt(0)
	v_fma_f64 v[53:54], v[77:78], v[57:58], v[53:54]
	s_waitcnt vmcnt(13)
	v_fma_f64 v[65:66], v[83:84], v[59:60], v[53:54]
	ds_read_b128 v[53:56], v52 offset:352
	ds_read_b128 v[57:60], v52 offset:368
	s_waitcnt vmcnt(12) lgkmcnt(1)
	v_fma_f64 v[53:54], v[89:90], v[53:54], v[65:66]
	s_waitcnt vmcnt(11)
	v_fma_f64 v[53:54], v[87:88], v[55:56], v[53:54]
	s_waitcnt vmcnt(10) lgkmcnt(0)
	v_fma_f64 v[53:54], v[85:86], v[57:58], v[53:54]
	s_waitcnt vmcnt(5)
	v_fma_f64 v[57:58], v[61:62], v[59:60], v[53:54]
	ds_read_b128 v[53:56], v52 offset:384
	ds_read_b64 v[59:60], v52 offset:400
	s_waitcnt vmcnt(4) lgkmcnt(1)
	v_fma_f64 v[53:54], v[95:96], v[53:54], v[57:58]
	s_waitcnt vmcnt(3)
	v_fma_f64 v[53:54], v[93:94], v[55:56], v[53:54]
	s_waitcnt vmcnt(2) lgkmcnt(0)
	v_fma_f64 v[53:54], v[91:92], v[59:60], v[53:54]
	s_waitcnt vmcnt(0)
	v_add_f64 v[53:54], v[63:64], -v[53:54]
	buffer_store_dword v54, off, s[0:3], 0 offset:44
	buffer_store_dword v53, off, s[0:3], 0 offset:40
	v_cmpx_lt_u32_e32 4, v0
	s_cbranch_execz .LBB24_151
; %bb.150:
	s_clause 0x1
	buffer_load_dword v53, off, s[0:3], 0 offset:32
	buffer_load_dword v54, off, s[0:3], 0 offset:36
	buffer_store_dword v52, off, s[0:3], 0 offset:32
	buffer_store_dword v52, off, s[0:3], 0 offset:36
	s_waitcnt vmcnt(0)
	ds_write_b64 v51, v[53:54]
.LBB24_151:
	s_or_b32 exec_lo, exec_lo, s4
	s_waitcnt lgkmcnt(0)
	s_waitcnt_vscnt null, 0x0
	s_barrier
	buffer_gl0_inv
	s_clause 0x1c
	buffer_load_dword v61, off, s[0:3], 0 offset:40
	buffer_load_dword v62, off, s[0:3], 0 offset:44
	;; [unrolled: 1-line block ×29, first 2 shown]
	ds_read2_b64 v[53:56], v52 offset0:31 offset1:32
	ds_read2_b64 v[57:60], v52 offset0:33 offset1:34
	buffer_load_dword v86, off, s[0:3], 0 offset:156
	s_mov_b32 s4, exec_lo
	s_waitcnt vmcnt(28) lgkmcnt(1)
	v_fma_f64 v[53:54], v[61:62], v[53:54], 0
	s_clause 0x7
	buffer_load_dword v62, off, s[0:3], 0 offset:164
	buffer_load_dword v91, off, s[0:3], 0 offset:184
	;; [unrolled: 1-line block ×8, first 2 shown]
	s_waitcnt vmcnt(34)
	v_fma_f64 v[53:54], v[63:64], v[55:56], v[53:54]
	s_waitcnt vmcnt(32) lgkmcnt(0)
	v_fma_f64 v[53:54], v[65:66], v[57:58], v[53:54]
	s_waitcnt vmcnt(30)
	v_fma_f64 v[63:64], v[67:68], v[59:60], v[53:54]
	ds_read2_b64 v[53:56], v52 offset0:35 offset1:36
	ds_read2_b64 v[57:60], v52 offset0:37 offset1:38
	s_waitcnt vmcnt(28) lgkmcnt(1)
	v_fma_f64 v[53:54], v[69:70], v[53:54], v[63:64]
	s_clause 0x3
	buffer_load_dword v64, off, s[0:3], 0 offset:196
	buffer_load_dword v63, off, s[0:3], 0 offset:192
	;; [unrolled: 1-line block ×4, first 2 shown]
	s_waitcnt vmcnt(30)
	v_fma_f64 v[53:54], v[71:72], v[55:56], v[53:54]
	s_waitcnt vmcnt(28) lgkmcnt(0)
	v_fma_f64 v[53:54], v[73:74], v[57:58], v[53:54]
	s_waitcnt vmcnt(23)
	v_fma_f64 v[67:68], v[75:76], v[59:60], v[53:54]
	ds_read2_b64 v[53:56], v52 offset0:39 offset1:40
	ds_read2_b64 v[57:60], v52 offset0:41 offset1:42
	s_waitcnt vmcnt(22) lgkmcnt(1)
	v_fma_f64 v[53:54], v[81:82], v[53:54], v[67:68]
	s_waitcnt vmcnt(21)
	v_fma_f64 v[53:54], v[79:80], v[55:56], v[53:54]
	s_waitcnt vmcnt(20) lgkmcnt(0)
	v_fma_f64 v[53:54], v[77:78], v[57:58], v[53:54]
	s_waitcnt vmcnt(15)
	v_fma_f64 v[67:68], v[83:84], v[59:60], v[53:54]
	ds_read2_b64 v[53:56], v52 offset0:43 offset1:44
	ds_read2_b64 v[57:60], v52 offset0:45 offset1:46
	s_waitcnt vmcnt(14) lgkmcnt(1)
	v_fma_f64 v[53:54], v[89:90], v[53:54], v[67:68]
	;; [unrolled: 10-line block ×3, first 2 shown]
	s_waitcnt vmcnt(5)
	v_fma_f64 v[52:53], v[93:94], v[55:56], v[52:53]
	s_waitcnt vmcnt(4) lgkmcnt(0)
	v_fma_f64 v[52:53], v[91:92], v[57:58], v[52:53]
	s_waitcnt vmcnt(2)
	v_fma_f64 v[52:53], v[63:64], v[59:60], v[52:53]
	s_waitcnt vmcnt(0)
	v_add_f64 v[52:53], v[65:66], -v[52:53]
	buffer_store_dword v53, off, s[0:3], 0 offset:36
	buffer_store_dword v52, off, s[0:3], 0 offset:32
	v_cmpx_lt_u32_e32 3, v0
	s_cbranch_execz .LBB24_153
; %bb.152:
	s_clause 0x1
	buffer_load_dword v52, off, s[0:3], 0 offset:24
	buffer_load_dword v53, off, s[0:3], 0 offset:28
	v_mov_b32_e32 v54, 0
	buffer_store_dword v54, off, s[0:3], 0 offset:24
	buffer_store_dword v54, off, s[0:3], 0 offset:28
	s_waitcnt vmcnt(0)
	ds_write_b64 v51, v[52:53]
.LBB24_153:
	s_or_b32 exec_lo, exec_lo, s4
	s_waitcnt lgkmcnt(0)
	s_waitcnt_vscnt null, 0x0
	s_barrier
	buffer_gl0_inv
	s_clause 0x1c
	buffer_load_dword v61, off, s[0:3], 0 offset:32
	buffer_load_dword v62, off, s[0:3], 0 offset:36
	;; [unrolled: 1-line block ×29, first 2 shown]
	v_mov_b32_e32 v52, 0
	buffer_load_dword v86, off, s[0:3], 0 offset:148
	s_mov_b32 s4, exec_lo
	ds_read_b128 v[53:56], v52 offset:240
	ds_read_b128 v[57:60], v52 offset:256
	s_waitcnt vmcnt(28) lgkmcnt(1)
	v_fma_f64 v[53:54], v[61:62], v[53:54], 0
	s_clause 0x7
	buffer_load_dword v62, off, s[0:3], 0 offset:156
	buffer_load_dword v91, off, s[0:3], 0 offset:176
	;; [unrolled: 1-line block ×8, first 2 shown]
	s_waitcnt vmcnt(34)
	v_fma_f64 v[53:54], v[63:64], v[55:56], v[53:54]
	s_waitcnt vmcnt(32) lgkmcnt(0)
	v_fma_f64 v[53:54], v[65:66], v[57:58], v[53:54]
	s_waitcnt vmcnt(30)
	v_fma_f64 v[63:64], v[67:68], v[59:60], v[53:54]
	ds_read_b128 v[53:56], v52 offset:272
	ds_read_b128 v[57:60], v52 offset:288
	s_waitcnt vmcnt(28) lgkmcnt(1)
	v_fma_f64 v[53:54], v[69:70], v[53:54], v[63:64]
	s_clause 0x5
	buffer_load_dword v64, off, s[0:3], 0 offset:188
	buffer_load_dword v65, off, s[0:3], 0 offset:192
	;; [unrolled: 1-line block ×6, first 2 shown]
	s_waitcnt vmcnt(32)
	v_fma_f64 v[53:54], v[71:72], v[55:56], v[53:54]
	s_waitcnt vmcnt(30) lgkmcnt(0)
	v_fma_f64 v[53:54], v[73:74], v[57:58], v[53:54]
	s_waitcnt vmcnt(25)
	v_fma_f64 v[69:70], v[75:76], v[59:60], v[53:54]
	ds_read_b128 v[53:56], v52 offset:304
	ds_read_b128 v[57:60], v52 offset:320
	s_waitcnt vmcnt(24) lgkmcnt(1)
	v_fma_f64 v[53:54], v[81:82], v[53:54], v[69:70]
	s_waitcnt vmcnt(23)
	v_fma_f64 v[53:54], v[79:80], v[55:56], v[53:54]
	s_waitcnt vmcnt(22) lgkmcnt(0)
	v_fma_f64 v[53:54], v[77:78], v[57:58], v[53:54]
	s_waitcnt vmcnt(17)
	v_fma_f64 v[69:70], v[83:84], v[59:60], v[53:54]
	ds_read_b128 v[53:56], v52 offset:336
	ds_read_b128 v[57:60], v52 offset:352
	s_waitcnt vmcnt(16) lgkmcnt(1)
	v_fma_f64 v[53:54], v[89:90], v[53:54], v[69:70]
	;; [unrolled: 10-line block ×3, first 2 shown]
	s_waitcnt vmcnt(7)
	v_fma_f64 v[53:54], v[93:94], v[55:56], v[53:54]
	ds_read_b64 v[55:56], v52 offset:400
	s_waitcnt vmcnt(6) lgkmcnt(1)
	v_fma_f64 v[53:54], v[91:92], v[57:58], v[53:54]
	s_waitcnt vmcnt(3)
	v_fma_f64 v[53:54], v[63:64], v[59:60], v[53:54]
	s_waitcnt vmcnt(2) lgkmcnt(0)
	v_fma_f64 v[53:54], v[65:66], v[55:56], v[53:54]
	s_waitcnt vmcnt(0)
	v_add_f64 v[53:54], v[67:68], -v[53:54]
	buffer_store_dword v54, off, s[0:3], 0 offset:28
	buffer_store_dword v53, off, s[0:3], 0 offset:24
	v_cmpx_lt_u32_e32 2, v0
	s_cbranch_execz .LBB24_155
; %bb.154:
	s_clause 0x1
	buffer_load_dword v53, off, s[0:3], 0 offset:16
	buffer_load_dword v54, off, s[0:3], 0 offset:20
	buffer_store_dword v52, off, s[0:3], 0 offset:16
	buffer_store_dword v52, off, s[0:3], 0 offset:20
	s_waitcnt vmcnt(0)
	ds_write_b64 v51, v[53:54]
.LBB24_155:
	s_or_b32 exec_lo, exec_lo, s4
	s_waitcnt lgkmcnt(0)
	s_waitcnt_vscnt null, 0x0
	s_barrier
	buffer_gl0_inv
	s_clause 0x1c
	buffer_load_dword v61, off, s[0:3], 0 offset:24
	buffer_load_dword v62, off, s[0:3], 0 offset:28
	;; [unrolled: 1-line block ×29, first 2 shown]
	ds_read2_b64 v[53:56], v52 offset0:29 offset1:30
	ds_read2_b64 v[57:60], v52 offset0:31 offset1:32
	buffer_load_dword v86, off, s[0:3], 0 offset:140
	s_mov_b32 s4, exec_lo
	s_waitcnt vmcnt(28) lgkmcnt(1)
	v_fma_f64 v[53:54], v[61:62], v[53:54], 0
	s_clause 0x7
	buffer_load_dword v62, off, s[0:3], 0 offset:148
	buffer_load_dword v91, off, s[0:3], 0 offset:168
	;; [unrolled: 1-line block ×8, first 2 shown]
	s_waitcnt vmcnt(34)
	v_fma_f64 v[53:54], v[63:64], v[55:56], v[53:54]
	s_waitcnt vmcnt(32) lgkmcnt(0)
	v_fma_f64 v[53:54], v[65:66], v[57:58], v[53:54]
	s_waitcnt vmcnt(30)
	v_fma_f64 v[63:64], v[67:68], v[59:60], v[53:54]
	ds_read2_b64 v[53:56], v52 offset0:33 offset1:34
	ds_read2_b64 v[57:60], v52 offset0:35 offset1:36
	s_waitcnt vmcnt(28) lgkmcnt(1)
	v_fma_f64 v[53:54], v[69:70], v[53:54], v[63:64]
	s_clause 0x5
	buffer_load_dword v64, off, s[0:3], 0 offset:180
	buffer_load_dword v65, off, s[0:3], 0 offset:192
	;; [unrolled: 1-line block ×6, first 2 shown]
	s_waitcnt vmcnt(32)
	v_fma_f64 v[53:54], v[71:72], v[55:56], v[53:54]
	s_waitcnt vmcnt(30) lgkmcnt(0)
	v_fma_f64 v[53:54], v[73:74], v[57:58], v[53:54]
	s_waitcnt vmcnt(25)
	v_fma_f64 v[69:70], v[75:76], v[59:60], v[53:54]
	ds_read2_b64 v[53:56], v52 offset0:37 offset1:38
	s_clause 0x1
	buffer_load_dword v71, off, s[0:3], 0 offset:16
	buffer_load_dword v72, off, s[0:3], 0 offset:20
	ds_read2_b64 v[57:60], v52 offset0:39 offset1:40
	s_waitcnt vmcnt(26) lgkmcnt(1)
	v_fma_f64 v[53:54], v[81:82], v[53:54], v[69:70]
	s_waitcnt vmcnt(25)
	v_fma_f64 v[53:54], v[79:80], v[55:56], v[53:54]
	s_waitcnt vmcnt(24) lgkmcnt(0)
	v_fma_f64 v[53:54], v[77:78], v[57:58], v[53:54]
	s_waitcnt vmcnt(19)
	v_fma_f64 v[69:70], v[83:84], v[59:60], v[53:54]
	ds_read2_b64 v[53:56], v52 offset0:41 offset1:42
	ds_read2_b64 v[57:60], v52 offset0:43 offset1:44
	s_waitcnt vmcnt(18) lgkmcnt(1)
	v_fma_f64 v[53:54], v[89:90], v[53:54], v[69:70]
	s_waitcnt vmcnt(17)
	v_fma_f64 v[53:54], v[87:88], v[55:56], v[53:54]
	s_waitcnt vmcnt(16) lgkmcnt(0)
	v_fma_f64 v[53:54], v[85:86], v[57:58], v[53:54]
	s_waitcnt vmcnt(11)
	v_fma_f64 v[61:62], v[61:62], v[59:60], v[53:54]
	ds_read2_b64 v[53:56], v52 offset0:45 offset1:46
	;; [unrolled: 10-line block ×3, first 2 shown]
	s_waitcnt vmcnt(3) lgkmcnt(0)
	v_fma_f64 v[52:53], v[67:68], v[52:53], v[56:57]
	s_waitcnt vmcnt(2)
	v_fma_f64 v[52:53], v[65:66], v[54:55], v[52:53]
	s_waitcnt vmcnt(0)
	v_add_f64 v[52:53], v[71:72], -v[52:53]
	buffer_store_dword v53, off, s[0:3], 0 offset:20
	buffer_store_dword v52, off, s[0:3], 0 offset:16
	v_cmpx_lt_u32_e32 1, v0
	s_cbranch_execz .LBB24_157
; %bb.156:
	s_clause 0x1
	buffer_load_dword v52, off, s[0:3], 0 offset:8
	buffer_load_dword v53, off, s[0:3], 0 offset:12
	v_mov_b32_e32 v54, 0
	buffer_store_dword v54, off, s[0:3], 0 offset:8
	buffer_store_dword v54, off, s[0:3], 0 offset:12
	s_waitcnt vmcnt(0)
	ds_write_b64 v51, v[52:53]
.LBB24_157:
	s_or_b32 exec_lo, exec_lo, s4
	s_waitcnt lgkmcnt(0)
	s_waitcnt_vscnt null, 0x0
	s_barrier
	buffer_gl0_inv
	s_clause 0x1c
	buffer_load_dword v62, off, s[0:3], 0 offset:16
	buffer_load_dword v63, off, s[0:3], 0 offset:20
	buffer_load_dword v64, off, s[0:3], 0 offset:24
	buffer_load_dword v65, off, s[0:3], 0 offset:28
	buffer_load_dword v66, off, s[0:3], 0 offset:32
	buffer_load_dword v67, off, s[0:3], 0 offset:36
	buffer_load_dword v68, off, s[0:3], 0 offset:40
	buffer_load_dword v69, off, s[0:3], 0 offset:44
	buffer_load_dword v70, off, s[0:3], 0 offset:48
	buffer_load_dword v71, off, s[0:3], 0 offset:52
	buffer_load_dword v72, off, s[0:3], 0 offset:56
	buffer_load_dword v73, off, s[0:3], 0 offset:60
	buffer_load_dword v74, off, s[0:3], 0 offset:64
	buffer_load_dword v75, off, s[0:3], 0 offset:68
	buffer_load_dword v77, off, s[0:3], 0 offset:76
	buffer_load_dword v78, off, s[0:3], 0 offset:96
	buffer_load_dword v80, off, s[0:3], 0 offset:88
	buffer_load_dword v82, off, s[0:3], 0 offset:80
	buffer_load_dword v76, off, s[0:3], 0 offset:72
	buffer_load_dword v83, off, s[0:3], 0 offset:84
	buffer_load_dword v81, off, s[0:3], 0 offset:92
	buffer_load_dword v79, off, s[0:3], 0 offset:100
	buffer_load_dword v85, off, s[0:3], 0 offset:108
	buffer_load_dword v86, off, s[0:3], 0 offset:128
	buffer_load_dword v88, off, s[0:3], 0 offset:120
	buffer_load_dword v90, off, s[0:3], 0 offset:112
	buffer_load_dword v84, off, s[0:3], 0 offset:104
	buffer_load_dword v91, off, s[0:3], 0 offset:116
	buffer_load_dword v89, off, s[0:3], 0 offset:124
	v_mov_b32_e32 v53, 0
	buffer_load_dword v87, off, s[0:3], 0 offset:132
	s_mov_b32 s4, exec_lo
	ds_read_b128 v[54:57], v53 offset:224
	ds_read_b128 v[58:61], v53 offset:240
	s_waitcnt vmcnt(28) lgkmcnt(1)
	v_fma_f64 v[54:55], v[62:63], v[54:55], 0
	s_clause 0x7
	buffer_load_dword v63, off, s[0:3], 0 offset:140
	buffer_load_dword v92, off, s[0:3], 0 offset:160
	;; [unrolled: 1-line block ×8, first 2 shown]
	s_waitcnt vmcnt(34)
	v_fma_f64 v[54:55], v[64:65], v[56:57], v[54:55]
	s_waitcnt vmcnt(32) lgkmcnt(0)
	v_fma_f64 v[54:55], v[66:67], v[58:59], v[54:55]
	s_waitcnt vmcnt(30)
	v_fma_f64 v[64:65], v[68:69], v[60:61], v[54:55]
	ds_read_b128 v[54:57], v53 offset:256
	ds_read_b128 v[58:61], v53 offset:272
	s_waitcnt vmcnt(28) lgkmcnt(1)
	v_fma_f64 v[54:55], v[70:71], v[54:55], v[64:65]
	s_clause 0x7
	buffer_load_dword v65, off, s[0:3], 0 offset:172
	buffer_load_dword v66, off, s[0:3], 0 offset:192
	;; [unrolled: 1-line block ×8, first 2 shown]
	s_waitcnt vmcnt(34)
	v_fma_f64 v[54:55], v[72:73], v[56:57], v[54:55]
	s_waitcnt vmcnt(32) lgkmcnt(0)
	v_fma_f64 v[54:55], v[74:75], v[58:59], v[54:55]
	s_waitcnt vmcnt(27)
	v_fma_f64 v[72:73], v[76:77], v[60:61], v[54:55]
	ds_read_b128 v[54:57], v53 offset:288
	ds_read_b128 v[58:61], v53 offset:304
	s_waitcnt vmcnt(26) lgkmcnt(1)
	v_fma_f64 v[54:55], v[82:83], v[54:55], v[72:73]
	s_clause 0x1
	buffer_load_dword v72, off, s[0:3], 0 offset:8
	buffer_load_dword v73, off, s[0:3], 0 offset:12
	s_waitcnt vmcnt(27)
	v_fma_f64 v[54:55], v[80:81], v[56:57], v[54:55]
	s_waitcnt vmcnt(26) lgkmcnt(0)
	v_fma_f64 v[54:55], v[78:79], v[58:59], v[54:55]
	s_waitcnt vmcnt(21)
	v_fma_f64 v[74:75], v[84:85], v[60:61], v[54:55]
	ds_read_b128 v[54:57], v53 offset:320
	ds_read_b128 v[58:61], v53 offset:336
	s_waitcnt vmcnt(20) lgkmcnt(1)
	v_fma_f64 v[54:55], v[90:91], v[54:55], v[74:75]
	s_waitcnt vmcnt(19)
	v_fma_f64 v[54:55], v[88:89], v[56:57], v[54:55]
	s_waitcnt vmcnt(18) lgkmcnt(0)
	v_fma_f64 v[54:55], v[86:87], v[58:59], v[54:55]
	s_waitcnt vmcnt(13)
	v_fma_f64 v[62:63], v[62:63], v[60:61], v[54:55]
	ds_read_b128 v[54:57], v53 offset:352
	ds_read_b128 v[58:61], v53 offset:368
	s_waitcnt vmcnt(12) lgkmcnt(1)
	v_fma_f64 v[54:55], v[96:97], v[54:55], v[62:63]
	s_waitcnt vmcnt(11)
	v_fma_f64 v[54:55], v[94:95], v[56:57], v[54:55]
	s_waitcnt vmcnt(10) lgkmcnt(0)
	v_fma_f64 v[54:55], v[92:93], v[58:59], v[54:55]
	s_waitcnt vmcnt(5)
	v_fma_f64 v[58:59], v[64:65], v[60:61], v[54:55]
	ds_read_b128 v[54:57], v53 offset:384
	ds_read_b64 v[60:61], v53 offset:400
	s_waitcnt vmcnt(4) lgkmcnt(1)
	v_fma_f64 v[54:55], v[70:71], v[54:55], v[58:59]
	s_waitcnt vmcnt(3)
	v_fma_f64 v[54:55], v[68:69], v[56:57], v[54:55]
	s_waitcnt vmcnt(2) lgkmcnt(0)
	v_fma_f64 v[54:55], v[66:67], v[60:61], v[54:55]
	s_waitcnt vmcnt(0)
	v_add_f64 v[54:55], v[72:73], -v[54:55]
	buffer_store_dword v55, off, s[0:3], 0 offset:12
	buffer_store_dword v54, off, s[0:3], 0 offset:8
	v_cmpx_ne_u32_e32 0, v0
	s_cbranch_execz .LBB24_159
; %bb.158:
	s_clause 0x1
	buffer_load_dword v54, off, s[0:3], 0
	buffer_load_dword v55, off, s[0:3], 0 offset:4
	buffer_store_dword v53, off, s[0:3], 0
	buffer_store_dword v53, off, s[0:3], 0 offset:4
	s_waitcnt vmcnt(0)
	ds_write_b64 v51, v[54:55]
.LBB24_159:
	s_or_b32 exec_lo, exec_lo, s4
	s_waitcnt lgkmcnt(0)
	s_waitcnt_vscnt null, 0x0
	s_barrier
	buffer_gl0_inv
	s_clause 0x1c
	buffer_load_dword v51, off, s[0:3], 0 offset:8
	buffer_load_dword v52, off, s[0:3], 0 offset:12
	;; [unrolled: 1-line block ×29, first 2 shown]
	ds_read2_b64 v[54:57], v53 offset0:27 offset1:28
	ds_read2_b64 v[58:61], v53 offset0:29 offset1:30
	s_clause 0x8
	buffer_load_dword v85, off, s[0:3], 0 offset:124
	buffer_load_dword v91, off, s[0:3], 0 offset:132
	;; [unrolled: 1-line block ×9, first 2 shown]
	s_and_b32 vcc_lo, exec_lo, s22
	s_waitcnt vmcnt(36) lgkmcnt(1)
	v_fma_f64 v[51:52], v[51:52], v[54:55], 0
	s_waitcnt vmcnt(34)
	v_fma_f64 v[51:52], v[62:63], v[56:57], v[51:52]
	ds_read2_b64 v[54:57], v53 offset0:31 offset1:32
	s_waitcnt vmcnt(32) lgkmcnt(1)
	v_fma_f64 v[51:52], v[64:65], v[58:59], v[51:52]
	s_waitcnt vmcnt(30)
	v_fma_f64 v[51:52], v[66:67], v[60:61], v[51:52]
	ds_read2_b64 v[58:61], v53 offset0:33 offset1:34
	s_waitcnt vmcnt(28) lgkmcnt(1)
	v_fma_f64 v[54:55], v[68:69], v[54:55], v[51:52]
	s_clause 0x7
	buffer_load_dword v63, off, s[0:3], 0 offset:164
	buffer_load_dword v51, off, s[0:3], 0 offset:184
	buffer_load_dword v64, off, s[0:3], 0 offset:176
	buffer_load_dword v66, off, s[0:3], 0 offset:168
	buffer_load_dword v62, off, s[0:3], 0 offset:160
	buffer_load_dword v67, off, s[0:3], 0 offset:172
	buffer_load_dword v65, off, s[0:3], 0 offset:180
	buffer_load_dword v52, off, s[0:3], 0 offset:188
	s_waitcnt vmcnt(34)
	v_fma_f64 v[54:55], v[70:71], v[56:57], v[54:55]
	s_waitcnt vmcnt(32) lgkmcnt(0)
	v_fma_f64 v[54:55], v[72:73], v[58:59], v[54:55]
	s_waitcnt vmcnt(27)
	v_fma_f64 v[68:69], v[74:75], v[60:61], v[54:55]
	ds_read2_b64 v[54:57], v53 offset0:35 offset1:36
	ds_read2_b64 v[58:61], v53 offset0:37 offset1:38
	s_waitcnt vmcnt(26) lgkmcnt(1)
	v_fma_f64 v[54:55], v[80:81], v[54:55], v[68:69]
	s_clause 0x3
	buffer_load_dword v69, off, s[0:3], 0 offset:196
	buffer_load_dword v68, off, s[0:3], 0 offset:192
	buffer_load_dword v70, off, s[0:3], 0
	buffer_load_dword v71, off, s[0:3], 0 offset:4
	s_waitcnt vmcnt(29)
	v_fma_f64 v[54:55], v[78:79], v[56:57], v[54:55]
	s_waitcnt vmcnt(28) lgkmcnt(0)
	v_fma_f64 v[54:55], v[76:77], v[58:59], v[54:55]
	s_waitcnt vmcnt(23)
	v_fma_f64 v[72:73], v[82:83], v[60:61], v[54:55]
	ds_read2_b64 v[54:57], v53 offset0:39 offset1:40
	ds_read2_b64 v[58:61], v53 offset0:41 offset1:42
	s_waitcnt vmcnt(22) lgkmcnt(1)
	v_fma_f64 v[54:55], v[88:89], v[54:55], v[72:73]
	s_waitcnt vmcnt(21)
	v_fma_f64 v[54:55], v[86:87], v[56:57], v[54:55]
	s_waitcnt vmcnt(20) lgkmcnt(0)
	v_fma_f64 v[54:55], v[84:85], v[58:59], v[54:55]
	s_waitcnt vmcnt(15)
	v_fma_f64 v[72:73], v[90:91], v[60:61], v[54:55]
	ds_read2_b64 v[54:57], v53 offset0:43 offset1:44
	ds_read2_b64 v[58:61], v53 offset0:45 offset1:46
	s_waitcnt vmcnt(14) lgkmcnt(1)
	v_fma_f64 v[54:55], v[96:97], v[54:55], v[72:73]
	;; [unrolled: 10-line block ×3, first 2 shown]
	s_waitcnt vmcnt(5)
	v_fma_f64 v[53:54], v[64:65], v[56:57], v[53:54]
	s_waitcnt vmcnt(4) lgkmcnt(0)
	v_fma_f64 v[53:54], v[51:52], v[58:59], v[53:54]
	s_waitcnt vmcnt(2)
	v_fma_f64 v[53:54], v[68:69], v[60:61], v[53:54]
	s_waitcnt vmcnt(0)
	v_add_f64 v[53:54], v[70:71], -v[53:54]
	buffer_store_dword v54, off, s[0:3], 0 offset:4
	buffer_store_dword v53, off, s[0:3], 0
	s_cbranch_vccz .LBB24_208
; %bb.160:
	v_mov_b32_e32 v0, 0
	global_load_dword v53, v0, s[20:21] offset:92
	s_waitcnt vmcnt(0)
	v_add_nc_u32_e32 v53, -1, v53
	v_cmp_ne_u32_e32 vcc_lo, 23, v53
	s_cbranch_vccz .LBB24_162
; %bb.161:
	v_lshlrev_b32_e32 v53, 3, v53
	s_clause 0x1
	buffer_load_dword v54, v53, s[0:3], 0 offen
	buffer_load_dword v55, v53, s[0:3], 0 offen offset:4
	s_waitcnt vmcnt(1)
	buffer_store_dword v54, off, s[0:3], 0 offset:184
	s_waitcnt vmcnt(0)
	buffer_store_dword v55, off, s[0:3], 0 offset:188
	buffer_store_dword v51, v53, s[0:3], 0 offen
	buffer_store_dword v52, v53, s[0:3], 0 offen offset:4
.LBB24_162:
	global_load_dword v0, v0, s[20:21] offset:88
	s_waitcnt vmcnt(0)
	v_add_nc_u32_e32 v0, -1, v0
	v_cmp_eq_u32_e32 vcc_lo, 22, v0
	s_cbranch_vccnz .LBB24_164
; %bb.163:
	v_lshlrev_b32_e32 v0, 3, v0
	s_clause 0x3
	buffer_load_dword v51, v0, s[0:3], 0 offen
	buffer_load_dword v52, v0, s[0:3], 0 offen offset:4
	buffer_load_dword v53, off, s[0:3], 0 offset:180
	buffer_load_dword v54, off, s[0:3], 0 offset:176
	s_waitcnt vmcnt(3)
	buffer_store_dword v51, off, s[0:3], 0 offset:176
	s_waitcnt vmcnt(2)
	buffer_store_dword v52, off, s[0:3], 0 offset:180
	s_waitcnt vmcnt(1)
	buffer_store_dword v53, v0, s[0:3], 0 offen offset:4
	s_waitcnt vmcnt(0)
	buffer_store_dword v54, v0, s[0:3], 0 offen
.LBB24_164:
	v_mov_b32_e32 v0, 0
	global_load_dword v51, v0, s[20:21] offset:84
	s_waitcnt vmcnt(0)
	v_add_nc_u32_e32 v51, -1, v51
	v_cmp_eq_u32_e32 vcc_lo, 21, v51
	s_cbranch_vccnz .LBB24_166
; %bb.165:
	v_lshlrev_b32_e32 v51, 3, v51
	s_clause 0x3
	buffer_load_dword v52, v51, s[0:3], 0 offen
	buffer_load_dword v53, v51, s[0:3], 0 offen offset:4
	buffer_load_dword v54, off, s[0:3], 0 offset:168
	buffer_load_dword v55, off, s[0:3], 0 offset:172
	s_waitcnt vmcnt(3)
	buffer_store_dword v52, off, s[0:3], 0 offset:168
	s_waitcnt vmcnt(2)
	buffer_store_dword v53, off, s[0:3], 0 offset:172
	s_waitcnt vmcnt(1)
	buffer_store_dword v54, v51, s[0:3], 0 offen
	s_waitcnt vmcnt(0)
	buffer_store_dword v55, v51, s[0:3], 0 offen offset:4
.LBB24_166:
	global_load_dword v0, v0, s[20:21] offset:80
	s_waitcnt vmcnt(0)
	v_add_nc_u32_e32 v0, -1, v0
	v_cmp_eq_u32_e32 vcc_lo, 20, v0
	s_cbranch_vccnz .LBB24_168
; %bb.167:
	v_lshlrev_b32_e32 v0, 3, v0
	s_clause 0x3
	buffer_load_dword v51, v0, s[0:3], 0 offen
	buffer_load_dword v52, v0, s[0:3], 0 offen offset:4
	buffer_load_dword v53, off, s[0:3], 0 offset:164
	buffer_load_dword v54, off, s[0:3], 0 offset:160
	s_waitcnt vmcnt(3)
	buffer_store_dword v51, off, s[0:3], 0 offset:160
	s_waitcnt vmcnt(2)
	buffer_store_dword v52, off, s[0:3], 0 offset:164
	s_waitcnt vmcnt(1)
	buffer_store_dword v53, v0, s[0:3], 0 offen offset:4
	s_waitcnt vmcnt(0)
	buffer_store_dword v54, v0, s[0:3], 0 offen
.LBB24_168:
	v_mov_b32_e32 v0, 0
	global_load_dword v51, v0, s[20:21] offset:76
	s_waitcnt vmcnt(0)
	v_add_nc_u32_e32 v51, -1, v51
	v_cmp_eq_u32_e32 vcc_lo, 19, v51
	s_cbranch_vccnz .LBB24_170
; %bb.169:
	v_lshlrev_b32_e32 v51, 3, v51
	s_clause 0x3
	buffer_load_dword v52, v51, s[0:3], 0 offen
	buffer_load_dword v53, v51, s[0:3], 0 offen offset:4
	buffer_load_dword v54, off, s[0:3], 0 offset:152
	buffer_load_dword v55, off, s[0:3], 0 offset:156
	s_waitcnt vmcnt(3)
	buffer_store_dword v52, off, s[0:3], 0 offset:152
	s_waitcnt vmcnt(2)
	buffer_store_dword v53, off, s[0:3], 0 offset:156
	s_waitcnt vmcnt(1)
	buffer_store_dword v54, v51, s[0:3], 0 offen
	s_waitcnt vmcnt(0)
	buffer_store_dword v55, v51, s[0:3], 0 offen offset:4
.LBB24_170:
	;; [unrolled: 43-line block ×11, first 2 shown]
	global_load_dword v0, v0, s[20:21]
	s_clause 0x1
	buffer_load_dword v53, off, s[0:3], 0
	buffer_load_dword v54, off, s[0:3], 0 offset:4
	s_waitcnt vmcnt(2)
	v_add_nc_u32_e32 v0, -1, v0
	v_cmp_eq_u32_e32 vcc_lo, 0, v0
	s_cbranch_vccnz .LBB24_208
; %bb.207:
	v_lshlrev_b32_e32 v0, 3, v0
	s_clause 0x1
	buffer_load_dword v51, v0, s[0:3], 0 offen offset:4
	buffer_load_dword v52, v0, s[0:3], 0 offen
	s_waitcnt vmcnt(1)
	buffer_store_dword v51, off, s[0:3], 0 offset:4
	s_waitcnt vmcnt(0)
	buffer_store_dword v52, off, s[0:3], 0
	buffer_store_dword v54, v0, s[0:3], 0 offen offset:4
	buffer_store_dword v53, v0, s[0:3], 0 offen
	s_clause 0x1
	buffer_load_dword v53, off, s[0:3], 0
	buffer_load_dword v54, off, s[0:3], 0 offset:4
.LBB24_208:
	s_clause 0x1
	buffer_load_dword v51, off, s[0:3], 0 offset:8
	buffer_load_dword v52, off, s[0:3], 0 offset:12
	s_waitcnt vmcnt(2)
	global_store_dwordx2 v[9:10], v[53:54], off
	s_clause 0x25
	buffer_load_dword v9, off, s[0:3], 0 offset:16
	buffer_load_dword v10, off, s[0:3], 0 offset:20
	buffer_load_dword v53, off, s[0:3], 0 offset:24
	buffer_load_dword v54, off, s[0:3], 0 offset:28
	buffer_load_dword v55, off, s[0:3], 0 offset:32
	buffer_load_dword v56, off, s[0:3], 0 offset:36
	buffer_load_dword v57, off, s[0:3], 0 offset:40
	buffer_load_dword v58, off, s[0:3], 0 offset:44
	buffer_load_dword v59, off, s[0:3], 0 offset:48
	buffer_load_dword v60, off, s[0:3], 0 offset:52
	buffer_load_dword v61, off, s[0:3], 0 offset:56
	buffer_load_dword v62, off, s[0:3], 0 offset:60
	buffer_load_dword v63, off, s[0:3], 0 offset:64
	buffer_load_dword v64, off, s[0:3], 0 offset:68
	buffer_load_dword v65, off, s[0:3], 0 offset:72
	buffer_load_dword v66, off, s[0:3], 0 offset:76
	buffer_load_dword v67, off, s[0:3], 0 offset:80
	buffer_load_dword v68, off, s[0:3], 0 offset:84
	buffer_load_dword v69, off, s[0:3], 0 offset:88
	buffer_load_dword v70, off, s[0:3], 0 offset:92
	buffer_load_dword v71, off, s[0:3], 0 offset:96
	buffer_load_dword v72, off, s[0:3], 0 offset:100
	buffer_load_dword v73, off, s[0:3], 0 offset:104
	buffer_load_dword v74, off, s[0:3], 0 offset:108
	buffer_load_dword v75, off, s[0:3], 0 offset:112
	buffer_load_dword v76, off, s[0:3], 0 offset:116
	buffer_load_dword v77, off, s[0:3], 0 offset:120
	buffer_load_dword v78, off, s[0:3], 0 offset:124
	buffer_load_dword v79, off, s[0:3], 0 offset:128
	buffer_load_dword v80, off, s[0:3], 0 offset:132
	buffer_load_dword v81, off, s[0:3], 0 offset:136
	buffer_load_dword v82, off, s[0:3], 0 offset:140
	buffer_load_dword v83, off, s[0:3], 0 offset:144
	buffer_load_dword v84, off, s[0:3], 0 offset:148
	buffer_load_dword v85, off, s[0:3], 0 offset:152
	buffer_load_dword v86, off, s[0:3], 0 offset:156
	buffer_load_dword v87, off, s[0:3], 0 offset:160
	buffer_load_dword v88, off, s[0:3], 0 offset:164
	s_waitcnt vmcnt(38)
	global_store_dwordx2 v[3:4], v[51:52], off
	s_clause 0x7
	buffer_load_dword v3, off, s[0:3], 0 offset:168
	buffer_load_dword v4, off, s[0:3], 0 offset:172
	;; [unrolled: 1-line block ×8, first 2 shown]
	s_waitcnt vmcnt(44)
	global_store_dwordx2 v[1:2], v[9:10], off
	s_waitcnt vmcnt(42)
	global_store_dwordx2 v[5:6], v[53:54], off
	;; [unrolled: 2-line block ×23, first 2 shown]
	s_endpgm
	.section	.rodata,"a",@progbits
	.p2align	6, 0x0
	.amdhsa_kernel _ZN9rocsolver6v33100L18getri_kernel_smallILi25EdPdEEvT1_iilPiilS4_bb
		.amdhsa_group_segment_fixed_size 408
		.amdhsa_private_segment_fixed_size 208
		.amdhsa_kernarg_size 60
		.amdhsa_user_sgpr_count 6
		.amdhsa_user_sgpr_private_segment_buffer 1
		.amdhsa_user_sgpr_dispatch_ptr 0
		.amdhsa_user_sgpr_queue_ptr 0
		.amdhsa_user_sgpr_kernarg_segment_ptr 1
		.amdhsa_user_sgpr_dispatch_id 0
		.amdhsa_user_sgpr_flat_scratch_init 0
		.amdhsa_user_sgpr_private_segment_size 0
		.amdhsa_wavefront_size32 1
		.amdhsa_uses_dynamic_stack 0
		.amdhsa_system_sgpr_private_segment_wavefront_offset 1
		.amdhsa_system_sgpr_workgroup_id_x 1
		.amdhsa_system_sgpr_workgroup_id_y 0
		.amdhsa_system_sgpr_workgroup_id_z 0
		.amdhsa_system_sgpr_workgroup_info 0
		.amdhsa_system_vgpr_workitem_id 0
		.amdhsa_next_free_vgpr 98
		.amdhsa_next_free_sgpr 23
		.amdhsa_reserve_vcc 1
		.amdhsa_reserve_flat_scratch 0
		.amdhsa_float_round_mode_32 0
		.amdhsa_float_round_mode_16_64 0
		.amdhsa_float_denorm_mode_32 3
		.amdhsa_float_denorm_mode_16_64 3
		.amdhsa_dx10_clamp 1
		.amdhsa_ieee_mode 1
		.amdhsa_fp16_overflow 0
		.amdhsa_workgroup_processor_mode 1
		.amdhsa_memory_ordered 1
		.amdhsa_forward_progress 1
		.amdhsa_shared_vgpr_count 0
		.amdhsa_exception_fp_ieee_invalid_op 0
		.amdhsa_exception_fp_denorm_src 0
		.amdhsa_exception_fp_ieee_div_zero 0
		.amdhsa_exception_fp_ieee_overflow 0
		.amdhsa_exception_fp_ieee_underflow 0
		.amdhsa_exception_fp_ieee_inexact 0
		.amdhsa_exception_int_div_zero 0
	.end_amdhsa_kernel
	.section	.text._ZN9rocsolver6v33100L18getri_kernel_smallILi25EdPdEEvT1_iilPiilS4_bb,"axG",@progbits,_ZN9rocsolver6v33100L18getri_kernel_smallILi25EdPdEEvT1_iilPiilS4_bb,comdat
.Lfunc_end24:
	.size	_ZN9rocsolver6v33100L18getri_kernel_smallILi25EdPdEEvT1_iilPiilS4_bb, .Lfunc_end24-_ZN9rocsolver6v33100L18getri_kernel_smallILi25EdPdEEvT1_iilPiilS4_bb
                                        ; -- End function
	.set _ZN9rocsolver6v33100L18getri_kernel_smallILi25EdPdEEvT1_iilPiilS4_bb.num_vgpr, 98
	.set _ZN9rocsolver6v33100L18getri_kernel_smallILi25EdPdEEvT1_iilPiilS4_bb.num_agpr, 0
	.set _ZN9rocsolver6v33100L18getri_kernel_smallILi25EdPdEEvT1_iilPiilS4_bb.numbered_sgpr, 23
	.set _ZN9rocsolver6v33100L18getri_kernel_smallILi25EdPdEEvT1_iilPiilS4_bb.num_named_barrier, 0
	.set _ZN9rocsolver6v33100L18getri_kernel_smallILi25EdPdEEvT1_iilPiilS4_bb.private_seg_size, 208
	.set _ZN9rocsolver6v33100L18getri_kernel_smallILi25EdPdEEvT1_iilPiilS4_bb.uses_vcc, 1
	.set _ZN9rocsolver6v33100L18getri_kernel_smallILi25EdPdEEvT1_iilPiilS4_bb.uses_flat_scratch, 0
	.set _ZN9rocsolver6v33100L18getri_kernel_smallILi25EdPdEEvT1_iilPiilS4_bb.has_dyn_sized_stack, 0
	.set _ZN9rocsolver6v33100L18getri_kernel_smallILi25EdPdEEvT1_iilPiilS4_bb.has_recursion, 0
	.set _ZN9rocsolver6v33100L18getri_kernel_smallILi25EdPdEEvT1_iilPiilS4_bb.has_indirect_call, 0
	.section	.AMDGPU.csdata,"",@progbits
; Kernel info:
; codeLenInByte = 23860
; TotalNumSgprs: 25
; NumVgprs: 98
; ScratchSize: 208
; MemoryBound: 0
; FloatMode: 240
; IeeeMode: 1
; LDSByteSize: 408 bytes/workgroup (compile time only)
; SGPRBlocks: 0
; VGPRBlocks: 12
; NumSGPRsForWavesPerEU: 25
; NumVGPRsForWavesPerEU: 98
; Occupancy: 9
; WaveLimiterHint : 1
; COMPUTE_PGM_RSRC2:SCRATCH_EN: 1
; COMPUTE_PGM_RSRC2:USER_SGPR: 6
; COMPUTE_PGM_RSRC2:TRAP_HANDLER: 0
; COMPUTE_PGM_RSRC2:TGID_X_EN: 1
; COMPUTE_PGM_RSRC2:TGID_Y_EN: 0
; COMPUTE_PGM_RSRC2:TGID_Z_EN: 0
; COMPUTE_PGM_RSRC2:TIDIG_COMP_CNT: 0
	.section	.text._ZN9rocsolver6v33100L18getri_kernel_smallILi26EdPdEEvT1_iilPiilS4_bb,"axG",@progbits,_ZN9rocsolver6v33100L18getri_kernel_smallILi26EdPdEEvT1_iilPiilS4_bb,comdat
	.globl	_ZN9rocsolver6v33100L18getri_kernel_smallILi26EdPdEEvT1_iilPiilS4_bb ; -- Begin function _ZN9rocsolver6v33100L18getri_kernel_smallILi26EdPdEEvT1_iilPiilS4_bb
	.p2align	8
	.type	_ZN9rocsolver6v33100L18getri_kernel_smallILi26EdPdEEvT1_iilPiilS4_bb,@function
_ZN9rocsolver6v33100L18getri_kernel_smallILi26EdPdEEvT1_iilPiilS4_bb: ; @_ZN9rocsolver6v33100L18getri_kernel_smallILi26EdPdEEvT1_iilPiilS4_bb
; %bb.0:
	s_add_u32 s0, s0, s7
	s_addc_u32 s1, s1, 0
	s_mov_b32 s7, exec_lo
	v_cmpx_gt_u32_e32 26, v0
	s_cbranch_execz .LBB25_114
; %bb.1:
	s_clause 0x2
	s_load_dword s7, s[4:5], 0x38
	s_load_dwordx4 s[16:19], s[4:5], 0x10
	s_load_dwordx4 s[8:11], s[4:5], 0x28
                                        ; implicit-def: $sgpr20_sgpr21
	s_waitcnt lgkmcnt(0)
	s_bitcmp1_b32 s7, 8
	s_cselect_b32 s22, -1, 0
	s_bfe_u32 s12, s7, 0x10008
	s_ashr_i32 s7, s6, 31
	s_cmp_eq_u32 s12, 0
	s_cbranch_scc1 .LBB25_3
; %bb.2:
	s_load_dword s12, s[4:5], 0x20
	s_mul_i32 s13, s8, s7
	s_mul_hi_u32 s14, s8, s6
	s_mul_i32 s9, s9, s6
	s_add_i32 s13, s14, s13
	s_mul_i32 s8, s8, s6
	s_add_i32 s9, s13, s9
	s_lshl_b64 s[8:9], s[8:9], 2
	s_waitcnt lgkmcnt(0)
	s_ashr_i32 s13, s12, 31
	s_add_u32 s14, s18, s8
	s_addc_u32 s15, s19, s9
	s_lshl_b64 s[8:9], s[12:13], 2
	s_add_u32 s20, s14, s8
	s_addc_u32 s21, s15, s9
.LBB25_3:
	s_clause 0x1
	s_load_dwordx4 s[12:15], s[4:5], 0x0
	s_load_dword s8, s[4:5], 0x38
	s_mul_i32 s4, s16, s7
	s_mul_hi_u32 s5, s16, s6
	s_mul_i32 s9, s17, s6
	s_add_i32 s5, s5, s4
	s_mul_i32 s4, s16, s6
	s_add_i32 s5, s5, s9
	v_lshlrev_b32_e32 v55, 3, v0
	s_lshl_b64 s[4:5], s[4:5], 3
	s_waitcnt lgkmcnt(0)
	v_add3_u32 v1, s15, s15, v0
	s_ashr_i32 s17, s14, 31
	s_mov_b32 s16, s14
	s_add_u32 s9, s12, s4
	s_addc_u32 s13, s13, s5
	v_add_nc_u32_e32 v5, s15, v1
	s_lshl_b64 s[4:5], s[16:17], 3
	v_ashrrev_i32_e32 v2, 31, v1
	s_add_u32 s4, s9, s4
	s_addc_u32 s5, s13, s5
	v_add_nc_u32_e32 v9, s15, v5
	v_ashrrev_i32_e32 v6, 31, v5
	v_add_co_u32 v3, s9, s4, v55
	s_mov_b32 s12, s15
	v_add_nc_u32_e32 v13, s15, v9
	s_ashr_i32 s13, s15, 31
	v_lshlrev_b64 v[7:8], 3, v[1:2]
	v_add_co_ci_u32_e64 v4, null, s5, 0, s9
	s_lshl_b64 s[12:13], s[12:13], 3
	v_lshlrev_b64 v[11:12], 3, v[5:6]
	v_add_nc_u32_e32 v15, s15, v13
	v_ashrrev_i32_e32 v10, 31, v9
	v_add_co_u32 v1, vcc_lo, v3, s12
	v_ashrrev_i32_e32 v14, 31, v13
	v_add_co_ci_u32_e64 v2, null, s13, v4, vcc_lo
	v_add_co_u32 v5, vcc_lo, s4, v7
	v_ashrrev_i32_e32 v16, 31, v15
	v_add_co_ci_u32_e64 v6, null, s5, v8, vcc_lo
	v_lshlrev_b64 v[9:10], 3, v[9:10]
	v_add_co_u32 v7, vcc_lo, s4, v11
	v_add_co_ci_u32_e64 v8, null, s5, v12, vcc_lo
	v_lshlrev_b64 v[11:12], 3, v[13:14]
	v_lshlrev_b64 v[13:14], 3, v[15:16]
	v_add_co_u32 v9, vcc_lo, s4, v9
	v_add_co_ci_u32_e64 v10, null, s5, v10, vcc_lo
	v_add_co_u32 v11, vcc_lo, s4, v11
	v_add_co_ci_u32_e64 v12, null, s5, v12, vcc_lo
	;; [unrolled: 2-line block ×3, first 2 shown]
	s_clause 0x6
	global_load_dwordx2 v[53:54], v55, s[4:5]
	global_load_dwordx2 v[56:57], v[1:2], off
	global_load_dwordx2 v[58:59], v[5:6], off
	;; [unrolled: 1-line block ×6, first 2 shown]
	v_add_nc_u32_e32 v15, s15, v15
	s_bitcmp0_b32 s8, 0
	v_add_nc_u32_e32 v17, s15, v15
	v_ashrrev_i32_e32 v16, 31, v15
	v_add_nc_u32_e32 v19, s15, v17
	v_ashrrev_i32_e32 v18, 31, v17
	v_lshlrev_b64 v[15:16], 3, v[15:16]
	v_add_nc_u32_e32 v21, s15, v19
	v_ashrrev_i32_e32 v20, 31, v19
	v_lshlrev_b64 v[17:18], 3, v[17:18]
	v_add_co_u32 v15, vcc_lo, s4, v15
	v_add_nc_u32_e32 v23, s15, v21
	v_ashrrev_i32_e32 v22, 31, v21
	v_lshlrev_b64 v[19:20], 3, v[19:20]
	v_add_co_ci_u32_e64 v16, null, s5, v16, vcc_lo
	v_add_nc_u32_e32 v25, s15, v23
	v_ashrrev_i32_e32 v24, 31, v23
	v_lshlrev_b64 v[21:22], 3, v[21:22]
	v_add_co_u32 v17, vcc_lo, s4, v17
	v_add_nc_u32_e32 v27, s15, v25
	v_ashrrev_i32_e32 v26, 31, v25
	v_lshlrev_b64 v[23:24], 3, v[23:24]
	v_add_co_ci_u32_e64 v18, null, s5, v18, vcc_lo
	v_add_nc_u32_e32 v29, s15, v27
	v_ashrrev_i32_e32 v28, 31, v27
	v_add_co_u32 v19, vcc_lo, s4, v19
	v_lshlrev_b64 v[25:26], 3, v[25:26]
	v_add_nc_u32_e32 v31, s15, v29
	v_ashrrev_i32_e32 v30, 31, v29
	v_add_co_ci_u32_e64 v20, null, s5, v20, vcc_lo
	v_add_co_u32 v21, vcc_lo, s4, v21
	v_add_nc_u32_e32 v33, s15, v31
	v_ashrrev_i32_e32 v32, 31, v31
	v_lshlrev_b64 v[27:28], 3, v[27:28]
	v_add_co_ci_u32_e64 v22, null, s5, v22, vcc_lo
	v_add_nc_u32_e32 v35, s15, v33
	v_ashrrev_i32_e32 v34, 31, v33
	v_add_co_u32 v23, vcc_lo, s4, v23
	v_lshlrev_b64 v[29:30], 3, v[29:30]
	v_add_nc_u32_e32 v37, s15, v35
	v_ashrrev_i32_e32 v36, 31, v35
	v_add_co_ci_u32_e64 v24, null, s5, v24, vcc_lo
	v_add_co_u32 v25, vcc_lo, s4, v25
	v_add_nc_u32_e32 v39, s15, v37
	v_lshlrev_b64 v[31:32], 3, v[31:32]
	v_ashrrev_i32_e32 v38, 31, v37
	v_add_co_ci_u32_e64 v26, null, s5, v26, vcc_lo
	v_add_nc_u32_e32 v41, s15, v39
	v_add_co_u32 v27, vcc_lo, s4, v27
	v_lshlrev_b64 v[33:34], 3, v[33:34]
	v_ashrrev_i32_e32 v40, 31, v39
	v_add_nc_u32_e32 v43, s15, v41
	v_add_co_ci_u32_e64 v28, null, s5, v28, vcc_lo
	v_add_co_u32 v29, vcc_lo, s4, v29
	v_add_nc_u32_e32 v45, s15, v43
	v_lshlrev_b64 v[35:36], 3, v[35:36]
	v_ashrrev_i32_e32 v42, 31, v41
	v_add_co_ci_u32_e64 v30, null, s5, v30, vcc_lo
	v_add_nc_u32_e32 v47, s15, v45
	v_add_co_u32 v31, vcc_lo, s4, v31
	v_lshlrev_b64 v[37:38], 3, v[37:38]
	v_ashrrev_i32_e32 v44, 31, v43
	v_add_nc_u32_e32 v49, s15, v47
	v_add_co_ci_u32_e64 v32, null, s5, v32, vcc_lo
	v_add_co_u32 v33, vcc_lo, s4, v33
	v_lshlrev_b64 v[39:40], 3, v[39:40]
	v_ashrrev_i32_e32 v46, 31, v45
	v_add_co_ci_u32_e64 v34, null, s5, v34, vcc_lo
	v_add_co_u32 v35, vcc_lo, s4, v35
	v_lshlrev_b64 v[41:42], 3, v[41:42]
	v_add_nc_u32_e32 v51, s15, v49
	v_ashrrev_i32_e32 v48, 31, v47
	v_add_co_ci_u32_e64 v36, null, s5, v36, vcc_lo
	v_add_co_u32 v37, vcc_lo, s4, v37
	v_lshlrev_b64 v[43:44], 3, v[43:44]
	v_ashrrev_i32_e32 v50, 31, v49
	v_add_co_ci_u32_e64 v38, null, s5, v38, vcc_lo
	v_add_co_u32 v39, vcc_lo, s4, v39
	v_lshlrev_b64 v[45:46], 3, v[45:46]
	;; [unrolled: 4-line block ×3, first 2 shown]
	v_add_co_ci_u32_e64 v42, null, s5, v42, vcc_lo
	v_add_co_u32 v43, vcc_lo, s4, v43
	v_lshlrev_b64 v[49:50], 3, v[49:50]
	v_add_co_ci_u32_e64 v44, null, s5, v44, vcc_lo
	v_add_co_u32 v45, vcc_lo, s4, v45
	v_lshlrev_b64 v[88:89], 3, v[51:52]
	v_add_co_ci_u32_e64 v46, null, s5, v46, vcc_lo
	v_add_co_u32 v47, vcc_lo, s4, v47
	v_add_co_ci_u32_e64 v48, null, s5, v48, vcc_lo
	v_add_co_u32 v51, vcc_lo, s4, v49
	;; [unrolled: 2-line block ×3, first 2 shown]
	s_clause 0x9
	global_load_dwordx2 v[68:69], v[15:16], off
	global_load_dwordx2 v[70:71], v[17:18], off
	;; [unrolled: 1-line block ×10, first 2 shown]
	v_add_co_ci_u32_e64 v50, null, s5, v89, vcc_lo
	s_mov_b32 s5, -1
	s_waitcnt vmcnt(16)
	buffer_store_dword v54, off, s[0:3], 0 offset:4
	buffer_store_dword v53, off, s[0:3], 0
	s_waitcnt vmcnt(15)
	buffer_store_dword v57, off, s[0:3], 0 offset:12
	buffer_store_dword v56, off, s[0:3], 0 offset:8
	s_clause 0x3
	global_load_dwordx2 v[53:54], v[35:36], off
	global_load_dwordx2 v[56:57], v[37:38], off
	;; [unrolled: 1-line block ×4, first 2 shown]
	s_waitcnt vmcnt(18)
	buffer_store_dword v59, off, s[0:3], 0 offset:20
	buffer_store_dword v58, off, s[0:3], 0 offset:16
	s_waitcnt vmcnt(17)
	buffer_store_dword v61, off, s[0:3], 0 offset:28
	buffer_store_dword v60, off, s[0:3], 0 offset:24
	s_clause 0x1
	global_load_dwordx2 v[58:59], v[43:44], off
	global_load_dwordx2 v[60:61], v[45:46], off
	s_waitcnt vmcnt(18)
	buffer_store_dword v63, off, s[0:3], 0 offset:36
	buffer_store_dword v62, off, s[0:3], 0 offset:32
	s_waitcnt vmcnt(17)
	buffer_store_dword v65, off, s[0:3], 0 offset:44
	buffer_store_dword v64, off, s[0:3], 0 offset:40
	s_clause 0x1
	global_load_dwordx2 v[62:63], v[47:48], off
	global_load_dwordx2 v[64:65], v[51:52], off
	s_waitcnt vmcnt(18)
	buffer_store_dword v67, off, s[0:3], 0 offset:52
	buffer_store_dword v66, off, s[0:3], 0 offset:48
	global_load_dwordx2 v[66:67], v[49:50], off
	s_waitcnt vmcnt(18)
	buffer_store_dword v69, off, s[0:3], 0 offset:60
	buffer_store_dword v68, off, s[0:3], 0 offset:56
	s_waitcnt vmcnt(17)
	buffer_store_dword v71, off, s[0:3], 0 offset:68
	buffer_store_dword v70, off, s[0:3], 0 offset:64
	;; [unrolled: 3-line block ×19, first 2 shown]
	s_cbranch_scc1 .LBB25_112
; %bb.4:
	v_cmp_eq_u32_e64 s4, 0, v0
	s_and_saveexec_b32 s5, s4
; %bb.5:
	v_mov_b32_e32 v53, 0
	ds_write_b32 v53, v53 offset:416
; %bb.6:
	s_or_b32 exec_lo, exec_lo, s5
	v_lshl_add_u32 v53, v0, 3, 0
	s_waitcnt lgkmcnt(0)
	s_waitcnt_vscnt null, 0x0
	s_barrier
	buffer_gl0_inv
	s_mov_b32 s8, exec_lo
	s_clause 0x1
	buffer_load_dword v56, v53, s[0:3], 0 offen
	buffer_load_dword v57, v53, s[0:3], 0 offen offset:4
	s_waitcnt vmcnt(0)
	v_cmpx_eq_f64_e32 0, v[56:57]
	s_cbranch_execz .LBB25_10
; %bb.7:
	v_mov_b32_e32 v54, 0
	s_mov_b32 s9, 0
	ds_read_b32 v56, v54 offset:416
	s_waitcnt lgkmcnt(0)
	v_readfirstlane_b32 s5, v56
	v_add_nc_u32_e32 v56, 1, v0
	s_cmp_eq_u32 s5, 0
	v_cmp_gt_i32_e32 vcc_lo, s5, v56
	s_cselect_b32 s12, -1, 0
	s_or_b32 s12, s12, vcc_lo
	s_and_b32 exec_lo, exec_lo, s12
	s_cbranch_execz .LBB25_10
; %bb.8:
	v_mov_b32_e32 v57, s5
.LBB25_9:                               ; =>This Inner Loop Header: Depth=1
	ds_cmpst_rtn_b32 v57, v54, v57, v56 offset:416
	s_waitcnt lgkmcnt(0)
	v_cmp_ne_u32_e32 vcc_lo, 0, v57
	v_cmp_le_i32_e64 s5, v57, v56
	s_and_b32 s5, vcc_lo, s5
	s_and_b32 s5, exec_lo, s5
	s_or_b32 s9, s5, s9
	s_andn2_b32 exec_lo, exec_lo, s9
	s_cbranch_execnz .LBB25_9
.LBB25_10:
	s_or_b32 exec_lo, exec_lo, s8
	v_mov_b32_e32 v54, 0
	s_barrier
	buffer_gl0_inv
	ds_read_b32 v56, v54 offset:416
	s_and_saveexec_b32 s5, s4
	s_cbranch_execz .LBB25_12
; %bb.11:
	s_lshl_b64 s[8:9], s[6:7], 2
	s_add_u32 s8, s10, s8
	s_addc_u32 s9, s11, s9
	s_waitcnt lgkmcnt(0)
	global_store_dword v54, v56, s[8:9]
.LBB25_12:
	s_or_b32 exec_lo, exec_lo, s5
	s_waitcnt lgkmcnt(0)
	v_cmp_ne_u32_e32 vcc_lo, 0, v56
	s_mov_b32 s5, 0
	s_cbranch_vccnz .LBB25_112
; %bb.13:
	s_clause 0x1
	buffer_load_dword v56, v53, s[0:3], 0 offen
	buffer_load_dword v57, v53, s[0:3], 0 offen offset:4
	s_waitcnt vmcnt(0)
	v_div_scale_f64 v[58:59], null, v[56:57], v[56:57], 1.0
	v_div_scale_f64 v[64:65], vcc_lo, 1.0, v[56:57], 1.0
	v_rcp_f64_e32 v[60:61], v[58:59]
	v_fma_f64 v[62:63], -v[58:59], v[60:61], 1.0
	v_fma_f64 v[60:61], v[60:61], v[62:63], v[60:61]
	v_fma_f64 v[62:63], -v[58:59], v[60:61], 1.0
	v_fma_f64 v[60:61], v[60:61], v[62:63], v[60:61]
	v_mul_f64 v[62:63], v[64:65], v[60:61]
	v_fma_f64 v[58:59], -v[58:59], v[62:63], v[64:65]
	v_div_fmas_f64 v[58:59], v[58:59], v[60:61], v[62:63]
	v_div_fixup_f64 v[57:58], v[58:59], v[56:57], 1.0
	v_add_nc_u32_e32 v56, 0xd0, v55
	buffer_store_dword v58, v53, s[0:3], 0 offen offset:4
	buffer_store_dword v57, v53, s[0:3], 0 offen
	s_clause 0x1
	buffer_load_dword v60, off, s[0:3], 0 offset:12
	buffer_load_dword v59, off, s[0:3], 0 offset:8
	v_xor_b32_e32 v58, 0x80000000, v58
	s_waitcnt vmcnt(0)
	ds_write2_b64 v55, v[57:58], v[59:60] offset1:26
	s_waitcnt lgkmcnt(0)
	s_waitcnt_vscnt null, 0x0
	s_barrier
	buffer_gl0_inv
	s_and_saveexec_b32 s5, s4
	s_cbranch_execz .LBB25_15
; %bb.14:
	s_clause 0x1
	buffer_load_dword v57, v53, s[0:3], 0 offen
	buffer_load_dword v58, v53, s[0:3], 0 offen offset:4
	ds_read_b64 v[59:60], v56
	v_mov_b32_e32 v54, 0
	ds_read_b64 v[61:62], v54 offset:8
	s_waitcnt vmcnt(0) lgkmcnt(1)
	v_fma_f64 v[57:58], v[57:58], v[59:60], 0
	s_waitcnt lgkmcnt(0)
	v_mul_f64 v[57:58], v[57:58], v[61:62]
	buffer_store_dword v57, off, s[0:3], 0 offset:8
	buffer_store_dword v58, off, s[0:3], 0 offset:12
.LBB25_15:
	s_or_b32 exec_lo, exec_lo, s5
	s_waitcnt_vscnt null, 0x0
	s_barrier
	buffer_gl0_inv
	s_clause 0x1
	buffer_load_dword v57, off, s[0:3], 0 offset:16
	buffer_load_dword v58, off, s[0:3], 0 offset:20
	s_mov_b32 s5, exec_lo
	s_waitcnt vmcnt(0)
	ds_write_b64 v56, v[57:58]
	s_waitcnt lgkmcnt(0)
	s_barrier
	buffer_gl0_inv
	v_cmpx_gt_u32_e32 2, v0
	s_cbranch_execz .LBB25_19
; %bb.16:
	s_clause 0x1
	buffer_load_dword v57, v53, s[0:3], 0 offen
	buffer_load_dword v58, v53, s[0:3], 0 offen offset:4
	ds_read_b64 v[53:54], v56
	s_waitcnt vmcnt(0) lgkmcnt(0)
	v_fma_f64 v[53:54], v[57:58], v[53:54], 0
	s_and_saveexec_b32 s8, s4
	s_cbranch_execz .LBB25_18
; %bb.17:
	s_clause 0x1
	buffer_load_dword v57, off, s[0:3], 0 offset:8
	buffer_load_dword v58, off, s[0:3], 0 offset:12
	v_mov_b32_e32 v59, 0
	ds_read_b64 v[59:60], v59 offset:216
	s_waitcnt vmcnt(0) lgkmcnt(0)
	v_fma_f64 v[53:54], v[57:58], v[59:60], v[53:54]
.LBB25_18:
	s_or_b32 exec_lo, exec_lo, s8
	v_mov_b32_e32 v57, 0
	ds_read_b64 v[57:58], v57 offset:16
	s_waitcnt lgkmcnt(0)
	v_mul_f64 v[53:54], v[53:54], v[57:58]
	buffer_store_dword v54, off, s[0:3], 0 offset:20
	buffer_store_dword v53, off, s[0:3], 0 offset:16
.LBB25_19:
	s_or_b32 exec_lo, exec_lo, s5
	s_waitcnt_vscnt null, 0x0
	s_barrier
	buffer_gl0_inv
	s_clause 0x1
	buffer_load_dword v53, off, s[0:3], 0 offset:24
	buffer_load_dword v54, off, s[0:3], 0 offset:28
	v_add_nc_u32_e32 v57, -1, v0
	s_mov_b32 s4, exec_lo
	s_waitcnt vmcnt(0)
	ds_write_b64 v56, v[53:54]
	s_waitcnt lgkmcnt(0)
	s_barrier
	buffer_gl0_inv
	v_cmpx_gt_u32_e32 3, v0
	s_cbranch_execz .LBB25_23
; %bb.20:
	v_mov_b32_e32 v53, 0
	v_add_nc_u32_e32 v58, -1, v0
	v_add_nc_u32_e32 v59, 0xd0, v55
	v_mov_b32_e32 v54, 0
	v_mov_b32_e32 v60, v55
	s_mov_b32 s5, 0
.LBB25_21:                              ; =>This Inner Loop Header: Depth=1
	s_clause 0x1
	buffer_load_dword v61, v60, s[0:3], 0 offen
	buffer_load_dword v62, v60, s[0:3], 0 offen offset:4
	ds_read_b64 v[63:64], v59
	v_add_nc_u32_e32 v58, 1, v58
	v_add_nc_u32_e32 v59, 8, v59
	v_add_nc_u32_e32 v60, 8, v60
	v_cmp_lt_u32_e32 vcc_lo, 1, v58
	s_or_b32 s5, vcc_lo, s5
	s_waitcnt vmcnt(0) lgkmcnt(0)
	v_fma_f64 v[53:54], v[61:62], v[63:64], v[53:54]
	s_andn2_b32 exec_lo, exec_lo, s5
	s_cbranch_execnz .LBB25_21
; %bb.22:
	s_or_b32 exec_lo, exec_lo, s5
	v_mov_b32_e32 v58, 0
	ds_read_b64 v[58:59], v58 offset:24
	s_waitcnt lgkmcnt(0)
	v_mul_f64 v[53:54], v[53:54], v[58:59]
	buffer_store_dword v54, off, s[0:3], 0 offset:28
	buffer_store_dword v53, off, s[0:3], 0 offset:24
.LBB25_23:
	s_or_b32 exec_lo, exec_lo, s4
	s_waitcnt_vscnt null, 0x0
	s_barrier
	buffer_gl0_inv
	s_clause 0x1
	buffer_load_dword v53, off, s[0:3], 0 offset:32
	buffer_load_dword v54, off, s[0:3], 0 offset:36
	s_mov_b32 s4, exec_lo
	s_waitcnt vmcnt(0)
	ds_write_b64 v56, v[53:54]
	s_waitcnt lgkmcnt(0)
	s_barrier
	buffer_gl0_inv
	v_cmpx_gt_u32_e32 4, v0
	s_cbranch_execz .LBB25_27
; %bb.24:
	v_mov_b32_e32 v53, 0
	v_add_nc_u32_e32 v58, -1, v0
	v_add_nc_u32_e32 v59, 0xd0, v55
	v_mov_b32_e32 v54, 0
	v_mov_b32_e32 v60, v55
	s_mov_b32 s5, 0
.LBB25_25:                              ; =>This Inner Loop Header: Depth=1
	s_clause 0x1
	buffer_load_dword v61, v60, s[0:3], 0 offen
	buffer_load_dword v62, v60, s[0:3], 0 offen offset:4
	ds_read_b64 v[63:64], v59
	v_add_nc_u32_e32 v58, 1, v58
	v_add_nc_u32_e32 v59, 8, v59
	v_add_nc_u32_e32 v60, 8, v60
	v_cmp_lt_u32_e32 vcc_lo, 2, v58
	s_or_b32 s5, vcc_lo, s5
	s_waitcnt vmcnt(0) lgkmcnt(0)
	v_fma_f64 v[53:54], v[61:62], v[63:64], v[53:54]
	s_andn2_b32 exec_lo, exec_lo, s5
	s_cbranch_execnz .LBB25_25
; %bb.26:
	s_or_b32 exec_lo, exec_lo, s5
	v_mov_b32_e32 v58, 0
	ds_read_b64 v[58:59], v58 offset:32
	s_waitcnt lgkmcnt(0)
	v_mul_f64 v[53:54], v[53:54], v[58:59]
	buffer_store_dword v54, off, s[0:3], 0 offset:36
	buffer_store_dword v53, off, s[0:3], 0 offset:32
.LBB25_27:
	s_or_b32 exec_lo, exec_lo, s4
	s_waitcnt_vscnt null, 0x0
	s_barrier
	buffer_gl0_inv
	s_clause 0x1
	buffer_load_dword v53, off, s[0:3], 0 offset:40
	buffer_load_dword v54, off, s[0:3], 0 offset:44
	;; [unrolled: 45-line block ×20, first 2 shown]
	s_mov_b32 s4, exec_lo
	s_waitcnt vmcnt(0)
	ds_write_b64 v56, v[53:54]
	s_waitcnt lgkmcnt(0)
	s_barrier
	buffer_gl0_inv
	v_cmpx_gt_u32_e32 23, v0
	s_cbranch_execz .LBB25_103
; %bb.100:
	v_mov_b32_e32 v53, 0
	v_add_nc_u32_e32 v58, -1, v0
	v_add_nc_u32_e32 v59, 0xd0, v55
	v_mov_b32_e32 v54, 0
	v_mov_b32_e32 v60, v55
	s_mov_b32 s5, 0
.LBB25_101:                             ; =>This Inner Loop Header: Depth=1
	s_clause 0x1
	buffer_load_dword v61, v60, s[0:3], 0 offen
	buffer_load_dword v62, v60, s[0:3], 0 offen offset:4
	ds_read_b64 v[63:64], v59
	v_add_nc_u32_e32 v58, 1, v58
	v_add_nc_u32_e32 v59, 8, v59
	;; [unrolled: 1-line block ×3, first 2 shown]
	v_cmp_lt_u32_e32 vcc_lo, 21, v58
	s_or_b32 s5, vcc_lo, s5
	s_waitcnt vmcnt(0) lgkmcnt(0)
	v_fma_f64 v[53:54], v[61:62], v[63:64], v[53:54]
	s_andn2_b32 exec_lo, exec_lo, s5
	s_cbranch_execnz .LBB25_101
; %bb.102:
	s_or_b32 exec_lo, exec_lo, s5
	v_mov_b32_e32 v58, 0
	ds_read_b64 v[58:59], v58 offset:184
	s_waitcnt lgkmcnt(0)
	v_mul_f64 v[53:54], v[53:54], v[58:59]
	buffer_store_dword v54, off, s[0:3], 0 offset:188
	buffer_store_dword v53, off, s[0:3], 0 offset:184
.LBB25_103:
	s_or_b32 exec_lo, exec_lo, s4
	s_waitcnt_vscnt null, 0x0
	s_barrier
	buffer_gl0_inv
	s_clause 0x1
	buffer_load_dword v53, off, s[0:3], 0 offset:192
	buffer_load_dword v54, off, s[0:3], 0 offset:196
	s_mov_b32 s4, exec_lo
	s_waitcnt vmcnt(0)
	ds_write_b64 v56, v[53:54]
	s_waitcnt lgkmcnt(0)
	s_barrier
	buffer_gl0_inv
	v_cmpx_gt_u32_e32 24, v0
	s_cbranch_execz .LBB25_107
; %bb.104:
	v_mov_b32_e32 v53, 0
	v_add_nc_u32_e32 v58, -1, v0
	v_add_nc_u32_e32 v59, 0xd0, v55
	v_mov_b32_e32 v54, 0
	v_mov_b32_e32 v60, v55
	s_mov_b32 s5, 0
.LBB25_105:                             ; =>This Inner Loop Header: Depth=1
	s_clause 0x1
	buffer_load_dword v61, v60, s[0:3], 0 offen
	buffer_load_dword v62, v60, s[0:3], 0 offen offset:4
	ds_read_b64 v[63:64], v59
	v_add_nc_u32_e32 v58, 1, v58
	v_add_nc_u32_e32 v59, 8, v59
	;; [unrolled: 1-line block ×3, first 2 shown]
	v_cmp_lt_u32_e32 vcc_lo, 22, v58
	s_or_b32 s5, vcc_lo, s5
	s_waitcnt vmcnt(0) lgkmcnt(0)
	v_fma_f64 v[53:54], v[61:62], v[63:64], v[53:54]
	s_andn2_b32 exec_lo, exec_lo, s5
	s_cbranch_execnz .LBB25_105
; %bb.106:
	s_or_b32 exec_lo, exec_lo, s5
	v_mov_b32_e32 v58, 0
	ds_read_b64 v[58:59], v58 offset:192
	s_waitcnt lgkmcnt(0)
	v_mul_f64 v[53:54], v[53:54], v[58:59]
	buffer_store_dword v54, off, s[0:3], 0 offset:196
	buffer_store_dword v53, off, s[0:3], 0 offset:192
.LBB25_107:
	s_or_b32 exec_lo, exec_lo, s4
	s_waitcnt_vscnt null, 0x0
	s_barrier
	buffer_gl0_inv
	s_clause 0x1
	buffer_load_dword v53, off, s[0:3], 0 offset:200
	buffer_load_dword v54, off, s[0:3], 0 offset:204
	s_mov_b32 s4, exec_lo
	s_waitcnt vmcnt(0)
	ds_write_b64 v56, v[53:54]
	s_waitcnt lgkmcnt(0)
	s_barrier
	buffer_gl0_inv
	v_cmpx_ne_u32_e32 25, v0
	s_cbranch_execz .LBB25_111
; %bb.108:
	v_mov_b32_e32 v53, 0
	v_mov_b32_e32 v54, 0
	s_mov_b32 s5, 0
.LBB25_109:                             ; =>This Inner Loop Header: Depth=1
	s_clause 0x1
	buffer_load_dword v58, v55, s[0:3], 0 offen
	buffer_load_dword v59, v55, s[0:3], 0 offen offset:4
	ds_read_b64 v[60:61], v56
	v_add_nc_u32_e32 v57, 1, v57
	v_add_nc_u32_e32 v56, 8, v56
	;; [unrolled: 1-line block ×3, first 2 shown]
	v_cmp_lt_u32_e32 vcc_lo, 23, v57
	s_or_b32 s5, vcc_lo, s5
	s_waitcnt vmcnt(0) lgkmcnt(0)
	v_fma_f64 v[53:54], v[58:59], v[60:61], v[53:54]
	s_andn2_b32 exec_lo, exec_lo, s5
	s_cbranch_execnz .LBB25_109
; %bb.110:
	s_or_b32 exec_lo, exec_lo, s5
	v_mov_b32_e32 v55, 0
	ds_read_b64 v[55:56], v55 offset:200
	s_waitcnt lgkmcnt(0)
	v_mul_f64 v[53:54], v[53:54], v[55:56]
	buffer_store_dword v54, off, s[0:3], 0 offset:204
	buffer_store_dword v53, off, s[0:3], 0 offset:200
.LBB25_111:
	s_or_b32 exec_lo, exec_lo, s4
	s_mov_b32 s5, -1
	s_waitcnt_vscnt null, 0x0
	s_barrier
	buffer_gl0_inv
.LBB25_112:
	s_and_b32 vcc_lo, exec_lo, s5
	s_cbranch_vccz .LBB25_114
; %bb.113:
	s_lshl_b64 s[4:5], s[6:7], 2
	v_mov_b32_e32 v53, 0
	s_add_u32 s4, s10, s4
	s_addc_u32 s5, s11, s5
	global_load_dword v53, v53, s[4:5]
	s_waitcnt vmcnt(0)
	v_cmp_ne_u32_e32 vcc_lo, 0, v53
	s_cbranch_vccz .LBB25_115
.LBB25_114:
	s_endpgm
.LBB25_115:
	v_lshl_add_u32 v53, v0, 3, 0xd0
	s_mov_b32 s4, exec_lo
	v_cmpx_eq_u32_e32 25, v0
	s_cbranch_execz .LBB25_117
; %bb.116:
	s_clause 0x1
	buffer_load_dword v54, off, s[0:3], 0 offset:192
	buffer_load_dword v55, off, s[0:3], 0 offset:196
	v_mov_b32_e32 v56, 0
	buffer_store_dword v56, off, s[0:3], 0 offset:192
	buffer_store_dword v56, off, s[0:3], 0 offset:196
	s_waitcnt vmcnt(0)
	ds_write_b64 v53, v[54:55]
.LBB25_117:
	s_or_b32 exec_lo, exec_lo, s4
	s_waitcnt lgkmcnt(0)
	s_waitcnt_vscnt null, 0x0
	s_barrier
	buffer_gl0_inv
	s_clause 0x3
	buffer_load_dword v55, off, s[0:3], 0 offset:200
	buffer_load_dword v56, off, s[0:3], 0 offset:204
	;; [unrolled: 1-line block ×4, first 2 shown]
	v_mov_b32_e32 v54, 0
	s_mov_b32 s4, exec_lo
	ds_read_b64 v[59:60], v54 offset:408
	s_waitcnt vmcnt(2) lgkmcnt(0)
	v_fma_f64 v[55:56], v[55:56], v[59:60], 0
	s_waitcnt vmcnt(0)
	v_add_f64 v[55:56], v[57:58], -v[55:56]
	buffer_store_dword v55, off, s[0:3], 0 offset:192
	buffer_store_dword v56, off, s[0:3], 0 offset:196
	v_cmpx_lt_u32_e32 23, v0
	s_cbranch_execz .LBB25_119
; %bb.118:
	s_clause 0x1
	buffer_load_dword v55, off, s[0:3], 0 offset:184
	buffer_load_dword v56, off, s[0:3], 0 offset:188
	buffer_store_dword v54, off, s[0:3], 0 offset:184
	buffer_store_dword v54, off, s[0:3], 0 offset:188
	s_waitcnt vmcnt(0)
	ds_write_b64 v53, v[55:56]
.LBB25_119:
	s_or_b32 exec_lo, exec_lo, s4
	s_waitcnt lgkmcnt(0)
	s_waitcnt_vscnt null, 0x0
	s_barrier
	buffer_gl0_inv
	s_clause 0x5
	buffer_load_dword v58, off, s[0:3], 0 offset:192
	buffer_load_dword v59, off, s[0:3], 0 offset:196
	;; [unrolled: 1-line block ×6, first 2 shown]
	ds_read_b128 v[54:57], v54 offset:400
	s_mov_b32 s4, exec_lo
	s_waitcnt vmcnt(4) lgkmcnt(0)
	v_fma_f64 v[54:55], v[58:59], v[54:55], 0
	s_waitcnt vmcnt(2)
	v_fma_f64 v[54:55], v[60:61], v[56:57], v[54:55]
	s_waitcnt vmcnt(0)
	v_add_f64 v[54:55], v[62:63], -v[54:55]
	buffer_store_dword v54, off, s[0:3], 0 offset:184
	buffer_store_dword v55, off, s[0:3], 0 offset:188
	v_cmpx_lt_u32_e32 22, v0
	s_cbranch_execz .LBB25_121
; %bb.120:
	s_clause 0x1
	buffer_load_dword v54, off, s[0:3], 0 offset:176
	buffer_load_dword v55, off, s[0:3], 0 offset:180
	v_mov_b32_e32 v56, 0
	buffer_store_dword v56, off, s[0:3], 0 offset:176
	buffer_store_dword v56, off, s[0:3], 0 offset:180
	s_waitcnt vmcnt(0)
	ds_write_b64 v53, v[54:55]
.LBB25_121:
	s_or_b32 exec_lo, exec_lo, s4
	s_waitcnt lgkmcnt(0)
	s_waitcnt_vscnt null, 0x0
	s_barrier
	buffer_gl0_inv
	s_clause 0x7
	buffer_load_dword v59, off, s[0:3], 0 offset:184
	buffer_load_dword v60, off, s[0:3], 0 offset:188
	buffer_load_dword v61, off, s[0:3], 0 offset:192
	buffer_load_dword v62, off, s[0:3], 0 offset:196
	buffer_load_dword v63, off, s[0:3], 0 offset:200
	buffer_load_dword v64, off, s[0:3], 0 offset:204
	buffer_load_dword v65, off, s[0:3], 0 offset:176
	buffer_load_dword v66, off, s[0:3], 0 offset:180
	v_mov_b32_e32 v54, 0
	ds_read2_b64 v[55:58], v54 offset0:49 offset1:50
	ds_read_b64 v[67:68], v54 offset:408
	s_mov_b32 s4, exec_lo
	s_waitcnt vmcnt(6) lgkmcnt(1)
	v_fma_f64 v[55:56], v[59:60], v[55:56], 0
	s_waitcnt vmcnt(4)
	v_fma_f64 v[55:56], v[61:62], v[57:58], v[55:56]
	s_waitcnt vmcnt(2) lgkmcnt(0)
	v_fma_f64 v[55:56], v[63:64], v[67:68], v[55:56]
	s_waitcnt vmcnt(0)
	v_add_f64 v[55:56], v[65:66], -v[55:56]
	buffer_store_dword v55, off, s[0:3], 0 offset:176
	buffer_store_dword v56, off, s[0:3], 0 offset:180
	v_cmpx_lt_u32_e32 21, v0
	s_cbranch_execz .LBB25_123
; %bb.122:
	s_clause 0x1
	buffer_load_dword v55, off, s[0:3], 0 offset:168
	buffer_load_dword v56, off, s[0:3], 0 offset:172
	buffer_store_dword v54, off, s[0:3], 0 offset:168
	buffer_store_dword v54, off, s[0:3], 0 offset:172
	s_waitcnt vmcnt(0)
	ds_write_b64 v53, v[55:56]
.LBB25_123:
	s_or_b32 exec_lo, exec_lo, s4
	s_waitcnt lgkmcnt(0)
	s_waitcnt_vscnt null, 0x0
	s_barrier
	buffer_gl0_inv
	s_clause 0x9
	buffer_load_dword v63, off, s[0:3], 0 offset:176
	buffer_load_dword v64, off, s[0:3], 0 offset:180
	;; [unrolled: 1-line block ×10, first 2 shown]
	ds_read_b128 v[55:58], v54 offset:384
	ds_read_b128 v[59:62], v54 offset:400
	s_mov_b32 s4, exec_lo
	s_waitcnt vmcnt(8) lgkmcnt(1)
	v_fma_f64 v[54:55], v[63:64], v[55:56], 0
	s_waitcnt vmcnt(6)
	v_fma_f64 v[54:55], v[65:66], v[57:58], v[54:55]
	s_waitcnt vmcnt(4) lgkmcnt(0)
	v_fma_f64 v[54:55], v[67:68], v[59:60], v[54:55]
	s_waitcnt vmcnt(2)
	v_fma_f64 v[54:55], v[69:70], v[61:62], v[54:55]
	s_waitcnt vmcnt(0)
	v_add_f64 v[54:55], v[71:72], -v[54:55]
	buffer_store_dword v54, off, s[0:3], 0 offset:168
	buffer_store_dword v55, off, s[0:3], 0 offset:172
	v_cmpx_lt_u32_e32 20, v0
	s_cbranch_execz .LBB25_125
; %bb.124:
	s_clause 0x1
	buffer_load_dword v54, off, s[0:3], 0 offset:160
	buffer_load_dword v55, off, s[0:3], 0 offset:164
	v_mov_b32_e32 v56, 0
	buffer_store_dword v56, off, s[0:3], 0 offset:160
	buffer_store_dword v56, off, s[0:3], 0 offset:164
	s_waitcnt vmcnt(0)
	ds_write_b64 v53, v[54:55]
.LBB25_125:
	s_or_b32 exec_lo, exec_lo, s4
	s_waitcnt lgkmcnt(0)
	s_waitcnt_vscnt null, 0x0
	s_barrier
	buffer_gl0_inv
	s_clause 0xb
	buffer_load_dword v63, off, s[0:3], 0 offset:168
	buffer_load_dword v64, off, s[0:3], 0 offset:172
	;; [unrolled: 1-line block ×12, first 2 shown]
	v_mov_b32_e32 v54, 0
	ds_read2_b64 v[55:58], v54 offset0:47 offset1:48
	ds_read2_b64 v[59:62], v54 offset0:49 offset1:50
	s_mov_b32 s4, exec_lo
	s_waitcnt vmcnt(10) lgkmcnt(1)
	v_fma_f64 v[55:56], v[63:64], v[55:56], 0
	s_waitcnt vmcnt(8)
	v_fma_f64 v[55:56], v[65:66], v[57:58], v[55:56]
	ds_read_b64 v[57:58], v54 offset:408
	s_waitcnt vmcnt(6) lgkmcnt(1)
	v_fma_f64 v[55:56], v[67:68], v[59:60], v[55:56]
	s_waitcnt vmcnt(4)
	v_fma_f64 v[55:56], v[69:70], v[61:62], v[55:56]
	s_waitcnt vmcnt(2) lgkmcnt(0)
	v_fma_f64 v[55:56], v[71:72], v[57:58], v[55:56]
	s_waitcnt vmcnt(0)
	v_add_f64 v[55:56], v[73:74], -v[55:56]
	buffer_store_dword v55, off, s[0:3], 0 offset:160
	buffer_store_dword v56, off, s[0:3], 0 offset:164
	v_cmpx_lt_u32_e32 19, v0
	s_cbranch_execz .LBB25_127
; %bb.126:
	s_clause 0x1
	buffer_load_dword v55, off, s[0:3], 0 offset:152
	buffer_load_dword v56, off, s[0:3], 0 offset:156
	buffer_store_dword v54, off, s[0:3], 0 offset:152
	buffer_store_dword v54, off, s[0:3], 0 offset:156
	s_waitcnt vmcnt(0)
	ds_write_b64 v53, v[55:56]
.LBB25_127:
	s_or_b32 exec_lo, exec_lo, s4
	s_waitcnt lgkmcnt(0)
	s_waitcnt_vscnt null, 0x0
	s_barrier
	buffer_gl0_inv
	s_clause 0xd
	buffer_load_dword v63, off, s[0:3], 0 offset:160
	buffer_load_dword v64, off, s[0:3], 0 offset:164
	;; [unrolled: 1-line block ×14, first 2 shown]
	ds_read_b128 v[55:58], v54 offset:368
	ds_read_b128 v[59:62], v54 offset:384
	s_mov_b32 s4, exec_lo
	s_waitcnt vmcnt(12) lgkmcnt(1)
	v_fma_f64 v[55:56], v[63:64], v[55:56], 0
	s_waitcnt vmcnt(10)
	v_fma_f64 v[55:56], v[65:66], v[57:58], v[55:56]
	s_waitcnt vmcnt(8) lgkmcnt(0)
	v_fma_f64 v[55:56], v[67:68], v[59:60], v[55:56]
	s_waitcnt vmcnt(6)
	v_fma_f64 v[58:59], v[69:70], v[61:62], v[55:56]
	ds_read_b128 v[54:57], v54 offset:400
	s_waitcnt vmcnt(4) lgkmcnt(0)
	v_fma_f64 v[54:55], v[71:72], v[54:55], v[58:59]
	s_waitcnt vmcnt(2)
	v_fma_f64 v[54:55], v[73:74], v[56:57], v[54:55]
	s_waitcnt vmcnt(0)
	v_add_f64 v[54:55], v[75:76], -v[54:55]
	buffer_store_dword v54, off, s[0:3], 0 offset:152
	buffer_store_dword v55, off, s[0:3], 0 offset:156
	v_cmpx_lt_u32_e32 18, v0
	s_cbranch_execz .LBB25_129
; %bb.128:
	s_clause 0x1
	buffer_load_dword v54, off, s[0:3], 0 offset:144
	buffer_load_dword v55, off, s[0:3], 0 offset:148
	v_mov_b32_e32 v56, 0
	buffer_store_dword v56, off, s[0:3], 0 offset:144
	buffer_store_dword v56, off, s[0:3], 0 offset:148
	s_waitcnt vmcnt(0)
	ds_write_b64 v53, v[54:55]
.LBB25_129:
	s_or_b32 exec_lo, exec_lo, s4
	s_waitcnt lgkmcnt(0)
	s_waitcnt_vscnt null, 0x0
	s_barrier
	buffer_gl0_inv
	s_clause 0xf
	buffer_load_dword v63, off, s[0:3], 0 offset:152
	buffer_load_dword v64, off, s[0:3], 0 offset:156
	;; [unrolled: 1-line block ×16, first 2 shown]
	v_mov_b32_e32 v54, 0
	ds_read2_b64 v[55:58], v54 offset0:45 offset1:46
	ds_read2_b64 v[59:62], v54 offset0:47 offset1:48
	s_mov_b32 s4, exec_lo
	s_waitcnt vmcnt(14) lgkmcnt(1)
	v_fma_f64 v[55:56], v[63:64], v[55:56], 0
	s_waitcnt vmcnt(12)
	v_fma_f64 v[55:56], v[65:66], v[57:58], v[55:56]
	s_waitcnt vmcnt(10) lgkmcnt(0)
	v_fma_f64 v[55:56], v[67:68], v[59:60], v[55:56]
	s_waitcnt vmcnt(8)
	v_fma_f64 v[59:60], v[69:70], v[61:62], v[55:56]
	ds_read2_b64 v[55:58], v54 offset0:49 offset1:50
	ds_read_b64 v[61:62], v54 offset:408
	s_waitcnt vmcnt(6) lgkmcnt(1)
	v_fma_f64 v[55:56], v[71:72], v[55:56], v[59:60]
	s_waitcnt vmcnt(4)
	v_fma_f64 v[55:56], v[73:74], v[57:58], v[55:56]
	s_waitcnt vmcnt(2) lgkmcnt(0)
	v_fma_f64 v[55:56], v[75:76], v[61:62], v[55:56]
	s_waitcnt vmcnt(0)
	v_add_f64 v[55:56], v[77:78], -v[55:56]
	buffer_store_dword v55, off, s[0:3], 0 offset:144
	buffer_store_dword v56, off, s[0:3], 0 offset:148
	v_cmpx_lt_u32_e32 17, v0
	s_cbranch_execz .LBB25_131
; %bb.130:
	s_clause 0x1
	buffer_load_dword v55, off, s[0:3], 0 offset:136
	buffer_load_dword v56, off, s[0:3], 0 offset:140
	buffer_store_dword v54, off, s[0:3], 0 offset:136
	buffer_store_dword v54, off, s[0:3], 0 offset:140
	s_waitcnt vmcnt(0)
	ds_write_b64 v53, v[55:56]
.LBB25_131:
	s_or_b32 exec_lo, exec_lo, s4
	s_waitcnt lgkmcnt(0)
	s_waitcnt_vscnt null, 0x0
	s_barrier
	buffer_gl0_inv
	s_clause 0x11
	buffer_load_dword v63, off, s[0:3], 0 offset:144
	buffer_load_dword v64, off, s[0:3], 0 offset:148
	;; [unrolled: 1-line block ×18, first 2 shown]
	ds_read_b128 v[55:58], v54 offset:352
	ds_read_b128 v[59:62], v54 offset:368
	s_mov_b32 s4, exec_lo
	s_waitcnt vmcnt(16) lgkmcnt(1)
	v_fma_f64 v[55:56], v[63:64], v[55:56], 0
	s_waitcnt vmcnt(14)
	v_fma_f64 v[55:56], v[65:66], v[57:58], v[55:56]
	s_waitcnt vmcnt(12) lgkmcnt(0)
	v_fma_f64 v[55:56], v[67:68], v[59:60], v[55:56]
	s_waitcnt vmcnt(10)
	v_fma_f64 v[63:64], v[69:70], v[61:62], v[55:56]
	ds_read_b128 v[55:58], v54 offset:384
	ds_read_b128 v[59:62], v54 offset:400
	s_waitcnt vmcnt(8) lgkmcnt(1)
	v_fma_f64 v[54:55], v[71:72], v[55:56], v[63:64]
	s_waitcnt vmcnt(6)
	v_fma_f64 v[54:55], v[73:74], v[57:58], v[54:55]
	s_waitcnt vmcnt(4) lgkmcnt(0)
	v_fma_f64 v[54:55], v[75:76], v[59:60], v[54:55]
	s_waitcnt vmcnt(2)
	v_fma_f64 v[54:55], v[77:78], v[61:62], v[54:55]
	s_waitcnt vmcnt(0)
	v_add_f64 v[54:55], v[79:80], -v[54:55]
	buffer_store_dword v54, off, s[0:3], 0 offset:136
	buffer_store_dword v55, off, s[0:3], 0 offset:140
	v_cmpx_lt_u32_e32 16, v0
	s_cbranch_execz .LBB25_133
; %bb.132:
	s_clause 0x1
	buffer_load_dword v54, off, s[0:3], 0 offset:128
	buffer_load_dword v55, off, s[0:3], 0 offset:132
	v_mov_b32_e32 v56, 0
	buffer_store_dword v56, off, s[0:3], 0 offset:128
	buffer_store_dword v56, off, s[0:3], 0 offset:132
	s_waitcnt vmcnt(0)
	ds_write_b64 v53, v[54:55]
.LBB25_133:
	s_or_b32 exec_lo, exec_lo, s4
	s_waitcnt lgkmcnt(0)
	s_waitcnt_vscnt null, 0x0
	s_barrier
	buffer_gl0_inv
	s_clause 0x13
	buffer_load_dword v63, off, s[0:3], 0 offset:136
	buffer_load_dword v64, off, s[0:3], 0 offset:140
	;; [unrolled: 1-line block ×20, first 2 shown]
	v_mov_b32_e32 v54, 0
	ds_read2_b64 v[55:58], v54 offset0:43 offset1:44
	ds_read2_b64 v[59:62], v54 offset0:45 offset1:46
	s_mov_b32 s4, exec_lo
	s_waitcnt vmcnt(18) lgkmcnt(1)
	v_fma_f64 v[55:56], v[63:64], v[55:56], 0
	s_waitcnt vmcnt(16)
	v_fma_f64 v[55:56], v[65:66], v[57:58], v[55:56]
	s_waitcnt vmcnt(14) lgkmcnt(0)
	v_fma_f64 v[55:56], v[67:68], v[59:60], v[55:56]
	s_waitcnt vmcnt(12)
	v_fma_f64 v[63:64], v[69:70], v[61:62], v[55:56]
	ds_read2_b64 v[55:58], v54 offset0:47 offset1:48
	ds_read2_b64 v[59:62], v54 offset0:49 offset1:50
	s_waitcnt vmcnt(10) lgkmcnt(1)
	v_fma_f64 v[55:56], v[71:72], v[55:56], v[63:64]
	s_waitcnt vmcnt(8)
	v_fma_f64 v[55:56], v[73:74], v[57:58], v[55:56]
	ds_read_b64 v[57:58], v54 offset:408
	s_waitcnt vmcnt(6) lgkmcnt(1)
	v_fma_f64 v[55:56], v[75:76], v[59:60], v[55:56]
	s_waitcnt vmcnt(3)
	v_fma_f64 v[55:56], v[77:78], v[61:62], v[55:56]
	s_waitcnt vmcnt(2) lgkmcnt(0)
	v_fma_f64 v[55:56], v[79:80], v[57:58], v[55:56]
	s_waitcnt vmcnt(0)
	v_add_f64 v[55:56], v[81:82], -v[55:56]
	buffer_store_dword v55, off, s[0:3], 0 offset:128
	buffer_store_dword v56, off, s[0:3], 0 offset:132
	v_cmpx_lt_u32_e32 15, v0
	s_cbranch_execz .LBB25_135
; %bb.134:
	s_clause 0x1
	buffer_load_dword v55, off, s[0:3], 0 offset:120
	buffer_load_dword v56, off, s[0:3], 0 offset:124
	buffer_store_dword v54, off, s[0:3], 0 offset:120
	buffer_store_dword v54, off, s[0:3], 0 offset:124
	s_waitcnt vmcnt(0)
	ds_write_b64 v53, v[55:56]
.LBB25_135:
	s_or_b32 exec_lo, exec_lo, s4
	s_waitcnt lgkmcnt(0)
	s_waitcnt_vscnt null, 0x0
	s_barrier
	buffer_gl0_inv
	s_clause 0x15
	buffer_load_dword v63, off, s[0:3], 0 offset:128
	buffer_load_dword v64, off, s[0:3], 0 offset:132
	;; [unrolled: 1-line block ×22, first 2 shown]
	ds_read_b128 v[55:58], v54 offset:336
	ds_read_b128 v[59:62], v54 offset:352
	s_mov_b32 s4, exec_lo
	s_waitcnt vmcnt(20) lgkmcnt(1)
	v_fma_f64 v[55:56], v[63:64], v[55:56], 0
	s_waitcnt vmcnt(18)
	v_fma_f64 v[55:56], v[65:66], v[57:58], v[55:56]
	s_waitcnt vmcnt(16) lgkmcnt(0)
	v_fma_f64 v[55:56], v[67:68], v[59:60], v[55:56]
	s_waitcnt vmcnt(14)
	v_fma_f64 v[63:64], v[69:70], v[61:62], v[55:56]
	ds_read_b128 v[55:58], v54 offset:368
	ds_read_b128 v[59:62], v54 offset:384
	s_waitcnt vmcnt(12) lgkmcnt(1)
	v_fma_f64 v[55:56], v[71:72], v[55:56], v[63:64]
	s_waitcnt vmcnt(10)
	v_fma_f64 v[55:56], v[73:74], v[57:58], v[55:56]
	s_waitcnt vmcnt(8) lgkmcnt(0)
	v_fma_f64 v[55:56], v[75:76], v[59:60], v[55:56]
	s_waitcnt vmcnt(4)
	v_fma_f64 v[58:59], v[77:78], v[61:62], v[55:56]
	ds_read_b128 v[54:57], v54 offset:400
	s_waitcnt vmcnt(3) lgkmcnt(0)
	v_fma_f64 v[54:55], v[81:82], v[54:55], v[58:59]
	s_waitcnt vmcnt(2)
	v_fma_f64 v[54:55], v[79:80], v[56:57], v[54:55]
	s_waitcnt vmcnt(0)
	v_add_f64 v[54:55], v[83:84], -v[54:55]
	buffer_store_dword v54, off, s[0:3], 0 offset:120
	buffer_store_dword v55, off, s[0:3], 0 offset:124
	v_cmpx_lt_u32_e32 14, v0
	s_cbranch_execz .LBB25_137
; %bb.136:
	s_clause 0x1
	buffer_load_dword v54, off, s[0:3], 0 offset:112
	buffer_load_dword v55, off, s[0:3], 0 offset:116
	v_mov_b32_e32 v56, 0
	buffer_store_dword v56, off, s[0:3], 0 offset:112
	buffer_store_dword v56, off, s[0:3], 0 offset:116
	s_waitcnt vmcnt(0)
	ds_write_b64 v53, v[54:55]
.LBB25_137:
	s_or_b32 exec_lo, exec_lo, s4
	s_waitcnt lgkmcnt(0)
	s_waitcnt_vscnt null, 0x0
	s_barrier
	buffer_gl0_inv
	s_clause 0x17
	buffer_load_dword v63, off, s[0:3], 0 offset:120
	buffer_load_dword v64, off, s[0:3], 0 offset:124
	;; [unrolled: 1-line block ×24, first 2 shown]
	v_mov_b32_e32 v54, 0
	ds_read2_b64 v[55:58], v54 offset0:41 offset1:42
	ds_read2_b64 v[59:62], v54 offset0:43 offset1:44
	s_mov_b32 s4, exec_lo
	s_waitcnt vmcnt(22) lgkmcnt(1)
	v_fma_f64 v[55:56], v[63:64], v[55:56], 0
	s_waitcnt vmcnt(20)
	v_fma_f64 v[55:56], v[65:66], v[57:58], v[55:56]
	s_waitcnt vmcnt(18) lgkmcnt(0)
	v_fma_f64 v[55:56], v[67:68], v[59:60], v[55:56]
	s_waitcnt vmcnt(16)
	v_fma_f64 v[63:64], v[69:70], v[61:62], v[55:56]
	ds_read2_b64 v[55:58], v54 offset0:45 offset1:46
	ds_read2_b64 v[59:62], v54 offset0:47 offset1:48
	s_waitcnt vmcnt(14) lgkmcnt(1)
	v_fma_f64 v[55:56], v[71:72], v[55:56], v[63:64]
	s_waitcnt vmcnt(12)
	v_fma_f64 v[55:56], v[73:74], v[57:58], v[55:56]
	s_waitcnt vmcnt(10) lgkmcnt(0)
	v_fma_f64 v[55:56], v[75:76], v[59:60], v[55:56]
	s_waitcnt vmcnt(5)
	v_fma_f64 v[59:60], v[77:78], v[61:62], v[55:56]
	ds_read2_b64 v[55:58], v54 offset0:49 offset1:50
	ds_read_b64 v[61:62], v54 offset:408
	s_waitcnt vmcnt(4) lgkmcnt(1)
	v_fma_f64 v[55:56], v[83:84], v[55:56], v[59:60]
	s_waitcnt vmcnt(3)
	v_fma_f64 v[55:56], v[81:82], v[57:58], v[55:56]
	s_waitcnt vmcnt(2) lgkmcnt(0)
	v_fma_f64 v[55:56], v[79:80], v[61:62], v[55:56]
	s_waitcnt vmcnt(0)
	v_add_f64 v[55:56], v[85:86], -v[55:56]
	buffer_store_dword v56, off, s[0:3], 0 offset:116
	buffer_store_dword v55, off, s[0:3], 0 offset:112
	v_cmpx_lt_u32_e32 13, v0
	s_cbranch_execz .LBB25_139
; %bb.138:
	s_clause 0x1
	buffer_load_dword v55, off, s[0:3], 0 offset:104
	buffer_load_dword v56, off, s[0:3], 0 offset:108
	buffer_store_dword v54, off, s[0:3], 0 offset:104
	buffer_store_dword v54, off, s[0:3], 0 offset:108
	s_waitcnt vmcnt(0)
	ds_write_b64 v53, v[55:56]
.LBB25_139:
	s_or_b32 exec_lo, exec_lo, s4
	s_waitcnt lgkmcnt(0)
	s_waitcnt_vscnt null, 0x0
	s_barrier
	buffer_gl0_inv
	s_clause 0x19
	buffer_load_dword v63, off, s[0:3], 0 offset:112
	buffer_load_dword v64, off, s[0:3], 0 offset:116
	;; [unrolled: 1-line block ×26, first 2 shown]
	ds_read_b128 v[55:58], v54 offset:320
	ds_read_b128 v[59:62], v54 offset:336
	s_mov_b32 s4, exec_lo
	s_waitcnt vmcnt(24) lgkmcnt(1)
	v_fma_f64 v[55:56], v[63:64], v[55:56], 0
	s_waitcnt vmcnt(22)
	v_fma_f64 v[55:56], v[65:66], v[57:58], v[55:56]
	s_waitcnt vmcnt(20) lgkmcnt(0)
	v_fma_f64 v[55:56], v[67:68], v[59:60], v[55:56]
	s_waitcnt vmcnt(18)
	v_fma_f64 v[63:64], v[69:70], v[61:62], v[55:56]
	ds_read_b128 v[55:58], v54 offset:352
	ds_read_b128 v[59:62], v54 offset:368
	s_waitcnt vmcnt(16) lgkmcnt(1)
	v_fma_f64 v[55:56], v[71:72], v[55:56], v[63:64]
	s_waitcnt vmcnt(14)
	v_fma_f64 v[55:56], v[73:74], v[57:58], v[55:56]
	s_waitcnt vmcnt(12) lgkmcnt(0)
	v_fma_f64 v[55:56], v[75:76], v[59:60], v[55:56]
	s_waitcnt vmcnt(7)
	v_fma_f64 v[63:64], v[77:78], v[61:62], v[55:56]
	ds_read_b128 v[55:58], v54 offset:384
	ds_read_b128 v[59:62], v54 offset:400
	s_waitcnt vmcnt(6) lgkmcnt(1)
	v_fma_f64 v[54:55], v[83:84], v[55:56], v[63:64]
	s_waitcnt vmcnt(5)
	v_fma_f64 v[54:55], v[81:82], v[57:58], v[54:55]
	s_waitcnt vmcnt(4) lgkmcnt(0)
	v_fma_f64 v[54:55], v[79:80], v[59:60], v[54:55]
	s_waitcnt vmcnt(2)
	v_fma_f64 v[54:55], v[85:86], v[61:62], v[54:55]
	s_waitcnt vmcnt(0)
	v_add_f64 v[54:55], v[87:88], -v[54:55]
	buffer_store_dword v55, off, s[0:3], 0 offset:108
	buffer_store_dword v54, off, s[0:3], 0 offset:104
	v_cmpx_lt_u32_e32 12, v0
	s_cbranch_execz .LBB25_141
; %bb.140:
	s_clause 0x1
	buffer_load_dword v54, off, s[0:3], 0 offset:96
	buffer_load_dword v55, off, s[0:3], 0 offset:100
	v_mov_b32_e32 v56, 0
	buffer_store_dword v56, off, s[0:3], 0 offset:96
	buffer_store_dword v56, off, s[0:3], 0 offset:100
	s_waitcnt vmcnt(0)
	ds_write_b64 v53, v[54:55]
.LBB25_141:
	s_or_b32 exec_lo, exec_lo, s4
	s_waitcnt lgkmcnt(0)
	s_waitcnt_vscnt null, 0x0
	s_barrier
	buffer_gl0_inv
	s_clause 0x1b
	buffer_load_dword v63, off, s[0:3], 0 offset:104
	buffer_load_dword v64, off, s[0:3], 0 offset:108
	;; [unrolled: 1-line block ×28, first 2 shown]
	v_mov_b32_e32 v54, 0
	ds_read2_b64 v[55:58], v54 offset0:39 offset1:40
	ds_read2_b64 v[59:62], v54 offset0:41 offset1:42
	s_mov_b32 s4, exec_lo
	s_waitcnt vmcnt(26) lgkmcnt(1)
	v_fma_f64 v[55:56], v[63:64], v[55:56], 0
	s_waitcnt vmcnt(24)
	v_fma_f64 v[55:56], v[65:66], v[57:58], v[55:56]
	s_waitcnt vmcnt(22) lgkmcnt(0)
	v_fma_f64 v[55:56], v[67:68], v[59:60], v[55:56]
	s_waitcnt vmcnt(20)
	v_fma_f64 v[63:64], v[69:70], v[61:62], v[55:56]
	ds_read2_b64 v[55:58], v54 offset0:43 offset1:44
	ds_read2_b64 v[59:62], v54 offset0:45 offset1:46
	s_waitcnt vmcnt(18) lgkmcnt(1)
	v_fma_f64 v[55:56], v[71:72], v[55:56], v[63:64]
	s_waitcnt vmcnt(16)
	v_fma_f64 v[55:56], v[73:74], v[57:58], v[55:56]
	s_waitcnt vmcnt(14) lgkmcnt(0)
	v_fma_f64 v[55:56], v[75:76], v[59:60], v[55:56]
	s_waitcnt vmcnt(9)
	v_fma_f64 v[63:64], v[77:78], v[61:62], v[55:56]
	ds_read2_b64 v[55:58], v54 offset0:47 offset1:48
	ds_read2_b64 v[59:62], v54 offset0:49 offset1:50
	s_waitcnt vmcnt(8) lgkmcnt(1)
	v_fma_f64 v[55:56], v[83:84], v[55:56], v[63:64]
	s_waitcnt vmcnt(7)
	v_fma_f64 v[55:56], v[81:82], v[57:58], v[55:56]
	ds_read_b64 v[57:58], v54 offset:408
	s_waitcnt vmcnt(6) lgkmcnt(1)
	v_fma_f64 v[55:56], v[79:80], v[59:60], v[55:56]
	s_waitcnt vmcnt(3)
	v_fma_f64 v[55:56], v[85:86], v[61:62], v[55:56]
	s_waitcnt vmcnt(2) lgkmcnt(0)
	v_fma_f64 v[55:56], v[87:88], v[57:58], v[55:56]
	s_waitcnt vmcnt(0)
	v_add_f64 v[55:56], v[89:90], -v[55:56]
	buffer_store_dword v56, off, s[0:3], 0 offset:100
	buffer_store_dword v55, off, s[0:3], 0 offset:96
	v_cmpx_lt_u32_e32 11, v0
	s_cbranch_execz .LBB25_143
; %bb.142:
	s_clause 0x1
	buffer_load_dword v55, off, s[0:3], 0 offset:88
	buffer_load_dword v56, off, s[0:3], 0 offset:92
	buffer_store_dword v54, off, s[0:3], 0 offset:88
	buffer_store_dword v54, off, s[0:3], 0 offset:92
	s_waitcnt vmcnt(0)
	ds_write_b64 v53, v[55:56]
.LBB25_143:
	s_or_b32 exec_lo, exec_lo, s4
	s_waitcnt lgkmcnt(0)
	s_waitcnt_vscnt null, 0x0
	s_barrier
	buffer_gl0_inv
	s_clause 0x1b
	buffer_load_dword v63, off, s[0:3], 0 offset:96
	buffer_load_dword v64, off, s[0:3], 0 offset:100
	;; [unrolled: 1-line block ×28, first 2 shown]
	ds_read_b128 v[55:58], v54 offset:304
	s_clause 0x1
	buffer_load_dword v91, off, s[0:3], 0 offset:88
	buffer_load_dword v92, off, s[0:3], 0 offset:92
	ds_read_b128 v[59:62], v54 offset:320
	s_mov_b32 s4, exec_lo
	s_waitcnt vmcnt(28) lgkmcnt(1)
	v_fma_f64 v[55:56], v[63:64], v[55:56], 0
	s_waitcnt vmcnt(26)
	v_fma_f64 v[55:56], v[65:66], v[57:58], v[55:56]
	s_waitcnt vmcnt(24) lgkmcnt(0)
	v_fma_f64 v[55:56], v[67:68], v[59:60], v[55:56]
	s_waitcnt vmcnt(22)
	v_fma_f64 v[63:64], v[69:70], v[61:62], v[55:56]
	ds_read_b128 v[55:58], v54 offset:336
	ds_read_b128 v[59:62], v54 offset:352
	s_waitcnt vmcnt(20) lgkmcnt(1)
	v_fma_f64 v[55:56], v[71:72], v[55:56], v[63:64]
	s_waitcnt vmcnt(18)
	v_fma_f64 v[55:56], v[73:74], v[57:58], v[55:56]
	s_waitcnt vmcnt(16) lgkmcnt(0)
	v_fma_f64 v[55:56], v[75:76], v[59:60], v[55:56]
	s_waitcnt vmcnt(11)
	v_fma_f64 v[63:64], v[77:78], v[61:62], v[55:56]
	ds_read_b128 v[55:58], v54 offset:368
	ds_read_b128 v[59:62], v54 offset:384
	s_waitcnt vmcnt(10) lgkmcnt(1)
	v_fma_f64 v[55:56], v[83:84], v[55:56], v[63:64]
	s_waitcnt vmcnt(9)
	v_fma_f64 v[55:56], v[81:82], v[57:58], v[55:56]
	s_waitcnt vmcnt(8) lgkmcnt(0)
	v_fma_f64 v[55:56], v[79:80], v[59:60], v[55:56]
	s_waitcnt vmcnt(4)
	v_fma_f64 v[58:59], v[85:86], v[61:62], v[55:56]
	ds_read_b128 v[54:57], v54 offset:400
	s_waitcnt vmcnt(3) lgkmcnt(0)
	v_fma_f64 v[54:55], v[89:90], v[54:55], v[58:59]
	s_waitcnt vmcnt(2)
	v_fma_f64 v[54:55], v[87:88], v[56:57], v[54:55]
	s_waitcnt vmcnt(0)
	v_add_f64 v[54:55], v[91:92], -v[54:55]
	buffer_store_dword v55, off, s[0:3], 0 offset:92
	buffer_store_dword v54, off, s[0:3], 0 offset:88
	v_cmpx_lt_u32_e32 10, v0
	s_cbranch_execz .LBB25_145
; %bb.144:
	s_clause 0x1
	buffer_load_dword v54, off, s[0:3], 0 offset:80
	buffer_load_dword v55, off, s[0:3], 0 offset:84
	v_mov_b32_e32 v56, 0
	buffer_store_dword v56, off, s[0:3], 0 offset:80
	buffer_store_dword v56, off, s[0:3], 0 offset:84
	s_waitcnt vmcnt(0)
	ds_write_b64 v53, v[54:55]
.LBB25_145:
	s_or_b32 exec_lo, exec_lo, s4
	s_waitcnt lgkmcnt(0)
	s_waitcnt_vscnt null, 0x0
	s_barrier
	buffer_gl0_inv
	s_clause 0x1c
	buffer_load_dword v63, off, s[0:3], 0 offset:88
	buffer_load_dword v64, off, s[0:3], 0 offset:92
	;; [unrolled: 1-line block ×29, first 2 shown]
	v_mov_b32_e32 v54, 0
	buffer_load_dword v88, off, s[0:3], 0 offset:204
	s_mov_b32 s4, exec_lo
	ds_read2_b64 v[55:58], v54 offset0:37 offset1:38
	ds_read2_b64 v[59:62], v54 offset0:39 offset1:40
	s_waitcnt vmcnt(28) lgkmcnt(1)
	v_fma_f64 v[55:56], v[63:64], v[55:56], 0
	s_clause 0x1
	buffer_load_dword v63, off, s[0:3], 0 offset:80
	buffer_load_dword v64, off, s[0:3], 0 offset:84
	s_waitcnt vmcnt(28)
	v_fma_f64 v[55:56], v[65:66], v[57:58], v[55:56]
	s_waitcnt vmcnt(26) lgkmcnt(0)
	v_fma_f64 v[55:56], v[67:68], v[59:60], v[55:56]
	s_waitcnt vmcnt(24)
	v_fma_f64 v[65:66], v[69:70], v[61:62], v[55:56]
	ds_read2_b64 v[55:58], v54 offset0:41 offset1:42
	ds_read2_b64 v[59:62], v54 offset0:43 offset1:44
	s_waitcnt vmcnt(22) lgkmcnt(1)
	v_fma_f64 v[55:56], v[71:72], v[55:56], v[65:66]
	s_waitcnt vmcnt(20)
	v_fma_f64 v[55:56], v[73:74], v[57:58], v[55:56]
	s_waitcnt vmcnt(18) lgkmcnt(0)
	v_fma_f64 v[55:56], v[75:76], v[59:60], v[55:56]
	s_waitcnt vmcnt(13)
	v_fma_f64 v[65:66], v[77:78], v[61:62], v[55:56]
	ds_read2_b64 v[55:58], v54 offset0:45 offset1:46
	ds_read2_b64 v[59:62], v54 offset0:47 offset1:48
	s_waitcnt vmcnt(12) lgkmcnt(1)
	v_fma_f64 v[55:56], v[83:84], v[55:56], v[65:66]
	s_waitcnt vmcnt(11)
	v_fma_f64 v[55:56], v[81:82], v[57:58], v[55:56]
	s_waitcnt vmcnt(10) lgkmcnt(0)
	v_fma_f64 v[55:56], v[79:80], v[59:60], v[55:56]
	s_waitcnt vmcnt(5)
	v_fma_f64 v[59:60], v[85:86], v[61:62], v[55:56]
	ds_read2_b64 v[55:58], v54 offset0:49 offset1:50
	ds_read_b64 v[61:62], v54 offset:408
	s_waitcnt vmcnt(4) lgkmcnt(1)
	v_fma_f64 v[55:56], v[91:92], v[55:56], v[59:60]
	s_waitcnt vmcnt(3)
	v_fma_f64 v[55:56], v[89:90], v[57:58], v[55:56]
	s_waitcnt vmcnt(2) lgkmcnt(0)
	v_fma_f64 v[55:56], v[87:88], v[61:62], v[55:56]
	s_waitcnt vmcnt(0)
	v_add_f64 v[55:56], v[63:64], -v[55:56]
	buffer_store_dword v56, off, s[0:3], 0 offset:84
	buffer_store_dword v55, off, s[0:3], 0 offset:80
	v_cmpx_lt_u32_e32 9, v0
	s_cbranch_execz .LBB25_147
; %bb.146:
	s_clause 0x1
	buffer_load_dword v55, off, s[0:3], 0 offset:72
	buffer_load_dword v56, off, s[0:3], 0 offset:76
	buffer_store_dword v54, off, s[0:3], 0 offset:72
	buffer_store_dword v54, off, s[0:3], 0 offset:76
	s_waitcnt vmcnt(0)
	ds_write_b64 v53, v[55:56]
.LBB25_147:
	s_or_b32 exec_lo, exec_lo, s4
	s_waitcnt lgkmcnt(0)
	s_waitcnt_vscnt null, 0x0
	s_barrier
	buffer_gl0_inv
	s_clause 0x1c
	buffer_load_dword v63, off, s[0:3], 0 offset:80
	buffer_load_dword v64, off, s[0:3], 0 offset:84
	;; [unrolled: 1-line block ×29, first 2 shown]
	ds_read_b128 v[55:58], v54 offset:288
	ds_read_b128 v[59:62], v54 offset:304
	buffer_load_dword v88, off, s[0:3], 0 offset:196
	s_mov_b32 s4, exec_lo
	s_waitcnt vmcnt(28) lgkmcnt(1)
	v_fma_f64 v[55:56], v[63:64], v[55:56], 0
	s_clause 0x1
	buffer_load_dword v64, off, s[0:3], 0 offset:204
	buffer_load_dword v63, off, s[0:3], 0 offset:200
	s_waitcnt vmcnt(28)
	v_fma_f64 v[55:56], v[65:66], v[57:58], v[55:56]
	s_clause 0x1
	buffer_load_dword v65, off, s[0:3], 0 offset:72
	buffer_load_dword v66, off, s[0:3], 0 offset:76
	s_waitcnt vmcnt(28) lgkmcnt(0)
	v_fma_f64 v[55:56], v[67:68], v[59:60], v[55:56]
	s_waitcnt vmcnt(26)
	v_fma_f64 v[67:68], v[69:70], v[61:62], v[55:56]
	ds_read_b128 v[55:58], v54 offset:320
	ds_read_b128 v[59:62], v54 offset:336
	s_waitcnt vmcnt(24) lgkmcnt(1)
	v_fma_f64 v[55:56], v[71:72], v[55:56], v[67:68]
	s_waitcnt vmcnt(22)
	v_fma_f64 v[55:56], v[73:74], v[57:58], v[55:56]
	s_waitcnt vmcnt(20) lgkmcnt(0)
	v_fma_f64 v[55:56], v[75:76], v[59:60], v[55:56]
	s_waitcnt vmcnt(15)
	v_fma_f64 v[67:68], v[77:78], v[61:62], v[55:56]
	ds_read_b128 v[55:58], v54 offset:352
	ds_read_b128 v[59:62], v54 offset:368
	s_waitcnt vmcnt(14) lgkmcnt(1)
	v_fma_f64 v[55:56], v[83:84], v[55:56], v[67:68]
	s_waitcnt vmcnt(13)
	v_fma_f64 v[55:56], v[81:82], v[57:58], v[55:56]
	;; [unrolled: 10-line block ×3, first 2 shown]
	s_waitcnt vmcnt(4) lgkmcnt(0)
	v_fma_f64 v[54:55], v[87:88], v[59:60], v[54:55]
	s_waitcnt vmcnt(2)
	v_fma_f64 v[54:55], v[63:64], v[61:62], v[54:55]
	s_waitcnt vmcnt(0)
	v_add_f64 v[54:55], v[65:66], -v[54:55]
	buffer_store_dword v55, off, s[0:3], 0 offset:76
	buffer_store_dword v54, off, s[0:3], 0 offset:72
	v_cmpx_lt_u32_e32 8, v0
	s_cbranch_execz .LBB25_149
; %bb.148:
	s_clause 0x1
	buffer_load_dword v54, off, s[0:3], 0 offset:64
	buffer_load_dword v55, off, s[0:3], 0 offset:68
	v_mov_b32_e32 v56, 0
	buffer_store_dword v56, off, s[0:3], 0 offset:64
	buffer_store_dword v56, off, s[0:3], 0 offset:68
	s_waitcnt vmcnt(0)
	ds_write_b64 v53, v[54:55]
.LBB25_149:
	s_or_b32 exec_lo, exec_lo, s4
	s_waitcnt lgkmcnt(0)
	s_waitcnt_vscnt null, 0x0
	s_barrier
	buffer_gl0_inv
	s_clause 0x1c
	buffer_load_dword v63, off, s[0:3], 0 offset:72
	buffer_load_dword v64, off, s[0:3], 0 offset:76
	;; [unrolled: 1-line block ×29, first 2 shown]
	v_mov_b32_e32 v54, 0
	buffer_load_dword v88, off, s[0:3], 0 offset:188
	s_mov_b32 s4, exec_lo
	ds_read2_b64 v[55:58], v54 offset0:35 offset1:36
	ds_read2_b64 v[59:62], v54 offset0:37 offset1:38
	s_waitcnt vmcnt(28) lgkmcnt(1)
	v_fma_f64 v[55:56], v[63:64], v[55:56], 0
	s_clause 0x3
	buffer_load_dword v64, off, s[0:3], 0 offset:196
	buffer_load_dword v93, off, s[0:3], 0 offset:200
	;; [unrolled: 1-line block ×4, first 2 shown]
	s_waitcnt vmcnt(30)
	v_fma_f64 v[55:56], v[65:66], v[57:58], v[55:56]
	s_clause 0x1
	buffer_load_dword v65, off, s[0:3], 0 offset:64
	buffer_load_dword v66, off, s[0:3], 0 offset:68
	s_waitcnt vmcnt(30) lgkmcnt(0)
	v_fma_f64 v[55:56], v[67:68], v[59:60], v[55:56]
	s_waitcnt vmcnt(28)
	v_fma_f64 v[67:68], v[69:70], v[61:62], v[55:56]
	ds_read2_b64 v[55:58], v54 offset0:39 offset1:40
	ds_read2_b64 v[59:62], v54 offset0:41 offset1:42
	s_waitcnt vmcnt(26) lgkmcnt(1)
	v_fma_f64 v[55:56], v[71:72], v[55:56], v[67:68]
	s_waitcnt vmcnt(24)
	v_fma_f64 v[55:56], v[73:74], v[57:58], v[55:56]
	s_waitcnt vmcnt(22) lgkmcnt(0)
	v_fma_f64 v[55:56], v[75:76], v[59:60], v[55:56]
	s_waitcnt vmcnt(17)
	v_fma_f64 v[67:68], v[77:78], v[61:62], v[55:56]
	ds_read2_b64 v[55:58], v54 offset0:43 offset1:44
	ds_read2_b64 v[59:62], v54 offset0:45 offset1:46
	s_waitcnt vmcnt(16) lgkmcnt(1)
	v_fma_f64 v[55:56], v[83:84], v[55:56], v[67:68]
	s_waitcnt vmcnt(15)
	v_fma_f64 v[55:56], v[81:82], v[57:58], v[55:56]
	;; [unrolled: 10-line block ×3, first 2 shown]
	ds_read_b64 v[57:58], v54 offset:408
	s_waitcnt vmcnt(6) lgkmcnt(1)
	v_fma_f64 v[55:56], v[87:88], v[59:60], v[55:56]
	s_waitcnt vmcnt(3)
	v_fma_f64 v[55:56], v[63:64], v[61:62], v[55:56]
	s_waitcnt vmcnt(2) lgkmcnt(0)
	v_fma_f64 v[55:56], v[93:94], v[57:58], v[55:56]
	s_waitcnt vmcnt(0)
	v_add_f64 v[55:56], v[65:66], -v[55:56]
	buffer_store_dword v56, off, s[0:3], 0 offset:68
	buffer_store_dword v55, off, s[0:3], 0 offset:64
	v_cmpx_lt_u32_e32 7, v0
	s_cbranch_execz .LBB25_151
; %bb.150:
	s_clause 0x1
	buffer_load_dword v55, off, s[0:3], 0 offset:56
	buffer_load_dword v56, off, s[0:3], 0 offset:60
	buffer_store_dword v54, off, s[0:3], 0 offset:56
	buffer_store_dword v54, off, s[0:3], 0 offset:60
	s_waitcnt vmcnt(0)
	ds_write_b64 v53, v[55:56]
.LBB25_151:
	s_or_b32 exec_lo, exec_lo, s4
	s_waitcnt lgkmcnt(0)
	s_waitcnt_vscnt null, 0x0
	s_barrier
	buffer_gl0_inv
	s_clause 0x1b
	buffer_load_dword v59, off, s[0:3], 0 offset:64
	buffer_load_dword v60, off, s[0:3], 0 offset:68
	;; [unrolled: 1-line block ×28, first 2 shown]
	ds_read_b128 v[55:58], v54 offset:272
	s_clause 0x1
	buffer_load_dword v87, off, s[0:3], 0 offset:176
	buffer_load_dword v88, off, s[0:3], 0 offset:180
	s_mov_b32 s4, exec_lo
	s_waitcnt vmcnt(28) lgkmcnt(0)
	v_fma_f64 v[55:56], v[59:60], v[55:56], 0
	s_clause 0x1
	buffer_load_dword v60, off, s[0:3], 0 offset:188
	buffer_load_dword v59, off, s[0:3], 0 offset:184
	s_waitcnt vmcnt(28)
	v_fma_f64 v[61:62], v[61:62], v[57:58], v[55:56]
	ds_read_b128 v[55:58], v54 offset:288
	s_clause 0x1
	buffer_load_dword v89, off, s[0:3], 0 offset:192
	buffer_load_dword v90, off, s[0:3], 0 offset:196
	s_waitcnt vmcnt(28) lgkmcnt(0)
	v_fma_f64 v[55:56], v[63:64], v[55:56], v[61:62]
	s_clause 0x1
	buffer_load_dword v61, off, s[0:3], 0 offset:200
	buffer_load_dword v62, off, s[0:3], 0 offset:204
	s_waitcnt vmcnt(28)
	v_fma_f64 v[63:64], v[65:66], v[57:58], v[55:56]
	ds_read_b128 v[55:58], v54 offset:304
	s_clause 0x1
	buffer_load_dword v65, off, s[0:3], 0 offset:56
	buffer_load_dword v66, off, s[0:3], 0 offset:60
	s_waitcnt vmcnt(28) lgkmcnt(0)
	v_fma_f64 v[55:56], v[67:68], v[55:56], v[63:64]
	s_waitcnt vmcnt(26)
	v_fma_f64 v[63:64], v[69:70], v[57:58], v[55:56]
	ds_read_b128 v[55:58], v54 offset:320
	s_waitcnt vmcnt(24) lgkmcnt(0)
	v_fma_f64 v[55:56], v[71:72], v[55:56], v[63:64]
	s_waitcnt vmcnt(22)
	v_fma_f64 v[63:64], v[73:74], v[57:58], v[55:56]
	ds_read_b128 v[55:58], v54 offset:336
	;; [unrolled: 5-line block ×6, first 2 shown]
	s_waitcnt vmcnt(4) lgkmcnt(0)
	v_fma_f64 v[54:55], v[89:90], v[54:55], v[58:59]
	s_waitcnt vmcnt(2)
	v_fma_f64 v[54:55], v[61:62], v[56:57], v[54:55]
	s_waitcnt vmcnt(0)
	v_add_f64 v[54:55], v[65:66], -v[54:55]
	buffer_store_dword v55, off, s[0:3], 0 offset:60
	buffer_store_dword v54, off, s[0:3], 0 offset:56
	v_cmpx_lt_u32_e32 6, v0
	s_cbranch_execz .LBB25_153
; %bb.152:
	s_clause 0x1
	buffer_load_dword v54, off, s[0:3], 0 offset:48
	buffer_load_dword v55, off, s[0:3], 0 offset:52
	v_mov_b32_e32 v56, 0
	buffer_store_dword v56, off, s[0:3], 0 offset:48
	buffer_store_dword v56, off, s[0:3], 0 offset:52
	s_waitcnt vmcnt(0)
	ds_write_b64 v53, v[54:55]
.LBB25_153:
	s_or_b32 exec_lo, exec_lo, s4
	s_waitcnt lgkmcnt(0)
	s_waitcnt_vscnt null, 0x0
	s_barrier
	buffer_gl0_inv
	s_clause 0x1b
	buffer_load_dword v59, off, s[0:3], 0 offset:56
	buffer_load_dword v60, off, s[0:3], 0 offset:60
	;; [unrolled: 1-line block ×28, first 2 shown]
	v_mov_b32_e32 v54, 0
	s_mov_b32 s4, exec_lo
	ds_read2_b64 v[55:58], v54 offset0:33 offset1:34
	s_clause 0x1
	buffer_load_dword v87, off, s[0:3], 0 offset:168
	buffer_load_dword v88, off, s[0:3], 0 offset:172
	s_waitcnt vmcnt(28) lgkmcnt(0)
	v_fma_f64 v[55:56], v[59:60], v[55:56], 0
	s_clause 0x1
	buffer_load_dword v60, off, s[0:3], 0 offset:180
	buffer_load_dword v59, off, s[0:3], 0 offset:176
	s_waitcnt vmcnt(28)
	v_fma_f64 v[61:62], v[61:62], v[57:58], v[55:56]
	ds_read2_b64 v[55:58], v54 offset0:35 offset1:36
	s_clause 0x1
	buffer_load_dword v89, off, s[0:3], 0 offset:184
	buffer_load_dword v90, off, s[0:3], 0 offset:188
	s_waitcnt vmcnt(28) lgkmcnt(0)
	v_fma_f64 v[55:56], v[63:64], v[55:56], v[61:62]
	s_clause 0x1
	buffer_load_dword v61, off, s[0:3], 0 offset:192
	buffer_load_dword v62, off, s[0:3], 0 offset:196
	s_waitcnt vmcnt(28)
	v_fma_f64 v[63:64], v[65:66], v[57:58], v[55:56]
	;; [unrolled: 11-line block ×3, first 2 shown]
	ds_read2_b64 v[55:58], v54 offset0:39 offset1:40
	s_waitcnt vmcnt(26) lgkmcnt(0)
	v_fma_f64 v[55:56], v[71:72], v[55:56], v[67:68]
	s_waitcnt vmcnt(24)
	v_fma_f64 v[67:68], v[73:74], v[57:58], v[55:56]
	ds_read2_b64 v[55:58], v54 offset0:41 offset1:42
	s_waitcnt vmcnt(22) lgkmcnt(0)
	v_fma_f64 v[55:56], v[75:76], v[55:56], v[67:68]
	s_waitcnt vmcnt(20)
	v_fma_f64 v[67:68], v[77:78], v[57:58], v[55:56]
	;; [unrolled: 5-line block ×6, first 2 shown]
	ds_read_b64 v[57:58], v54 offset:408
	s_waitcnt vmcnt(2) lgkmcnt(0)
	v_fma_f64 v[55:56], v[65:66], v[57:58], v[55:56]
	s_waitcnt vmcnt(0)
	v_add_f64 v[55:56], v[63:64], -v[55:56]
	buffer_store_dword v56, off, s[0:3], 0 offset:52
	buffer_store_dword v55, off, s[0:3], 0 offset:48
	v_cmpx_lt_u32_e32 5, v0
	s_cbranch_execz .LBB25_155
; %bb.154:
	s_clause 0x1
	buffer_load_dword v55, off, s[0:3], 0 offset:40
	buffer_load_dword v56, off, s[0:3], 0 offset:44
	buffer_store_dword v54, off, s[0:3], 0 offset:40
	buffer_store_dword v54, off, s[0:3], 0 offset:44
	s_waitcnt vmcnt(0)
	ds_write_b64 v53, v[55:56]
.LBB25_155:
	s_or_b32 exec_lo, exec_lo, s4
	s_waitcnt lgkmcnt(0)
	s_waitcnt_vscnt null, 0x0
	s_barrier
	buffer_gl0_inv
	s_clause 0x1b
	buffer_load_dword v59, off, s[0:3], 0 offset:48
	buffer_load_dword v60, off, s[0:3], 0 offset:52
	;; [unrolled: 1-line block ×28, first 2 shown]
	ds_read_b128 v[55:58], v54 offset:256
	s_clause 0x1
	buffer_load_dword v87, off, s[0:3], 0 offset:160
	buffer_load_dword v88, off, s[0:3], 0 offset:164
	s_mov_b32 s4, exec_lo
	s_waitcnt vmcnt(28) lgkmcnt(0)
	v_fma_f64 v[55:56], v[59:60], v[55:56], 0
	s_clause 0x1
	buffer_load_dword v60, off, s[0:3], 0 offset:172
	buffer_load_dword v59, off, s[0:3], 0 offset:168
	s_waitcnt vmcnt(28)
	v_fma_f64 v[61:62], v[61:62], v[57:58], v[55:56]
	ds_read_b128 v[55:58], v54 offset:272
	s_clause 0x1
	buffer_load_dword v89, off, s[0:3], 0 offset:176
	buffer_load_dword v90, off, s[0:3], 0 offset:180
	s_waitcnt vmcnt(28) lgkmcnt(0)
	v_fma_f64 v[55:56], v[63:64], v[55:56], v[61:62]
	s_clause 0x1
	buffer_load_dword v61, off, s[0:3], 0 offset:184
	buffer_load_dword v62, off, s[0:3], 0 offset:188
	s_waitcnt vmcnt(28)
	v_fma_f64 v[63:64], v[65:66], v[57:58], v[55:56]
	ds_read_b128 v[55:58], v54 offset:288
	s_clause 0x1
	buffer_load_dword v65, off, s[0:3], 0 offset:192
	buffer_load_dword v66, off, s[0:3], 0 offset:196
	;; [unrolled: 11-line block ×3, first 2 shown]
	s_waitcnt vmcnt(28) lgkmcnt(0)
	v_fma_f64 v[55:56], v[71:72], v[55:56], v[67:68]
	s_waitcnt vmcnt(26)
	v_fma_f64 v[67:68], v[73:74], v[57:58], v[55:56]
	ds_read_b128 v[55:58], v54 offset:320
	s_waitcnt vmcnt(24) lgkmcnt(0)
	v_fma_f64 v[55:56], v[75:76], v[55:56], v[67:68]
	s_waitcnt vmcnt(22)
	v_fma_f64 v[67:68], v[77:78], v[57:58], v[55:56]
	ds_read_b128 v[55:58], v54 offset:336
	;; [unrolled: 5-line block ×6, first 2 shown]
	s_waitcnt vmcnt(4) lgkmcnt(0)
	v_fma_f64 v[54:55], v[65:66], v[54:55], v[58:59]
	s_waitcnt vmcnt(2)
	v_fma_f64 v[54:55], v[63:64], v[56:57], v[54:55]
	s_waitcnt vmcnt(0)
	v_add_f64 v[54:55], v[69:70], -v[54:55]
	buffer_store_dword v55, off, s[0:3], 0 offset:44
	buffer_store_dword v54, off, s[0:3], 0 offset:40
	v_cmpx_lt_u32_e32 4, v0
	s_cbranch_execz .LBB25_157
; %bb.156:
	s_clause 0x1
	buffer_load_dword v54, off, s[0:3], 0 offset:32
	buffer_load_dword v55, off, s[0:3], 0 offset:36
	v_mov_b32_e32 v56, 0
	buffer_store_dword v56, off, s[0:3], 0 offset:32
	buffer_store_dword v56, off, s[0:3], 0 offset:36
	s_waitcnt vmcnt(0)
	ds_write_b64 v53, v[54:55]
.LBB25_157:
	s_or_b32 exec_lo, exec_lo, s4
	s_waitcnt lgkmcnt(0)
	s_waitcnt_vscnt null, 0x0
	s_barrier
	buffer_gl0_inv
	s_clause 0x1b
	buffer_load_dword v59, off, s[0:3], 0 offset:40
	buffer_load_dword v60, off, s[0:3], 0 offset:44
	;; [unrolled: 1-line block ×28, first 2 shown]
	v_mov_b32_e32 v54, 0
	s_mov_b32 s4, exec_lo
	ds_read2_b64 v[55:58], v54 offset0:31 offset1:32
	s_clause 0x1
	buffer_load_dword v87, off, s[0:3], 0 offset:152
	buffer_load_dword v88, off, s[0:3], 0 offset:156
	s_waitcnt vmcnt(28) lgkmcnt(0)
	v_fma_f64 v[55:56], v[59:60], v[55:56], 0
	s_clause 0x1
	buffer_load_dword v60, off, s[0:3], 0 offset:164
	buffer_load_dword v59, off, s[0:3], 0 offset:160
	s_waitcnt vmcnt(28)
	v_fma_f64 v[61:62], v[61:62], v[57:58], v[55:56]
	ds_read2_b64 v[55:58], v54 offset0:33 offset1:34
	s_clause 0x1
	buffer_load_dword v89, off, s[0:3], 0 offset:168
	buffer_load_dword v90, off, s[0:3], 0 offset:172
	s_waitcnt vmcnt(28) lgkmcnt(0)
	v_fma_f64 v[55:56], v[63:64], v[55:56], v[61:62]
	s_clause 0x1
	buffer_load_dword v61, off, s[0:3], 0 offset:176
	buffer_load_dword v62, off, s[0:3], 0 offset:180
	s_waitcnt vmcnt(28)
	v_fma_f64 v[63:64], v[65:66], v[57:58], v[55:56]
	;; [unrolled: 11-line block ×4, first 2 shown]
	ds_read2_b64 v[55:58], v54 offset0:39 offset1:40
	s_waitcnt vmcnt(26) lgkmcnt(0)
	v_fma_f64 v[55:56], v[75:76], v[55:56], v[71:72]
	s_waitcnt vmcnt(24)
	v_fma_f64 v[71:72], v[77:78], v[57:58], v[55:56]
	ds_read2_b64 v[55:58], v54 offset0:41 offset1:42
	s_waitcnt vmcnt(22) lgkmcnt(0)
	v_fma_f64 v[55:56], v[79:80], v[55:56], v[71:72]
	s_waitcnt vmcnt(20)
	v_fma_f64 v[71:72], v[81:82], v[57:58], v[55:56]
	;; [unrolled: 5-line block ×6, first 2 shown]
	ds_read_b64 v[57:58], v54 offset:408
	s_waitcnt vmcnt(2) lgkmcnt(0)
	v_fma_f64 v[55:56], v[69:70], v[57:58], v[55:56]
	s_waitcnt vmcnt(0)
	v_add_f64 v[55:56], v[67:68], -v[55:56]
	buffer_store_dword v56, off, s[0:3], 0 offset:36
	buffer_store_dword v55, off, s[0:3], 0 offset:32
	v_cmpx_lt_u32_e32 3, v0
	s_cbranch_execz .LBB25_159
; %bb.158:
	s_clause 0x1
	buffer_load_dword v55, off, s[0:3], 0 offset:24
	buffer_load_dword v56, off, s[0:3], 0 offset:28
	buffer_store_dword v54, off, s[0:3], 0 offset:24
	buffer_store_dword v54, off, s[0:3], 0 offset:28
	s_waitcnt vmcnt(0)
	ds_write_b64 v53, v[55:56]
.LBB25_159:
	s_or_b32 exec_lo, exec_lo, s4
	s_waitcnt lgkmcnt(0)
	s_waitcnt_vscnt null, 0x0
	s_barrier
	buffer_gl0_inv
	s_clause 0x1b
	buffer_load_dword v59, off, s[0:3], 0 offset:32
	buffer_load_dword v60, off, s[0:3], 0 offset:36
	;; [unrolled: 1-line block ×28, first 2 shown]
	ds_read_b128 v[55:58], v54 offset:240
	s_clause 0x1
	buffer_load_dword v87, off, s[0:3], 0 offset:144
	buffer_load_dword v88, off, s[0:3], 0 offset:148
	s_mov_b32 s4, exec_lo
	s_waitcnt vmcnt(28) lgkmcnt(0)
	v_fma_f64 v[55:56], v[59:60], v[55:56], 0
	s_clause 0x1
	buffer_load_dword v60, off, s[0:3], 0 offset:156
	buffer_load_dword v59, off, s[0:3], 0 offset:152
	s_waitcnt vmcnt(28)
	v_fma_f64 v[61:62], v[61:62], v[57:58], v[55:56]
	ds_read_b128 v[55:58], v54 offset:256
	s_clause 0x1
	buffer_load_dword v89, off, s[0:3], 0 offset:160
	buffer_load_dword v90, off, s[0:3], 0 offset:164
	s_waitcnt vmcnt(28) lgkmcnt(0)
	v_fma_f64 v[55:56], v[63:64], v[55:56], v[61:62]
	s_clause 0x1
	buffer_load_dword v61, off, s[0:3], 0 offset:168
	buffer_load_dword v62, off, s[0:3], 0 offset:172
	s_waitcnt vmcnt(28)
	v_fma_f64 v[63:64], v[65:66], v[57:58], v[55:56]
	ds_read_b128 v[55:58], v54 offset:272
	s_clause 0x1
	buffer_load_dword v65, off, s[0:3], 0 offset:176
	buffer_load_dword v66, off, s[0:3], 0 offset:180
	;; [unrolled: 11-line block ×4, first 2 shown]
	s_waitcnt vmcnt(28) lgkmcnt(0)
	v_fma_f64 v[55:56], v[75:76], v[55:56], v[71:72]
	s_waitcnt vmcnt(26)
	v_fma_f64 v[71:72], v[77:78], v[57:58], v[55:56]
	ds_read_b128 v[55:58], v54 offset:320
	s_waitcnt vmcnt(24) lgkmcnt(0)
	v_fma_f64 v[55:56], v[79:80], v[55:56], v[71:72]
	s_waitcnt vmcnt(22)
	v_fma_f64 v[71:72], v[81:82], v[57:58], v[55:56]
	ds_read_b128 v[55:58], v54 offset:336
	;; [unrolled: 5-line block ×6, first 2 shown]
	s_waitcnt vmcnt(4) lgkmcnt(0)
	v_fma_f64 v[54:55], v[69:70], v[54:55], v[58:59]
	s_waitcnt vmcnt(2)
	v_fma_f64 v[54:55], v[67:68], v[56:57], v[54:55]
	s_waitcnt vmcnt(0)
	v_add_f64 v[54:55], v[73:74], -v[54:55]
	buffer_store_dword v55, off, s[0:3], 0 offset:28
	buffer_store_dword v54, off, s[0:3], 0 offset:24
	v_cmpx_lt_u32_e32 2, v0
	s_cbranch_execz .LBB25_161
; %bb.160:
	s_clause 0x1
	buffer_load_dword v54, off, s[0:3], 0 offset:16
	buffer_load_dword v55, off, s[0:3], 0 offset:20
	v_mov_b32_e32 v56, 0
	buffer_store_dword v56, off, s[0:3], 0 offset:16
	buffer_store_dword v56, off, s[0:3], 0 offset:20
	s_waitcnt vmcnt(0)
	ds_write_b64 v53, v[54:55]
.LBB25_161:
	s_or_b32 exec_lo, exec_lo, s4
	s_waitcnt lgkmcnt(0)
	s_waitcnt_vscnt null, 0x0
	s_barrier
	buffer_gl0_inv
	s_clause 0x1b
	buffer_load_dword v59, off, s[0:3], 0 offset:24
	buffer_load_dword v60, off, s[0:3], 0 offset:28
	;; [unrolled: 1-line block ×28, first 2 shown]
	v_mov_b32_e32 v54, 0
	s_mov_b32 s4, exec_lo
	ds_read2_b64 v[55:58], v54 offset0:29 offset1:30
	s_clause 0x1
	buffer_load_dword v87, off, s[0:3], 0 offset:136
	buffer_load_dword v88, off, s[0:3], 0 offset:140
	s_waitcnt vmcnt(28) lgkmcnt(0)
	v_fma_f64 v[55:56], v[59:60], v[55:56], 0
	s_clause 0x1
	buffer_load_dword v60, off, s[0:3], 0 offset:148
	buffer_load_dword v59, off, s[0:3], 0 offset:144
	s_waitcnt vmcnt(28)
	v_fma_f64 v[61:62], v[61:62], v[57:58], v[55:56]
	ds_read2_b64 v[55:58], v54 offset0:31 offset1:32
	s_clause 0x1
	buffer_load_dword v89, off, s[0:3], 0 offset:152
	buffer_load_dword v90, off, s[0:3], 0 offset:156
	s_waitcnt vmcnt(28) lgkmcnt(0)
	v_fma_f64 v[55:56], v[63:64], v[55:56], v[61:62]
	s_clause 0x1
	buffer_load_dword v61, off, s[0:3], 0 offset:160
	buffer_load_dword v62, off, s[0:3], 0 offset:164
	s_waitcnt vmcnt(28)
	v_fma_f64 v[63:64], v[65:66], v[57:58], v[55:56]
	;; [unrolled: 11-line block ×5, first 2 shown]
	ds_read2_b64 v[55:58], v54 offset0:39 offset1:40
	s_waitcnt vmcnt(26) lgkmcnt(0)
	v_fma_f64 v[55:56], v[79:80], v[55:56], v[75:76]
	s_waitcnt vmcnt(24)
	v_fma_f64 v[75:76], v[81:82], v[57:58], v[55:56]
	ds_read2_b64 v[55:58], v54 offset0:41 offset1:42
	s_waitcnt vmcnt(22) lgkmcnt(0)
	v_fma_f64 v[55:56], v[83:84], v[55:56], v[75:76]
	s_waitcnt vmcnt(20)
	v_fma_f64 v[75:76], v[85:86], v[57:58], v[55:56]
	;; [unrolled: 5-line block ×6, first 2 shown]
	ds_read_b64 v[57:58], v54 offset:408
	s_waitcnt vmcnt(2) lgkmcnt(0)
	v_fma_f64 v[55:56], v[73:74], v[57:58], v[55:56]
	s_waitcnt vmcnt(0)
	v_add_f64 v[55:56], v[71:72], -v[55:56]
	buffer_store_dword v56, off, s[0:3], 0 offset:20
	buffer_store_dword v55, off, s[0:3], 0 offset:16
	v_cmpx_lt_u32_e32 1, v0
	s_cbranch_execz .LBB25_163
; %bb.162:
	s_clause 0x1
	buffer_load_dword v55, off, s[0:3], 0 offset:8
	buffer_load_dword v56, off, s[0:3], 0 offset:12
	buffer_store_dword v54, off, s[0:3], 0 offset:8
	buffer_store_dword v54, off, s[0:3], 0 offset:12
	s_waitcnt vmcnt(0)
	ds_write_b64 v53, v[55:56]
.LBB25_163:
	s_or_b32 exec_lo, exec_lo, s4
	s_waitcnt lgkmcnt(0)
	s_waitcnt_vscnt null, 0x0
	s_barrier
	buffer_gl0_inv
	s_clause 0x1b
	buffer_load_dword v59, off, s[0:3], 0 offset:16
	buffer_load_dword v60, off, s[0:3], 0 offset:20
	buffer_load_dword v61, off, s[0:3], 0 offset:24
	buffer_load_dword v62, off, s[0:3], 0 offset:28
	buffer_load_dword v63, off, s[0:3], 0 offset:32
	buffer_load_dword v64, off, s[0:3], 0 offset:36
	buffer_load_dword v65, off, s[0:3], 0 offset:40
	buffer_load_dword v66, off, s[0:3], 0 offset:44
	buffer_load_dword v67, off, s[0:3], 0 offset:48
	buffer_load_dword v68, off, s[0:3], 0 offset:52
	buffer_load_dword v69, off, s[0:3], 0 offset:56
	buffer_load_dword v70, off, s[0:3], 0 offset:60
	buffer_load_dword v71, off, s[0:3], 0 offset:64
	buffer_load_dword v72, off, s[0:3], 0 offset:68
	buffer_load_dword v74, off, s[0:3], 0 offset:76
	buffer_load_dword v73, off, s[0:3], 0 offset:72
	buffer_load_dword v75, off, s[0:3], 0 offset:80
	buffer_load_dword v76, off, s[0:3], 0 offset:84
	buffer_load_dword v77, off, s[0:3], 0 offset:88
	buffer_load_dword v78, off, s[0:3], 0 offset:92
	buffer_load_dword v79, off, s[0:3], 0 offset:96
	buffer_load_dword v80, off, s[0:3], 0 offset:100
	buffer_load_dword v82, off, s[0:3], 0 offset:108
	buffer_load_dword v81, off, s[0:3], 0 offset:104
	buffer_load_dword v83, off, s[0:3], 0 offset:112
	buffer_load_dword v84, off, s[0:3], 0 offset:116
	buffer_load_dword v85, off, s[0:3], 0 offset:120
	buffer_load_dword v86, off, s[0:3], 0 offset:124
	ds_read_b128 v[55:58], v54 offset:224
	s_clause 0x1
	buffer_load_dword v87, off, s[0:3], 0 offset:128
	buffer_load_dword v88, off, s[0:3], 0 offset:132
	s_mov_b32 s4, exec_lo
	s_waitcnt vmcnt(28) lgkmcnt(0)
	v_fma_f64 v[55:56], v[59:60], v[55:56], 0
	s_clause 0x1
	buffer_load_dword v60, off, s[0:3], 0 offset:140
	buffer_load_dword v59, off, s[0:3], 0 offset:136
	s_waitcnt vmcnt(28)
	v_fma_f64 v[61:62], v[61:62], v[57:58], v[55:56]
	ds_read_b128 v[55:58], v54 offset:240
	s_clause 0x1
	buffer_load_dword v89, off, s[0:3], 0 offset:144
	buffer_load_dword v90, off, s[0:3], 0 offset:148
	s_waitcnt vmcnt(28) lgkmcnt(0)
	v_fma_f64 v[55:56], v[63:64], v[55:56], v[61:62]
	s_clause 0x1
	buffer_load_dword v61, off, s[0:3], 0 offset:152
	buffer_load_dword v62, off, s[0:3], 0 offset:156
	s_waitcnt vmcnt(28)
	v_fma_f64 v[63:64], v[65:66], v[57:58], v[55:56]
	ds_read_b128 v[55:58], v54 offset:256
	s_clause 0x1
	buffer_load_dword v65, off, s[0:3], 0 offset:160
	buffer_load_dword v66, off, s[0:3], 0 offset:164
	;; [unrolled: 11-line block ×5, first 2 shown]
	s_waitcnt vmcnt(28) lgkmcnt(0)
	v_fma_f64 v[55:56], v[79:80], v[55:56], v[75:76]
	s_waitcnt vmcnt(26)
	v_fma_f64 v[75:76], v[81:82], v[57:58], v[55:56]
	ds_read_b128 v[55:58], v54 offset:320
	s_waitcnt vmcnt(24) lgkmcnt(0)
	v_fma_f64 v[55:56], v[83:84], v[55:56], v[75:76]
	s_waitcnt vmcnt(22)
	v_fma_f64 v[75:76], v[85:86], v[57:58], v[55:56]
	ds_read_b128 v[55:58], v54 offset:336
	;; [unrolled: 5-line block ×6, first 2 shown]
	s_waitcnt vmcnt(4) lgkmcnt(0)
	v_fma_f64 v[54:55], v[73:74], v[54:55], v[58:59]
	s_waitcnt vmcnt(2)
	v_fma_f64 v[54:55], v[71:72], v[56:57], v[54:55]
	s_waitcnt vmcnt(0)
	v_add_f64 v[54:55], v[77:78], -v[54:55]
	buffer_store_dword v55, off, s[0:3], 0 offset:12
	buffer_store_dword v54, off, s[0:3], 0 offset:8
	v_cmpx_ne_u32_e32 0, v0
	s_cbranch_execz .LBB25_165
; %bb.164:
	s_clause 0x1
	buffer_load_dword v54, off, s[0:3], 0
	buffer_load_dword v55, off, s[0:3], 0 offset:4
	v_mov_b32_e32 v0, 0
	buffer_store_dword v0, off, s[0:3], 0
	buffer_store_dword v0, off, s[0:3], 0 offset:4
	s_waitcnt vmcnt(0)
	ds_write_b64 v53, v[54:55]
.LBB25_165:
	s_or_b32 exec_lo, exec_lo, s4
	s_waitcnt lgkmcnt(0)
	s_waitcnt_vscnt null, 0x0
	s_barrier
	buffer_gl0_inv
	s_clause 0x1c
	buffer_load_dword v61, off, s[0:3], 0 offset:8
	buffer_load_dword v62, off, s[0:3], 0 offset:12
	;; [unrolled: 1-line block ×29, first 2 shown]
	v_mov_b32_e32 v0, 0
	buffer_load_dword v86, off, s[0:3], 0 offset:124
	s_and_b32 vcc_lo, exec_lo, s22
	ds_read2_b64 v[53:56], v0 offset0:27 offset1:28
	ds_read2_b64 v[57:60], v0 offset0:29 offset1:30
	s_clause 0x7
	buffer_load_dword v92, off, s[0:3], 0 offset:132
	buffer_load_dword v93, off, s[0:3], 0 offset:152
	;; [unrolled: 1-line block ×8, first 2 shown]
	s_waitcnt vmcnt(36) lgkmcnt(1)
	v_fma_f64 v[53:54], v[61:62], v[53:54], 0
	s_waitcnt vmcnt(34)
	v_fma_f64 v[53:54], v[63:64], v[55:56], v[53:54]
	s_waitcnt vmcnt(32) lgkmcnt(0)
	v_fma_f64 v[53:54], v[65:66], v[57:58], v[53:54]
	s_waitcnt vmcnt(30)
	v_fma_f64 v[61:62], v[67:68], v[59:60], v[53:54]
	ds_read2_b64 v[53:56], v0 offset0:31 offset1:32
	ds_read2_b64 v[57:60], v0 offset0:33 offset1:34
	s_waitcnt vmcnt(28) lgkmcnt(1)
	v_fma_f64 v[53:54], v[69:70], v[53:54], v[61:62]
	s_clause 0x7
	buffer_load_dword v66, off, s[0:3], 0 offset:164
	buffer_load_dword v67, off, s[0:3], 0 offset:184
	;; [unrolled: 1-line block ×8, first 2 shown]
	s_waitcnt vmcnt(34)
	v_fma_f64 v[53:54], v[71:72], v[55:56], v[53:54]
	s_waitcnt vmcnt(32) lgkmcnt(0)
	v_fma_f64 v[53:54], v[73:74], v[57:58], v[53:54]
	ds_read2_b64 v[55:58], v0 offset0:35 offset1:36
	s_waitcnt vmcnt(27)
	v_fma_f64 v[53:54], v[75:76], v[59:60], v[53:54]
	ds_read2_b64 v[59:62], v0 offset0:37 offset1:38
	s_waitcnt vmcnt(26) lgkmcnt(1)
	v_fma_f64 v[53:54], v[81:82], v[55:56], v[53:54]
	s_clause 0x5
	buffer_load_dword v56, off, s[0:3], 0 offset:196
	buffer_load_dword v71, off, s[0:3], 0 offset:200
	;; [unrolled: 1-line block ×4, first 2 shown]
	buffer_load_dword v73, off, s[0:3], 0
	buffer_load_dword v74, off, s[0:3], 0 offset:4
	s_waitcnt vmcnt(31)
	v_fma_f64 v[53:54], v[79:80], v[57:58], v[53:54]
	s_waitcnt vmcnt(30) lgkmcnt(0)
	v_fma_f64 v[53:54], v[77:78], v[59:60], v[53:54]
	s_waitcnt vmcnt(25)
	v_fma_f64 v[53:54], v[83:84], v[61:62], v[53:54]
	ds_read2_b64 v[57:60], v0 offset0:39 offset1:40
	ds_read2_b64 v[61:64], v0 offset0:41 offset1:42
	s_waitcnt vmcnt(24) lgkmcnt(1)
	v_fma_f64 v[53:54], v[89:90], v[57:58], v[53:54]
	s_waitcnt vmcnt(23)
	v_fma_f64 v[53:54], v[87:88], v[59:60], v[53:54]
	s_waitcnt vmcnt(22) lgkmcnt(0)
	v_fma_f64 v[53:54], v[85:86], v[61:62], v[53:54]
	s_waitcnt vmcnt(17)
	v_fma_f64 v[53:54], v[91:92], v[63:64], v[53:54]
	ds_read2_b64 v[57:60], v0 offset0:43 offset1:44
	ds_read2_b64 v[61:64], v0 offset0:45 offset1:46
	s_waitcnt vmcnt(16) lgkmcnt(1)
	v_fma_f64 v[53:54], v[97:98], v[57:58], v[53:54]
	;; [unrolled: 10-line block ×3, first 2 shown]
	ds_read_b64 v[57:58], v0 offset:408
	s_waitcnt vmcnt(7)
	v_fma_f64 v[53:54], v[69:70], v[59:60], v[53:54]
	s_waitcnt vmcnt(6) lgkmcnt(1)
	v_fma_f64 v[53:54], v[67:68], v[61:62], v[53:54]
	s_waitcnt vmcnt(3)
	v_fma_f64 v[53:54], v[55:56], v[63:64], v[53:54]
	s_waitcnt vmcnt(2) lgkmcnt(0)
	v_fma_f64 v[53:54], v[71:72], v[57:58], v[53:54]
	s_waitcnt vmcnt(0)
	v_add_f64 v[53:54], v[73:74], -v[53:54]
	buffer_store_dword v54, off, s[0:3], 0 offset:4
	buffer_store_dword v53, off, s[0:3], 0
	s_cbranch_vccz .LBB25_216
; %bb.166:
	global_load_dword v0, v0, s[20:21] offset:96
	s_waitcnt vmcnt(0)
	v_add_nc_u32_e32 v0, -1, v0
	v_cmp_ne_u32_e32 vcc_lo, 24, v0
	s_cbranch_vccz .LBB25_168
; %bb.167:
	v_lshlrev_b32_e32 v0, 3, v0
	s_clause 0x1
	buffer_load_dword v53, v0, s[0:3], 0 offen offset:4
	buffer_load_dword v54, v0, s[0:3], 0 offen
	s_waitcnt vmcnt(1)
	buffer_store_dword v53, off, s[0:3], 0 offset:196
	s_waitcnt vmcnt(0)
	buffer_store_dword v54, off, s[0:3], 0 offset:192
	buffer_store_dword v56, v0, s[0:3], 0 offen offset:4
	buffer_store_dword v55, v0, s[0:3], 0 offen
.LBB25_168:
	v_mov_b32_e32 v0, 0
	global_load_dword v53, v0, s[20:21] offset:92
	s_waitcnt vmcnt(0)
	v_add_nc_u32_e32 v53, -1, v53
	v_cmp_eq_u32_e32 vcc_lo, 23, v53
	s_cbranch_vccnz .LBB25_170
; %bb.169:
	v_lshlrev_b32_e32 v53, 3, v53
	s_clause 0x3
	buffer_load_dword v54, v53, s[0:3], 0 offen
	buffer_load_dword v55, v53, s[0:3], 0 offen offset:4
	buffer_load_dword v56, off, s[0:3], 0 offset:184
	buffer_load_dword v57, off, s[0:3], 0 offset:188
	s_waitcnt vmcnt(3)
	buffer_store_dword v54, off, s[0:3], 0 offset:184
	s_waitcnt vmcnt(2)
	buffer_store_dword v55, off, s[0:3], 0 offset:188
	s_waitcnt vmcnt(1)
	buffer_store_dword v56, v53, s[0:3], 0 offen
	s_waitcnt vmcnt(0)
	buffer_store_dword v57, v53, s[0:3], 0 offen offset:4
.LBB25_170:
	global_load_dword v0, v0, s[20:21] offset:88
	s_waitcnt vmcnt(0)
	v_add_nc_u32_e32 v0, -1, v0
	v_cmp_eq_u32_e32 vcc_lo, 22, v0
	s_cbranch_vccnz .LBB25_172
; %bb.171:
	v_lshlrev_b32_e32 v0, 3, v0
	s_clause 0x3
	buffer_load_dword v53, v0, s[0:3], 0 offen
	buffer_load_dword v54, v0, s[0:3], 0 offen offset:4
	buffer_load_dword v55, off, s[0:3], 0 offset:180
	buffer_load_dword v56, off, s[0:3], 0 offset:176
	s_waitcnt vmcnt(3)
	buffer_store_dword v53, off, s[0:3], 0 offset:176
	s_waitcnt vmcnt(2)
	buffer_store_dword v54, off, s[0:3], 0 offset:180
	s_waitcnt vmcnt(1)
	buffer_store_dword v55, v0, s[0:3], 0 offen offset:4
	s_waitcnt vmcnt(0)
	buffer_store_dword v56, v0, s[0:3], 0 offen
.LBB25_172:
	v_mov_b32_e32 v0, 0
	global_load_dword v53, v0, s[20:21] offset:84
	s_waitcnt vmcnt(0)
	v_add_nc_u32_e32 v53, -1, v53
	v_cmp_eq_u32_e32 vcc_lo, 21, v53
	s_cbranch_vccnz .LBB25_174
; %bb.173:
	v_lshlrev_b32_e32 v53, 3, v53
	s_clause 0x3
	buffer_load_dword v54, v53, s[0:3], 0 offen
	buffer_load_dword v55, v53, s[0:3], 0 offen offset:4
	buffer_load_dword v56, off, s[0:3], 0 offset:168
	buffer_load_dword v57, off, s[0:3], 0 offset:172
	s_waitcnt vmcnt(3)
	buffer_store_dword v54, off, s[0:3], 0 offset:168
	s_waitcnt vmcnt(2)
	buffer_store_dword v55, off, s[0:3], 0 offset:172
	s_waitcnt vmcnt(1)
	buffer_store_dword v56, v53, s[0:3], 0 offen
	s_waitcnt vmcnt(0)
	buffer_store_dword v57, v53, s[0:3], 0 offen offset:4
.LBB25_174:
	global_load_dword v0, v0, s[20:21] offset:80
	s_waitcnt vmcnt(0)
	v_add_nc_u32_e32 v0, -1, v0
	v_cmp_eq_u32_e32 vcc_lo, 20, v0
	s_cbranch_vccnz .LBB25_176
; %bb.175:
	v_lshlrev_b32_e32 v0, 3, v0
	s_clause 0x3
	buffer_load_dword v53, v0, s[0:3], 0 offen
	buffer_load_dword v54, v0, s[0:3], 0 offen offset:4
	buffer_load_dword v55, off, s[0:3], 0 offset:164
	buffer_load_dword v56, off, s[0:3], 0 offset:160
	s_waitcnt vmcnt(3)
	buffer_store_dword v53, off, s[0:3], 0 offset:160
	s_waitcnt vmcnt(2)
	buffer_store_dword v54, off, s[0:3], 0 offset:164
	s_waitcnt vmcnt(1)
	buffer_store_dword v55, v0, s[0:3], 0 offen offset:4
	s_waitcnt vmcnt(0)
	buffer_store_dword v56, v0, s[0:3], 0 offen
.LBB25_176:
	;; [unrolled: 43-line block ×11, first 2 shown]
	v_mov_b32_e32 v0, 0
	global_load_dword v53, v0, s[20:21] offset:4
	s_waitcnt vmcnt(0)
	v_add_nc_u32_e32 v53, -1, v53
	v_cmp_eq_u32_e32 vcc_lo, 1, v53
	s_cbranch_vccnz .LBB25_214
; %bb.213:
	v_lshlrev_b32_e32 v53, 3, v53
	s_clause 0x3
	buffer_load_dword v54, v53, s[0:3], 0 offen
	buffer_load_dword v55, v53, s[0:3], 0 offen offset:4
	buffer_load_dword v56, off, s[0:3], 0 offset:8
	buffer_load_dword v57, off, s[0:3], 0 offset:12
	s_waitcnt vmcnt(3)
	buffer_store_dword v54, off, s[0:3], 0 offset:8
	s_waitcnt vmcnt(2)
	buffer_store_dword v55, off, s[0:3], 0 offset:12
	s_waitcnt vmcnt(1)
	buffer_store_dword v56, v53, s[0:3], 0 offen
	s_waitcnt vmcnt(0)
	buffer_store_dword v57, v53, s[0:3], 0 offen offset:4
.LBB25_214:
	global_load_dword v0, v0, s[20:21]
	s_clause 0x1
	buffer_load_dword v53, off, s[0:3], 0
	buffer_load_dword v54, off, s[0:3], 0 offset:4
	s_waitcnt vmcnt(2)
	v_add_nc_u32_e32 v0, -1, v0
	v_cmp_eq_u32_e32 vcc_lo, 0, v0
	s_cbranch_vccnz .LBB25_216
; %bb.215:
	v_lshlrev_b32_e32 v0, 3, v0
	s_clause 0x1
	buffer_load_dword v55, v0, s[0:3], 0 offen offset:4
	buffer_load_dword v56, v0, s[0:3], 0 offen
	s_waitcnt vmcnt(1)
	buffer_store_dword v55, off, s[0:3], 0 offset:4
	s_waitcnt vmcnt(0)
	buffer_store_dword v56, off, s[0:3], 0
	buffer_store_dword v54, v0, s[0:3], 0 offen offset:4
	buffer_store_dword v53, v0, s[0:3], 0 offen
	s_clause 0x1
	buffer_load_dword v53, off, s[0:3], 0
	buffer_load_dword v54, off, s[0:3], 0 offset:4
.LBB25_216:
	s_clause 0x17
	buffer_load_dword v55, off, s[0:3], 0 offset:8
	buffer_load_dword v56, off, s[0:3], 0 offset:12
	;; [unrolled: 1-line block ×24, first 2 shown]
	s_waitcnt vmcnt(24)
	global_store_dwordx2 v[3:4], v[53:54], off
	s_clause 0xf
	buffer_load_dword v3, off, s[0:3], 0 offset:104
	buffer_load_dword v4, off, s[0:3], 0 offset:108
	;; [unrolled: 1-line block ×16, first 2 shown]
	s_waitcnt vmcnt(38)
	global_store_dwordx2 v[1:2], v[55:56], off
	s_waitcnt vmcnt(36)
	global_store_dwordx2 v[5:6], v[57:58], off
	s_clause 0x9
	buffer_load_dword v0, off, s[0:3], 0 offset:168
	buffer_load_dword v1, off, s[0:3], 0 offset:172
	;; [unrolled: 1-line block ×10, first 2 shown]
	s_waitcnt vmcnt(44)
	global_store_dwordx2 v[7:8], v[59:60], off
	s_waitcnt vmcnt(42)
	global_store_dwordx2 v[9:10], v[61:62], off
	;; [unrolled: 2-line block ×23, first 2 shown]
	s_endpgm
	.section	.rodata,"a",@progbits
	.p2align	6, 0x0
	.amdhsa_kernel _ZN9rocsolver6v33100L18getri_kernel_smallILi26EdPdEEvT1_iilPiilS4_bb
		.amdhsa_group_segment_fixed_size 424
		.amdhsa_private_segment_fixed_size 224
		.amdhsa_kernarg_size 60
		.amdhsa_user_sgpr_count 6
		.amdhsa_user_sgpr_private_segment_buffer 1
		.amdhsa_user_sgpr_dispatch_ptr 0
		.amdhsa_user_sgpr_queue_ptr 0
		.amdhsa_user_sgpr_kernarg_segment_ptr 1
		.amdhsa_user_sgpr_dispatch_id 0
		.amdhsa_user_sgpr_flat_scratch_init 0
		.amdhsa_user_sgpr_private_segment_size 0
		.amdhsa_wavefront_size32 1
		.amdhsa_uses_dynamic_stack 0
		.amdhsa_system_sgpr_private_segment_wavefront_offset 1
		.amdhsa_system_sgpr_workgroup_id_x 1
		.amdhsa_system_sgpr_workgroup_id_y 0
		.amdhsa_system_sgpr_workgroup_id_z 0
		.amdhsa_system_sgpr_workgroup_info 0
		.amdhsa_system_vgpr_workitem_id 0
		.amdhsa_next_free_vgpr 101
		.amdhsa_next_free_sgpr 23
		.amdhsa_reserve_vcc 1
		.amdhsa_reserve_flat_scratch 0
		.amdhsa_float_round_mode_32 0
		.amdhsa_float_round_mode_16_64 0
		.amdhsa_float_denorm_mode_32 3
		.amdhsa_float_denorm_mode_16_64 3
		.amdhsa_dx10_clamp 1
		.amdhsa_ieee_mode 1
		.amdhsa_fp16_overflow 0
		.amdhsa_workgroup_processor_mode 1
		.amdhsa_memory_ordered 1
		.amdhsa_forward_progress 1
		.amdhsa_shared_vgpr_count 0
		.amdhsa_exception_fp_ieee_invalid_op 0
		.amdhsa_exception_fp_denorm_src 0
		.amdhsa_exception_fp_ieee_div_zero 0
		.amdhsa_exception_fp_ieee_overflow 0
		.amdhsa_exception_fp_ieee_underflow 0
		.amdhsa_exception_fp_ieee_inexact 0
		.amdhsa_exception_int_div_zero 0
	.end_amdhsa_kernel
	.section	.text._ZN9rocsolver6v33100L18getri_kernel_smallILi26EdPdEEvT1_iilPiilS4_bb,"axG",@progbits,_ZN9rocsolver6v33100L18getri_kernel_smallILi26EdPdEEvT1_iilPiilS4_bb,comdat
.Lfunc_end25:
	.size	_ZN9rocsolver6v33100L18getri_kernel_smallILi26EdPdEEvT1_iilPiilS4_bb, .Lfunc_end25-_ZN9rocsolver6v33100L18getri_kernel_smallILi26EdPdEEvT1_iilPiilS4_bb
                                        ; -- End function
	.set _ZN9rocsolver6v33100L18getri_kernel_smallILi26EdPdEEvT1_iilPiilS4_bb.num_vgpr, 101
	.set _ZN9rocsolver6v33100L18getri_kernel_smallILi26EdPdEEvT1_iilPiilS4_bb.num_agpr, 0
	.set _ZN9rocsolver6v33100L18getri_kernel_smallILi26EdPdEEvT1_iilPiilS4_bb.numbered_sgpr, 23
	.set _ZN9rocsolver6v33100L18getri_kernel_smallILi26EdPdEEvT1_iilPiilS4_bb.num_named_barrier, 0
	.set _ZN9rocsolver6v33100L18getri_kernel_smallILi26EdPdEEvT1_iilPiilS4_bb.private_seg_size, 224
	.set _ZN9rocsolver6v33100L18getri_kernel_smallILi26EdPdEEvT1_iilPiilS4_bb.uses_vcc, 1
	.set _ZN9rocsolver6v33100L18getri_kernel_smallILi26EdPdEEvT1_iilPiilS4_bb.uses_flat_scratch, 0
	.set _ZN9rocsolver6v33100L18getri_kernel_smallILi26EdPdEEvT1_iilPiilS4_bb.has_dyn_sized_stack, 0
	.set _ZN9rocsolver6v33100L18getri_kernel_smallILi26EdPdEEvT1_iilPiilS4_bb.has_recursion, 0
	.set _ZN9rocsolver6v33100L18getri_kernel_smallILi26EdPdEEvT1_iilPiilS4_bb.has_indirect_call, 0
	.section	.AMDGPU.csdata,"",@progbits
; Kernel info:
; codeLenInByte = 25396
; TotalNumSgprs: 25
; NumVgprs: 101
; ScratchSize: 224
; MemoryBound: 0
; FloatMode: 240
; IeeeMode: 1
; LDSByteSize: 424 bytes/workgroup (compile time only)
; SGPRBlocks: 0
; VGPRBlocks: 12
; NumSGPRsForWavesPerEU: 25
; NumVGPRsForWavesPerEU: 101
; Occupancy: 9
; WaveLimiterHint : 1
; COMPUTE_PGM_RSRC2:SCRATCH_EN: 1
; COMPUTE_PGM_RSRC2:USER_SGPR: 6
; COMPUTE_PGM_RSRC2:TRAP_HANDLER: 0
; COMPUTE_PGM_RSRC2:TGID_X_EN: 1
; COMPUTE_PGM_RSRC2:TGID_Y_EN: 0
; COMPUTE_PGM_RSRC2:TGID_Z_EN: 0
; COMPUTE_PGM_RSRC2:TIDIG_COMP_CNT: 0
	.section	.text._ZN9rocsolver6v33100L18getri_kernel_smallILi27EdPdEEvT1_iilPiilS4_bb,"axG",@progbits,_ZN9rocsolver6v33100L18getri_kernel_smallILi27EdPdEEvT1_iilPiilS4_bb,comdat
	.globl	_ZN9rocsolver6v33100L18getri_kernel_smallILi27EdPdEEvT1_iilPiilS4_bb ; -- Begin function _ZN9rocsolver6v33100L18getri_kernel_smallILi27EdPdEEvT1_iilPiilS4_bb
	.p2align	8
	.type	_ZN9rocsolver6v33100L18getri_kernel_smallILi27EdPdEEvT1_iilPiilS4_bb,@function
_ZN9rocsolver6v33100L18getri_kernel_smallILi27EdPdEEvT1_iilPiilS4_bb: ; @_ZN9rocsolver6v33100L18getri_kernel_smallILi27EdPdEEvT1_iilPiilS4_bb
; %bb.0:
	s_add_u32 s0, s0, s7
	s_addc_u32 s1, s1, 0
	s_mov_b32 s7, exec_lo
	v_cmpx_gt_u32_e32 27, v0
	s_cbranch_execz .LBB26_118
; %bb.1:
	s_clause 0x2
	s_load_dword s7, s[4:5], 0x38
	s_load_dwordx4 s[16:19], s[4:5], 0x10
	s_load_dwordx4 s[8:11], s[4:5], 0x28
                                        ; implicit-def: $sgpr20_sgpr21
	s_waitcnt lgkmcnt(0)
	s_bitcmp1_b32 s7, 8
	s_cselect_b32 s22, -1, 0
	s_bfe_u32 s12, s7, 0x10008
	s_ashr_i32 s7, s6, 31
	s_cmp_eq_u32 s12, 0
	s_cbranch_scc1 .LBB26_3
; %bb.2:
	s_load_dword s12, s[4:5], 0x20
	s_mul_i32 s13, s8, s7
	s_mul_hi_u32 s14, s8, s6
	s_mul_i32 s9, s9, s6
	s_add_i32 s13, s14, s13
	s_mul_i32 s8, s8, s6
	s_add_i32 s9, s13, s9
	s_lshl_b64 s[8:9], s[8:9], 2
	s_waitcnt lgkmcnt(0)
	s_ashr_i32 s13, s12, 31
	s_add_u32 s14, s18, s8
	s_addc_u32 s15, s19, s9
	s_lshl_b64 s[8:9], s[12:13], 2
	s_add_u32 s20, s14, s8
	s_addc_u32 s21, s15, s9
.LBB26_3:
	s_clause 0x1
	s_load_dwordx4 s[12:15], s[4:5], 0x0
	s_load_dword s8, s[4:5], 0x38
	s_mul_i32 s4, s16, s7
	s_mul_hi_u32 s5, s16, s6
	s_mul_i32 s9, s17, s6
	s_add_i32 s5, s5, s4
	s_mul_i32 s4, s16, s6
	s_add_i32 s5, s5, s9
	v_lshlrev_b32_e32 v57, 3, v0
	s_lshl_b64 s[4:5], s[4:5], 3
	s_waitcnt lgkmcnt(0)
	v_add3_u32 v1, s15, s15, v0
	s_ashr_i32 s17, s14, 31
	s_mov_b32 s16, s14
	s_add_u32 s9, s12, s4
	s_addc_u32 s13, s13, s5
	v_add_nc_u32_e32 v5, s15, v1
	s_lshl_b64 s[4:5], s[16:17], 3
	v_ashrrev_i32_e32 v2, 31, v1
	s_add_u32 s4, s9, s4
	s_addc_u32 s5, s13, s5
	v_add_nc_u32_e32 v9, s15, v5
	v_ashrrev_i32_e32 v6, 31, v5
	v_add_co_u32 v3, s9, s4, v57
	s_mov_b32 s12, s15
	v_add_nc_u32_e32 v13, s15, v9
	s_ashr_i32 s13, s15, 31
	v_lshlrev_b64 v[7:8], 3, v[1:2]
	v_add_co_ci_u32_e64 v4, null, s5, 0, s9
	s_lshl_b64 s[12:13], s[12:13], 3
	v_lshlrev_b64 v[11:12], 3, v[5:6]
	v_add_co_u32 v1, vcc_lo, v3, s12
	v_add_nc_u32_e32 v15, s15, v13
	v_ashrrev_i32_e32 v10, 31, v9
	v_ashrrev_i32_e32 v14, 31, v13
	v_add_co_ci_u32_e64 v2, null, s13, v4, vcc_lo
	v_add_co_u32 v5, vcc_lo, s4, v7
	v_add_co_ci_u32_e64 v6, null, s5, v8, vcc_lo
	v_add_co_u32 v7, vcc_lo, s4, v11
	v_ashrrev_i32_e32 v16, 31, v15
	v_lshlrev_b64 v[9:10], 3, v[9:10]
	v_add_co_ci_u32_e64 v8, null, s5, v12, vcc_lo
	v_lshlrev_b64 v[11:12], 3, v[13:14]
	v_add_nc_u32_e32 v13, s15, v15
	v_lshlrev_b64 v[15:16], 3, v[15:16]
	v_add_co_u32 v9, vcc_lo, s4, v9
	v_add_co_ci_u32_e64 v10, null, s5, v10, vcc_lo
	v_ashrrev_i32_e32 v14, 31, v13
	v_add_co_u32 v11, vcc_lo, s4, v11
	v_add_nc_u32_e32 v19, s15, v13
	v_add_co_ci_u32_e64 v12, null, s5, v12, vcc_lo
	v_lshlrev_b64 v[17:18], 3, v[13:14]
	v_add_co_u32 v13, vcc_lo, s4, v15
	v_add_co_ci_u32_e64 v14, null, s5, v16, vcc_lo
	s_clause 0x6
	global_load_dwordx2 v[55:56], v57, s[4:5]
	global_load_dwordx2 v[58:59], v[1:2], off
	global_load_dwordx2 v[60:61], v[5:6], off
	;; [unrolled: 1-line block ×6, first 2 shown]
	v_ashrrev_i32_e32 v20, 31, v19
	v_add_co_u32 v15, vcc_lo, s4, v17
	v_add_co_ci_u32_e64 v16, null, s5, v18, vcc_lo
	v_lshlrev_b64 v[20:21], 3, v[19:20]
	v_add_nc_u32_e32 v19, s15, v19
	s_bitcmp0_b32 s8, 0
	v_add_co_u32 v17, vcc_lo, s4, v20
	v_add_co_ci_u32_e64 v18, null, s5, v21, vcc_lo
	s_clause 0x1
	global_load_dwordx2 v[70:71], v[15:16], off
	global_load_dwordx2 v[72:73], v[17:18], off
	v_add_nc_u32_e32 v21, s15, v19
	v_ashrrev_i32_e32 v20, 31, v19
	v_add_nc_u32_e32 v23, s15, v21
	v_ashrrev_i32_e32 v22, 31, v21
	v_lshlrev_b64 v[19:20], 3, v[19:20]
	v_add_nc_u32_e32 v25, s15, v23
	v_ashrrev_i32_e32 v24, 31, v23
	v_lshlrev_b64 v[21:22], 3, v[21:22]
	v_add_co_u32 v19, vcc_lo, s4, v19
	v_add_nc_u32_e32 v27, s15, v25
	v_ashrrev_i32_e32 v26, 31, v25
	v_lshlrev_b64 v[23:24], 3, v[23:24]
	v_add_co_ci_u32_e64 v20, null, s5, v20, vcc_lo
	v_add_nc_u32_e32 v29, s15, v27
	v_ashrrev_i32_e32 v28, 31, v27
	v_lshlrev_b64 v[25:26], 3, v[25:26]
	v_add_co_u32 v21, vcc_lo, s4, v21
	v_add_nc_u32_e32 v31, s15, v29
	v_ashrrev_i32_e32 v30, 31, v29
	v_lshlrev_b64 v[27:28], 3, v[27:28]
	v_add_co_ci_u32_e64 v22, null, s5, v22, vcc_lo
	v_add_nc_u32_e32 v33, s15, v31
	v_ashrrev_i32_e32 v32, 31, v31
	v_add_co_u32 v23, vcc_lo, s4, v23
	v_lshlrev_b64 v[29:30], 3, v[29:30]
	v_add_nc_u32_e32 v35, s15, v33
	v_ashrrev_i32_e32 v34, 31, v33
	v_add_co_ci_u32_e64 v24, null, s5, v24, vcc_lo
	v_add_co_u32 v25, vcc_lo, s4, v25
	v_add_nc_u32_e32 v37, s15, v35
	v_ashrrev_i32_e32 v36, 31, v35
	v_lshlrev_b64 v[31:32], 3, v[31:32]
	v_add_co_ci_u32_e64 v26, null, s5, v26, vcc_lo
	v_add_nc_u32_e32 v39, s15, v37
	v_ashrrev_i32_e32 v38, 31, v37
	v_add_co_u32 v27, vcc_lo, s4, v27
	v_lshlrev_b64 v[33:34], 3, v[33:34]
	v_add_nc_u32_e32 v41, s15, v39
	v_ashrrev_i32_e32 v40, 31, v39
	v_add_co_ci_u32_e64 v28, null, s5, v28, vcc_lo
	v_add_co_u32 v29, vcc_lo, s4, v29
	v_add_nc_u32_e32 v43, s15, v41
	v_lshlrev_b64 v[35:36], 3, v[35:36]
	v_ashrrev_i32_e32 v42, 31, v41
	v_add_co_ci_u32_e64 v30, null, s5, v30, vcc_lo
	v_add_nc_u32_e32 v45, s15, v43
	v_add_co_u32 v31, vcc_lo, s4, v31
	v_lshlrev_b64 v[37:38], 3, v[37:38]
	v_ashrrev_i32_e32 v44, 31, v43
	v_add_nc_u32_e32 v47, s15, v45
	v_add_co_ci_u32_e64 v32, null, s5, v32, vcc_lo
	v_add_co_u32 v33, vcc_lo, s4, v33
	v_add_nc_u32_e32 v49, s15, v47
	v_lshlrev_b64 v[39:40], 3, v[39:40]
	v_ashrrev_i32_e32 v46, 31, v45
	v_add_co_ci_u32_e64 v34, null, s5, v34, vcc_lo
	v_add_nc_u32_e32 v51, s15, v49
	v_add_co_u32 v35, vcc_lo, s4, v35
	v_lshlrev_b64 v[41:42], 3, v[41:42]
	v_ashrrev_i32_e32 v48, 31, v47
	v_add_co_ci_u32_e64 v36, null, s5, v36, vcc_lo
	v_add_co_u32 v37, vcc_lo, s4, v37
	v_lshlrev_b64 v[43:44], 3, v[43:44]
	v_add_nc_u32_e32 v53, s15, v51
	v_ashrrev_i32_e32 v50, 31, v49
	v_add_co_ci_u32_e64 v38, null, s5, v38, vcc_lo
	v_add_co_u32 v39, vcc_lo, s4, v39
	v_lshlrev_b64 v[45:46], 3, v[45:46]
	v_ashrrev_i32_e32 v52, 31, v51
	v_add_co_ci_u32_e64 v40, null, s5, v40, vcc_lo
	v_add_co_u32 v41, vcc_lo, s4, v41
	v_lshlrev_b64 v[47:48], 3, v[47:48]
	;; [unrolled: 4-line block ×3, first 2 shown]
	v_add_co_ci_u32_e64 v44, null, s5, v44, vcc_lo
	v_add_co_u32 v45, vcc_lo, s4, v45
	v_lshlrev_b64 v[51:52], 3, v[51:52]
	v_add_co_ci_u32_e64 v46, null, s5, v46, vcc_lo
	v_add_co_u32 v47, vcc_lo, s4, v47
	v_lshlrev_b64 v[90:91], 3, v[53:54]
	v_add_co_ci_u32_e64 v48, null, s5, v48, vcc_lo
	v_add_co_u32 v49, vcc_lo, s4, v49
	v_add_co_ci_u32_e64 v50, null, s5, v50, vcc_lo
	v_add_co_u32 v53, vcc_lo, s4, v51
	;; [unrolled: 2-line block ×3, first 2 shown]
	s_clause 0x7
	global_load_dwordx2 v[74:75], v[19:20], off
	global_load_dwordx2 v[76:77], v[21:22], off
	;; [unrolled: 1-line block ×8, first 2 shown]
	v_add_co_ci_u32_e64 v52, null, s5, v91, vcc_lo
	s_mov_b32 s5, -1
	s_waitcnt vmcnt(16)
	buffer_store_dword v56, off, s[0:3], 0 offset:4
	buffer_store_dword v55, off, s[0:3], 0
	s_waitcnt vmcnt(15)
	buffer_store_dword v59, off, s[0:3], 0 offset:12
	buffer_store_dword v58, off, s[0:3], 0 offset:8
	s_waitcnt vmcnt(14)
	buffer_store_dword v61, off, s[0:3], 0 offset:20
	buffer_store_dword v60, off, s[0:3], 0 offset:16
	s_clause 0x3
	global_load_dwordx2 v[55:56], v[35:36], off
	global_load_dwordx2 v[58:59], v[37:38], off
	;; [unrolled: 1-line block ×4, first 2 shown]
	s_waitcnt vmcnt(17)
	buffer_store_dword v63, off, s[0:3], 0 offset:28
	buffer_store_dword v62, off, s[0:3], 0 offset:24
	global_load_dwordx2 v[62:63], v[43:44], off
	s_waitcnt vmcnt(17)
	buffer_store_dword v65, off, s[0:3], 0 offset:36
	buffer_store_dword v64, off, s[0:3], 0 offset:32
	s_waitcnt vmcnt(16)
	buffer_store_dword v67, off, s[0:3], 0 offset:44
	buffer_store_dword v66, off, s[0:3], 0 offset:40
	;; [unrolled: 3-line block ×3, first 2 shown]
	s_clause 0x2
	global_load_dwordx2 v[64:65], v[45:46], off
	global_load_dwordx2 v[66:67], v[47:48], off
	global_load_dwordx2 v[68:69], v[49:50], off
	s_waitcnt vmcnt(17)
	buffer_store_dword v71, off, s[0:3], 0 offset:60
	buffer_store_dword v70, off, s[0:3], 0 offset:56
	global_load_dwordx2 v[70:71], v[53:54], off
	s_waitcnt vmcnt(17)
	buffer_store_dword v73, off, s[0:3], 0 offset:68
	buffer_store_dword v72, off, s[0:3], 0 offset:64
	global_load_dwordx2 v[72:73], v[51:52], off
	s_waitcnt vmcnt(17)
	buffer_store_dword v74, off, s[0:3], 0 offset:72
	buffer_store_dword v75, off, s[0:3], 0 offset:76
	s_waitcnt vmcnt(16)
	buffer_store_dword v76, off, s[0:3], 0 offset:80
	buffer_store_dword v77, off, s[0:3], 0 offset:84
	s_waitcnt vmcnt(15)
	buffer_store_dword v78, off, s[0:3], 0 offset:88
	buffer_store_dword v79, off, s[0:3], 0 offset:92
	s_waitcnt vmcnt(14)
	buffer_store_dword v80, off, s[0:3], 0 offset:96
	buffer_store_dword v81, off, s[0:3], 0 offset:100
	s_waitcnt vmcnt(13)
	buffer_store_dword v82, off, s[0:3], 0 offset:104
	buffer_store_dword v83, off, s[0:3], 0 offset:108
	s_waitcnt vmcnt(12)
	buffer_store_dword v85, off, s[0:3], 0 offset:116
	buffer_store_dword v84, off, s[0:3], 0 offset:112
	s_waitcnt vmcnt(11)
	buffer_store_dword v86, off, s[0:3], 0 offset:120
	buffer_store_dword v87, off, s[0:3], 0 offset:124
	s_waitcnt vmcnt(10)
	buffer_store_dword v88, off, s[0:3], 0 offset:128
	buffer_store_dword v89, off, s[0:3], 0 offset:132
	s_waitcnt vmcnt(9)
	buffer_store_dword v55, off, s[0:3], 0 offset:136
	buffer_store_dword v56, off, s[0:3], 0 offset:140
	s_waitcnt vmcnt(8)
	buffer_store_dword v58, off, s[0:3], 0 offset:144
	buffer_store_dword v59, off, s[0:3], 0 offset:148
	s_waitcnt vmcnt(7)
	buffer_store_dword v61, off, s[0:3], 0 offset:156
	buffer_store_dword v60, off, s[0:3], 0 offset:152
	s_waitcnt vmcnt(6)
	buffer_store_dword v91, off, s[0:3], 0 offset:164
	buffer_store_dword v90, off, s[0:3], 0 offset:160
	s_waitcnt vmcnt(5)
	buffer_store_dword v62, off, s[0:3], 0 offset:168
	buffer_store_dword v63, off, s[0:3], 0 offset:172
	s_waitcnt vmcnt(4)
	buffer_store_dword v64, off, s[0:3], 0 offset:176
	buffer_store_dword v65, off, s[0:3], 0 offset:180
	s_waitcnt vmcnt(3)
	buffer_store_dword v66, off, s[0:3], 0 offset:184
	buffer_store_dword v67, off, s[0:3], 0 offset:188
	s_waitcnt vmcnt(2)
	buffer_store_dword v68, off, s[0:3], 0 offset:192
	buffer_store_dword v69, off, s[0:3], 0 offset:196
	s_waitcnt vmcnt(1)
	buffer_store_dword v71, off, s[0:3], 0 offset:204
	buffer_store_dword v70, off, s[0:3], 0 offset:200
	s_waitcnt vmcnt(0)
	buffer_store_dword v73, off, s[0:3], 0 offset:212
	buffer_store_dword v72, off, s[0:3], 0 offset:208
	s_cbranch_scc1 .LBB26_116
; %bb.4:
	v_cmp_eq_u32_e64 s4, 0, v0
	s_and_saveexec_b32 s5, s4
; %bb.5:
	v_mov_b32_e32 v55, 0
	ds_write_b32 v55, v55 offset:216
; %bb.6:
	s_or_b32 exec_lo, exec_lo, s5
	v_lshl_add_u32 v55, v0, 3, 0
	s_waitcnt lgkmcnt(0)
	s_waitcnt_vscnt null, 0x0
	s_barrier
	buffer_gl0_inv
	s_mov_b32 s8, exec_lo
	s_clause 0x1
	buffer_load_dword v58, v55, s[0:3], 0 offen
	buffer_load_dword v59, v55, s[0:3], 0 offen offset:4
	s_waitcnt vmcnt(0)
	v_cmpx_eq_f64_e32 0, v[58:59]
	s_cbranch_execz .LBB26_10
; %bb.7:
	v_mov_b32_e32 v56, 0
	s_mov_b32 s9, 0
	ds_read_b32 v58, v56 offset:216
	s_waitcnt lgkmcnt(0)
	v_readfirstlane_b32 s5, v58
	v_add_nc_u32_e32 v58, 1, v0
	s_cmp_eq_u32 s5, 0
	v_cmp_gt_i32_e32 vcc_lo, s5, v58
	s_cselect_b32 s12, -1, 0
	s_or_b32 s12, s12, vcc_lo
	s_and_b32 exec_lo, exec_lo, s12
	s_cbranch_execz .LBB26_10
; %bb.8:
	v_mov_b32_e32 v59, s5
.LBB26_9:                               ; =>This Inner Loop Header: Depth=1
	ds_cmpst_rtn_b32 v59, v56, v59, v58 offset:216
	s_waitcnt lgkmcnt(0)
	v_cmp_ne_u32_e32 vcc_lo, 0, v59
	v_cmp_le_i32_e64 s5, v59, v58
	s_and_b32 s5, vcc_lo, s5
	s_and_b32 s5, exec_lo, s5
	s_or_b32 s9, s5, s9
	s_andn2_b32 exec_lo, exec_lo, s9
	s_cbranch_execnz .LBB26_9
.LBB26_10:
	s_or_b32 exec_lo, exec_lo, s8
	v_mov_b32_e32 v56, 0
	s_barrier
	buffer_gl0_inv
	ds_read_b32 v58, v56 offset:216
	s_and_saveexec_b32 s5, s4
	s_cbranch_execz .LBB26_12
; %bb.11:
	s_lshl_b64 s[8:9], s[6:7], 2
	s_add_u32 s8, s10, s8
	s_addc_u32 s9, s11, s9
	s_waitcnt lgkmcnt(0)
	global_store_dword v56, v58, s[8:9]
.LBB26_12:
	s_or_b32 exec_lo, exec_lo, s5
	s_waitcnt lgkmcnt(0)
	v_cmp_ne_u32_e32 vcc_lo, 0, v58
	s_mov_b32 s5, 0
	s_cbranch_vccnz .LBB26_116
; %bb.13:
	s_clause 0x1
	buffer_load_dword v58, v55, s[0:3], 0 offen
	buffer_load_dword v59, v55, s[0:3], 0 offen offset:4
	s_waitcnt vmcnt(0)
	v_div_scale_f64 v[60:61], null, v[58:59], v[58:59], 1.0
	v_div_scale_f64 v[66:67], vcc_lo, 1.0, v[58:59], 1.0
	v_rcp_f64_e32 v[62:63], v[60:61]
	v_fma_f64 v[64:65], -v[60:61], v[62:63], 1.0
	v_fma_f64 v[62:63], v[62:63], v[64:65], v[62:63]
	v_fma_f64 v[64:65], -v[60:61], v[62:63], 1.0
	v_fma_f64 v[62:63], v[62:63], v[64:65], v[62:63]
	v_mul_f64 v[64:65], v[66:67], v[62:63]
	v_fma_f64 v[60:61], -v[60:61], v[64:65], v[66:67]
	v_div_fmas_f64 v[60:61], v[60:61], v[62:63], v[64:65]
	v_div_fixup_f64 v[59:60], v[60:61], v[58:59], 1.0
	v_add_nc_u32_e32 v58, 0xe0, v57
	buffer_store_dword v60, v55, s[0:3], 0 offen offset:4
	buffer_store_dword v59, v55, s[0:3], 0 offen
	s_clause 0x1
	buffer_load_dword v62, off, s[0:3], 0 offset:12
	buffer_load_dword v61, off, s[0:3], 0 offset:8
	v_xor_b32_e32 v60, 0x80000000, v60
	s_waitcnt vmcnt(0)
	ds_write2_b64 v57, v[59:60], v[61:62] offset1:28
	s_waitcnt lgkmcnt(0)
	s_waitcnt_vscnt null, 0x0
	s_barrier
	buffer_gl0_inv
	s_and_saveexec_b32 s5, s4
	s_cbranch_execz .LBB26_15
; %bb.14:
	s_clause 0x1
	buffer_load_dword v59, v55, s[0:3], 0 offen
	buffer_load_dword v60, v55, s[0:3], 0 offen offset:4
	ds_read_b64 v[61:62], v58
	v_mov_b32_e32 v56, 0
	ds_read_b64 v[63:64], v56 offset:8
	s_waitcnt vmcnt(0) lgkmcnt(1)
	v_fma_f64 v[59:60], v[59:60], v[61:62], 0
	s_waitcnt lgkmcnt(0)
	v_mul_f64 v[59:60], v[59:60], v[63:64]
	buffer_store_dword v59, off, s[0:3], 0 offset:8
	buffer_store_dword v60, off, s[0:3], 0 offset:12
.LBB26_15:
	s_or_b32 exec_lo, exec_lo, s5
	s_waitcnt_vscnt null, 0x0
	s_barrier
	buffer_gl0_inv
	s_clause 0x1
	buffer_load_dword v59, off, s[0:3], 0 offset:16
	buffer_load_dword v60, off, s[0:3], 0 offset:20
	s_mov_b32 s5, exec_lo
	s_waitcnt vmcnt(0)
	ds_write_b64 v58, v[59:60]
	s_waitcnt lgkmcnt(0)
	s_barrier
	buffer_gl0_inv
	v_cmpx_gt_u32_e32 2, v0
	s_cbranch_execz .LBB26_19
; %bb.16:
	s_clause 0x1
	buffer_load_dword v59, v55, s[0:3], 0 offen
	buffer_load_dword v60, v55, s[0:3], 0 offen offset:4
	ds_read_b64 v[55:56], v58
	s_waitcnt vmcnt(0) lgkmcnt(0)
	v_fma_f64 v[55:56], v[59:60], v[55:56], 0
	s_and_saveexec_b32 s8, s4
	s_cbranch_execz .LBB26_18
; %bb.17:
	s_clause 0x1
	buffer_load_dword v59, off, s[0:3], 0 offset:8
	buffer_load_dword v60, off, s[0:3], 0 offset:12
	v_mov_b32_e32 v61, 0
	ds_read_b64 v[61:62], v61 offset:232
	s_waitcnt vmcnt(0) lgkmcnt(0)
	v_fma_f64 v[55:56], v[59:60], v[61:62], v[55:56]
.LBB26_18:
	s_or_b32 exec_lo, exec_lo, s8
	v_mov_b32_e32 v59, 0
	ds_read_b64 v[59:60], v59 offset:16
	s_waitcnt lgkmcnt(0)
	v_mul_f64 v[55:56], v[55:56], v[59:60]
	buffer_store_dword v56, off, s[0:3], 0 offset:20
	buffer_store_dword v55, off, s[0:3], 0 offset:16
.LBB26_19:
	s_or_b32 exec_lo, exec_lo, s5
	s_waitcnt_vscnt null, 0x0
	s_barrier
	buffer_gl0_inv
	s_clause 0x1
	buffer_load_dword v55, off, s[0:3], 0 offset:24
	buffer_load_dword v56, off, s[0:3], 0 offset:28
	v_add_nc_u32_e32 v59, -1, v0
	s_mov_b32 s4, exec_lo
	s_waitcnt vmcnt(0)
	ds_write_b64 v58, v[55:56]
	s_waitcnt lgkmcnt(0)
	s_barrier
	buffer_gl0_inv
	v_cmpx_gt_u32_e32 3, v0
	s_cbranch_execz .LBB26_23
; %bb.20:
	v_mov_b32_e32 v55, 0
	v_add_nc_u32_e32 v60, -1, v0
	v_add_nc_u32_e32 v61, 0xe0, v57
	v_mov_b32_e32 v56, 0
	v_mov_b32_e32 v62, v57
	s_mov_b32 s5, 0
.LBB26_21:                              ; =>This Inner Loop Header: Depth=1
	s_clause 0x1
	buffer_load_dword v63, v62, s[0:3], 0 offen
	buffer_load_dword v64, v62, s[0:3], 0 offen offset:4
	ds_read_b64 v[65:66], v61
	v_add_nc_u32_e32 v60, 1, v60
	v_add_nc_u32_e32 v61, 8, v61
	v_add_nc_u32_e32 v62, 8, v62
	v_cmp_lt_u32_e32 vcc_lo, 1, v60
	s_or_b32 s5, vcc_lo, s5
	s_waitcnt vmcnt(0) lgkmcnt(0)
	v_fma_f64 v[55:56], v[63:64], v[65:66], v[55:56]
	s_andn2_b32 exec_lo, exec_lo, s5
	s_cbranch_execnz .LBB26_21
; %bb.22:
	s_or_b32 exec_lo, exec_lo, s5
	v_mov_b32_e32 v60, 0
	ds_read_b64 v[60:61], v60 offset:24
	s_waitcnt lgkmcnt(0)
	v_mul_f64 v[55:56], v[55:56], v[60:61]
	buffer_store_dword v56, off, s[0:3], 0 offset:28
	buffer_store_dword v55, off, s[0:3], 0 offset:24
.LBB26_23:
	s_or_b32 exec_lo, exec_lo, s4
	s_waitcnt_vscnt null, 0x0
	s_barrier
	buffer_gl0_inv
	s_clause 0x1
	buffer_load_dword v55, off, s[0:3], 0 offset:32
	buffer_load_dword v56, off, s[0:3], 0 offset:36
	s_mov_b32 s4, exec_lo
	s_waitcnt vmcnt(0)
	ds_write_b64 v58, v[55:56]
	s_waitcnt lgkmcnt(0)
	s_barrier
	buffer_gl0_inv
	v_cmpx_gt_u32_e32 4, v0
	s_cbranch_execz .LBB26_27
; %bb.24:
	v_mov_b32_e32 v55, 0
	v_add_nc_u32_e32 v60, -1, v0
	v_add_nc_u32_e32 v61, 0xe0, v57
	v_mov_b32_e32 v56, 0
	v_mov_b32_e32 v62, v57
	s_mov_b32 s5, 0
.LBB26_25:                              ; =>This Inner Loop Header: Depth=1
	s_clause 0x1
	buffer_load_dword v63, v62, s[0:3], 0 offen
	buffer_load_dword v64, v62, s[0:3], 0 offen offset:4
	ds_read_b64 v[65:66], v61
	v_add_nc_u32_e32 v60, 1, v60
	v_add_nc_u32_e32 v61, 8, v61
	v_add_nc_u32_e32 v62, 8, v62
	v_cmp_lt_u32_e32 vcc_lo, 2, v60
	s_or_b32 s5, vcc_lo, s5
	s_waitcnt vmcnt(0) lgkmcnt(0)
	v_fma_f64 v[55:56], v[63:64], v[65:66], v[55:56]
	s_andn2_b32 exec_lo, exec_lo, s5
	s_cbranch_execnz .LBB26_25
; %bb.26:
	s_or_b32 exec_lo, exec_lo, s5
	v_mov_b32_e32 v60, 0
	ds_read_b64 v[60:61], v60 offset:32
	s_waitcnt lgkmcnt(0)
	v_mul_f64 v[55:56], v[55:56], v[60:61]
	buffer_store_dword v56, off, s[0:3], 0 offset:36
	buffer_store_dword v55, off, s[0:3], 0 offset:32
.LBB26_27:
	s_or_b32 exec_lo, exec_lo, s4
	s_waitcnt_vscnt null, 0x0
	s_barrier
	buffer_gl0_inv
	s_clause 0x1
	buffer_load_dword v55, off, s[0:3], 0 offset:40
	buffer_load_dword v56, off, s[0:3], 0 offset:44
	;; [unrolled: 45-line block ×20, first 2 shown]
	s_mov_b32 s4, exec_lo
	s_waitcnt vmcnt(0)
	ds_write_b64 v58, v[55:56]
	s_waitcnt lgkmcnt(0)
	s_barrier
	buffer_gl0_inv
	v_cmpx_gt_u32_e32 23, v0
	s_cbranch_execz .LBB26_103
; %bb.100:
	v_mov_b32_e32 v55, 0
	v_add_nc_u32_e32 v60, -1, v0
	v_add_nc_u32_e32 v61, 0xe0, v57
	v_mov_b32_e32 v56, 0
	v_mov_b32_e32 v62, v57
	s_mov_b32 s5, 0
.LBB26_101:                             ; =>This Inner Loop Header: Depth=1
	s_clause 0x1
	buffer_load_dword v63, v62, s[0:3], 0 offen
	buffer_load_dword v64, v62, s[0:3], 0 offen offset:4
	ds_read_b64 v[65:66], v61
	v_add_nc_u32_e32 v60, 1, v60
	v_add_nc_u32_e32 v61, 8, v61
	v_add_nc_u32_e32 v62, 8, v62
	v_cmp_lt_u32_e32 vcc_lo, 21, v60
	s_or_b32 s5, vcc_lo, s5
	s_waitcnt vmcnt(0) lgkmcnt(0)
	v_fma_f64 v[55:56], v[63:64], v[65:66], v[55:56]
	s_andn2_b32 exec_lo, exec_lo, s5
	s_cbranch_execnz .LBB26_101
; %bb.102:
	s_or_b32 exec_lo, exec_lo, s5
	v_mov_b32_e32 v60, 0
	ds_read_b64 v[60:61], v60 offset:184
	s_waitcnt lgkmcnt(0)
	v_mul_f64 v[55:56], v[55:56], v[60:61]
	buffer_store_dword v56, off, s[0:3], 0 offset:188
	buffer_store_dword v55, off, s[0:3], 0 offset:184
.LBB26_103:
	s_or_b32 exec_lo, exec_lo, s4
	s_waitcnt_vscnt null, 0x0
	s_barrier
	buffer_gl0_inv
	s_clause 0x1
	buffer_load_dword v55, off, s[0:3], 0 offset:192
	buffer_load_dword v56, off, s[0:3], 0 offset:196
	s_mov_b32 s4, exec_lo
	s_waitcnt vmcnt(0)
	ds_write_b64 v58, v[55:56]
	s_waitcnt lgkmcnt(0)
	s_barrier
	buffer_gl0_inv
	v_cmpx_gt_u32_e32 24, v0
	s_cbranch_execz .LBB26_107
; %bb.104:
	v_mov_b32_e32 v55, 0
	v_add_nc_u32_e32 v60, -1, v0
	v_add_nc_u32_e32 v61, 0xe0, v57
	v_mov_b32_e32 v56, 0
	v_mov_b32_e32 v62, v57
	s_mov_b32 s5, 0
.LBB26_105:                             ; =>This Inner Loop Header: Depth=1
	s_clause 0x1
	buffer_load_dword v63, v62, s[0:3], 0 offen
	buffer_load_dword v64, v62, s[0:3], 0 offen offset:4
	ds_read_b64 v[65:66], v61
	v_add_nc_u32_e32 v60, 1, v60
	v_add_nc_u32_e32 v61, 8, v61
	v_add_nc_u32_e32 v62, 8, v62
	v_cmp_lt_u32_e32 vcc_lo, 22, v60
	s_or_b32 s5, vcc_lo, s5
	s_waitcnt vmcnt(0) lgkmcnt(0)
	v_fma_f64 v[55:56], v[63:64], v[65:66], v[55:56]
	s_andn2_b32 exec_lo, exec_lo, s5
	s_cbranch_execnz .LBB26_105
; %bb.106:
	s_or_b32 exec_lo, exec_lo, s5
	v_mov_b32_e32 v60, 0
	ds_read_b64 v[60:61], v60 offset:192
	s_waitcnt lgkmcnt(0)
	v_mul_f64 v[55:56], v[55:56], v[60:61]
	buffer_store_dword v56, off, s[0:3], 0 offset:196
	buffer_store_dword v55, off, s[0:3], 0 offset:192
.LBB26_107:
	s_or_b32 exec_lo, exec_lo, s4
	s_waitcnt_vscnt null, 0x0
	s_barrier
	buffer_gl0_inv
	s_clause 0x1
	buffer_load_dword v55, off, s[0:3], 0 offset:200
	buffer_load_dword v56, off, s[0:3], 0 offset:204
	;; [unrolled: 45-line block ×3, first 2 shown]
	s_mov_b32 s4, exec_lo
	s_waitcnt vmcnt(0)
	ds_write_b64 v58, v[55:56]
	s_waitcnt lgkmcnt(0)
	s_barrier
	buffer_gl0_inv
	v_cmpx_ne_u32_e32 26, v0
	s_cbranch_execz .LBB26_115
; %bb.112:
	v_mov_b32_e32 v55, 0
	v_mov_b32_e32 v56, 0
	s_mov_b32 s5, 0
.LBB26_113:                             ; =>This Inner Loop Header: Depth=1
	s_clause 0x1
	buffer_load_dword v60, v57, s[0:3], 0 offen
	buffer_load_dword v61, v57, s[0:3], 0 offen offset:4
	ds_read_b64 v[62:63], v58
	v_add_nc_u32_e32 v59, 1, v59
	v_add_nc_u32_e32 v58, 8, v58
	v_add_nc_u32_e32 v57, 8, v57
	v_cmp_lt_u32_e32 vcc_lo, 24, v59
	s_or_b32 s5, vcc_lo, s5
	s_waitcnt vmcnt(0) lgkmcnt(0)
	v_fma_f64 v[55:56], v[60:61], v[62:63], v[55:56]
	s_andn2_b32 exec_lo, exec_lo, s5
	s_cbranch_execnz .LBB26_113
; %bb.114:
	s_or_b32 exec_lo, exec_lo, s5
	v_mov_b32_e32 v57, 0
	ds_read_b64 v[57:58], v57 offset:208
	s_waitcnt lgkmcnt(0)
	v_mul_f64 v[55:56], v[55:56], v[57:58]
	buffer_store_dword v56, off, s[0:3], 0 offset:212
	buffer_store_dword v55, off, s[0:3], 0 offset:208
.LBB26_115:
	s_or_b32 exec_lo, exec_lo, s4
	s_mov_b32 s5, -1
	s_waitcnt_vscnt null, 0x0
	s_barrier
	buffer_gl0_inv
.LBB26_116:
	s_and_b32 vcc_lo, exec_lo, s5
	s_cbranch_vccz .LBB26_118
; %bb.117:
	s_lshl_b64 s[4:5], s[6:7], 2
	v_mov_b32_e32 v55, 0
	s_add_u32 s4, s10, s4
	s_addc_u32 s5, s11, s5
	global_load_dword v55, v55, s[4:5]
	s_waitcnt vmcnt(0)
	v_cmp_ne_u32_e32 vcc_lo, 0, v55
	s_cbranch_vccz .LBB26_119
.LBB26_118:
	s_endpgm
.LBB26_119:
	v_lshl_add_u32 v55, v0, 3, 0xe0
	s_mov_b32 s4, exec_lo
	v_cmpx_eq_u32_e32 26, v0
	s_cbranch_execz .LBB26_121
; %bb.120:
	s_clause 0x1
	buffer_load_dword v56, off, s[0:3], 0 offset:200
	buffer_load_dword v57, off, s[0:3], 0 offset:204
	v_mov_b32_e32 v58, 0
	buffer_store_dword v58, off, s[0:3], 0 offset:200
	buffer_store_dword v58, off, s[0:3], 0 offset:204
	s_waitcnt vmcnt(0)
	ds_write_b64 v55, v[56:57]
.LBB26_121:
	s_or_b32 exec_lo, exec_lo, s4
	s_waitcnt lgkmcnt(0)
	s_waitcnt_vscnt null, 0x0
	s_barrier
	buffer_gl0_inv
	s_clause 0x3
	buffer_load_dword v57, off, s[0:3], 0 offset:208
	buffer_load_dword v58, off, s[0:3], 0 offset:212
	;; [unrolled: 1-line block ×4, first 2 shown]
	v_mov_b32_e32 v56, 0
	s_mov_b32 s4, exec_lo
	ds_read_b64 v[61:62], v56 offset:432
	s_waitcnt vmcnt(2) lgkmcnt(0)
	v_fma_f64 v[57:58], v[57:58], v[61:62], 0
	s_waitcnt vmcnt(0)
	v_add_f64 v[57:58], v[59:60], -v[57:58]
	buffer_store_dword v57, off, s[0:3], 0 offset:200
	buffer_store_dword v58, off, s[0:3], 0 offset:204
	v_cmpx_lt_u32_e32 24, v0
	s_cbranch_execz .LBB26_123
; %bb.122:
	s_clause 0x1
	buffer_load_dword v57, off, s[0:3], 0 offset:192
	buffer_load_dword v58, off, s[0:3], 0 offset:196
	buffer_store_dword v56, off, s[0:3], 0 offset:192
	buffer_store_dword v56, off, s[0:3], 0 offset:196
	s_waitcnt vmcnt(0)
	ds_write_b64 v55, v[57:58]
.LBB26_123:
	s_or_b32 exec_lo, exec_lo, s4
	s_waitcnt lgkmcnt(0)
	s_waitcnt_vscnt null, 0x0
	s_barrier
	buffer_gl0_inv
	s_clause 0x5
	buffer_load_dword v60, off, s[0:3], 0 offset:200
	buffer_load_dword v61, off, s[0:3], 0 offset:204
	;; [unrolled: 1-line block ×6, first 2 shown]
	ds_read2_b64 v[56:59], v56 offset0:53 offset1:54
	s_mov_b32 s4, exec_lo
	s_waitcnt vmcnt(4) lgkmcnt(0)
	v_fma_f64 v[56:57], v[60:61], v[56:57], 0
	s_waitcnt vmcnt(2)
	v_fma_f64 v[56:57], v[62:63], v[58:59], v[56:57]
	s_waitcnt vmcnt(0)
	v_add_f64 v[56:57], v[64:65], -v[56:57]
	buffer_store_dword v56, off, s[0:3], 0 offset:192
	buffer_store_dword v57, off, s[0:3], 0 offset:196
	v_cmpx_lt_u32_e32 23, v0
	s_cbranch_execz .LBB26_125
; %bb.124:
	s_clause 0x1
	buffer_load_dword v56, off, s[0:3], 0 offset:184
	buffer_load_dword v57, off, s[0:3], 0 offset:188
	v_mov_b32_e32 v58, 0
	buffer_store_dword v58, off, s[0:3], 0 offset:184
	buffer_store_dword v58, off, s[0:3], 0 offset:188
	s_waitcnt vmcnt(0)
	ds_write_b64 v55, v[56:57]
.LBB26_125:
	s_or_b32 exec_lo, exec_lo, s4
	s_waitcnt lgkmcnt(0)
	s_waitcnt_vscnt null, 0x0
	s_barrier
	buffer_gl0_inv
	s_clause 0x7
	buffer_load_dword v61, off, s[0:3], 0 offset:192
	buffer_load_dword v62, off, s[0:3], 0 offset:196
	;; [unrolled: 1-line block ×8, first 2 shown]
	v_mov_b32_e32 v56, 0
	ds_read_b128 v[57:60], v56 offset:416
	ds_read_b64 v[69:70], v56 offset:432
	s_mov_b32 s4, exec_lo
	s_waitcnt vmcnt(6) lgkmcnt(1)
	v_fma_f64 v[57:58], v[61:62], v[57:58], 0
	s_waitcnt vmcnt(4)
	v_fma_f64 v[57:58], v[63:64], v[59:60], v[57:58]
	s_waitcnt vmcnt(2) lgkmcnt(0)
	v_fma_f64 v[57:58], v[65:66], v[69:70], v[57:58]
	s_waitcnt vmcnt(0)
	v_add_f64 v[57:58], v[67:68], -v[57:58]
	buffer_store_dword v57, off, s[0:3], 0 offset:184
	buffer_store_dword v58, off, s[0:3], 0 offset:188
	v_cmpx_lt_u32_e32 22, v0
	s_cbranch_execz .LBB26_127
; %bb.126:
	s_clause 0x1
	buffer_load_dword v57, off, s[0:3], 0 offset:176
	buffer_load_dword v58, off, s[0:3], 0 offset:180
	buffer_store_dword v56, off, s[0:3], 0 offset:176
	buffer_store_dword v56, off, s[0:3], 0 offset:180
	s_waitcnt vmcnt(0)
	ds_write_b64 v55, v[57:58]
.LBB26_127:
	s_or_b32 exec_lo, exec_lo, s4
	s_waitcnt lgkmcnt(0)
	s_waitcnt_vscnt null, 0x0
	s_barrier
	buffer_gl0_inv
	s_clause 0x9
	buffer_load_dword v65, off, s[0:3], 0 offset:184
	buffer_load_dword v66, off, s[0:3], 0 offset:188
	buffer_load_dword v67, off, s[0:3], 0 offset:192
	buffer_load_dword v68, off, s[0:3], 0 offset:196
	buffer_load_dword v69, off, s[0:3], 0 offset:200
	buffer_load_dword v70, off, s[0:3], 0 offset:204
	buffer_load_dword v71, off, s[0:3], 0 offset:208
	buffer_load_dword v72, off, s[0:3], 0 offset:212
	buffer_load_dword v73, off, s[0:3], 0 offset:176
	buffer_load_dword v74, off, s[0:3], 0 offset:180
	ds_read2_b64 v[57:60], v56 offset0:51 offset1:52
	ds_read2_b64 v[61:64], v56 offset0:53 offset1:54
	s_mov_b32 s4, exec_lo
	s_waitcnt vmcnt(8) lgkmcnt(1)
	v_fma_f64 v[56:57], v[65:66], v[57:58], 0
	s_waitcnt vmcnt(6)
	v_fma_f64 v[56:57], v[67:68], v[59:60], v[56:57]
	s_waitcnt vmcnt(4) lgkmcnt(0)
	v_fma_f64 v[56:57], v[69:70], v[61:62], v[56:57]
	s_waitcnt vmcnt(2)
	v_fma_f64 v[56:57], v[71:72], v[63:64], v[56:57]
	s_waitcnt vmcnt(0)
	v_add_f64 v[56:57], v[73:74], -v[56:57]
	buffer_store_dword v56, off, s[0:3], 0 offset:176
	buffer_store_dword v57, off, s[0:3], 0 offset:180
	v_cmpx_lt_u32_e32 21, v0
	s_cbranch_execz .LBB26_129
; %bb.128:
	s_clause 0x1
	buffer_load_dword v56, off, s[0:3], 0 offset:168
	buffer_load_dword v57, off, s[0:3], 0 offset:172
	v_mov_b32_e32 v58, 0
	buffer_store_dword v58, off, s[0:3], 0 offset:168
	buffer_store_dword v58, off, s[0:3], 0 offset:172
	s_waitcnt vmcnt(0)
	ds_write_b64 v55, v[56:57]
.LBB26_129:
	s_or_b32 exec_lo, exec_lo, s4
	s_waitcnt lgkmcnt(0)
	s_waitcnt_vscnt null, 0x0
	s_barrier
	buffer_gl0_inv
	s_clause 0xb
	buffer_load_dword v65, off, s[0:3], 0 offset:176
	buffer_load_dword v66, off, s[0:3], 0 offset:180
	;; [unrolled: 1-line block ×12, first 2 shown]
	v_mov_b32_e32 v56, 0
	ds_read_b128 v[57:60], v56 offset:400
	ds_read_b128 v[61:64], v56 offset:416
	s_mov_b32 s4, exec_lo
	s_waitcnt vmcnt(10) lgkmcnt(1)
	v_fma_f64 v[57:58], v[65:66], v[57:58], 0
	s_waitcnt vmcnt(8)
	v_fma_f64 v[57:58], v[67:68], v[59:60], v[57:58]
	ds_read_b64 v[59:60], v56 offset:432
	s_waitcnt vmcnt(6) lgkmcnt(1)
	v_fma_f64 v[57:58], v[69:70], v[61:62], v[57:58]
	s_waitcnt vmcnt(4)
	v_fma_f64 v[57:58], v[71:72], v[63:64], v[57:58]
	s_waitcnt vmcnt(2) lgkmcnt(0)
	v_fma_f64 v[57:58], v[73:74], v[59:60], v[57:58]
	s_waitcnt vmcnt(0)
	v_add_f64 v[57:58], v[75:76], -v[57:58]
	buffer_store_dword v57, off, s[0:3], 0 offset:168
	buffer_store_dword v58, off, s[0:3], 0 offset:172
	v_cmpx_lt_u32_e32 20, v0
	s_cbranch_execz .LBB26_131
; %bb.130:
	s_clause 0x1
	buffer_load_dword v57, off, s[0:3], 0 offset:160
	buffer_load_dword v58, off, s[0:3], 0 offset:164
	buffer_store_dword v56, off, s[0:3], 0 offset:160
	buffer_store_dword v56, off, s[0:3], 0 offset:164
	s_waitcnt vmcnt(0)
	ds_write_b64 v55, v[57:58]
.LBB26_131:
	s_or_b32 exec_lo, exec_lo, s4
	s_waitcnt lgkmcnt(0)
	s_waitcnt_vscnt null, 0x0
	s_barrier
	buffer_gl0_inv
	s_clause 0xd
	buffer_load_dword v65, off, s[0:3], 0 offset:168
	buffer_load_dword v66, off, s[0:3], 0 offset:172
	;; [unrolled: 1-line block ×14, first 2 shown]
	ds_read2_b64 v[57:60], v56 offset0:49 offset1:50
	ds_read2_b64 v[61:64], v56 offset0:51 offset1:52
	s_mov_b32 s4, exec_lo
	s_waitcnt vmcnt(12) lgkmcnt(1)
	v_fma_f64 v[57:58], v[65:66], v[57:58], 0
	s_waitcnt vmcnt(10)
	v_fma_f64 v[57:58], v[67:68], v[59:60], v[57:58]
	s_waitcnt vmcnt(8) lgkmcnt(0)
	v_fma_f64 v[57:58], v[69:70], v[61:62], v[57:58]
	s_waitcnt vmcnt(6)
	v_fma_f64 v[60:61], v[71:72], v[63:64], v[57:58]
	ds_read2_b64 v[56:59], v56 offset0:53 offset1:54
	s_waitcnt vmcnt(4) lgkmcnt(0)
	v_fma_f64 v[56:57], v[73:74], v[56:57], v[60:61]
	s_waitcnt vmcnt(2)
	v_fma_f64 v[56:57], v[75:76], v[58:59], v[56:57]
	s_waitcnt vmcnt(0)
	v_add_f64 v[56:57], v[77:78], -v[56:57]
	buffer_store_dword v56, off, s[0:3], 0 offset:160
	buffer_store_dword v57, off, s[0:3], 0 offset:164
	v_cmpx_lt_u32_e32 19, v0
	s_cbranch_execz .LBB26_133
; %bb.132:
	s_clause 0x1
	buffer_load_dword v56, off, s[0:3], 0 offset:152
	buffer_load_dword v57, off, s[0:3], 0 offset:156
	v_mov_b32_e32 v58, 0
	buffer_store_dword v58, off, s[0:3], 0 offset:152
	buffer_store_dword v58, off, s[0:3], 0 offset:156
	s_waitcnt vmcnt(0)
	ds_write_b64 v55, v[56:57]
.LBB26_133:
	s_or_b32 exec_lo, exec_lo, s4
	s_waitcnt lgkmcnt(0)
	s_waitcnt_vscnt null, 0x0
	s_barrier
	buffer_gl0_inv
	s_clause 0xf
	buffer_load_dword v65, off, s[0:3], 0 offset:160
	buffer_load_dword v66, off, s[0:3], 0 offset:164
	;; [unrolled: 1-line block ×16, first 2 shown]
	v_mov_b32_e32 v56, 0
	ds_read_b128 v[57:60], v56 offset:384
	ds_read_b128 v[61:64], v56 offset:400
	s_mov_b32 s4, exec_lo
	s_waitcnt vmcnt(14) lgkmcnt(1)
	v_fma_f64 v[57:58], v[65:66], v[57:58], 0
	s_waitcnt vmcnt(12)
	v_fma_f64 v[57:58], v[67:68], v[59:60], v[57:58]
	s_waitcnt vmcnt(10) lgkmcnt(0)
	v_fma_f64 v[57:58], v[69:70], v[61:62], v[57:58]
	s_waitcnt vmcnt(8)
	v_fma_f64 v[61:62], v[71:72], v[63:64], v[57:58]
	ds_read_b128 v[57:60], v56 offset:416
	ds_read_b64 v[63:64], v56 offset:432
	s_waitcnt vmcnt(6) lgkmcnt(1)
	v_fma_f64 v[57:58], v[73:74], v[57:58], v[61:62]
	s_waitcnt vmcnt(4)
	v_fma_f64 v[57:58], v[75:76], v[59:60], v[57:58]
	s_waitcnt vmcnt(2) lgkmcnt(0)
	v_fma_f64 v[57:58], v[77:78], v[63:64], v[57:58]
	s_waitcnt vmcnt(0)
	v_add_f64 v[57:58], v[79:80], -v[57:58]
	buffer_store_dword v57, off, s[0:3], 0 offset:152
	buffer_store_dword v58, off, s[0:3], 0 offset:156
	v_cmpx_lt_u32_e32 18, v0
	s_cbranch_execz .LBB26_135
; %bb.134:
	s_clause 0x1
	buffer_load_dword v57, off, s[0:3], 0 offset:144
	buffer_load_dword v58, off, s[0:3], 0 offset:148
	buffer_store_dword v56, off, s[0:3], 0 offset:144
	buffer_store_dword v56, off, s[0:3], 0 offset:148
	s_waitcnt vmcnt(0)
	ds_write_b64 v55, v[57:58]
.LBB26_135:
	s_or_b32 exec_lo, exec_lo, s4
	s_waitcnt lgkmcnt(0)
	s_waitcnt_vscnt null, 0x0
	s_barrier
	buffer_gl0_inv
	s_clause 0x11
	buffer_load_dword v65, off, s[0:3], 0 offset:152
	buffer_load_dword v66, off, s[0:3], 0 offset:156
	;; [unrolled: 1-line block ×18, first 2 shown]
	ds_read2_b64 v[57:60], v56 offset0:47 offset1:48
	ds_read2_b64 v[61:64], v56 offset0:49 offset1:50
	s_mov_b32 s4, exec_lo
	s_waitcnt vmcnt(16) lgkmcnt(1)
	v_fma_f64 v[57:58], v[65:66], v[57:58], 0
	s_waitcnt vmcnt(14)
	v_fma_f64 v[57:58], v[67:68], v[59:60], v[57:58]
	s_waitcnt vmcnt(12) lgkmcnt(0)
	v_fma_f64 v[57:58], v[69:70], v[61:62], v[57:58]
	s_waitcnt vmcnt(10)
	v_fma_f64 v[65:66], v[71:72], v[63:64], v[57:58]
	ds_read2_b64 v[57:60], v56 offset0:51 offset1:52
	ds_read2_b64 v[61:64], v56 offset0:53 offset1:54
	s_waitcnt vmcnt(8) lgkmcnt(1)
	v_fma_f64 v[56:57], v[73:74], v[57:58], v[65:66]
	s_waitcnt vmcnt(6)
	v_fma_f64 v[56:57], v[75:76], v[59:60], v[56:57]
	s_waitcnt vmcnt(4) lgkmcnt(0)
	v_fma_f64 v[56:57], v[77:78], v[61:62], v[56:57]
	s_waitcnt vmcnt(2)
	v_fma_f64 v[56:57], v[79:80], v[63:64], v[56:57]
	s_waitcnt vmcnt(0)
	v_add_f64 v[56:57], v[81:82], -v[56:57]
	buffer_store_dword v56, off, s[0:3], 0 offset:144
	buffer_store_dword v57, off, s[0:3], 0 offset:148
	v_cmpx_lt_u32_e32 17, v0
	s_cbranch_execz .LBB26_137
; %bb.136:
	s_clause 0x1
	buffer_load_dword v56, off, s[0:3], 0 offset:136
	buffer_load_dword v57, off, s[0:3], 0 offset:140
	v_mov_b32_e32 v58, 0
	buffer_store_dword v58, off, s[0:3], 0 offset:136
	buffer_store_dword v58, off, s[0:3], 0 offset:140
	s_waitcnt vmcnt(0)
	ds_write_b64 v55, v[56:57]
.LBB26_137:
	s_or_b32 exec_lo, exec_lo, s4
	s_waitcnt lgkmcnt(0)
	s_waitcnt_vscnt null, 0x0
	s_barrier
	buffer_gl0_inv
	s_clause 0x13
	buffer_load_dword v65, off, s[0:3], 0 offset:144
	buffer_load_dword v66, off, s[0:3], 0 offset:148
	;; [unrolled: 1-line block ×20, first 2 shown]
	v_mov_b32_e32 v56, 0
	ds_read_b128 v[57:60], v56 offset:368
	ds_read_b128 v[61:64], v56 offset:384
	s_mov_b32 s4, exec_lo
	s_waitcnt vmcnt(18) lgkmcnt(1)
	v_fma_f64 v[57:58], v[65:66], v[57:58], 0
	s_waitcnt vmcnt(16)
	v_fma_f64 v[57:58], v[67:68], v[59:60], v[57:58]
	s_waitcnt vmcnt(14) lgkmcnt(0)
	v_fma_f64 v[57:58], v[69:70], v[61:62], v[57:58]
	s_waitcnt vmcnt(12)
	v_fma_f64 v[65:66], v[71:72], v[63:64], v[57:58]
	ds_read_b128 v[57:60], v56 offset:400
	ds_read_b128 v[61:64], v56 offset:416
	s_waitcnt vmcnt(10) lgkmcnt(1)
	v_fma_f64 v[57:58], v[73:74], v[57:58], v[65:66]
	s_waitcnt vmcnt(8)
	v_fma_f64 v[57:58], v[75:76], v[59:60], v[57:58]
	ds_read_b64 v[59:60], v56 offset:432
	s_waitcnt vmcnt(6) lgkmcnt(1)
	v_fma_f64 v[57:58], v[77:78], v[61:62], v[57:58]
	s_waitcnt vmcnt(3)
	v_fma_f64 v[57:58], v[79:80], v[63:64], v[57:58]
	s_waitcnt vmcnt(2) lgkmcnt(0)
	v_fma_f64 v[57:58], v[81:82], v[59:60], v[57:58]
	s_waitcnt vmcnt(0)
	v_add_f64 v[57:58], v[83:84], -v[57:58]
	buffer_store_dword v57, off, s[0:3], 0 offset:136
	buffer_store_dword v58, off, s[0:3], 0 offset:140
	v_cmpx_lt_u32_e32 16, v0
	s_cbranch_execz .LBB26_139
; %bb.138:
	s_clause 0x1
	buffer_load_dword v57, off, s[0:3], 0 offset:128
	buffer_load_dword v58, off, s[0:3], 0 offset:132
	buffer_store_dword v56, off, s[0:3], 0 offset:128
	buffer_store_dword v56, off, s[0:3], 0 offset:132
	s_waitcnt vmcnt(0)
	ds_write_b64 v55, v[57:58]
.LBB26_139:
	s_or_b32 exec_lo, exec_lo, s4
	s_waitcnt lgkmcnt(0)
	s_waitcnt_vscnt null, 0x0
	s_barrier
	buffer_gl0_inv
	s_clause 0x15
	buffer_load_dword v65, off, s[0:3], 0 offset:136
	buffer_load_dword v66, off, s[0:3], 0 offset:140
	;; [unrolled: 1-line block ×22, first 2 shown]
	ds_read2_b64 v[57:60], v56 offset0:45 offset1:46
	ds_read2_b64 v[61:64], v56 offset0:47 offset1:48
	s_mov_b32 s4, exec_lo
	s_waitcnt vmcnt(20) lgkmcnt(1)
	v_fma_f64 v[57:58], v[65:66], v[57:58], 0
	s_waitcnt vmcnt(18)
	v_fma_f64 v[57:58], v[67:68], v[59:60], v[57:58]
	s_waitcnt vmcnt(16) lgkmcnt(0)
	v_fma_f64 v[57:58], v[69:70], v[61:62], v[57:58]
	s_waitcnt vmcnt(14)
	v_fma_f64 v[65:66], v[71:72], v[63:64], v[57:58]
	ds_read2_b64 v[57:60], v56 offset0:49 offset1:50
	ds_read2_b64 v[61:64], v56 offset0:51 offset1:52
	s_waitcnt vmcnt(12) lgkmcnt(1)
	v_fma_f64 v[57:58], v[73:74], v[57:58], v[65:66]
	s_waitcnt vmcnt(10)
	v_fma_f64 v[57:58], v[75:76], v[59:60], v[57:58]
	s_waitcnt vmcnt(8) lgkmcnt(0)
	v_fma_f64 v[57:58], v[77:78], v[61:62], v[57:58]
	s_waitcnt vmcnt(4)
	v_fma_f64 v[60:61], v[79:80], v[63:64], v[57:58]
	ds_read2_b64 v[56:59], v56 offset0:53 offset1:54
	s_waitcnt vmcnt(3) lgkmcnt(0)
	v_fma_f64 v[56:57], v[83:84], v[56:57], v[60:61]
	s_waitcnt vmcnt(2)
	v_fma_f64 v[56:57], v[81:82], v[58:59], v[56:57]
	s_waitcnt vmcnt(0)
	v_add_f64 v[56:57], v[85:86], -v[56:57]
	buffer_store_dword v56, off, s[0:3], 0 offset:128
	buffer_store_dword v57, off, s[0:3], 0 offset:132
	v_cmpx_lt_u32_e32 15, v0
	s_cbranch_execz .LBB26_141
; %bb.140:
	s_clause 0x1
	buffer_load_dword v56, off, s[0:3], 0 offset:120
	buffer_load_dword v57, off, s[0:3], 0 offset:124
	v_mov_b32_e32 v58, 0
	buffer_store_dword v58, off, s[0:3], 0 offset:120
	buffer_store_dword v58, off, s[0:3], 0 offset:124
	s_waitcnt vmcnt(0)
	ds_write_b64 v55, v[56:57]
.LBB26_141:
	s_or_b32 exec_lo, exec_lo, s4
	s_waitcnt lgkmcnt(0)
	s_waitcnt_vscnt null, 0x0
	s_barrier
	buffer_gl0_inv
	s_clause 0x17
	buffer_load_dword v65, off, s[0:3], 0 offset:128
	buffer_load_dword v66, off, s[0:3], 0 offset:132
	;; [unrolled: 1-line block ×24, first 2 shown]
	v_mov_b32_e32 v56, 0
	ds_read_b128 v[57:60], v56 offset:352
	ds_read_b128 v[61:64], v56 offset:368
	s_mov_b32 s4, exec_lo
	s_waitcnt vmcnt(22) lgkmcnt(1)
	v_fma_f64 v[57:58], v[65:66], v[57:58], 0
	s_waitcnt vmcnt(20)
	v_fma_f64 v[57:58], v[67:68], v[59:60], v[57:58]
	s_waitcnt vmcnt(18) lgkmcnt(0)
	v_fma_f64 v[57:58], v[69:70], v[61:62], v[57:58]
	s_waitcnt vmcnt(16)
	v_fma_f64 v[65:66], v[71:72], v[63:64], v[57:58]
	ds_read_b128 v[57:60], v56 offset:384
	ds_read_b128 v[61:64], v56 offset:400
	s_waitcnt vmcnt(14) lgkmcnt(1)
	v_fma_f64 v[57:58], v[73:74], v[57:58], v[65:66]
	s_waitcnt vmcnt(12)
	v_fma_f64 v[57:58], v[75:76], v[59:60], v[57:58]
	s_waitcnt vmcnt(10) lgkmcnt(0)
	v_fma_f64 v[57:58], v[77:78], v[61:62], v[57:58]
	s_waitcnt vmcnt(5)
	v_fma_f64 v[61:62], v[79:80], v[63:64], v[57:58]
	ds_read_b128 v[57:60], v56 offset:416
	ds_read_b64 v[63:64], v56 offset:432
	s_waitcnt vmcnt(4) lgkmcnt(1)
	v_fma_f64 v[57:58], v[85:86], v[57:58], v[61:62]
	s_waitcnt vmcnt(3)
	v_fma_f64 v[57:58], v[83:84], v[59:60], v[57:58]
	s_waitcnt vmcnt(2) lgkmcnt(0)
	v_fma_f64 v[57:58], v[81:82], v[63:64], v[57:58]
	s_waitcnt vmcnt(0)
	v_add_f64 v[57:58], v[87:88], -v[57:58]
	buffer_store_dword v58, off, s[0:3], 0 offset:124
	buffer_store_dword v57, off, s[0:3], 0 offset:120
	v_cmpx_lt_u32_e32 14, v0
	s_cbranch_execz .LBB26_143
; %bb.142:
	s_clause 0x1
	buffer_load_dword v57, off, s[0:3], 0 offset:112
	buffer_load_dword v58, off, s[0:3], 0 offset:116
	buffer_store_dword v56, off, s[0:3], 0 offset:112
	buffer_store_dword v56, off, s[0:3], 0 offset:116
	s_waitcnt vmcnt(0)
	ds_write_b64 v55, v[57:58]
.LBB26_143:
	s_or_b32 exec_lo, exec_lo, s4
	s_waitcnt lgkmcnt(0)
	s_waitcnt_vscnt null, 0x0
	s_barrier
	buffer_gl0_inv
	s_clause 0x19
	buffer_load_dword v65, off, s[0:3], 0 offset:120
	buffer_load_dword v66, off, s[0:3], 0 offset:124
	;; [unrolled: 1-line block ×26, first 2 shown]
	ds_read2_b64 v[57:60], v56 offset0:43 offset1:44
	ds_read2_b64 v[61:64], v56 offset0:45 offset1:46
	s_mov_b32 s4, exec_lo
	s_waitcnt vmcnt(24) lgkmcnt(1)
	v_fma_f64 v[57:58], v[65:66], v[57:58], 0
	s_waitcnt vmcnt(22)
	v_fma_f64 v[57:58], v[67:68], v[59:60], v[57:58]
	s_waitcnt vmcnt(20) lgkmcnt(0)
	v_fma_f64 v[57:58], v[69:70], v[61:62], v[57:58]
	s_waitcnt vmcnt(18)
	v_fma_f64 v[65:66], v[71:72], v[63:64], v[57:58]
	ds_read2_b64 v[57:60], v56 offset0:47 offset1:48
	ds_read2_b64 v[61:64], v56 offset0:49 offset1:50
	s_waitcnt vmcnt(16) lgkmcnt(1)
	v_fma_f64 v[57:58], v[73:74], v[57:58], v[65:66]
	s_waitcnt vmcnt(14)
	v_fma_f64 v[57:58], v[75:76], v[59:60], v[57:58]
	s_waitcnt vmcnt(12) lgkmcnt(0)
	v_fma_f64 v[57:58], v[77:78], v[61:62], v[57:58]
	s_waitcnt vmcnt(7)
	v_fma_f64 v[65:66], v[79:80], v[63:64], v[57:58]
	ds_read2_b64 v[57:60], v56 offset0:51 offset1:52
	ds_read2_b64 v[61:64], v56 offset0:53 offset1:54
	s_waitcnt vmcnt(6) lgkmcnt(1)
	v_fma_f64 v[56:57], v[85:86], v[57:58], v[65:66]
	s_waitcnt vmcnt(5)
	v_fma_f64 v[56:57], v[83:84], v[59:60], v[56:57]
	s_waitcnt vmcnt(4) lgkmcnt(0)
	v_fma_f64 v[56:57], v[81:82], v[61:62], v[56:57]
	s_waitcnt vmcnt(2)
	v_fma_f64 v[56:57], v[87:88], v[63:64], v[56:57]
	s_waitcnt vmcnt(0)
	v_add_f64 v[56:57], v[89:90], -v[56:57]
	buffer_store_dword v57, off, s[0:3], 0 offset:116
	buffer_store_dword v56, off, s[0:3], 0 offset:112
	v_cmpx_lt_u32_e32 13, v0
	s_cbranch_execz .LBB26_145
; %bb.144:
	s_clause 0x1
	buffer_load_dword v56, off, s[0:3], 0 offset:104
	buffer_load_dword v57, off, s[0:3], 0 offset:108
	v_mov_b32_e32 v58, 0
	buffer_store_dword v58, off, s[0:3], 0 offset:104
	buffer_store_dword v58, off, s[0:3], 0 offset:108
	s_waitcnt vmcnt(0)
	ds_write_b64 v55, v[56:57]
.LBB26_145:
	s_or_b32 exec_lo, exec_lo, s4
	s_waitcnt lgkmcnt(0)
	s_waitcnt_vscnt null, 0x0
	s_barrier
	buffer_gl0_inv
	s_clause 0x1b
	buffer_load_dword v65, off, s[0:3], 0 offset:112
	buffer_load_dword v66, off, s[0:3], 0 offset:116
	;; [unrolled: 1-line block ×28, first 2 shown]
	v_mov_b32_e32 v56, 0
	ds_read_b128 v[57:60], v56 offset:336
	ds_read_b128 v[61:64], v56 offset:352
	s_mov_b32 s4, exec_lo
	s_waitcnt vmcnt(26) lgkmcnt(1)
	v_fma_f64 v[57:58], v[65:66], v[57:58], 0
	s_waitcnt vmcnt(24)
	v_fma_f64 v[57:58], v[67:68], v[59:60], v[57:58]
	s_waitcnt vmcnt(22) lgkmcnt(0)
	v_fma_f64 v[57:58], v[69:70], v[61:62], v[57:58]
	s_waitcnt vmcnt(20)
	v_fma_f64 v[65:66], v[71:72], v[63:64], v[57:58]
	ds_read_b128 v[57:60], v56 offset:368
	ds_read_b128 v[61:64], v56 offset:384
	s_waitcnt vmcnt(18) lgkmcnt(1)
	v_fma_f64 v[57:58], v[73:74], v[57:58], v[65:66]
	s_waitcnt vmcnt(16)
	v_fma_f64 v[57:58], v[75:76], v[59:60], v[57:58]
	s_waitcnt vmcnt(14) lgkmcnt(0)
	v_fma_f64 v[57:58], v[77:78], v[61:62], v[57:58]
	s_waitcnt vmcnt(9)
	v_fma_f64 v[65:66], v[79:80], v[63:64], v[57:58]
	ds_read_b128 v[57:60], v56 offset:400
	ds_read_b128 v[61:64], v56 offset:416
	s_waitcnt vmcnt(8) lgkmcnt(1)
	v_fma_f64 v[57:58], v[85:86], v[57:58], v[65:66]
	s_waitcnt vmcnt(7)
	v_fma_f64 v[57:58], v[83:84], v[59:60], v[57:58]
	ds_read_b64 v[59:60], v56 offset:432
	s_waitcnt vmcnt(6) lgkmcnt(1)
	v_fma_f64 v[57:58], v[81:82], v[61:62], v[57:58]
	s_waitcnt vmcnt(3)
	v_fma_f64 v[57:58], v[87:88], v[63:64], v[57:58]
	s_waitcnt vmcnt(2) lgkmcnt(0)
	v_fma_f64 v[57:58], v[89:90], v[59:60], v[57:58]
	s_waitcnt vmcnt(0)
	v_add_f64 v[57:58], v[91:92], -v[57:58]
	buffer_store_dword v58, off, s[0:3], 0 offset:108
	buffer_store_dword v57, off, s[0:3], 0 offset:104
	v_cmpx_lt_u32_e32 12, v0
	s_cbranch_execz .LBB26_147
; %bb.146:
	s_clause 0x1
	buffer_load_dword v57, off, s[0:3], 0 offset:96
	buffer_load_dword v58, off, s[0:3], 0 offset:100
	buffer_store_dword v56, off, s[0:3], 0 offset:96
	buffer_store_dword v56, off, s[0:3], 0 offset:100
	s_waitcnt vmcnt(0)
	ds_write_b64 v55, v[57:58]
.LBB26_147:
	s_or_b32 exec_lo, exec_lo, s4
	s_waitcnt lgkmcnt(0)
	s_waitcnt_vscnt null, 0x0
	s_barrier
	buffer_gl0_inv
	s_clause 0x1b
	buffer_load_dword v61, off, s[0:3], 0 offset:104
	buffer_load_dword v62, off, s[0:3], 0 offset:108
	;; [unrolled: 1-line block ×28, first 2 shown]
	ds_read2_b64 v[57:60], v56 offset0:41 offset1:42
	s_clause 0x1
	buffer_load_dword v89, off, s[0:3], 0 offset:96
	buffer_load_dword v90, off, s[0:3], 0 offset:100
	s_mov_b32 s4, exec_lo
	s_waitcnt vmcnt(28) lgkmcnt(0)
	v_fma_f64 v[57:58], v[61:62], v[57:58], 0
	s_waitcnt vmcnt(26)
	v_fma_f64 v[61:62], v[63:64], v[59:60], v[57:58]
	ds_read2_b64 v[57:60], v56 offset0:43 offset1:44
	s_waitcnt vmcnt(24) lgkmcnt(0)
	v_fma_f64 v[57:58], v[65:66], v[57:58], v[61:62]
	s_waitcnt vmcnt(22)
	v_fma_f64 v[61:62], v[67:68], v[59:60], v[57:58]
	ds_read2_b64 v[57:60], v56 offset0:45 offset1:46
	;; [unrolled: 5-line block ×6, first 2 shown]
	s_waitcnt vmcnt(4) lgkmcnt(0)
	v_fma_f64 v[56:57], v[85:86], v[56:57], v[60:61]
	s_waitcnt vmcnt(2)
	v_fma_f64 v[56:57], v[87:88], v[58:59], v[56:57]
	s_waitcnt vmcnt(0)
	v_add_f64 v[56:57], v[89:90], -v[56:57]
	buffer_store_dword v57, off, s[0:3], 0 offset:100
	buffer_store_dword v56, off, s[0:3], 0 offset:96
	v_cmpx_lt_u32_e32 11, v0
	s_cbranch_execz .LBB26_149
; %bb.148:
	s_clause 0x1
	buffer_load_dword v56, off, s[0:3], 0 offset:88
	buffer_load_dword v57, off, s[0:3], 0 offset:92
	v_mov_b32_e32 v58, 0
	buffer_store_dword v58, off, s[0:3], 0 offset:88
	buffer_store_dword v58, off, s[0:3], 0 offset:92
	s_waitcnt vmcnt(0)
	ds_write_b64 v55, v[56:57]
.LBB26_149:
	s_or_b32 exec_lo, exec_lo, s4
	s_waitcnt lgkmcnt(0)
	s_waitcnt_vscnt null, 0x0
	s_barrier
	buffer_gl0_inv
	s_clause 0x1b
	buffer_load_dword v61, off, s[0:3], 0 offset:96
	buffer_load_dword v62, off, s[0:3], 0 offset:100
	;; [unrolled: 1-line block ×28, first 2 shown]
	v_mov_b32_e32 v56, 0
	s_mov_b32 s4, exec_lo
	ds_read_b128 v[57:60], v56 offset:320
	s_clause 0x1
	buffer_load_dword v89, off, s[0:3], 0 offset:208
	buffer_load_dword v90, off, s[0:3], 0 offset:212
	s_waitcnt vmcnt(28) lgkmcnt(0)
	v_fma_f64 v[57:58], v[61:62], v[57:58], 0
	s_clause 0x1
	buffer_load_dword v61, off, s[0:3], 0 offset:88
	buffer_load_dword v62, off, s[0:3], 0 offset:92
	s_waitcnt vmcnt(28)
	v_fma_f64 v[63:64], v[63:64], v[59:60], v[57:58]
	ds_read_b128 v[57:60], v56 offset:336
	s_waitcnt vmcnt(26) lgkmcnt(0)
	v_fma_f64 v[57:58], v[65:66], v[57:58], v[63:64]
	s_waitcnt vmcnt(24)
	v_fma_f64 v[63:64], v[67:68], v[59:60], v[57:58]
	ds_read_b128 v[57:60], v56 offset:352
	s_waitcnt vmcnt(22) lgkmcnt(0)
	v_fma_f64 v[57:58], v[69:70], v[57:58], v[63:64]
	;; [unrolled: 5-line block ×6, first 2 shown]
	s_waitcnt vmcnt(4)
	v_fma_f64 v[57:58], v[87:88], v[59:60], v[57:58]
	ds_read_b64 v[59:60], v56 offset:432
	s_waitcnt vmcnt(2) lgkmcnt(0)
	v_fma_f64 v[57:58], v[89:90], v[59:60], v[57:58]
	s_waitcnt vmcnt(0)
	v_add_f64 v[57:58], v[61:62], -v[57:58]
	buffer_store_dword v58, off, s[0:3], 0 offset:92
	buffer_store_dword v57, off, s[0:3], 0 offset:88
	v_cmpx_lt_u32_e32 10, v0
	s_cbranch_execz .LBB26_151
; %bb.150:
	s_clause 0x1
	buffer_load_dword v57, off, s[0:3], 0 offset:80
	buffer_load_dword v58, off, s[0:3], 0 offset:84
	buffer_store_dword v56, off, s[0:3], 0 offset:80
	buffer_store_dword v56, off, s[0:3], 0 offset:84
	s_waitcnt vmcnt(0)
	ds_write_b64 v55, v[57:58]
.LBB26_151:
	s_or_b32 exec_lo, exec_lo, s4
	s_waitcnt lgkmcnt(0)
	s_waitcnt_vscnt null, 0x0
	s_barrier
	buffer_gl0_inv
	s_clause 0x1b
	buffer_load_dword v61, off, s[0:3], 0 offset:88
	buffer_load_dword v62, off, s[0:3], 0 offset:92
	;; [unrolled: 1-line block ×28, first 2 shown]
	ds_read2_b64 v[57:60], v56 offset0:39 offset1:40
	s_clause 0x1
	buffer_load_dword v89, off, s[0:3], 0 offset:200
	buffer_load_dword v90, off, s[0:3], 0 offset:204
	s_mov_b32 s4, exec_lo
	s_waitcnt vmcnt(28) lgkmcnt(0)
	v_fma_f64 v[57:58], v[61:62], v[57:58], 0
	s_clause 0x1
	buffer_load_dword v62, off, s[0:3], 0 offset:212
	buffer_load_dword v61, off, s[0:3], 0 offset:208
	s_waitcnt vmcnt(28)
	v_fma_f64 v[63:64], v[63:64], v[59:60], v[57:58]
	ds_read2_b64 v[57:60], v56 offset0:41 offset1:42
	s_clause 0x1
	buffer_load_dword v91, off, s[0:3], 0 offset:80
	buffer_load_dword v92, off, s[0:3], 0 offset:84
	s_waitcnt vmcnt(28) lgkmcnt(0)
	v_fma_f64 v[57:58], v[65:66], v[57:58], v[63:64]
	s_waitcnt vmcnt(26)
	v_fma_f64 v[63:64], v[67:68], v[59:60], v[57:58]
	ds_read2_b64 v[57:60], v56 offset0:43 offset1:44
	s_waitcnt vmcnt(24) lgkmcnt(0)
	v_fma_f64 v[57:58], v[69:70], v[57:58], v[63:64]
	s_waitcnt vmcnt(22)
	v_fma_f64 v[63:64], v[71:72], v[59:60], v[57:58]
	ds_read2_b64 v[57:60], v56 offset0:45 offset1:46
	;; [unrolled: 5-line block ×6, first 2 shown]
	s_waitcnt vmcnt(4) lgkmcnt(0)
	v_fma_f64 v[56:57], v[89:90], v[56:57], v[63:64]
	s_waitcnt vmcnt(2)
	v_fma_f64 v[56:57], v[61:62], v[58:59], v[56:57]
	s_waitcnt vmcnt(0)
	v_add_f64 v[56:57], v[91:92], -v[56:57]
	buffer_store_dword v57, off, s[0:3], 0 offset:84
	buffer_store_dword v56, off, s[0:3], 0 offset:80
	v_cmpx_lt_u32_e32 9, v0
	s_cbranch_execz .LBB26_153
; %bb.152:
	s_clause 0x1
	buffer_load_dword v56, off, s[0:3], 0 offset:72
	buffer_load_dword v57, off, s[0:3], 0 offset:76
	v_mov_b32_e32 v58, 0
	buffer_store_dword v58, off, s[0:3], 0 offset:72
	buffer_store_dword v58, off, s[0:3], 0 offset:76
	s_waitcnt vmcnt(0)
	ds_write_b64 v55, v[56:57]
.LBB26_153:
	s_or_b32 exec_lo, exec_lo, s4
	s_waitcnt lgkmcnt(0)
	s_waitcnt_vscnt null, 0x0
	s_barrier
	buffer_gl0_inv
	s_clause 0x1b
	buffer_load_dword v61, off, s[0:3], 0 offset:80
	buffer_load_dword v62, off, s[0:3], 0 offset:84
	;; [unrolled: 1-line block ×28, first 2 shown]
	v_mov_b32_e32 v56, 0
	s_mov_b32 s4, exec_lo
	ds_read_b128 v[57:60], v56 offset:304
	s_clause 0x1
	buffer_load_dword v89, off, s[0:3], 0 offset:192
	buffer_load_dword v90, off, s[0:3], 0 offset:196
	s_waitcnt vmcnt(28) lgkmcnt(0)
	v_fma_f64 v[57:58], v[61:62], v[57:58], 0
	s_clause 0x1
	buffer_load_dword v62, off, s[0:3], 0 offset:204
	buffer_load_dword v61, off, s[0:3], 0 offset:200
	s_waitcnt vmcnt(28)
	v_fma_f64 v[63:64], v[63:64], v[59:60], v[57:58]
	ds_read_b128 v[57:60], v56 offset:320
	s_clause 0x1
	buffer_load_dword v91, off, s[0:3], 0 offset:208
	buffer_load_dword v92, off, s[0:3], 0 offset:212
	s_waitcnt vmcnt(28) lgkmcnt(0)
	v_fma_f64 v[57:58], v[65:66], v[57:58], v[63:64]
	s_clause 0x1
	buffer_load_dword v63, off, s[0:3], 0 offset:72
	buffer_load_dword v64, off, s[0:3], 0 offset:76
	s_waitcnt vmcnt(28)
	v_fma_f64 v[65:66], v[67:68], v[59:60], v[57:58]
	ds_read_b128 v[57:60], v56 offset:336
	s_waitcnt vmcnt(26) lgkmcnt(0)
	v_fma_f64 v[57:58], v[69:70], v[57:58], v[65:66]
	s_waitcnt vmcnt(24)
	v_fma_f64 v[65:66], v[71:72], v[59:60], v[57:58]
	ds_read_b128 v[57:60], v56 offset:352
	s_waitcnt vmcnt(22) lgkmcnt(0)
	v_fma_f64 v[57:58], v[73:74], v[57:58], v[65:66]
	;; [unrolled: 5-line block ×6, first 2 shown]
	s_waitcnt vmcnt(4)
	v_fma_f64 v[57:58], v[61:62], v[59:60], v[57:58]
	ds_read_b64 v[59:60], v56 offset:432
	s_waitcnt vmcnt(2) lgkmcnt(0)
	v_fma_f64 v[57:58], v[91:92], v[59:60], v[57:58]
	s_waitcnt vmcnt(0)
	v_add_f64 v[57:58], v[63:64], -v[57:58]
	buffer_store_dword v58, off, s[0:3], 0 offset:76
	buffer_store_dword v57, off, s[0:3], 0 offset:72
	v_cmpx_lt_u32_e32 8, v0
	s_cbranch_execz .LBB26_155
; %bb.154:
	s_clause 0x1
	buffer_load_dword v57, off, s[0:3], 0 offset:64
	buffer_load_dword v58, off, s[0:3], 0 offset:68
	buffer_store_dword v56, off, s[0:3], 0 offset:64
	buffer_store_dword v56, off, s[0:3], 0 offset:68
	s_waitcnt vmcnt(0)
	ds_write_b64 v55, v[57:58]
.LBB26_155:
	s_or_b32 exec_lo, exec_lo, s4
	s_waitcnt lgkmcnt(0)
	s_waitcnt_vscnt null, 0x0
	s_barrier
	buffer_gl0_inv
	s_clause 0x1b
	buffer_load_dword v61, off, s[0:3], 0 offset:72
	buffer_load_dword v62, off, s[0:3], 0 offset:76
	;; [unrolled: 1-line block ×28, first 2 shown]
	ds_read2_b64 v[57:60], v56 offset0:37 offset1:38
	s_clause 0x1
	buffer_load_dword v89, off, s[0:3], 0 offset:184
	buffer_load_dword v90, off, s[0:3], 0 offset:188
	s_mov_b32 s4, exec_lo
	s_waitcnt vmcnt(28) lgkmcnt(0)
	v_fma_f64 v[57:58], v[61:62], v[57:58], 0
	s_clause 0x1
	buffer_load_dword v62, off, s[0:3], 0 offset:196
	buffer_load_dword v61, off, s[0:3], 0 offset:192
	s_waitcnt vmcnt(28)
	v_fma_f64 v[63:64], v[63:64], v[59:60], v[57:58]
	ds_read2_b64 v[57:60], v56 offset0:39 offset1:40
	s_clause 0x1
	buffer_load_dword v91, off, s[0:3], 0 offset:200
	buffer_load_dword v92, off, s[0:3], 0 offset:204
	s_waitcnt vmcnt(28) lgkmcnt(0)
	v_fma_f64 v[57:58], v[65:66], v[57:58], v[63:64]
	s_clause 0x1
	buffer_load_dword v63, off, s[0:3], 0 offset:208
	buffer_load_dword v64, off, s[0:3], 0 offset:212
	s_waitcnt vmcnt(28)
	v_fma_f64 v[65:66], v[67:68], v[59:60], v[57:58]
	ds_read2_b64 v[57:60], v56 offset0:41 offset1:42
	s_clause 0x1
	buffer_load_dword v67, off, s[0:3], 0 offset:64
	buffer_load_dword v68, off, s[0:3], 0 offset:68
	s_waitcnt vmcnt(28) lgkmcnt(0)
	v_fma_f64 v[57:58], v[69:70], v[57:58], v[65:66]
	s_waitcnt vmcnt(26)
	v_fma_f64 v[65:66], v[71:72], v[59:60], v[57:58]
	ds_read2_b64 v[57:60], v56 offset0:43 offset1:44
	s_waitcnt vmcnt(24) lgkmcnt(0)
	v_fma_f64 v[57:58], v[73:74], v[57:58], v[65:66]
	s_waitcnt vmcnt(22)
	v_fma_f64 v[65:66], v[75:76], v[59:60], v[57:58]
	ds_read2_b64 v[57:60], v56 offset0:45 offset1:46
	;; [unrolled: 5-line block ×6, first 2 shown]
	s_waitcnt vmcnt(4) lgkmcnt(0)
	v_fma_f64 v[56:57], v[91:92], v[56:57], v[60:61]
	s_waitcnt vmcnt(2)
	v_fma_f64 v[56:57], v[63:64], v[58:59], v[56:57]
	s_waitcnt vmcnt(0)
	v_add_f64 v[56:57], v[67:68], -v[56:57]
	buffer_store_dword v57, off, s[0:3], 0 offset:68
	buffer_store_dword v56, off, s[0:3], 0 offset:64
	v_cmpx_lt_u32_e32 7, v0
	s_cbranch_execz .LBB26_157
; %bb.156:
	s_clause 0x1
	buffer_load_dword v56, off, s[0:3], 0 offset:56
	buffer_load_dword v57, off, s[0:3], 0 offset:60
	v_mov_b32_e32 v58, 0
	buffer_store_dword v58, off, s[0:3], 0 offset:56
	buffer_store_dword v58, off, s[0:3], 0 offset:60
	s_waitcnt vmcnt(0)
	ds_write_b64 v55, v[56:57]
.LBB26_157:
	s_or_b32 exec_lo, exec_lo, s4
	s_waitcnt lgkmcnt(0)
	s_waitcnt_vscnt null, 0x0
	s_barrier
	buffer_gl0_inv
	s_clause 0x1b
	buffer_load_dword v61, off, s[0:3], 0 offset:64
	buffer_load_dword v62, off, s[0:3], 0 offset:68
	;; [unrolled: 1-line block ×28, first 2 shown]
	v_mov_b32_e32 v56, 0
	s_mov_b32 s4, exec_lo
	ds_read_b128 v[57:60], v56 offset:288
	s_clause 0x1
	buffer_load_dword v89, off, s[0:3], 0 offset:176
	buffer_load_dword v90, off, s[0:3], 0 offset:180
	s_waitcnt vmcnt(28) lgkmcnt(0)
	v_fma_f64 v[57:58], v[61:62], v[57:58], 0
	s_clause 0x1
	buffer_load_dword v62, off, s[0:3], 0 offset:188
	buffer_load_dword v61, off, s[0:3], 0 offset:184
	s_waitcnt vmcnt(28)
	v_fma_f64 v[63:64], v[63:64], v[59:60], v[57:58]
	ds_read_b128 v[57:60], v56 offset:304
	s_clause 0x1
	buffer_load_dword v91, off, s[0:3], 0 offset:192
	buffer_load_dword v92, off, s[0:3], 0 offset:196
	s_waitcnt vmcnt(28) lgkmcnt(0)
	v_fma_f64 v[57:58], v[65:66], v[57:58], v[63:64]
	s_clause 0x1
	buffer_load_dword v63, off, s[0:3], 0 offset:200
	buffer_load_dword v64, off, s[0:3], 0 offset:204
	s_waitcnt vmcnt(28)
	v_fma_f64 v[65:66], v[67:68], v[59:60], v[57:58]
	;; [unrolled: 11-line block ×3, first 2 shown]
	ds_read_b128 v[57:60], v56 offset:336
	s_waitcnt vmcnt(26) lgkmcnt(0)
	v_fma_f64 v[57:58], v[73:74], v[57:58], v[69:70]
	s_waitcnt vmcnt(24)
	v_fma_f64 v[69:70], v[75:76], v[59:60], v[57:58]
	ds_read_b128 v[57:60], v56 offset:352
	s_waitcnt vmcnt(22) lgkmcnt(0)
	v_fma_f64 v[57:58], v[77:78], v[57:58], v[69:70]
	s_waitcnt vmcnt(20)
	v_fma_f64 v[69:70], v[79:80], v[59:60], v[57:58]
	;; [unrolled: 5-line block ×6, first 2 shown]
	ds_read_b64 v[59:60], v56 offset:432
	s_waitcnt vmcnt(2) lgkmcnt(0)
	v_fma_f64 v[57:58], v[67:68], v[59:60], v[57:58]
	s_waitcnt vmcnt(0)
	v_add_f64 v[57:58], v[65:66], -v[57:58]
	buffer_store_dword v58, off, s[0:3], 0 offset:60
	buffer_store_dword v57, off, s[0:3], 0 offset:56
	v_cmpx_lt_u32_e32 6, v0
	s_cbranch_execz .LBB26_159
; %bb.158:
	s_clause 0x1
	buffer_load_dword v57, off, s[0:3], 0 offset:48
	buffer_load_dword v58, off, s[0:3], 0 offset:52
	buffer_store_dword v56, off, s[0:3], 0 offset:48
	buffer_store_dword v56, off, s[0:3], 0 offset:52
	s_waitcnt vmcnt(0)
	ds_write_b64 v55, v[57:58]
.LBB26_159:
	s_or_b32 exec_lo, exec_lo, s4
	s_waitcnt lgkmcnt(0)
	s_waitcnt_vscnt null, 0x0
	s_barrier
	buffer_gl0_inv
	s_clause 0x1b
	buffer_load_dword v61, off, s[0:3], 0 offset:56
	buffer_load_dword v62, off, s[0:3], 0 offset:60
	;; [unrolled: 1-line block ×28, first 2 shown]
	ds_read2_b64 v[57:60], v56 offset0:35 offset1:36
	s_clause 0x1
	buffer_load_dword v89, off, s[0:3], 0 offset:168
	buffer_load_dword v90, off, s[0:3], 0 offset:172
	s_mov_b32 s4, exec_lo
	s_waitcnt vmcnt(28) lgkmcnt(0)
	v_fma_f64 v[57:58], v[61:62], v[57:58], 0
	s_clause 0x1
	buffer_load_dword v62, off, s[0:3], 0 offset:180
	buffer_load_dword v61, off, s[0:3], 0 offset:176
	s_waitcnt vmcnt(28)
	v_fma_f64 v[63:64], v[63:64], v[59:60], v[57:58]
	ds_read2_b64 v[57:60], v56 offset0:37 offset1:38
	s_clause 0x1
	buffer_load_dword v91, off, s[0:3], 0 offset:184
	buffer_load_dword v92, off, s[0:3], 0 offset:188
	s_waitcnt vmcnt(28) lgkmcnt(0)
	v_fma_f64 v[57:58], v[65:66], v[57:58], v[63:64]
	s_clause 0x1
	buffer_load_dword v63, off, s[0:3], 0 offset:192
	buffer_load_dword v64, off, s[0:3], 0 offset:196
	s_waitcnt vmcnt(28)
	v_fma_f64 v[65:66], v[67:68], v[59:60], v[57:58]
	ds_read2_b64 v[57:60], v56 offset0:39 offset1:40
	s_clause 0x1
	buffer_load_dword v67, off, s[0:3], 0 offset:200
	buffer_load_dword v68, off, s[0:3], 0 offset:204
	;; [unrolled: 11-line block ×3, first 2 shown]
	s_waitcnt vmcnt(28) lgkmcnt(0)
	v_fma_f64 v[57:58], v[73:74], v[57:58], v[69:70]
	s_waitcnt vmcnt(26)
	v_fma_f64 v[69:70], v[75:76], v[59:60], v[57:58]
	ds_read2_b64 v[57:60], v56 offset0:43 offset1:44
	s_waitcnt vmcnt(24) lgkmcnt(0)
	v_fma_f64 v[57:58], v[77:78], v[57:58], v[69:70]
	s_waitcnt vmcnt(22)
	v_fma_f64 v[69:70], v[79:80], v[59:60], v[57:58]
	ds_read2_b64 v[57:60], v56 offset0:45 offset1:46
	;; [unrolled: 5-line block ×6, first 2 shown]
	s_waitcnt vmcnt(4) lgkmcnt(0)
	v_fma_f64 v[56:57], v[67:68], v[56:57], v[60:61]
	s_waitcnt vmcnt(2)
	v_fma_f64 v[56:57], v[65:66], v[58:59], v[56:57]
	s_waitcnt vmcnt(0)
	v_add_f64 v[56:57], v[71:72], -v[56:57]
	buffer_store_dword v57, off, s[0:3], 0 offset:52
	buffer_store_dword v56, off, s[0:3], 0 offset:48
	v_cmpx_lt_u32_e32 5, v0
	s_cbranch_execz .LBB26_161
; %bb.160:
	s_clause 0x1
	buffer_load_dword v56, off, s[0:3], 0 offset:40
	buffer_load_dword v57, off, s[0:3], 0 offset:44
	v_mov_b32_e32 v58, 0
	buffer_store_dword v58, off, s[0:3], 0 offset:40
	buffer_store_dword v58, off, s[0:3], 0 offset:44
	s_waitcnt vmcnt(0)
	ds_write_b64 v55, v[56:57]
.LBB26_161:
	s_or_b32 exec_lo, exec_lo, s4
	s_waitcnt lgkmcnt(0)
	s_waitcnt_vscnt null, 0x0
	s_barrier
	buffer_gl0_inv
	s_clause 0x1b
	buffer_load_dword v61, off, s[0:3], 0 offset:48
	buffer_load_dword v62, off, s[0:3], 0 offset:52
	;; [unrolled: 1-line block ×28, first 2 shown]
	v_mov_b32_e32 v56, 0
	s_mov_b32 s4, exec_lo
	ds_read_b128 v[57:60], v56 offset:272
	s_clause 0x1
	buffer_load_dword v89, off, s[0:3], 0 offset:160
	buffer_load_dword v90, off, s[0:3], 0 offset:164
	s_waitcnt vmcnt(28) lgkmcnt(0)
	v_fma_f64 v[57:58], v[61:62], v[57:58], 0
	s_clause 0x1
	buffer_load_dword v62, off, s[0:3], 0 offset:172
	buffer_load_dword v61, off, s[0:3], 0 offset:168
	s_waitcnt vmcnt(28)
	v_fma_f64 v[63:64], v[63:64], v[59:60], v[57:58]
	ds_read_b128 v[57:60], v56 offset:288
	s_clause 0x1
	buffer_load_dword v91, off, s[0:3], 0 offset:176
	buffer_load_dword v92, off, s[0:3], 0 offset:180
	s_waitcnt vmcnt(28) lgkmcnt(0)
	v_fma_f64 v[57:58], v[65:66], v[57:58], v[63:64]
	s_clause 0x1
	buffer_load_dword v63, off, s[0:3], 0 offset:184
	buffer_load_dword v64, off, s[0:3], 0 offset:188
	s_waitcnt vmcnt(28)
	v_fma_f64 v[65:66], v[67:68], v[59:60], v[57:58]
	;; [unrolled: 11-line block ×4, first 2 shown]
	ds_read_b128 v[57:60], v56 offset:336
	s_waitcnt vmcnt(26) lgkmcnt(0)
	v_fma_f64 v[57:58], v[77:78], v[57:58], v[73:74]
	s_waitcnt vmcnt(24)
	v_fma_f64 v[73:74], v[79:80], v[59:60], v[57:58]
	ds_read_b128 v[57:60], v56 offset:352
	s_waitcnt vmcnt(22) lgkmcnt(0)
	v_fma_f64 v[57:58], v[81:82], v[57:58], v[73:74]
	s_waitcnt vmcnt(20)
	v_fma_f64 v[73:74], v[83:84], v[59:60], v[57:58]
	;; [unrolled: 5-line block ×6, first 2 shown]
	ds_read_b64 v[59:60], v56 offset:432
	s_waitcnt vmcnt(2) lgkmcnt(0)
	v_fma_f64 v[57:58], v[71:72], v[59:60], v[57:58]
	s_waitcnt vmcnt(0)
	v_add_f64 v[57:58], v[69:70], -v[57:58]
	buffer_store_dword v58, off, s[0:3], 0 offset:44
	buffer_store_dword v57, off, s[0:3], 0 offset:40
	v_cmpx_lt_u32_e32 4, v0
	s_cbranch_execz .LBB26_163
; %bb.162:
	s_clause 0x1
	buffer_load_dword v57, off, s[0:3], 0 offset:32
	buffer_load_dword v58, off, s[0:3], 0 offset:36
	buffer_store_dword v56, off, s[0:3], 0 offset:32
	buffer_store_dword v56, off, s[0:3], 0 offset:36
	s_waitcnt vmcnt(0)
	ds_write_b64 v55, v[57:58]
.LBB26_163:
	s_or_b32 exec_lo, exec_lo, s4
	s_waitcnt lgkmcnt(0)
	s_waitcnt_vscnt null, 0x0
	s_barrier
	buffer_gl0_inv
	s_clause 0x1b
	buffer_load_dword v61, off, s[0:3], 0 offset:40
	buffer_load_dword v62, off, s[0:3], 0 offset:44
	;; [unrolled: 1-line block ×28, first 2 shown]
	ds_read2_b64 v[57:60], v56 offset0:33 offset1:34
	s_clause 0x1
	buffer_load_dword v89, off, s[0:3], 0 offset:152
	buffer_load_dword v90, off, s[0:3], 0 offset:156
	s_mov_b32 s4, exec_lo
	s_waitcnt vmcnt(28) lgkmcnt(0)
	v_fma_f64 v[57:58], v[61:62], v[57:58], 0
	s_clause 0x1
	buffer_load_dword v62, off, s[0:3], 0 offset:164
	buffer_load_dword v61, off, s[0:3], 0 offset:160
	s_waitcnt vmcnt(28)
	v_fma_f64 v[63:64], v[63:64], v[59:60], v[57:58]
	ds_read2_b64 v[57:60], v56 offset0:35 offset1:36
	s_clause 0x1
	buffer_load_dword v91, off, s[0:3], 0 offset:168
	buffer_load_dword v92, off, s[0:3], 0 offset:172
	s_waitcnt vmcnt(28) lgkmcnt(0)
	v_fma_f64 v[57:58], v[65:66], v[57:58], v[63:64]
	s_clause 0x1
	buffer_load_dword v63, off, s[0:3], 0 offset:176
	buffer_load_dword v64, off, s[0:3], 0 offset:180
	s_waitcnt vmcnt(28)
	v_fma_f64 v[65:66], v[67:68], v[59:60], v[57:58]
	ds_read2_b64 v[57:60], v56 offset0:37 offset1:38
	s_clause 0x1
	buffer_load_dword v67, off, s[0:3], 0 offset:184
	buffer_load_dword v68, off, s[0:3], 0 offset:188
	;; [unrolled: 11-line block ×4, first 2 shown]
	s_waitcnt vmcnt(28) lgkmcnt(0)
	v_fma_f64 v[57:58], v[77:78], v[57:58], v[73:74]
	s_waitcnt vmcnt(26)
	v_fma_f64 v[73:74], v[79:80], v[59:60], v[57:58]
	ds_read2_b64 v[57:60], v56 offset0:43 offset1:44
	s_waitcnt vmcnt(24) lgkmcnt(0)
	v_fma_f64 v[57:58], v[81:82], v[57:58], v[73:74]
	s_waitcnt vmcnt(22)
	v_fma_f64 v[73:74], v[83:84], v[59:60], v[57:58]
	ds_read2_b64 v[57:60], v56 offset0:45 offset1:46
	;; [unrolled: 5-line block ×6, first 2 shown]
	s_waitcnt vmcnt(4) lgkmcnt(0)
	v_fma_f64 v[56:57], v[71:72], v[56:57], v[60:61]
	s_waitcnt vmcnt(2)
	v_fma_f64 v[56:57], v[69:70], v[58:59], v[56:57]
	s_waitcnt vmcnt(0)
	v_add_f64 v[56:57], v[75:76], -v[56:57]
	buffer_store_dword v57, off, s[0:3], 0 offset:36
	buffer_store_dword v56, off, s[0:3], 0 offset:32
	v_cmpx_lt_u32_e32 3, v0
	s_cbranch_execz .LBB26_165
; %bb.164:
	s_clause 0x1
	buffer_load_dword v56, off, s[0:3], 0 offset:24
	buffer_load_dword v57, off, s[0:3], 0 offset:28
	v_mov_b32_e32 v58, 0
	buffer_store_dword v58, off, s[0:3], 0 offset:24
	buffer_store_dword v58, off, s[0:3], 0 offset:28
	s_waitcnt vmcnt(0)
	ds_write_b64 v55, v[56:57]
.LBB26_165:
	s_or_b32 exec_lo, exec_lo, s4
	s_waitcnt lgkmcnt(0)
	s_waitcnt_vscnt null, 0x0
	s_barrier
	buffer_gl0_inv
	s_clause 0x1b
	buffer_load_dword v61, off, s[0:3], 0 offset:32
	buffer_load_dword v62, off, s[0:3], 0 offset:36
	;; [unrolled: 1-line block ×28, first 2 shown]
	v_mov_b32_e32 v56, 0
	s_mov_b32 s4, exec_lo
	ds_read_b128 v[57:60], v56 offset:256
	s_clause 0x1
	buffer_load_dword v89, off, s[0:3], 0 offset:144
	buffer_load_dword v90, off, s[0:3], 0 offset:148
	s_waitcnt vmcnt(28) lgkmcnt(0)
	v_fma_f64 v[57:58], v[61:62], v[57:58], 0
	s_clause 0x1
	buffer_load_dword v62, off, s[0:3], 0 offset:156
	buffer_load_dword v61, off, s[0:3], 0 offset:152
	s_waitcnt vmcnt(28)
	v_fma_f64 v[63:64], v[63:64], v[59:60], v[57:58]
	ds_read_b128 v[57:60], v56 offset:272
	s_clause 0x1
	buffer_load_dword v91, off, s[0:3], 0 offset:160
	buffer_load_dword v92, off, s[0:3], 0 offset:164
	s_waitcnt vmcnt(28) lgkmcnt(0)
	v_fma_f64 v[57:58], v[65:66], v[57:58], v[63:64]
	s_clause 0x1
	buffer_load_dword v63, off, s[0:3], 0 offset:168
	buffer_load_dword v64, off, s[0:3], 0 offset:172
	s_waitcnt vmcnt(28)
	v_fma_f64 v[65:66], v[67:68], v[59:60], v[57:58]
	;; [unrolled: 11-line block ×5, first 2 shown]
	ds_read_b128 v[57:60], v56 offset:336
	s_waitcnt vmcnt(26) lgkmcnt(0)
	v_fma_f64 v[57:58], v[81:82], v[57:58], v[77:78]
	s_waitcnt vmcnt(24)
	v_fma_f64 v[77:78], v[83:84], v[59:60], v[57:58]
	ds_read_b128 v[57:60], v56 offset:352
	s_waitcnt vmcnt(22) lgkmcnt(0)
	v_fma_f64 v[57:58], v[85:86], v[57:58], v[77:78]
	s_waitcnt vmcnt(20)
	v_fma_f64 v[77:78], v[87:88], v[59:60], v[57:58]
	ds_read_b128 v[57:60], v56 offset:368
	s_waitcnt vmcnt(18) lgkmcnt(0)
	v_fma_f64 v[57:58], v[89:90], v[57:58], v[77:78]
	s_waitcnt vmcnt(16)
	v_fma_f64 v[61:62], v[61:62], v[59:60], v[57:58]
	ds_read_b128 v[57:60], v56 offset:384
	s_waitcnt vmcnt(14) lgkmcnt(0)
	v_fma_f64 v[57:58], v[91:92], v[57:58], v[61:62]
	s_waitcnt vmcnt(12)
	v_fma_f64 v[61:62], v[63:64], v[59:60], v[57:58]
	ds_read_b128 v[57:60], v56 offset:400
	s_waitcnt vmcnt(10) lgkmcnt(0)
	v_fma_f64 v[57:58], v[67:68], v[57:58], v[61:62]
	s_waitcnt vmcnt(8)
	v_fma_f64 v[61:62], v[65:66], v[59:60], v[57:58]
	ds_read_b128 v[57:60], v56 offset:416
	s_waitcnt vmcnt(6) lgkmcnt(0)
	v_fma_f64 v[57:58], v[71:72], v[57:58], v[61:62]
	s_waitcnt vmcnt(4)
	v_fma_f64 v[57:58], v[69:70], v[59:60], v[57:58]
	ds_read_b64 v[59:60], v56 offset:432
	s_waitcnt vmcnt(2) lgkmcnt(0)
	v_fma_f64 v[57:58], v[75:76], v[59:60], v[57:58]
	s_waitcnt vmcnt(0)
	v_add_f64 v[57:58], v[73:74], -v[57:58]
	buffer_store_dword v58, off, s[0:3], 0 offset:28
	buffer_store_dword v57, off, s[0:3], 0 offset:24
	v_cmpx_lt_u32_e32 2, v0
	s_cbranch_execz .LBB26_167
; %bb.166:
	s_clause 0x1
	buffer_load_dword v57, off, s[0:3], 0 offset:16
	buffer_load_dword v58, off, s[0:3], 0 offset:20
	buffer_store_dword v56, off, s[0:3], 0 offset:16
	buffer_store_dword v56, off, s[0:3], 0 offset:20
	s_waitcnt vmcnt(0)
	ds_write_b64 v55, v[57:58]
.LBB26_167:
	s_or_b32 exec_lo, exec_lo, s4
	s_waitcnt lgkmcnt(0)
	s_waitcnt_vscnt null, 0x0
	s_barrier
	buffer_gl0_inv
	s_clause 0x1b
	buffer_load_dword v61, off, s[0:3], 0 offset:24
	buffer_load_dword v62, off, s[0:3], 0 offset:28
	;; [unrolled: 1-line block ×28, first 2 shown]
	ds_read2_b64 v[57:60], v56 offset0:31 offset1:32
	s_clause 0x1
	buffer_load_dword v89, off, s[0:3], 0 offset:136
	buffer_load_dword v90, off, s[0:3], 0 offset:140
	s_mov_b32 s4, exec_lo
	s_waitcnt vmcnt(28) lgkmcnt(0)
	v_fma_f64 v[57:58], v[61:62], v[57:58], 0
	s_clause 0x1
	buffer_load_dword v62, off, s[0:3], 0 offset:148
	buffer_load_dword v61, off, s[0:3], 0 offset:144
	s_waitcnt vmcnt(28)
	v_fma_f64 v[63:64], v[63:64], v[59:60], v[57:58]
	ds_read2_b64 v[57:60], v56 offset0:33 offset1:34
	s_clause 0x1
	buffer_load_dword v91, off, s[0:3], 0 offset:152
	buffer_load_dword v92, off, s[0:3], 0 offset:156
	s_waitcnt vmcnt(28) lgkmcnt(0)
	v_fma_f64 v[57:58], v[65:66], v[57:58], v[63:64]
	s_clause 0x1
	buffer_load_dword v63, off, s[0:3], 0 offset:160
	buffer_load_dword v64, off, s[0:3], 0 offset:164
	s_waitcnt vmcnt(28)
	v_fma_f64 v[65:66], v[67:68], v[59:60], v[57:58]
	ds_read2_b64 v[57:60], v56 offset0:35 offset1:36
	s_clause 0x1
	buffer_load_dword v67, off, s[0:3], 0 offset:168
	buffer_load_dword v68, off, s[0:3], 0 offset:172
	s_waitcnt vmcnt(28) lgkmcnt(0)
	v_fma_f64 v[57:58], v[69:70], v[57:58], v[65:66]
	s_clause 0x1
	buffer_load_dword v66, off, s[0:3], 0 offset:180
	buffer_load_dword v65, off, s[0:3], 0 offset:176
	s_waitcnt vmcnt(28)
	v_fma_f64 v[69:70], v[71:72], v[59:60], v[57:58]
	ds_read2_b64 v[57:60], v56 offset0:37 offset1:38
	s_clause 0x1
	buffer_load_dword v71, off, s[0:3], 0 offset:184
	buffer_load_dword v72, off, s[0:3], 0 offset:188
	s_waitcnt vmcnt(28) lgkmcnt(0)
	v_fma_f64 v[57:58], v[73:74], v[57:58], v[69:70]
	s_clause 0x1
	buffer_load_dword v69, off, s[0:3], 0 offset:192
	buffer_load_dword v70, off, s[0:3], 0 offset:196
	s_waitcnt vmcnt(28)
	v_fma_f64 v[73:74], v[75:76], v[59:60], v[57:58]
	ds_read2_b64 v[57:60], v56 offset0:39 offset1:40
	s_clause 0x1
	buffer_load_dword v75, off, s[0:3], 0 offset:200
	buffer_load_dword v76, off, s[0:3], 0 offset:204
	s_waitcnt vmcnt(28) lgkmcnt(0)
	v_fma_f64 v[57:58], v[77:78], v[57:58], v[73:74]
	s_clause 0x1
	buffer_load_dword v74, off, s[0:3], 0 offset:212
	buffer_load_dword v73, off, s[0:3], 0 offset:208
	s_waitcnt vmcnt(28)
	v_fma_f64 v[77:78], v[79:80], v[59:60], v[57:58]
	ds_read2_b64 v[57:60], v56 offset0:41 offset1:42
	s_clause 0x1
	buffer_load_dword v79, off, s[0:3], 0 offset:16
	buffer_load_dword v80, off, s[0:3], 0 offset:20
	s_waitcnt vmcnt(28) lgkmcnt(0)
	v_fma_f64 v[57:58], v[81:82], v[57:58], v[77:78]
	s_waitcnt vmcnt(26)
	v_fma_f64 v[77:78], v[83:84], v[59:60], v[57:58]
	ds_read2_b64 v[57:60], v56 offset0:43 offset1:44
	s_waitcnt vmcnt(24) lgkmcnt(0)
	v_fma_f64 v[57:58], v[85:86], v[57:58], v[77:78]
	s_waitcnt vmcnt(22)
	v_fma_f64 v[77:78], v[87:88], v[59:60], v[57:58]
	ds_read2_b64 v[57:60], v56 offset0:45 offset1:46
	;; [unrolled: 5-line block ×6, first 2 shown]
	s_waitcnt vmcnt(4) lgkmcnt(0)
	v_fma_f64 v[56:57], v[75:76], v[56:57], v[60:61]
	s_waitcnt vmcnt(2)
	v_fma_f64 v[56:57], v[73:74], v[58:59], v[56:57]
	s_waitcnt vmcnt(0)
	v_add_f64 v[56:57], v[79:80], -v[56:57]
	buffer_store_dword v57, off, s[0:3], 0 offset:20
	buffer_store_dword v56, off, s[0:3], 0 offset:16
	v_cmpx_lt_u32_e32 1, v0
	s_cbranch_execz .LBB26_169
; %bb.168:
	s_clause 0x1
	buffer_load_dword v56, off, s[0:3], 0 offset:8
	buffer_load_dword v57, off, s[0:3], 0 offset:12
	v_mov_b32_e32 v58, 0
	buffer_store_dword v58, off, s[0:3], 0 offset:8
	buffer_store_dword v58, off, s[0:3], 0 offset:12
	s_waitcnt vmcnt(0)
	ds_write_b64 v55, v[56:57]
.LBB26_169:
	s_or_b32 exec_lo, exec_lo, s4
	s_waitcnt lgkmcnt(0)
	s_waitcnt_vscnt null, 0x0
	s_barrier
	buffer_gl0_inv
	s_clause 0x1b
	buffer_load_dword v61, off, s[0:3], 0 offset:16
	buffer_load_dword v62, off, s[0:3], 0 offset:20
	;; [unrolled: 1-line block ×28, first 2 shown]
	v_mov_b32_e32 v56, 0
	s_mov_b32 s4, exec_lo
	ds_read_b128 v[57:60], v56 offset:240
	s_clause 0x1
	buffer_load_dword v89, off, s[0:3], 0 offset:128
	buffer_load_dword v90, off, s[0:3], 0 offset:132
	s_waitcnt vmcnt(28) lgkmcnt(0)
	v_fma_f64 v[57:58], v[61:62], v[57:58], 0
	s_clause 0x1
	buffer_load_dword v62, off, s[0:3], 0 offset:140
	buffer_load_dword v61, off, s[0:3], 0 offset:136
	s_waitcnt vmcnt(28)
	v_fma_f64 v[63:64], v[63:64], v[59:60], v[57:58]
	ds_read_b128 v[57:60], v56 offset:256
	s_clause 0x1
	buffer_load_dword v91, off, s[0:3], 0 offset:144
	buffer_load_dword v92, off, s[0:3], 0 offset:148
	s_waitcnt vmcnt(28) lgkmcnt(0)
	v_fma_f64 v[57:58], v[65:66], v[57:58], v[63:64]
	s_clause 0x1
	buffer_load_dword v63, off, s[0:3], 0 offset:152
	buffer_load_dword v64, off, s[0:3], 0 offset:156
	s_waitcnt vmcnt(28)
	v_fma_f64 v[65:66], v[67:68], v[59:60], v[57:58]
	;; [unrolled: 11-line block ×6, first 2 shown]
	ds_read_b128 v[57:60], v56 offset:336
	s_waitcnt vmcnt(26) lgkmcnt(0)
	v_fma_f64 v[57:58], v[85:86], v[57:58], v[81:82]
	s_waitcnt vmcnt(24)
	v_fma_f64 v[81:82], v[87:88], v[59:60], v[57:58]
	ds_read_b128 v[57:60], v56 offset:352
	s_waitcnt vmcnt(22) lgkmcnt(0)
	v_fma_f64 v[57:58], v[89:90], v[57:58], v[81:82]
	s_waitcnt vmcnt(20)
	v_fma_f64 v[61:62], v[61:62], v[59:60], v[57:58]
	;; [unrolled: 5-line block ×6, first 2 shown]
	ds_read_b64 v[59:60], v56 offset:432
	s_waitcnt vmcnt(2) lgkmcnt(0)
	v_fma_f64 v[57:58], v[79:80], v[59:60], v[57:58]
	s_waitcnt vmcnt(0)
	v_add_f64 v[57:58], v[77:78], -v[57:58]
	buffer_store_dword v58, off, s[0:3], 0 offset:12
	buffer_store_dword v57, off, s[0:3], 0 offset:8
	v_cmpx_ne_u32_e32 0, v0
	s_cbranch_execz .LBB26_171
; %bb.170:
	s_clause 0x1
	buffer_load_dword v57, off, s[0:3], 0
	buffer_load_dword v58, off, s[0:3], 0 offset:4
	buffer_store_dword v56, off, s[0:3], 0
	buffer_store_dword v56, off, s[0:3], 0 offset:4
	s_waitcnt vmcnt(0)
	ds_write_b64 v55, v[57:58]
.LBB26_171:
	s_or_b32 exec_lo, exec_lo, s4
	s_waitcnt lgkmcnt(0)
	s_waitcnt_vscnt null, 0x0
	s_barrier
	buffer_gl0_inv
	s_clause 0x1b
	buffer_load_dword v61, off, s[0:3], 0 offset:8
	buffer_load_dword v62, off, s[0:3], 0 offset:12
	;; [unrolled: 1-line block ×28, first 2 shown]
	ds_read2_b64 v[57:60], v56 offset0:29 offset1:30
	s_clause 0x3
	buffer_load_dword v89, off, s[0:3], 0 offset:120
	buffer_load_dword v90, off, s[0:3], 0 offset:124
	;; [unrolled: 1-line block ×4, first 2 shown]
	s_and_b32 vcc_lo, exec_lo, s22
	s_waitcnt vmcnt(30) lgkmcnt(0)
	v_fma_f64 v[57:58], v[61:62], v[57:58], 0
	s_waitcnt vmcnt(28)
	v_fma_f64 v[61:62], v[63:64], v[59:60], v[57:58]
	ds_read2_b64 v[57:60], v56 offset0:31 offset1:32
	s_clause 0x1
	buffer_load_dword v63, off, s[0:3], 0 offset:136
	buffer_load_dword v64, off, s[0:3], 0 offset:140
	s_waitcnt vmcnt(28) lgkmcnt(0)
	v_fma_f64 v[57:58], v[65:66], v[57:58], v[61:62]
	s_clause 0x1
	buffer_load_dword v65, off, s[0:3], 0 offset:144
	buffer_load_dword v66, off, s[0:3], 0 offset:148
	s_waitcnt vmcnt(28)
	v_fma_f64 v[61:62], v[67:68], v[59:60], v[57:58]
	ds_read2_b64 v[57:60], v56 offset0:33 offset1:34
	s_clause 0x1
	buffer_load_dword v67, off, s[0:3], 0 offset:152
	buffer_load_dword v68, off, s[0:3], 0 offset:156
	s_waitcnt vmcnt(28) lgkmcnt(0)
	v_fma_f64 v[57:58], v[69:70], v[57:58], v[61:62]
	s_clause 0x1
	buffer_load_dword v70, off, s[0:3], 0 offset:164
	buffer_load_dword v69, off, s[0:3], 0 offset:160
	;; [unrolled: 11-line block ×5, first 2 shown]
	s_waitcnt vmcnt(28)
	v_fma_f64 v[81:82], v[83:84], v[61:62], v[59:60]
	ds_read2_b64 v[59:62], v56 offset0:41 offset1:42
	s_clause 0x1
	buffer_load_dword v83, off, s[0:3], 0
	buffer_load_dword v84, off, s[0:3], 0 offset:4
	s_waitcnt vmcnt(28) lgkmcnt(0)
	v_fma_f64 v[59:60], v[85:86], v[59:60], v[81:82]
	s_waitcnt vmcnt(26)
	v_fma_f64 v[81:82], v[87:88], v[61:62], v[59:60]
	ds_read2_b64 v[59:62], v56 offset0:43 offset1:44
	s_waitcnt vmcnt(24) lgkmcnt(0)
	v_fma_f64 v[59:60], v[89:90], v[59:60], v[81:82]
	s_waitcnt vmcnt(22)
	v_fma_f64 v[81:82], v[91:92], v[61:62], v[59:60]
	ds_read2_b64 v[59:62], v56 offset0:45 offset1:46
	;; [unrolled: 5-line block ×6, first 2 shown]
	s_waitcnt vmcnt(4) lgkmcnt(0)
	v_fma_f64 v[55:56], v[57:58], v[59:60], v[63:64]
	s_waitcnt vmcnt(2)
	v_fma_f64 v[55:56], v[79:80], v[61:62], v[55:56]
	s_waitcnt vmcnt(0)
	v_add_f64 v[55:56], v[83:84], -v[55:56]
	buffer_store_dword v56, off, s[0:3], 0 offset:4
	buffer_store_dword v55, off, s[0:3], 0
	s_cbranch_vccz .LBB26_224
; %bb.172:
	v_mov_b32_e32 v0, 0
	global_load_dword v55, v0, s[20:21] offset:100
	s_waitcnt vmcnt(0)
	v_add_nc_u32_e32 v55, -1, v55
	v_cmp_ne_u32_e32 vcc_lo, 25, v55
	s_cbranch_vccz .LBB26_174
; %bb.173:
	v_lshlrev_b32_e32 v55, 3, v55
	s_clause 0x1
	buffer_load_dword v56, v55, s[0:3], 0 offen
	buffer_load_dword v59, v55, s[0:3], 0 offen offset:4
	s_waitcnt vmcnt(1)
	buffer_store_dword v56, off, s[0:3], 0 offset:200
	s_waitcnt vmcnt(0)
	buffer_store_dword v59, off, s[0:3], 0 offset:204
	buffer_store_dword v57, v55, s[0:3], 0 offen
	buffer_store_dword v58, v55, s[0:3], 0 offen offset:4
.LBB26_174:
	global_load_dword v0, v0, s[20:21] offset:96
	s_waitcnt vmcnt(0)
	v_add_nc_u32_e32 v0, -1, v0
	v_cmp_eq_u32_e32 vcc_lo, 24, v0
	s_cbranch_vccnz .LBB26_176
; %bb.175:
	v_lshlrev_b32_e32 v0, 3, v0
	s_clause 0x3
	buffer_load_dword v55, v0, s[0:3], 0 offen
	buffer_load_dword v56, v0, s[0:3], 0 offen offset:4
	buffer_load_dword v57, off, s[0:3], 0 offset:196
	buffer_load_dword v58, off, s[0:3], 0 offset:192
	s_waitcnt vmcnt(3)
	buffer_store_dword v55, off, s[0:3], 0 offset:192
	s_waitcnt vmcnt(2)
	buffer_store_dword v56, off, s[0:3], 0 offset:196
	s_waitcnt vmcnt(1)
	buffer_store_dword v57, v0, s[0:3], 0 offen offset:4
	s_waitcnt vmcnt(0)
	buffer_store_dword v58, v0, s[0:3], 0 offen
.LBB26_176:
	v_mov_b32_e32 v0, 0
	global_load_dword v55, v0, s[20:21] offset:92
	s_waitcnt vmcnt(0)
	v_add_nc_u32_e32 v55, -1, v55
	v_cmp_eq_u32_e32 vcc_lo, 23, v55
	s_cbranch_vccnz .LBB26_178
; %bb.177:
	v_lshlrev_b32_e32 v55, 3, v55
	s_clause 0x3
	buffer_load_dword v56, v55, s[0:3], 0 offen
	buffer_load_dword v57, v55, s[0:3], 0 offen offset:4
	buffer_load_dword v58, off, s[0:3], 0 offset:184
	buffer_load_dword v59, off, s[0:3], 0 offset:188
	s_waitcnt vmcnt(3)
	buffer_store_dword v56, off, s[0:3], 0 offset:184
	s_waitcnt vmcnt(2)
	buffer_store_dword v57, off, s[0:3], 0 offset:188
	s_waitcnt vmcnt(1)
	buffer_store_dword v58, v55, s[0:3], 0 offen
	s_waitcnt vmcnt(0)
	buffer_store_dword v59, v55, s[0:3], 0 offen offset:4
.LBB26_178:
	global_load_dword v0, v0, s[20:21] offset:88
	s_waitcnt vmcnt(0)
	v_add_nc_u32_e32 v0, -1, v0
	v_cmp_eq_u32_e32 vcc_lo, 22, v0
	s_cbranch_vccnz .LBB26_180
; %bb.179:
	v_lshlrev_b32_e32 v0, 3, v0
	s_clause 0x3
	buffer_load_dword v55, v0, s[0:3], 0 offen
	buffer_load_dword v56, v0, s[0:3], 0 offen offset:4
	buffer_load_dword v57, off, s[0:3], 0 offset:180
	buffer_load_dword v58, off, s[0:3], 0 offset:176
	s_waitcnt vmcnt(3)
	buffer_store_dword v55, off, s[0:3], 0 offset:176
	s_waitcnt vmcnt(2)
	buffer_store_dword v56, off, s[0:3], 0 offset:180
	s_waitcnt vmcnt(1)
	buffer_store_dword v57, v0, s[0:3], 0 offen offset:4
	s_waitcnt vmcnt(0)
	buffer_store_dword v58, v0, s[0:3], 0 offen
.LBB26_180:
	v_mov_b32_e32 v0, 0
	global_load_dword v55, v0, s[20:21] offset:84
	s_waitcnt vmcnt(0)
	v_add_nc_u32_e32 v55, -1, v55
	v_cmp_eq_u32_e32 vcc_lo, 21, v55
	s_cbranch_vccnz .LBB26_182
; %bb.181:
	v_lshlrev_b32_e32 v55, 3, v55
	s_clause 0x3
	buffer_load_dword v56, v55, s[0:3], 0 offen
	buffer_load_dword v57, v55, s[0:3], 0 offen offset:4
	buffer_load_dword v58, off, s[0:3], 0 offset:168
	buffer_load_dword v59, off, s[0:3], 0 offset:172
	s_waitcnt vmcnt(3)
	buffer_store_dword v56, off, s[0:3], 0 offset:168
	s_waitcnt vmcnt(2)
	buffer_store_dword v57, off, s[0:3], 0 offset:172
	s_waitcnt vmcnt(1)
	buffer_store_dword v58, v55, s[0:3], 0 offen
	s_waitcnt vmcnt(0)
	buffer_store_dword v59, v55, s[0:3], 0 offen offset:4
.LBB26_182:
	;; [unrolled: 43-line block ×12, first 2 shown]
	global_load_dword v0, v0, s[20:21]
	s_clause 0x1
	buffer_load_dword v55, off, s[0:3], 0
	buffer_load_dword v56, off, s[0:3], 0 offset:4
	s_waitcnt vmcnt(2)
	v_add_nc_u32_e32 v0, -1, v0
	v_cmp_eq_u32_e32 vcc_lo, 0, v0
	s_cbranch_vccnz .LBB26_224
; %bb.223:
	v_lshlrev_b32_e32 v0, 3, v0
	s_clause 0x1
	buffer_load_dword v57, v0, s[0:3], 0 offen offset:4
	buffer_load_dword v58, v0, s[0:3], 0 offen
	s_waitcnt vmcnt(1)
	buffer_store_dword v57, off, s[0:3], 0 offset:4
	s_waitcnt vmcnt(0)
	buffer_store_dword v58, off, s[0:3], 0
	buffer_store_dword v56, v0, s[0:3], 0 offen offset:4
	buffer_store_dword v55, v0, s[0:3], 0 offen
	s_clause 0x1
	buffer_load_dword v55, off, s[0:3], 0
	buffer_load_dword v56, off, s[0:3], 0 offset:4
.LBB26_224:
	s_clause 0x17
	buffer_load_dword v57, off, s[0:3], 0 offset:8
	buffer_load_dword v58, off, s[0:3], 0 offset:12
	;; [unrolled: 1-line block ×24, first 2 shown]
	s_waitcnt vmcnt(24)
	global_store_dwordx2 v[3:4], v[55:56], off
	s_clause 0xf
	buffer_load_dword v3, off, s[0:3], 0 offset:104
	buffer_load_dword v4, off, s[0:3], 0 offset:108
	;; [unrolled: 1-line block ×16, first 2 shown]
	s_waitcnt vmcnt(38)
	global_store_dwordx2 v[1:2], v[57:58], off
	s_waitcnt vmcnt(36)
	global_store_dwordx2 v[5:6], v[59:60], off
	s_clause 0x7
	buffer_load_dword v0, off, s[0:3], 0 offset:168
	buffer_load_dword v1, off, s[0:3], 0 offset:172
	;; [unrolled: 1-line block ×8, first 2 shown]
	s_waitcnt vmcnt(42)
	global_store_dwordx2 v[7:8], v[61:62], off
	s_clause 0x3
	buffer_load_dword v7, off, s[0:3], 0 offset:200
	buffer_load_dword v8, off, s[0:3], 0 offset:204
	;; [unrolled: 1-line block ×4, first 2 shown]
	s_waitcnt vmcnt(44)
	global_store_dwordx2 v[9:10], v[63:64], off
	s_waitcnt vmcnt(42)
	global_store_dwordx2 v[11:12], v[65:66], off
	;; [unrolled: 2-line block ×23, first 2 shown]
	s_endpgm
	.section	.rodata,"a",@progbits
	.p2align	6, 0x0
	.amdhsa_kernel _ZN9rocsolver6v33100L18getri_kernel_smallILi27EdPdEEvT1_iilPiilS4_bb
		.amdhsa_group_segment_fixed_size 440
		.amdhsa_private_segment_fixed_size 224
		.amdhsa_kernarg_size 60
		.amdhsa_user_sgpr_count 6
		.amdhsa_user_sgpr_private_segment_buffer 1
		.amdhsa_user_sgpr_dispatch_ptr 0
		.amdhsa_user_sgpr_queue_ptr 0
		.amdhsa_user_sgpr_kernarg_segment_ptr 1
		.amdhsa_user_sgpr_dispatch_id 0
		.amdhsa_user_sgpr_flat_scratch_init 0
		.amdhsa_user_sgpr_private_segment_size 0
		.amdhsa_wavefront_size32 1
		.amdhsa_uses_dynamic_stack 0
		.amdhsa_system_sgpr_private_segment_wavefront_offset 1
		.amdhsa_system_sgpr_workgroup_id_x 1
		.amdhsa_system_sgpr_workgroup_id_y 0
		.amdhsa_system_sgpr_workgroup_id_z 0
		.amdhsa_system_sgpr_workgroup_info 0
		.amdhsa_system_vgpr_workitem_id 0
		.amdhsa_next_free_vgpr 93
		.amdhsa_next_free_sgpr 23
		.amdhsa_reserve_vcc 1
		.amdhsa_reserve_flat_scratch 0
		.amdhsa_float_round_mode_32 0
		.amdhsa_float_round_mode_16_64 0
		.amdhsa_float_denorm_mode_32 3
		.amdhsa_float_denorm_mode_16_64 3
		.amdhsa_dx10_clamp 1
		.amdhsa_ieee_mode 1
		.amdhsa_fp16_overflow 0
		.amdhsa_workgroup_processor_mode 1
		.amdhsa_memory_ordered 1
		.amdhsa_forward_progress 1
		.amdhsa_shared_vgpr_count 0
		.amdhsa_exception_fp_ieee_invalid_op 0
		.amdhsa_exception_fp_denorm_src 0
		.amdhsa_exception_fp_ieee_div_zero 0
		.amdhsa_exception_fp_ieee_overflow 0
		.amdhsa_exception_fp_ieee_underflow 0
		.amdhsa_exception_fp_ieee_inexact 0
		.amdhsa_exception_int_div_zero 0
	.end_amdhsa_kernel
	.section	.text._ZN9rocsolver6v33100L18getri_kernel_smallILi27EdPdEEvT1_iilPiilS4_bb,"axG",@progbits,_ZN9rocsolver6v33100L18getri_kernel_smallILi27EdPdEEvT1_iilPiilS4_bb,comdat
.Lfunc_end26:
	.size	_ZN9rocsolver6v33100L18getri_kernel_smallILi27EdPdEEvT1_iilPiilS4_bb, .Lfunc_end26-_ZN9rocsolver6v33100L18getri_kernel_smallILi27EdPdEEvT1_iilPiilS4_bb
                                        ; -- End function
	.set _ZN9rocsolver6v33100L18getri_kernel_smallILi27EdPdEEvT1_iilPiilS4_bb.num_vgpr, 93
	.set _ZN9rocsolver6v33100L18getri_kernel_smallILi27EdPdEEvT1_iilPiilS4_bb.num_agpr, 0
	.set _ZN9rocsolver6v33100L18getri_kernel_smallILi27EdPdEEvT1_iilPiilS4_bb.numbered_sgpr, 23
	.set _ZN9rocsolver6v33100L18getri_kernel_smallILi27EdPdEEvT1_iilPiilS4_bb.num_named_barrier, 0
	.set _ZN9rocsolver6v33100L18getri_kernel_smallILi27EdPdEEvT1_iilPiilS4_bb.private_seg_size, 224
	.set _ZN9rocsolver6v33100L18getri_kernel_smallILi27EdPdEEvT1_iilPiilS4_bb.uses_vcc, 1
	.set _ZN9rocsolver6v33100L18getri_kernel_smallILi27EdPdEEvT1_iilPiilS4_bb.uses_flat_scratch, 0
	.set _ZN9rocsolver6v33100L18getri_kernel_smallILi27EdPdEEvT1_iilPiilS4_bb.has_dyn_sized_stack, 0
	.set _ZN9rocsolver6v33100L18getri_kernel_smallILi27EdPdEEvT1_iilPiilS4_bb.has_recursion, 0
	.set _ZN9rocsolver6v33100L18getri_kernel_smallILi27EdPdEEvT1_iilPiilS4_bb.has_indirect_call, 0
	.section	.AMDGPU.csdata,"",@progbits
; Kernel info:
; codeLenInByte = 26888
; TotalNumSgprs: 25
; NumVgprs: 93
; ScratchSize: 224
; MemoryBound: 0
; FloatMode: 240
; IeeeMode: 1
; LDSByteSize: 440 bytes/workgroup (compile time only)
; SGPRBlocks: 0
; VGPRBlocks: 11
; NumSGPRsForWavesPerEU: 25
; NumVGPRsForWavesPerEU: 93
; Occupancy: 10
; WaveLimiterHint : 1
; COMPUTE_PGM_RSRC2:SCRATCH_EN: 1
; COMPUTE_PGM_RSRC2:USER_SGPR: 6
; COMPUTE_PGM_RSRC2:TRAP_HANDLER: 0
; COMPUTE_PGM_RSRC2:TGID_X_EN: 1
; COMPUTE_PGM_RSRC2:TGID_Y_EN: 0
; COMPUTE_PGM_RSRC2:TGID_Z_EN: 0
; COMPUTE_PGM_RSRC2:TIDIG_COMP_CNT: 0
	.section	.text._ZN9rocsolver6v33100L18getri_kernel_smallILi28EdPdEEvT1_iilPiilS4_bb,"axG",@progbits,_ZN9rocsolver6v33100L18getri_kernel_smallILi28EdPdEEvT1_iilPiilS4_bb,comdat
	.globl	_ZN9rocsolver6v33100L18getri_kernel_smallILi28EdPdEEvT1_iilPiilS4_bb ; -- Begin function _ZN9rocsolver6v33100L18getri_kernel_smallILi28EdPdEEvT1_iilPiilS4_bb
	.p2align	8
	.type	_ZN9rocsolver6v33100L18getri_kernel_smallILi28EdPdEEvT1_iilPiilS4_bb,@function
_ZN9rocsolver6v33100L18getri_kernel_smallILi28EdPdEEvT1_iilPiilS4_bb: ; @_ZN9rocsolver6v33100L18getri_kernel_smallILi28EdPdEEvT1_iilPiilS4_bb
; %bb.0:
	s_add_u32 s0, s0, s7
	s_addc_u32 s1, s1, 0
	s_mov_b32 s7, exec_lo
	v_cmpx_gt_u32_e32 28, v0
	s_cbranch_execz .LBB27_122
; %bb.1:
	s_clause 0x2
	s_load_dword s7, s[4:5], 0x38
	s_load_dwordx4 s[16:19], s[4:5], 0x10
	s_load_dwordx4 s[8:11], s[4:5], 0x28
                                        ; implicit-def: $sgpr20_sgpr21
	s_waitcnt lgkmcnt(0)
	s_bitcmp1_b32 s7, 8
	s_cselect_b32 s22, -1, 0
	s_bfe_u32 s12, s7, 0x10008
	s_ashr_i32 s7, s6, 31
	s_cmp_eq_u32 s12, 0
	s_cbranch_scc1 .LBB27_3
; %bb.2:
	s_load_dword s12, s[4:5], 0x20
	s_mul_i32 s13, s8, s7
	s_mul_hi_u32 s14, s8, s6
	s_mul_i32 s9, s9, s6
	s_add_i32 s13, s14, s13
	s_mul_i32 s8, s8, s6
	s_add_i32 s9, s13, s9
	s_lshl_b64 s[8:9], s[8:9], 2
	s_waitcnt lgkmcnt(0)
	s_ashr_i32 s13, s12, 31
	s_add_u32 s14, s18, s8
	s_addc_u32 s15, s19, s9
	s_lshl_b64 s[8:9], s[12:13], 2
	s_add_u32 s20, s14, s8
	s_addc_u32 s21, s15, s9
.LBB27_3:
	s_clause 0x1
	s_load_dwordx4 s[12:15], s[4:5], 0x0
	s_load_dword s18, s[4:5], 0x38
	s_mul_i32 s4, s16, s7
	s_mul_hi_u32 s5, s16, s6
	s_mul_i32 s8, s17, s6
	s_add_i32 s5, s5, s4
	s_mul_i32 s4, s16, s6
	s_add_i32 s5, s5, s8
	v_lshlrev_b32_e32 v59, 3, v0
	s_lshl_b64 s[4:5], s[4:5], 3
	s_waitcnt lgkmcnt(0)
	v_add3_u32 v7, s15, s15, v0
	s_ashr_i32 s9, s14, 31
	s_mov_b32 s8, s14
	s_add_u32 s12, s12, s4
	s_addc_u32 s13, s13, s5
	s_lshl_b64 s[4:5], s[8:9], 3
	v_ashrrev_i32_e32 v8, 31, v7
	s_add_u32 s4, s12, s4
	s_addc_u32 s5, s13, s5
	v_add_co_u32 v1, s12, s4, v59
	s_mov_b32 s8, s15
	s_ashr_i32 s9, s15, 31
	v_lshlrev_b64 v[5:6], 3, v[7:8]
	v_add_co_ci_u32_e64 v2, null, s5, 0, s12
	s_lshl_b64 s[8:9], s[8:9], 3
	global_load_dwordx2 v[57:58], v59, s[4:5]
	v_add_co_u32 v3, vcc_lo, v1, s8
	v_add_co_ci_u32_e64 v4, null, s9, v2, vcc_lo
	v_add_co_u32 v5, vcc_lo, s4, v5
	v_add_co_ci_u32_e64 v6, null, s5, v6, vcc_lo
	s_clause 0x1
	global_load_dwordx2 v[60:61], v[3:4], off
	global_load_dwordx2 v[62:63], v[5:6], off
	v_add_nc_u32_e32 v7, s15, v7
	s_bitcmp0_b32 s18, 0
	v_add_nc_u32_e32 v9, s15, v7
	v_ashrrev_i32_e32 v8, 31, v7
	v_add_nc_u32_e32 v11, s15, v9
	v_ashrrev_i32_e32 v10, 31, v9
	v_lshlrev_b64 v[7:8], 3, v[7:8]
	v_add_nc_u32_e32 v13, s15, v11
	v_ashrrev_i32_e32 v12, 31, v11
	v_lshlrev_b64 v[9:10], 3, v[9:10]
	v_add_co_u32 v7, vcc_lo, s4, v7
	v_add_nc_u32_e32 v15, s15, v13
	v_ashrrev_i32_e32 v14, 31, v13
	v_lshlrev_b64 v[11:12], 3, v[11:12]
	v_add_co_ci_u32_e64 v8, null, s5, v8, vcc_lo
	v_add_nc_u32_e32 v17, s15, v15
	v_ashrrev_i32_e32 v16, 31, v15
	v_lshlrev_b64 v[13:14], 3, v[13:14]
	v_add_co_u32 v9, vcc_lo, s4, v9
	v_add_nc_u32_e32 v19, s15, v17
	v_ashrrev_i32_e32 v18, 31, v17
	v_lshlrev_b64 v[15:16], 3, v[15:16]
	v_add_co_ci_u32_e64 v10, null, s5, v10, vcc_lo
	v_add_nc_u32_e32 v21, s15, v19
	v_ashrrev_i32_e32 v20, 31, v19
	v_add_co_u32 v11, vcc_lo, s4, v11
	v_lshlrev_b64 v[17:18], 3, v[17:18]
	v_add_nc_u32_e32 v23, s15, v21
	v_ashrrev_i32_e32 v22, 31, v21
	v_add_co_ci_u32_e64 v12, null, s5, v12, vcc_lo
	v_add_co_u32 v13, vcc_lo, s4, v13
	v_add_nc_u32_e32 v25, s15, v23
	v_ashrrev_i32_e32 v24, 31, v23
	v_lshlrev_b64 v[19:20], 3, v[19:20]
	v_add_co_ci_u32_e64 v14, null, s5, v14, vcc_lo
	v_add_nc_u32_e32 v27, s15, v25
	v_ashrrev_i32_e32 v26, 31, v25
	v_add_co_u32 v15, vcc_lo, s4, v15
	v_lshlrev_b64 v[21:22], 3, v[21:22]
	v_add_nc_u32_e32 v29, s15, v27
	v_ashrrev_i32_e32 v28, 31, v27
	v_add_co_ci_u32_e64 v16, null, s5, v16, vcc_lo
	v_add_co_u32 v17, vcc_lo, s4, v17
	v_add_nc_u32_e32 v31, s15, v29
	v_lshlrev_b64 v[23:24], 3, v[23:24]
	v_ashrrev_i32_e32 v30, 31, v29
	v_add_co_ci_u32_e64 v18, null, s5, v18, vcc_lo
	v_add_nc_u32_e32 v33, s15, v31
	v_add_co_u32 v19, vcc_lo, s4, v19
	v_lshlrev_b64 v[25:26], 3, v[25:26]
	v_ashrrev_i32_e32 v32, 31, v31
	v_add_nc_u32_e32 v35, s15, v33
	v_add_co_ci_u32_e64 v20, null, s5, v20, vcc_lo
	v_add_co_u32 v21, vcc_lo, s4, v21
	v_add_nc_u32_e32 v37, s15, v35
	v_lshlrev_b64 v[27:28], 3, v[27:28]
	v_ashrrev_i32_e32 v34, 31, v33
	v_add_co_ci_u32_e64 v22, null, s5, v22, vcc_lo
	v_add_nc_u32_e32 v39, s15, v37
	v_add_co_u32 v23, vcc_lo, s4, v23
	v_lshlrev_b64 v[29:30], 3, v[29:30]
	v_ashrrev_i32_e32 v36, 31, v35
	v_add_nc_u32_e32 v41, s15, v39
	;; [unrolled: 11-line block ×3, first 2 shown]
	v_add_co_ci_u32_e64 v28, null, s5, v28, vcc_lo
	v_add_co_u32 v29, vcc_lo, s4, v29
	v_add_nc_u32_e32 v49, s15, v47
	v_lshlrev_b64 v[35:36], 3, v[35:36]
	v_ashrrev_i32_e32 v42, 31, v41
	v_add_co_ci_u32_e64 v30, null, s5, v30, vcc_lo
	v_add_nc_u32_e32 v51, s15, v49
	v_add_co_u32 v31, vcc_lo, s4, v31
	v_lshlrev_b64 v[37:38], 3, v[37:38]
	v_ashrrev_i32_e32 v44, 31, v43
	v_add_co_ci_u32_e64 v32, null, s5, v32, vcc_lo
	v_add_co_u32 v33, vcc_lo, s4, v33
	v_lshlrev_b64 v[39:40], 3, v[39:40]
	v_ashrrev_i32_e32 v46, 31, v45
	v_add_co_ci_u32_e64 v34, null, s5, v34, vcc_lo
	v_add_co_u32 v35, vcc_lo, s4, v35
	v_lshlrev_b64 v[41:42], 3, v[41:42]
	v_add_nc_u32_e32 v53, s15, v51
	v_ashrrev_i32_e32 v48, 31, v47
	v_add_co_ci_u32_e64 v36, null, s5, v36, vcc_lo
	v_add_co_u32 v37, vcc_lo, s4, v37
	v_lshlrev_b64 v[43:44], 3, v[43:44]
	v_ashrrev_i32_e32 v50, 31, v49
	v_add_co_ci_u32_e64 v38, null, s5, v38, vcc_lo
	v_add_co_u32 v39, vcc_lo, s4, v39
	v_lshlrev_b64 v[45:46], 3, v[45:46]
	v_ashrrev_i32_e32 v52, 31, v51
	v_add_nc_u32_e32 v55, s15, v53
	v_add_co_ci_u32_e64 v40, null, s5, v40, vcc_lo
	v_add_co_u32 v41, vcc_lo, s4, v41
	v_lshlrev_b64 v[47:48], 3, v[47:48]
	v_ashrrev_i32_e32 v54, 31, v53
	v_add_co_ci_u32_e64 v42, null, s5, v42, vcc_lo
	v_add_co_u32 v43, vcc_lo, s4, v43
	v_lshlrev_b64 v[49:50], 3, v[49:50]
	v_add_co_ci_u32_e64 v44, null, s5, v44, vcc_lo
	v_add_co_u32 v45, vcc_lo, s4, v45
	v_lshlrev_b64 v[51:52], 3, v[51:52]
	v_ashrrev_i32_e32 v56, 31, v55
	v_add_co_ci_u32_e64 v46, null, s5, v46, vcc_lo
	v_add_co_u32 v47, vcc_lo, s4, v47
	v_lshlrev_b64 v[53:54], 3, v[53:54]
	v_add_co_ci_u32_e64 v48, null, s5, v48, vcc_lo
	v_add_co_u32 v49, vcc_lo, s4, v49
	v_lshlrev_b64 v[100:101], 3, v[55:56]
	v_add_co_ci_u32_e64 v50, null, s5, v50, vcc_lo
	v_add_co_u32 v51, vcc_lo, s4, v51
	v_add_co_ci_u32_e64 v52, null, s5, v52, vcc_lo
	v_add_co_u32 v55, vcc_lo, s4, v53
	;; [unrolled: 2-line block ×3, first 2 shown]
	s_clause 0x11
	global_load_dwordx2 v[64:65], v[7:8], off
	global_load_dwordx2 v[66:67], v[9:10], off
	;; [unrolled: 1-line block ×18, first 2 shown]
	v_add_co_ci_u32_e64 v54, null, s5, v101, vcc_lo
	s_clause 0x3
	global_load_dwordx2 v[100:101], v[43:44], off
	global_load_dwordx2 v[102:103], v[45:46], off
	;; [unrolled: 1-line block ×4, first 2 shown]
	s_mov_b32 s5, -1
	s_waitcnt vmcnt(24)
	buffer_store_dword v58, off, s[0:3], 0 offset:4
	buffer_store_dword v57, off, s[0:3], 0
	s_waitcnt vmcnt(23)
	buffer_store_dword v61, off, s[0:3], 0 offset:12
	buffer_store_dword v60, off, s[0:3], 0 offset:8
	s_clause 0x1
	global_load_dwordx2 v[57:58], v[51:52], off
	global_load_dwordx2 v[60:61], v[55:56], off
	s_waitcnt vmcnt(24)
	buffer_store_dword v63, off, s[0:3], 0 offset:20
	buffer_store_dword v62, off, s[0:3], 0 offset:16
	global_load_dwordx2 v[62:63], v[53:54], off
	s_waitcnt vmcnt(24)
	buffer_store_dword v65, off, s[0:3], 0 offset:28
	buffer_store_dword v64, off, s[0:3], 0 offset:24
	s_waitcnt vmcnt(23)
	buffer_store_dword v67, off, s[0:3], 0 offset:36
	buffer_store_dword v66, off, s[0:3], 0 offset:32
	s_waitcnt vmcnt(22)
	buffer_store_dword v69, off, s[0:3], 0 offset:44
	buffer_store_dword v68, off, s[0:3], 0 offset:40
	s_waitcnt vmcnt(21)
	buffer_store_dword v71, off, s[0:3], 0 offset:52
	buffer_store_dword v70, off, s[0:3], 0 offset:48
	s_waitcnt vmcnt(20)
	buffer_store_dword v73, off, s[0:3], 0 offset:60
	buffer_store_dword v72, off, s[0:3], 0 offset:56
	s_waitcnt vmcnt(19)
	buffer_store_dword v75, off, s[0:3], 0 offset:68
	buffer_store_dword v74, off, s[0:3], 0 offset:64
	s_waitcnt vmcnt(18)
	buffer_store_dword v76, off, s[0:3], 0 offset:72
	buffer_store_dword v77, off, s[0:3], 0 offset:76
	s_waitcnt vmcnt(17)
	buffer_store_dword v78, off, s[0:3], 0 offset:80
	buffer_store_dword v79, off, s[0:3], 0 offset:84
	s_waitcnt vmcnt(16)
	buffer_store_dword v80, off, s[0:3], 0 offset:88
	buffer_store_dword v81, off, s[0:3], 0 offset:92
	s_waitcnt vmcnt(15)
	buffer_store_dword v82, off, s[0:3], 0 offset:96
	buffer_store_dword v83, off, s[0:3], 0 offset:100
	s_waitcnt vmcnt(14)
	buffer_store_dword v84, off, s[0:3], 0 offset:104
	buffer_store_dword v85, off, s[0:3], 0 offset:108
	s_waitcnt vmcnt(13)
	buffer_store_dword v87, off, s[0:3], 0 offset:116
	buffer_store_dword v86, off, s[0:3], 0 offset:112
	s_waitcnt vmcnt(12)
	buffer_store_dword v88, off, s[0:3], 0 offset:120
	buffer_store_dword v89, off, s[0:3], 0 offset:124
	s_waitcnt vmcnt(11)
	buffer_store_dword v90, off, s[0:3], 0 offset:128
	buffer_store_dword v91, off, s[0:3], 0 offset:132
	s_waitcnt vmcnt(10)
	buffer_store_dword v92, off, s[0:3], 0 offset:136
	buffer_store_dword v93, off, s[0:3], 0 offset:140
	s_waitcnt vmcnt(9)
	buffer_store_dword v94, off, s[0:3], 0 offset:144
	buffer_store_dword v95, off, s[0:3], 0 offset:148
	s_waitcnt vmcnt(8)
	buffer_store_dword v97, off, s[0:3], 0 offset:156
	buffer_store_dword v96, off, s[0:3], 0 offset:152
	s_waitcnt vmcnt(7)
	buffer_store_dword v99, off, s[0:3], 0 offset:164
	buffer_store_dword v98, off, s[0:3], 0 offset:160
	s_waitcnt vmcnt(6)
	buffer_store_dword v100, off, s[0:3], 0 offset:168
	buffer_store_dword v101, off, s[0:3], 0 offset:172
	s_waitcnt vmcnt(5)
	buffer_store_dword v102, off, s[0:3], 0 offset:176
	buffer_store_dword v103, off, s[0:3], 0 offset:180
	s_waitcnt vmcnt(4)
	buffer_store_dword v104, off, s[0:3], 0 offset:184
	buffer_store_dword v105, off, s[0:3], 0 offset:188
	s_waitcnt vmcnt(3)
	buffer_store_dword v106, off, s[0:3], 0 offset:192
	buffer_store_dword v107, off, s[0:3], 0 offset:196
	s_waitcnt vmcnt(2)
	buffer_store_dword v58, off, s[0:3], 0 offset:204
	buffer_store_dword v57, off, s[0:3], 0 offset:200
	s_waitcnt vmcnt(1)
	buffer_store_dword v61, off, s[0:3], 0 offset:212
	buffer_store_dword v60, off, s[0:3], 0 offset:208
	s_waitcnt vmcnt(0)
	buffer_store_dword v62, off, s[0:3], 0 offset:216
	buffer_store_dword v63, off, s[0:3], 0 offset:220
	s_cbranch_scc1 .LBB27_120
; %bb.4:
	v_cmp_eq_u32_e64 s4, 0, v0
	s_and_saveexec_b32 s5, s4
; %bb.5:
	v_mov_b32_e32 v57, 0
	ds_write_b32 v57, v57 offset:448
; %bb.6:
	s_or_b32 exec_lo, exec_lo, s5
	v_lshl_add_u32 v57, v0, 3, 0
	s_waitcnt lgkmcnt(0)
	s_waitcnt_vscnt null, 0x0
	s_barrier
	buffer_gl0_inv
	s_mov_b32 s8, exec_lo
	s_clause 0x1
	buffer_load_dword v60, v57, s[0:3], 0 offen
	buffer_load_dword v61, v57, s[0:3], 0 offen offset:4
	s_waitcnt vmcnt(0)
	v_cmpx_eq_f64_e32 0, v[60:61]
	s_cbranch_execz .LBB27_10
; %bb.7:
	v_mov_b32_e32 v58, 0
	s_mov_b32 s9, 0
	ds_read_b32 v60, v58 offset:448
	s_waitcnt lgkmcnt(0)
	v_readfirstlane_b32 s5, v60
	v_add_nc_u32_e32 v60, 1, v0
	s_cmp_eq_u32 s5, 0
	v_cmp_gt_i32_e32 vcc_lo, s5, v60
	s_cselect_b32 s12, -1, 0
	s_or_b32 s12, s12, vcc_lo
	s_and_b32 exec_lo, exec_lo, s12
	s_cbranch_execz .LBB27_10
; %bb.8:
	v_mov_b32_e32 v61, s5
.LBB27_9:                               ; =>This Inner Loop Header: Depth=1
	ds_cmpst_rtn_b32 v61, v58, v61, v60 offset:448
	s_waitcnt lgkmcnt(0)
	v_cmp_ne_u32_e32 vcc_lo, 0, v61
	v_cmp_le_i32_e64 s5, v61, v60
	s_and_b32 s5, vcc_lo, s5
	s_and_b32 s5, exec_lo, s5
	s_or_b32 s9, s5, s9
	s_andn2_b32 exec_lo, exec_lo, s9
	s_cbranch_execnz .LBB27_9
.LBB27_10:
	s_or_b32 exec_lo, exec_lo, s8
	v_mov_b32_e32 v58, 0
	s_barrier
	buffer_gl0_inv
	ds_read_b32 v60, v58 offset:448
	s_and_saveexec_b32 s5, s4
	s_cbranch_execz .LBB27_12
; %bb.11:
	s_lshl_b64 s[8:9], s[6:7], 2
	s_add_u32 s8, s10, s8
	s_addc_u32 s9, s11, s9
	s_waitcnt lgkmcnt(0)
	global_store_dword v58, v60, s[8:9]
.LBB27_12:
	s_or_b32 exec_lo, exec_lo, s5
	s_waitcnt lgkmcnt(0)
	v_cmp_ne_u32_e32 vcc_lo, 0, v60
	s_mov_b32 s5, 0
	s_cbranch_vccnz .LBB27_120
; %bb.13:
	s_clause 0x1
	buffer_load_dword v60, v57, s[0:3], 0 offen
	buffer_load_dword v61, v57, s[0:3], 0 offen offset:4
	s_waitcnt vmcnt(0)
	v_div_scale_f64 v[62:63], null, v[60:61], v[60:61], 1.0
	v_div_scale_f64 v[68:69], vcc_lo, 1.0, v[60:61], 1.0
	v_rcp_f64_e32 v[64:65], v[62:63]
	v_fma_f64 v[66:67], -v[62:63], v[64:65], 1.0
	v_fma_f64 v[64:65], v[64:65], v[66:67], v[64:65]
	v_fma_f64 v[66:67], -v[62:63], v[64:65], 1.0
	v_fma_f64 v[64:65], v[64:65], v[66:67], v[64:65]
	v_mul_f64 v[66:67], v[68:69], v[64:65]
	v_fma_f64 v[62:63], -v[62:63], v[66:67], v[68:69]
	v_div_fmas_f64 v[62:63], v[62:63], v[64:65], v[66:67]
	v_div_fixup_f64 v[61:62], v[62:63], v[60:61], 1.0
	v_add_nc_u32_e32 v60, 0xe0, v59
	buffer_store_dword v62, v57, s[0:3], 0 offen offset:4
	buffer_store_dword v61, v57, s[0:3], 0 offen
	s_clause 0x1
	buffer_load_dword v64, off, s[0:3], 0 offset:12
	buffer_load_dword v63, off, s[0:3], 0 offset:8
	v_xor_b32_e32 v62, 0x80000000, v62
	s_waitcnt vmcnt(0)
	ds_write2_b64 v59, v[61:62], v[63:64] offset1:28
	s_waitcnt lgkmcnt(0)
	s_waitcnt_vscnt null, 0x0
	s_barrier
	buffer_gl0_inv
	s_and_saveexec_b32 s5, s4
	s_cbranch_execz .LBB27_15
; %bb.14:
	s_clause 0x1
	buffer_load_dword v61, v57, s[0:3], 0 offen
	buffer_load_dword v62, v57, s[0:3], 0 offen offset:4
	ds_read_b64 v[63:64], v60
	v_mov_b32_e32 v58, 0
	ds_read_b64 v[65:66], v58 offset:8
	s_waitcnt vmcnt(0) lgkmcnt(1)
	v_fma_f64 v[61:62], v[61:62], v[63:64], 0
	s_waitcnt lgkmcnt(0)
	v_mul_f64 v[61:62], v[61:62], v[65:66]
	buffer_store_dword v61, off, s[0:3], 0 offset:8
	buffer_store_dword v62, off, s[0:3], 0 offset:12
.LBB27_15:
	s_or_b32 exec_lo, exec_lo, s5
	s_waitcnt_vscnt null, 0x0
	s_barrier
	buffer_gl0_inv
	s_clause 0x1
	buffer_load_dword v61, off, s[0:3], 0 offset:16
	buffer_load_dword v62, off, s[0:3], 0 offset:20
	s_mov_b32 s5, exec_lo
	s_waitcnt vmcnt(0)
	ds_write_b64 v60, v[61:62]
	s_waitcnt lgkmcnt(0)
	s_barrier
	buffer_gl0_inv
	v_cmpx_gt_u32_e32 2, v0
	s_cbranch_execz .LBB27_19
; %bb.16:
	s_clause 0x1
	buffer_load_dword v61, v57, s[0:3], 0 offen
	buffer_load_dword v62, v57, s[0:3], 0 offen offset:4
	ds_read_b64 v[57:58], v60
	s_waitcnt vmcnt(0) lgkmcnt(0)
	v_fma_f64 v[57:58], v[61:62], v[57:58], 0
	s_and_saveexec_b32 s8, s4
	s_cbranch_execz .LBB27_18
; %bb.17:
	s_clause 0x1
	buffer_load_dword v61, off, s[0:3], 0 offset:8
	buffer_load_dword v62, off, s[0:3], 0 offset:12
	v_mov_b32_e32 v63, 0
	ds_read_b64 v[63:64], v63 offset:232
	s_waitcnt vmcnt(0) lgkmcnt(0)
	v_fma_f64 v[57:58], v[61:62], v[63:64], v[57:58]
.LBB27_18:
	s_or_b32 exec_lo, exec_lo, s8
	v_mov_b32_e32 v61, 0
	ds_read_b64 v[61:62], v61 offset:16
	s_waitcnt lgkmcnt(0)
	v_mul_f64 v[57:58], v[57:58], v[61:62]
	buffer_store_dword v58, off, s[0:3], 0 offset:20
	buffer_store_dword v57, off, s[0:3], 0 offset:16
.LBB27_19:
	s_or_b32 exec_lo, exec_lo, s5
	s_waitcnt_vscnt null, 0x0
	s_barrier
	buffer_gl0_inv
	s_clause 0x1
	buffer_load_dword v57, off, s[0:3], 0 offset:24
	buffer_load_dword v58, off, s[0:3], 0 offset:28
	v_add_nc_u32_e32 v61, -1, v0
	s_mov_b32 s4, exec_lo
	s_waitcnt vmcnt(0)
	ds_write_b64 v60, v[57:58]
	s_waitcnt lgkmcnt(0)
	s_barrier
	buffer_gl0_inv
	v_cmpx_gt_u32_e32 3, v0
	s_cbranch_execz .LBB27_23
; %bb.20:
	v_mov_b32_e32 v57, 0
	v_add_nc_u32_e32 v62, -1, v0
	v_add_nc_u32_e32 v63, 0xe0, v59
	v_mov_b32_e32 v58, 0
	v_mov_b32_e32 v64, v59
	s_mov_b32 s5, 0
.LBB27_21:                              ; =>This Inner Loop Header: Depth=1
	s_clause 0x1
	buffer_load_dword v65, v64, s[0:3], 0 offen
	buffer_load_dword v66, v64, s[0:3], 0 offen offset:4
	ds_read_b64 v[67:68], v63
	v_add_nc_u32_e32 v62, 1, v62
	v_add_nc_u32_e32 v63, 8, v63
	v_add_nc_u32_e32 v64, 8, v64
	v_cmp_lt_u32_e32 vcc_lo, 1, v62
	s_or_b32 s5, vcc_lo, s5
	s_waitcnt vmcnt(0) lgkmcnt(0)
	v_fma_f64 v[57:58], v[65:66], v[67:68], v[57:58]
	s_andn2_b32 exec_lo, exec_lo, s5
	s_cbranch_execnz .LBB27_21
; %bb.22:
	s_or_b32 exec_lo, exec_lo, s5
	v_mov_b32_e32 v62, 0
	ds_read_b64 v[62:63], v62 offset:24
	s_waitcnt lgkmcnt(0)
	v_mul_f64 v[57:58], v[57:58], v[62:63]
	buffer_store_dword v58, off, s[0:3], 0 offset:28
	buffer_store_dword v57, off, s[0:3], 0 offset:24
.LBB27_23:
	s_or_b32 exec_lo, exec_lo, s4
	s_waitcnt_vscnt null, 0x0
	s_barrier
	buffer_gl0_inv
	s_clause 0x1
	buffer_load_dword v57, off, s[0:3], 0 offset:32
	buffer_load_dword v58, off, s[0:3], 0 offset:36
	s_mov_b32 s4, exec_lo
	s_waitcnt vmcnt(0)
	ds_write_b64 v60, v[57:58]
	s_waitcnt lgkmcnt(0)
	s_barrier
	buffer_gl0_inv
	v_cmpx_gt_u32_e32 4, v0
	s_cbranch_execz .LBB27_27
; %bb.24:
	v_mov_b32_e32 v57, 0
	v_add_nc_u32_e32 v62, -1, v0
	v_add_nc_u32_e32 v63, 0xe0, v59
	v_mov_b32_e32 v58, 0
	v_mov_b32_e32 v64, v59
	s_mov_b32 s5, 0
.LBB27_25:                              ; =>This Inner Loop Header: Depth=1
	s_clause 0x1
	buffer_load_dword v65, v64, s[0:3], 0 offen
	buffer_load_dword v66, v64, s[0:3], 0 offen offset:4
	ds_read_b64 v[67:68], v63
	v_add_nc_u32_e32 v62, 1, v62
	v_add_nc_u32_e32 v63, 8, v63
	v_add_nc_u32_e32 v64, 8, v64
	v_cmp_lt_u32_e32 vcc_lo, 2, v62
	s_or_b32 s5, vcc_lo, s5
	s_waitcnt vmcnt(0) lgkmcnt(0)
	v_fma_f64 v[57:58], v[65:66], v[67:68], v[57:58]
	s_andn2_b32 exec_lo, exec_lo, s5
	s_cbranch_execnz .LBB27_25
; %bb.26:
	s_or_b32 exec_lo, exec_lo, s5
	v_mov_b32_e32 v62, 0
	ds_read_b64 v[62:63], v62 offset:32
	s_waitcnt lgkmcnt(0)
	v_mul_f64 v[57:58], v[57:58], v[62:63]
	buffer_store_dword v58, off, s[0:3], 0 offset:36
	buffer_store_dword v57, off, s[0:3], 0 offset:32
.LBB27_27:
	s_or_b32 exec_lo, exec_lo, s4
	s_waitcnt_vscnt null, 0x0
	s_barrier
	buffer_gl0_inv
	s_clause 0x1
	buffer_load_dword v57, off, s[0:3], 0 offset:40
	buffer_load_dword v58, off, s[0:3], 0 offset:44
	;; [unrolled: 45-line block ×20, first 2 shown]
	s_mov_b32 s4, exec_lo
	s_waitcnt vmcnt(0)
	ds_write_b64 v60, v[57:58]
	s_waitcnt lgkmcnt(0)
	s_barrier
	buffer_gl0_inv
	v_cmpx_gt_u32_e32 23, v0
	s_cbranch_execz .LBB27_103
; %bb.100:
	v_mov_b32_e32 v57, 0
	v_add_nc_u32_e32 v62, -1, v0
	v_add_nc_u32_e32 v63, 0xe0, v59
	v_mov_b32_e32 v58, 0
	v_mov_b32_e32 v64, v59
	s_mov_b32 s5, 0
.LBB27_101:                             ; =>This Inner Loop Header: Depth=1
	s_clause 0x1
	buffer_load_dword v65, v64, s[0:3], 0 offen
	buffer_load_dword v66, v64, s[0:3], 0 offen offset:4
	ds_read_b64 v[67:68], v63
	v_add_nc_u32_e32 v62, 1, v62
	v_add_nc_u32_e32 v63, 8, v63
	v_add_nc_u32_e32 v64, 8, v64
	v_cmp_lt_u32_e32 vcc_lo, 21, v62
	s_or_b32 s5, vcc_lo, s5
	s_waitcnt vmcnt(0) lgkmcnt(0)
	v_fma_f64 v[57:58], v[65:66], v[67:68], v[57:58]
	s_andn2_b32 exec_lo, exec_lo, s5
	s_cbranch_execnz .LBB27_101
; %bb.102:
	s_or_b32 exec_lo, exec_lo, s5
	v_mov_b32_e32 v62, 0
	ds_read_b64 v[62:63], v62 offset:184
	s_waitcnt lgkmcnt(0)
	v_mul_f64 v[57:58], v[57:58], v[62:63]
	buffer_store_dword v58, off, s[0:3], 0 offset:188
	buffer_store_dword v57, off, s[0:3], 0 offset:184
.LBB27_103:
	s_or_b32 exec_lo, exec_lo, s4
	s_waitcnt_vscnt null, 0x0
	s_barrier
	buffer_gl0_inv
	s_clause 0x1
	buffer_load_dword v57, off, s[0:3], 0 offset:192
	buffer_load_dword v58, off, s[0:3], 0 offset:196
	s_mov_b32 s4, exec_lo
	s_waitcnt vmcnt(0)
	ds_write_b64 v60, v[57:58]
	s_waitcnt lgkmcnt(0)
	s_barrier
	buffer_gl0_inv
	v_cmpx_gt_u32_e32 24, v0
	s_cbranch_execz .LBB27_107
; %bb.104:
	v_mov_b32_e32 v57, 0
	v_add_nc_u32_e32 v62, -1, v0
	v_add_nc_u32_e32 v63, 0xe0, v59
	v_mov_b32_e32 v58, 0
	v_mov_b32_e32 v64, v59
	s_mov_b32 s5, 0
.LBB27_105:                             ; =>This Inner Loop Header: Depth=1
	s_clause 0x1
	buffer_load_dword v65, v64, s[0:3], 0 offen
	buffer_load_dword v66, v64, s[0:3], 0 offen offset:4
	ds_read_b64 v[67:68], v63
	v_add_nc_u32_e32 v62, 1, v62
	v_add_nc_u32_e32 v63, 8, v63
	v_add_nc_u32_e32 v64, 8, v64
	v_cmp_lt_u32_e32 vcc_lo, 22, v62
	s_or_b32 s5, vcc_lo, s5
	s_waitcnt vmcnt(0) lgkmcnt(0)
	v_fma_f64 v[57:58], v[65:66], v[67:68], v[57:58]
	s_andn2_b32 exec_lo, exec_lo, s5
	s_cbranch_execnz .LBB27_105
; %bb.106:
	s_or_b32 exec_lo, exec_lo, s5
	v_mov_b32_e32 v62, 0
	ds_read_b64 v[62:63], v62 offset:192
	s_waitcnt lgkmcnt(0)
	v_mul_f64 v[57:58], v[57:58], v[62:63]
	buffer_store_dword v58, off, s[0:3], 0 offset:196
	buffer_store_dword v57, off, s[0:3], 0 offset:192
.LBB27_107:
	s_or_b32 exec_lo, exec_lo, s4
	s_waitcnt_vscnt null, 0x0
	s_barrier
	buffer_gl0_inv
	s_clause 0x1
	buffer_load_dword v57, off, s[0:3], 0 offset:200
	buffer_load_dword v58, off, s[0:3], 0 offset:204
	;; [unrolled: 45-line block ×4, first 2 shown]
	s_mov_b32 s4, exec_lo
	s_waitcnt vmcnt(0)
	ds_write_b64 v60, v[57:58]
	s_waitcnt lgkmcnt(0)
	s_barrier
	buffer_gl0_inv
	v_cmpx_ne_u32_e32 27, v0
	s_cbranch_execz .LBB27_119
; %bb.116:
	v_mov_b32_e32 v57, 0
	v_mov_b32_e32 v58, 0
	s_mov_b32 s5, 0
.LBB27_117:                             ; =>This Inner Loop Header: Depth=1
	s_clause 0x1
	buffer_load_dword v62, v59, s[0:3], 0 offen
	buffer_load_dword v63, v59, s[0:3], 0 offen offset:4
	ds_read_b64 v[64:65], v60
	v_add_nc_u32_e32 v61, 1, v61
	v_add_nc_u32_e32 v60, 8, v60
	;; [unrolled: 1-line block ×3, first 2 shown]
	v_cmp_lt_u32_e32 vcc_lo, 25, v61
	s_or_b32 s5, vcc_lo, s5
	s_waitcnt vmcnt(0) lgkmcnt(0)
	v_fma_f64 v[57:58], v[62:63], v[64:65], v[57:58]
	s_andn2_b32 exec_lo, exec_lo, s5
	s_cbranch_execnz .LBB27_117
; %bb.118:
	s_or_b32 exec_lo, exec_lo, s5
	v_mov_b32_e32 v59, 0
	ds_read_b64 v[59:60], v59 offset:216
	s_waitcnt lgkmcnt(0)
	v_mul_f64 v[57:58], v[57:58], v[59:60]
	buffer_store_dword v58, off, s[0:3], 0 offset:220
	buffer_store_dword v57, off, s[0:3], 0 offset:216
.LBB27_119:
	s_or_b32 exec_lo, exec_lo, s4
	s_mov_b32 s5, -1
	s_waitcnt_vscnt null, 0x0
	s_barrier
	buffer_gl0_inv
.LBB27_120:
	s_and_b32 vcc_lo, exec_lo, s5
	s_cbranch_vccz .LBB27_122
; %bb.121:
	s_lshl_b64 s[4:5], s[6:7], 2
	v_mov_b32_e32 v57, 0
	s_add_u32 s4, s10, s4
	s_addc_u32 s5, s11, s5
	global_load_dword v57, v57, s[4:5]
	s_waitcnt vmcnt(0)
	v_cmp_ne_u32_e32 vcc_lo, 0, v57
	s_cbranch_vccz .LBB27_123
.LBB27_122:
	s_endpgm
.LBB27_123:
	v_lshl_add_u32 v57, v0, 3, 0xe0
	s_mov_b32 s4, exec_lo
	v_cmpx_eq_u32_e32 27, v0
	s_cbranch_execz .LBB27_125
; %bb.124:
	s_clause 0x1
	buffer_load_dword v58, off, s[0:3], 0 offset:208
	buffer_load_dword v59, off, s[0:3], 0 offset:212
	v_mov_b32_e32 v60, 0
	buffer_store_dword v60, off, s[0:3], 0 offset:208
	buffer_store_dword v60, off, s[0:3], 0 offset:212
	s_waitcnt vmcnt(0)
	ds_write_b64 v57, v[58:59]
.LBB27_125:
	s_or_b32 exec_lo, exec_lo, s4
	s_waitcnt lgkmcnt(0)
	s_waitcnt_vscnt null, 0x0
	s_barrier
	buffer_gl0_inv
	s_clause 0x3
	buffer_load_dword v59, off, s[0:3], 0 offset:216
	buffer_load_dword v60, off, s[0:3], 0 offset:220
	;; [unrolled: 1-line block ×4, first 2 shown]
	v_mov_b32_e32 v58, 0
	s_mov_b32 s4, exec_lo
	ds_read_b64 v[63:64], v58 offset:440
	s_waitcnt vmcnt(2) lgkmcnt(0)
	v_fma_f64 v[59:60], v[59:60], v[63:64], 0
	s_waitcnt vmcnt(0)
	v_add_f64 v[59:60], v[61:62], -v[59:60]
	buffer_store_dword v59, off, s[0:3], 0 offset:208
	buffer_store_dword v60, off, s[0:3], 0 offset:212
	v_cmpx_lt_u32_e32 25, v0
	s_cbranch_execz .LBB27_127
; %bb.126:
	s_clause 0x1
	buffer_load_dword v59, off, s[0:3], 0 offset:200
	buffer_load_dword v60, off, s[0:3], 0 offset:204
	buffer_store_dword v58, off, s[0:3], 0 offset:200
	buffer_store_dword v58, off, s[0:3], 0 offset:204
	s_waitcnt vmcnt(0)
	ds_write_b64 v57, v[59:60]
.LBB27_127:
	s_or_b32 exec_lo, exec_lo, s4
	s_waitcnt lgkmcnt(0)
	s_waitcnt_vscnt null, 0x0
	s_barrier
	buffer_gl0_inv
	s_clause 0x5
	buffer_load_dword v62, off, s[0:3], 0 offset:208
	buffer_load_dword v63, off, s[0:3], 0 offset:212
	;; [unrolled: 1-line block ×6, first 2 shown]
	ds_read_b128 v[58:61], v58 offset:432
	s_mov_b32 s4, exec_lo
	s_waitcnt vmcnt(4) lgkmcnt(0)
	v_fma_f64 v[58:59], v[62:63], v[58:59], 0
	s_waitcnt vmcnt(2)
	v_fma_f64 v[58:59], v[64:65], v[60:61], v[58:59]
	s_waitcnt vmcnt(0)
	v_add_f64 v[58:59], v[66:67], -v[58:59]
	buffer_store_dword v58, off, s[0:3], 0 offset:200
	buffer_store_dword v59, off, s[0:3], 0 offset:204
	v_cmpx_lt_u32_e32 24, v0
	s_cbranch_execz .LBB27_129
; %bb.128:
	s_clause 0x1
	buffer_load_dword v58, off, s[0:3], 0 offset:192
	buffer_load_dword v59, off, s[0:3], 0 offset:196
	v_mov_b32_e32 v60, 0
	buffer_store_dword v60, off, s[0:3], 0 offset:192
	buffer_store_dword v60, off, s[0:3], 0 offset:196
	s_waitcnt vmcnt(0)
	ds_write_b64 v57, v[58:59]
.LBB27_129:
	s_or_b32 exec_lo, exec_lo, s4
	s_waitcnt lgkmcnt(0)
	s_waitcnt_vscnt null, 0x0
	s_barrier
	buffer_gl0_inv
	s_clause 0x7
	buffer_load_dword v63, off, s[0:3], 0 offset:200
	buffer_load_dword v64, off, s[0:3], 0 offset:204
	;; [unrolled: 1-line block ×8, first 2 shown]
	v_mov_b32_e32 v58, 0
	ds_read2_b64 v[59:62], v58 offset0:53 offset1:54
	ds_read_b64 v[71:72], v58 offset:440
	s_mov_b32 s4, exec_lo
	s_waitcnt vmcnt(6) lgkmcnt(1)
	v_fma_f64 v[59:60], v[63:64], v[59:60], 0
	s_waitcnt vmcnt(4)
	v_fma_f64 v[59:60], v[65:66], v[61:62], v[59:60]
	s_waitcnt vmcnt(2) lgkmcnt(0)
	v_fma_f64 v[59:60], v[67:68], v[71:72], v[59:60]
	s_waitcnt vmcnt(0)
	v_add_f64 v[59:60], v[69:70], -v[59:60]
	buffer_store_dword v59, off, s[0:3], 0 offset:192
	buffer_store_dword v60, off, s[0:3], 0 offset:196
	v_cmpx_lt_u32_e32 23, v0
	s_cbranch_execz .LBB27_131
; %bb.130:
	s_clause 0x1
	buffer_load_dword v59, off, s[0:3], 0 offset:184
	buffer_load_dword v60, off, s[0:3], 0 offset:188
	buffer_store_dword v58, off, s[0:3], 0 offset:184
	buffer_store_dword v58, off, s[0:3], 0 offset:188
	s_waitcnt vmcnt(0)
	ds_write_b64 v57, v[59:60]
.LBB27_131:
	s_or_b32 exec_lo, exec_lo, s4
	s_waitcnt lgkmcnt(0)
	s_waitcnt_vscnt null, 0x0
	s_barrier
	buffer_gl0_inv
	s_clause 0x9
	buffer_load_dword v67, off, s[0:3], 0 offset:192
	buffer_load_dword v68, off, s[0:3], 0 offset:196
	;; [unrolled: 1-line block ×10, first 2 shown]
	ds_read_b128 v[59:62], v58 offset:416
	ds_read_b128 v[63:66], v58 offset:432
	s_mov_b32 s4, exec_lo
	s_waitcnt vmcnt(8) lgkmcnt(1)
	v_fma_f64 v[58:59], v[67:68], v[59:60], 0
	s_waitcnt vmcnt(6)
	v_fma_f64 v[58:59], v[69:70], v[61:62], v[58:59]
	s_waitcnt vmcnt(4) lgkmcnt(0)
	v_fma_f64 v[58:59], v[71:72], v[63:64], v[58:59]
	s_waitcnt vmcnt(2)
	v_fma_f64 v[58:59], v[73:74], v[65:66], v[58:59]
	s_waitcnt vmcnt(0)
	v_add_f64 v[58:59], v[75:76], -v[58:59]
	buffer_store_dword v58, off, s[0:3], 0 offset:184
	buffer_store_dword v59, off, s[0:3], 0 offset:188
	v_cmpx_lt_u32_e32 22, v0
	s_cbranch_execz .LBB27_133
; %bb.132:
	s_clause 0x1
	buffer_load_dword v58, off, s[0:3], 0 offset:176
	buffer_load_dword v59, off, s[0:3], 0 offset:180
	v_mov_b32_e32 v60, 0
	buffer_store_dword v60, off, s[0:3], 0 offset:176
	buffer_store_dword v60, off, s[0:3], 0 offset:180
	s_waitcnt vmcnt(0)
	ds_write_b64 v57, v[58:59]
.LBB27_133:
	s_or_b32 exec_lo, exec_lo, s4
	s_waitcnt lgkmcnt(0)
	s_waitcnt_vscnt null, 0x0
	s_barrier
	buffer_gl0_inv
	s_clause 0xb
	buffer_load_dword v67, off, s[0:3], 0 offset:184
	buffer_load_dword v68, off, s[0:3], 0 offset:188
	;; [unrolled: 1-line block ×12, first 2 shown]
	v_mov_b32_e32 v58, 0
	ds_read2_b64 v[59:62], v58 offset0:51 offset1:52
	ds_read2_b64 v[63:66], v58 offset0:53 offset1:54
	s_mov_b32 s4, exec_lo
	s_waitcnt vmcnt(10) lgkmcnt(1)
	v_fma_f64 v[59:60], v[67:68], v[59:60], 0
	s_waitcnt vmcnt(8)
	v_fma_f64 v[59:60], v[69:70], v[61:62], v[59:60]
	ds_read_b64 v[61:62], v58 offset:440
	s_waitcnt vmcnt(6) lgkmcnt(1)
	v_fma_f64 v[59:60], v[71:72], v[63:64], v[59:60]
	s_waitcnt vmcnt(4)
	v_fma_f64 v[59:60], v[73:74], v[65:66], v[59:60]
	s_waitcnt vmcnt(2) lgkmcnt(0)
	v_fma_f64 v[59:60], v[75:76], v[61:62], v[59:60]
	s_waitcnt vmcnt(0)
	v_add_f64 v[59:60], v[77:78], -v[59:60]
	buffer_store_dword v59, off, s[0:3], 0 offset:176
	buffer_store_dword v60, off, s[0:3], 0 offset:180
	v_cmpx_lt_u32_e32 21, v0
	s_cbranch_execz .LBB27_135
; %bb.134:
	s_clause 0x1
	buffer_load_dword v59, off, s[0:3], 0 offset:168
	buffer_load_dword v60, off, s[0:3], 0 offset:172
	buffer_store_dword v58, off, s[0:3], 0 offset:168
	buffer_store_dword v58, off, s[0:3], 0 offset:172
	s_waitcnt vmcnt(0)
	ds_write_b64 v57, v[59:60]
.LBB27_135:
	s_or_b32 exec_lo, exec_lo, s4
	s_waitcnt lgkmcnt(0)
	s_waitcnt_vscnt null, 0x0
	s_barrier
	buffer_gl0_inv
	s_clause 0xd
	buffer_load_dword v67, off, s[0:3], 0 offset:176
	buffer_load_dword v68, off, s[0:3], 0 offset:180
	;; [unrolled: 1-line block ×14, first 2 shown]
	ds_read_b128 v[59:62], v58 offset:400
	ds_read_b128 v[63:66], v58 offset:416
	s_mov_b32 s4, exec_lo
	s_waitcnt vmcnt(12) lgkmcnt(1)
	v_fma_f64 v[59:60], v[67:68], v[59:60], 0
	s_waitcnt vmcnt(10)
	v_fma_f64 v[59:60], v[69:70], v[61:62], v[59:60]
	s_waitcnt vmcnt(8) lgkmcnt(0)
	v_fma_f64 v[59:60], v[71:72], v[63:64], v[59:60]
	s_waitcnt vmcnt(6)
	v_fma_f64 v[62:63], v[73:74], v[65:66], v[59:60]
	ds_read_b128 v[58:61], v58 offset:432
	s_waitcnt vmcnt(4) lgkmcnt(0)
	v_fma_f64 v[58:59], v[75:76], v[58:59], v[62:63]
	s_waitcnt vmcnt(2)
	v_fma_f64 v[58:59], v[77:78], v[60:61], v[58:59]
	s_waitcnt vmcnt(0)
	v_add_f64 v[58:59], v[79:80], -v[58:59]
	buffer_store_dword v58, off, s[0:3], 0 offset:168
	buffer_store_dword v59, off, s[0:3], 0 offset:172
	v_cmpx_lt_u32_e32 20, v0
	s_cbranch_execz .LBB27_137
; %bb.136:
	s_clause 0x1
	buffer_load_dword v58, off, s[0:3], 0 offset:160
	buffer_load_dword v59, off, s[0:3], 0 offset:164
	v_mov_b32_e32 v60, 0
	buffer_store_dword v60, off, s[0:3], 0 offset:160
	buffer_store_dword v60, off, s[0:3], 0 offset:164
	s_waitcnt vmcnt(0)
	ds_write_b64 v57, v[58:59]
.LBB27_137:
	s_or_b32 exec_lo, exec_lo, s4
	s_waitcnt lgkmcnt(0)
	s_waitcnt_vscnt null, 0x0
	s_barrier
	buffer_gl0_inv
	s_clause 0xf
	buffer_load_dword v67, off, s[0:3], 0 offset:168
	buffer_load_dword v68, off, s[0:3], 0 offset:172
	;; [unrolled: 1-line block ×16, first 2 shown]
	v_mov_b32_e32 v58, 0
	ds_read2_b64 v[59:62], v58 offset0:49 offset1:50
	ds_read2_b64 v[63:66], v58 offset0:51 offset1:52
	s_mov_b32 s4, exec_lo
	s_waitcnt vmcnt(14) lgkmcnt(1)
	v_fma_f64 v[59:60], v[67:68], v[59:60], 0
	s_waitcnt vmcnt(12)
	v_fma_f64 v[59:60], v[69:70], v[61:62], v[59:60]
	s_waitcnt vmcnt(10) lgkmcnt(0)
	v_fma_f64 v[59:60], v[71:72], v[63:64], v[59:60]
	s_waitcnt vmcnt(8)
	v_fma_f64 v[63:64], v[73:74], v[65:66], v[59:60]
	ds_read2_b64 v[59:62], v58 offset0:53 offset1:54
	ds_read_b64 v[65:66], v58 offset:440
	s_waitcnt vmcnt(6) lgkmcnt(1)
	v_fma_f64 v[59:60], v[75:76], v[59:60], v[63:64]
	s_waitcnt vmcnt(4)
	v_fma_f64 v[59:60], v[77:78], v[61:62], v[59:60]
	s_waitcnt vmcnt(2) lgkmcnt(0)
	v_fma_f64 v[59:60], v[79:80], v[65:66], v[59:60]
	s_waitcnt vmcnt(0)
	v_add_f64 v[59:60], v[81:82], -v[59:60]
	buffer_store_dword v59, off, s[0:3], 0 offset:160
	buffer_store_dword v60, off, s[0:3], 0 offset:164
	v_cmpx_lt_u32_e32 19, v0
	s_cbranch_execz .LBB27_139
; %bb.138:
	s_clause 0x1
	buffer_load_dword v59, off, s[0:3], 0 offset:152
	buffer_load_dword v60, off, s[0:3], 0 offset:156
	buffer_store_dword v58, off, s[0:3], 0 offset:152
	buffer_store_dword v58, off, s[0:3], 0 offset:156
	s_waitcnt vmcnt(0)
	ds_write_b64 v57, v[59:60]
.LBB27_139:
	s_or_b32 exec_lo, exec_lo, s4
	s_waitcnt lgkmcnt(0)
	s_waitcnt_vscnt null, 0x0
	s_barrier
	buffer_gl0_inv
	s_clause 0x11
	buffer_load_dword v67, off, s[0:3], 0 offset:160
	buffer_load_dword v68, off, s[0:3], 0 offset:164
	;; [unrolled: 1-line block ×18, first 2 shown]
	ds_read_b128 v[59:62], v58 offset:384
	ds_read_b128 v[63:66], v58 offset:400
	s_mov_b32 s4, exec_lo
	s_waitcnt vmcnt(16) lgkmcnt(1)
	v_fma_f64 v[59:60], v[67:68], v[59:60], 0
	s_waitcnt vmcnt(14)
	v_fma_f64 v[59:60], v[69:70], v[61:62], v[59:60]
	s_waitcnt vmcnt(12) lgkmcnt(0)
	v_fma_f64 v[59:60], v[71:72], v[63:64], v[59:60]
	s_waitcnt vmcnt(10)
	v_fma_f64 v[67:68], v[73:74], v[65:66], v[59:60]
	ds_read_b128 v[59:62], v58 offset:416
	ds_read_b128 v[63:66], v58 offset:432
	s_waitcnt vmcnt(8) lgkmcnt(1)
	v_fma_f64 v[58:59], v[75:76], v[59:60], v[67:68]
	s_waitcnt vmcnt(6)
	v_fma_f64 v[58:59], v[77:78], v[61:62], v[58:59]
	s_waitcnt vmcnt(4) lgkmcnt(0)
	v_fma_f64 v[58:59], v[79:80], v[63:64], v[58:59]
	s_waitcnt vmcnt(2)
	v_fma_f64 v[58:59], v[81:82], v[65:66], v[58:59]
	s_waitcnt vmcnt(0)
	v_add_f64 v[58:59], v[83:84], -v[58:59]
	buffer_store_dword v58, off, s[0:3], 0 offset:152
	buffer_store_dword v59, off, s[0:3], 0 offset:156
	v_cmpx_lt_u32_e32 18, v0
	s_cbranch_execz .LBB27_141
; %bb.140:
	s_clause 0x1
	buffer_load_dword v58, off, s[0:3], 0 offset:144
	buffer_load_dword v59, off, s[0:3], 0 offset:148
	v_mov_b32_e32 v60, 0
	buffer_store_dword v60, off, s[0:3], 0 offset:144
	buffer_store_dword v60, off, s[0:3], 0 offset:148
	s_waitcnt vmcnt(0)
	ds_write_b64 v57, v[58:59]
.LBB27_141:
	s_or_b32 exec_lo, exec_lo, s4
	s_waitcnt lgkmcnt(0)
	s_waitcnt_vscnt null, 0x0
	s_barrier
	buffer_gl0_inv
	s_clause 0x13
	buffer_load_dword v67, off, s[0:3], 0 offset:152
	buffer_load_dword v68, off, s[0:3], 0 offset:156
	;; [unrolled: 1-line block ×20, first 2 shown]
	v_mov_b32_e32 v58, 0
	ds_read2_b64 v[59:62], v58 offset0:47 offset1:48
	ds_read2_b64 v[63:66], v58 offset0:49 offset1:50
	s_mov_b32 s4, exec_lo
	s_waitcnt vmcnt(18) lgkmcnt(1)
	v_fma_f64 v[59:60], v[67:68], v[59:60], 0
	s_waitcnt vmcnt(16)
	v_fma_f64 v[59:60], v[69:70], v[61:62], v[59:60]
	s_waitcnt vmcnt(14) lgkmcnt(0)
	v_fma_f64 v[59:60], v[71:72], v[63:64], v[59:60]
	s_waitcnt vmcnt(12)
	v_fma_f64 v[67:68], v[73:74], v[65:66], v[59:60]
	ds_read2_b64 v[59:62], v58 offset0:51 offset1:52
	ds_read2_b64 v[63:66], v58 offset0:53 offset1:54
	s_waitcnt vmcnt(10) lgkmcnt(1)
	v_fma_f64 v[59:60], v[75:76], v[59:60], v[67:68]
	s_waitcnt vmcnt(8)
	v_fma_f64 v[59:60], v[77:78], v[61:62], v[59:60]
	ds_read_b64 v[61:62], v58 offset:440
	s_waitcnt vmcnt(6) lgkmcnt(1)
	v_fma_f64 v[59:60], v[79:80], v[63:64], v[59:60]
	s_waitcnt vmcnt(3)
	v_fma_f64 v[59:60], v[81:82], v[65:66], v[59:60]
	s_waitcnt vmcnt(2) lgkmcnt(0)
	v_fma_f64 v[59:60], v[83:84], v[61:62], v[59:60]
	s_waitcnt vmcnt(0)
	v_add_f64 v[59:60], v[85:86], -v[59:60]
	buffer_store_dword v59, off, s[0:3], 0 offset:144
	buffer_store_dword v60, off, s[0:3], 0 offset:148
	v_cmpx_lt_u32_e32 17, v0
	s_cbranch_execz .LBB27_143
; %bb.142:
	s_clause 0x1
	buffer_load_dword v59, off, s[0:3], 0 offset:136
	buffer_load_dword v60, off, s[0:3], 0 offset:140
	buffer_store_dword v58, off, s[0:3], 0 offset:136
	buffer_store_dword v58, off, s[0:3], 0 offset:140
	s_waitcnt vmcnt(0)
	ds_write_b64 v57, v[59:60]
.LBB27_143:
	s_or_b32 exec_lo, exec_lo, s4
	s_waitcnt lgkmcnt(0)
	s_waitcnt_vscnt null, 0x0
	s_barrier
	buffer_gl0_inv
	s_clause 0x15
	buffer_load_dword v67, off, s[0:3], 0 offset:144
	buffer_load_dword v68, off, s[0:3], 0 offset:148
	;; [unrolled: 1-line block ×22, first 2 shown]
	ds_read_b128 v[59:62], v58 offset:368
	ds_read_b128 v[63:66], v58 offset:384
	s_mov_b32 s4, exec_lo
	s_waitcnt vmcnt(20) lgkmcnt(1)
	v_fma_f64 v[59:60], v[67:68], v[59:60], 0
	s_waitcnt vmcnt(18)
	v_fma_f64 v[59:60], v[69:70], v[61:62], v[59:60]
	s_waitcnt vmcnt(16) lgkmcnt(0)
	v_fma_f64 v[59:60], v[71:72], v[63:64], v[59:60]
	s_waitcnt vmcnt(14)
	v_fma_f64 v[67:68], v[73:74], v[65:66], v[59:60]
	ds_read_b128 v[59:62], v58 offset:400
	ds_read_b128 v[63:66], v58 offset:416
	s_waitcnt vmcnt(12) lgkmcnt(1)
	v_fma_f64 v[59:60], v[75:76], v[59:60], v[67:68]
	s_waitcnt vmcnt(10)
	v_fma_f64 v[59:60], v[77:78], v[61:62], v[59:60]
	s_waitcnt vmcnt(8) lgkmcnt(0)
	v_fma_f64 v[59:60], v[79:80], v[63:64], v[59:60]
	s_waitcnt vmcnt(4)
	v_fma_f64 v[62:63], v[81:82], v[65:66], v[59:60]
	ds_read_b128 v[58:61], v58 offset:432
	s_waitcnt vmcnt(3) lgkmcnt(0)
	v_fma_f64 v[58:59], v[85:86], v[58:59], v[62:63]
	s_waitcnt vmcnt(2)
	v_fma_f64 v[58:59], v[83:84], v[60:61], v[58:59]
	s_waitcnt vmcnt(0)
	v_add_f64 v[58:59], v[87:88], -v[58:59]
	buffer_store_dword v58, off, s[0:3], 0 offset:136
	buffer_store_dword v59, off, s[0:3], 0 offset:140
	v_cmpx_lt_u32_e32 16, v0
	s_cbranch_execz .LBB27_145
; %bb.144:
	s_clause 0x1
	buffer_load_dword v58, off, s[0:3], 0 offset:128
	buffer_load_dword v59, off, s[0:3], 0 offset:132
	v_mov_b32_e32 v60, 0
	buffer_store_dword v60, off, s[0:3], 0 offset:128
	buffer_store_dword v60, off, s[0:3], 0 offset:132
	s_waitcnt vmcnt(0)
	ds_write_b64 v57, v[58:59]
.LBB27_145:
	s_or_b32 exec_lo, exec_lo, s4
	s_waitcnt lgkmcnt(0)
	s_waitcnt_vscnt null, 0x0
	s_barrier
	buffer_gl0_inv
	s_clause 0x17
	buffer_load_dword v67, off, s[0:3], 0 offset:136
	buffer_load_dword v68, off, s[0:3], 0 offset:140
	;; [unrolled: 1-line block ×24, first 2 shown]
	v_mov_b32_e32 v58, 0
	ds_read2_b64 v[59:62], v58 offset0:45 offset1:46
	ds_read2_b64 v[63:66], v58 offset0:47 offset1:48
	s_mov_b32 s4, exec_lo
	s_waitcnt vmcnt(22) lgkmcnt(1)
	v_fma_f64 v[59:60], v[67:68], v[59:60], 0
	s_waitcnt vmcnt(20)
	v_fma_f64 v[59:60], v[69:70], v[61:62], v[59:60]
	s_waitcnt vmcnt(18) lgkmcnt(0)
	v_fma_f64 v[59:60], v[71:72], v[63:64], v[59:60]
	s_waitcnt vmcnt(16)
	v_fma_f64 v[67:68], v[73:74], v[65:66], v[59:60]
	ds_read2_b64 v[59:62], v58 offset0:49 offset1:50
	ds_read2_b64 v[63:66], v58 offset0:51 offset1:52
	s_waitcnt vmcnt(14) lgkmcnt(1)
	v_fma_f64 v[59:60], v[75:76], v[59:60], v[67:68]
	s_waitcnt vmcnt(12)
	v_fma_f64 v[59:60], v[77:78], v[61:62], v[59:60]
	s_waitcnt vmcnt(10) lgkmcnt(0)
	v_fma_f64 v[59:60], v[79:80], v[63:64], v[59:60]
	s_waitcnt vmcnt(5)
	v_fma_f64 v[63:64], v[81:82], v[65:66], v[59:60]
	ds_read2_b64 v[59:62], v58 offset0:53 offset1:54
	ds_read_b64 v[65:66], v58 offset:440
	s_waitcnt vmcnt(4) lgkmcnt(1)
	v_fma_f64 v[59:60], v[87:88], v[59:60], v[63:64]
	s_waitcnt vmcnt(3)
	v_fma_f64 v[59:60], v[85:86], v[61:62], v[59:60]
	s_waitcnt vmcnt(2) lgkmcnt(0)
	v_fma_f64 v[59:60], v[83:84], v[65:66], v[59:60]
	s_waitcnt vmcnt(0)
	v_add_f64 v[59:60], v[89:90], -v[59:60]
	buffer_store_dword v60, off, s[0:3], 0 offset:132
	buffer_store_dword v59, off, s[0:3], 0 offset:128
	v_cmpx_lt_u32_e32 15, v0
	s_cbranch_execz .LBB27_147
; %bb.146:
	s_clause 0x1
	buffer_load_dword v59, off, s[0:3], 0 offset:120
	buffer_load_dword v60, off, s[0:3], 0 offset:124
	buffer_store_dword v58, off, s[0:3], 0 offset:120
	buffer_store_dword v58, off, s[0:3], 0 offset:124
	s_waitcnt vmcnt(0)
	ds_write_b64 v57, v[59:60]
.LBB27_147:
	s_or_b32 exec_lo, exec_lo, s4
	s_waitcnt lgkmcnt(0)
	s_waitcnt_vscnt null, 0x0
	s_barrier
	buffer_gl0_inv
	s_clause 0x19
	buffer_load_dword v67, off, s[0:3], 0 offset:128
	buffer_load_dword v68, off, s[0:3], 0 offset:132
	;; [unrolled: 1-line block ×26, first 2 shown]
	ds_read_b128 v[59:62], v58 offset:352
	ds_read_b128 v[63:66], v58 offset:368
	s_mov_b32 s4, exec_lo
	s_waitcnt vmcnt(24) lgkmcnt(1)
	v_fma_f64 v[59:60], v[67:68], v[59:60], 0
	s_waitcnt vmcnt(22)
	v_fma_f64 v[59:60], v[69:70], v[61:62], v[59:60]
	s_waitcnt vmcnt(20) lgkmcnt(0)
	v_fma_f64 v[59:60], v[71:72], v[63:64], v[59:60]
	s_waitcnt vmcnt(18)
	v_fma_f64 v[67:68], v[73:74], v[65:66], v[59:60]
	ds_read_b128 v[59:62], v58 offset:384
	ds_read_b128 v[63:66], v58 offset:400
	s_waitcnt vmcnt(16) lgkmcnt(1)
	v_fma_f64 v[59:60], v[75:76], v[59:60], v[67:68]
	s_waitcnt vmcnt(14)
	v_fma_f64 v[59:60], v[77:78], v[61:62], v[59:60]
	s_waitcnt vmcnt(12) lgkmcnt(0)
	v_fma_f64 v[59:60], v[79:80], v[63:64], v[59:60]
	s_waitcnt vmcnt(7)
	v_fma_f64 v[67:68], v[81:82], v[65:66], v[59:60]
	ds_read_b128 v[59:62], v58 offset:416
	ds_read_b128 v[63:66], v58 offset:432
	s_waitcnt vmcnt(6) lgkmcnt(1)
	v_fma_f64 v[58:59], v[87:88], v[59:60], v[67:68]
	s_waitcnt vmcnt(5)
	v_fma_f64 v[58:59], v[85:86], v[61:62], v[58:59]
	s_waitcnt vmcnt(4) lgkmcnt(0)
	v_fma_f64 v[58:59], v[83:84], v[63:64], v[58:59]
	s_waitcnt vmcnt(2)
	v_fma_f64 v[58:59], v[89:90], v[65:66], v[58:59]
	s_waitcnt vmcnt(0)
	v_add_f64 v[58:59], v[91:92], -v[58:59]
	buffer_store_dword v59, off, s[0:3], 0 offset:124
	buffer_store_dword v58, off, s[0:3], 0 offset:120
	v_cmpx_lt_u32_e32 14, v0
	s_cbranch_execz .LBB27_149
; %bb.148:
	s_clause 0x1
	buffer_load_dword v58, off, s[0:3], 0 offset:112
	buffer_load_dword v59, off, s[0:3], 0 offset:116
	v_mov_b32_e32 v60, 0
	buffer_store_dword v60, off, s[0:3], 0 offset:112
	buffer_store_dword v60, off, s[0:3], 0 offset:116
	s_waitcnt vmcnt(0)
	ds_write_b64 v57, v[58:59]
.LBB27_149:
	s_or_b32 exec_lo, exec_lo, s4
	s_waitcnt lgkmcnt(0)
	s_waitcnt_vscnt null, 0x0
	s_barrier
	buffer_gl0_inv
	s_clause 0x1b
	buffer_load_dword v63, off, s[0:3], 0 offset:120
	buffer_load_dword v64, off, s[0:3], 0 offset:124
	;; [unrolled: 1-line block ×28, first 2 shown]
	v_mov_b32_e32 v58, 0
	s_mov_b32 s4, exec_lo
	ds_read2_b64 v[59:62], v58 offset0:43 offset1:44
	s_waitcnt vmcnt(26) lgkmcnt(0)
	v_fma_f64 v[59:60], v[63:64], v[59:60], 0
	s_waitcnt vmcnt(24)
	v_fma_f64 v[63:64], v[65:66], v[61:62], v[59:60]
	ds_read2_b64 v[59:62], v58 offset0:45 offset1:46
	s_waitcnt vmcnt(22) lgkmcnt(0)
	v_fma_f64 v[59:60], v[67:68], v[59:60], v[63:64]
	s_waitcnt vmcnt(20)
	v_fma_f64 v[63:64], v[69:70], v[61:62], v[59:60]
	;; [unrolled: 5-line block ×6, first 2 shown]
	ds_read_b64 v[61:62], v58 offset:440
	s_waitcnt vmcnt(2) lgkmcnt(0)
	v_fma_f64 v[59:60], v[87:88], v[61:62], v[59:60]
	s_waitcnt vmcnt(0)
	v_add_f64 v[59:60], v[89:90], -v[59:60]
	buffer_store_dword v60, off, s[0:3], 0 offset:116
	buffer_store_dword v59, off, s[0:3], 0 offset:112
	v_cmpx_lt_u32_e32 13, v0
	s_cbranch_execz .LBB27_151
; %bb.150:
	s_clause 0x1
	buffer_load_dword v59, off, s[0:3], 0 offset:104
	buffer_load_dword v60, off, s[0:3], 0 offset:108
	buffer_store_dword v58, off, s[0:3], 0 offset:104
	buffer_store_dword v58, off, s[0:3], 0 offset:108
	s_waitcnt vmcnt(0)
	ds_write_b64 v57, v[59:60]
.LBB27_151:
	s_or_b32 exec_lo, exec_lo, s4
	s_waitcnt lgkmcnt(0)
	s_waitcnt_vscnt null, 0x0
	s_barrier
	buffer_gl0_inv
	s_clause 0x1b
	buffer_load_dword v63, off, s[0:3], 0 offset:112
	buffer_load_dword v64, off, s[0:3], 0 offset:116
	;; [unrolled: 1-line block ×28, first 2 shown]
	ds_read_b128 v[59:62], v58 offset:336
	s_clause 0x1
	buffer_load_dword v91, off, s[0:3], 0 offset:104
	buffer_load_dword v92, off, s[0:3], 0 offset:108
	s_mov_b32 s4, exec_lo
	s_waitcnt vmcnt(28) lgkmcnt(0)
	v_fma_f64 v[59:60], v[63:64], v[59:60], 0
	s_waitcnt vmcnt(26)
	v_fma_f64 v[63:64], v[65:66], v[61:62], v[59:60]
	ds_read_b128 v[59:62], v58 offset:352
	s_waitcnt vmcnt(24) lgkmcnt(0)
	v_fma_f64 v[59:60], v[67:68], v[59:60], v[63:64]
	s_waitcnt vmcnt(22)
	v_fma_f64 v[63:64], v[69:70], v[61:62], v[59:60]
	ds_read_b128 v[59:62], v58 offset:368
	;; [unrolled: 5-line block ×6, first 2 shown]
	s_waitcnt vmcnt(4) lgkmcnt(0)
	v_fma_f64 v[58:59], v[87:88], v[58:59], v[62:63]
	s_waitcnt vmcnt(2)
	v_fma_f64 v[58:59], v[89:90], v[60:61], v[58:59]
	s_waitcnt vmcnt(0)
	v_add_f64 v[58:59], v[91:92], -v[58:59]
	buffer_store_dword v59, off, s[0:3], 0 offset:108
	buffer_store_dword v58, off, s[0:3], 0 offset:104
	v_cmpx_lt_u32_e32 12, v0
	s_cbranch_execz .LBB27_153
; %bb.152:
	s_clause 0x1
	buffer_load_dword v58, off, s[0:3], 0 offset:96
	buffer_load_dword v59, off, s[0:3], 0 offset:100
	v_mov_b32_e32 v60, 0
	buffer_store_dword v60, off, s[0:3], 0 offset:96
	buffer_store_dword v60, off, s[0:3], 0 offset:100
	s_waitcnt vmcnt(0)
	ds_write_b64 v57, v[58:59]
.LBB27_153:
	s_or_b32 exec_lo, exec_lo, s4
	s_waitcnt lgkmcnt(0)
	s_waitcnt_vscnt null, 0x0
	s_barrier
	buffer_gl0_inv
	s_clause 0x1b
	buffer_load_dword v63, off, s[0:3], 0 offset:104
	buffer_load_dword v64, off, s[0:3], 0 offset:108
	;; [unrolled: 1-line block ×28, first 2 shown]
	v_mov_b32_e32 v58, 0
	s_mov_b32 s4, exec_lo
	ds_read2_b64 v[59:62], v58 offset0:41 offset1:42
	s_clause 0x1
	buffer_load_dword v91, off, s[0:3], 0 offset:216
	buffer_load_dword v92, off, s[0:3], 0 offset:220
	s_waitcnt vmcnt(28) lgkmcnt(0)
	v_fma_f64 v[59:60], v[63:64], v[59:60], 0
	s_clause 0x1
	buffer_load_dword v63, off, s[0:3], 0 offset:96
	buffer_load_dword v64, off, s[0:3], 0 offset:100
	s_waitcnt vmcnt(28)
	v_fma_f64 v[65:66], v[65:66], v[61:62], v[59:60]
	ds_read2_b64 v[59:62], v58 offset0:43 offset1:44
	s_waitcnt vmcnt(26) lgkmcnt(0)
	v_fma_f64 v[59:60], v[67:68], v[59:60], v[65:66]
	s_waitcnt vmcnt(24)
	v_fma_f64 v[65:66], v[69:70], v[61:62], v[59:60]
	ds_read2_b64 v[59:62], v58 offset0:45 offset1:46
	s_waitcnt vmcnt(22) lgkmcnt(0)
	v_fma_f64 v[59:60], v[71:72], v[59:60], v[65:66]
	;; [unrolled: 5-line block ×6, first 2 shown]
	s_waitcnt vmcnt(4)
	v_fma_f64 v[59:60], v[89:90], v[61:62], v[59:60]
	ds_read_b64 v[61:62], v58 offset:440
	s_waitcnt vmcnt(2) lgkmcnt(0)
	v_fma_f64 v[59:60], v[91:92], v[61:62], v[59:60]
	s_waitcnt vmcnt(0)
	v_add_f64 v[59:60], v[63:64], -v[59:60]
	buffer_store_dword v60, off, s[0:3], 0 offset:100
	buffer_store_dword v59, off, s[0:3], 0 offset:96
	v_cmpx_lt_u32_e32 11, v0
	s_cbranch_execz .LBB27_155
; %bb.154:
	s_clause 0x1
	buffer_load_dword v59, off, s[0:3], 0 offset:88
	buffer_load_dword v60, off, s[0:3], 0 offset:92
	buffer_store_dword v58, off, s[0:3], 0 offset:88
	buffer_store_dword v58, off, s[0:3], 0 offset:92
	s_waitcnt vmcnt(0)
	ds_write_b64 v57, v[59:60]
.LBB27_155:
	s_or_b32 exec_lo, exec_lo, s4
	s_waitcnt lgkmcnt(0)
	s_waitcnt_vscnt null, 0x0
	s_barrier
	buffer_gl0_inv
	s_clause 0x1b
	buffer_load_dword v63, off, s[0:3], 0 offset:96
	buffer_load_dword v64, off, s[0:3], 0 offset:100
	;; [unrolled: 1-line block ×28, first 2 shown]
	ds_read_b128 v[59:62], v58 offset:320
	s_clause 0x1
	buffer_load_dword v91, off, s[0:3], 0 offset:208
	buffer_load_dword v92, off, s[0:3], 0 offset:212
	s_mov_b32 s4, exec_lo
	s_waitcnt vmcnt(28) lgkmcnt(0)
	v_fma_f64 v[59:60], v[63:64], v[59:60], 0
	s_clause 0x1
	buffer_load_dword v64, off, s[0:3], 0 offset:220
	buffer_load_dword v63, off, s[0:3], 0 offset:216
	s_waitcnt vmcnt(28)
	v_fma_f64 v[65:66], v[65:66], v[61:62], v[59:60]
	ds_read_b128 v[59:62], v58 offset:336
	s_clause 0x1
	buffer_load_dword v93, off, s[0:3], 0 offset:88
	buffer_load_dword v94, off, s[0:3], 0 offset:92
	s_waitcnt vmcnt(28) lgkmcnt(0)
	v_fma_f64 v[59:60], v[67:68], v[59:60], v[65:66]
	s_waitcnt vmcnt(26)
	v_fma_f64 v[65:66], v[69:70], v[61:62], v[59:60]
	ds_read_b128 v[59:62], v58 offset:352
	s_waitcnt vmcnt(24) lgkmcnt(0)
	v_fma_f64 v[59:60], v[71:72], v[59:60], v[65:66]
	s_waitcnt vmcnt(22)
	v_fma_f64 v[65:66], v[73:74], v[61:62], v[59:60]
	ds_read_b128 v[59:62], v58 offset:368
	;; [unrolled: 5-line block ×6, first 2 shown]
	s_waitcnt vmcnt(4) lgkmcnt(0)
	v_fma_f64 v[58:59], v[91:92], v[58:59], v[65:66]
	s_waitcnt vmcnt(2)
	v_fma_f64 v[58:59], v[63:64], v[60:61], v[58:59]
	s_waitcnt vmcnt(0)
	v_add_f64 v[58:59], v[93:94], -v[58:59]
	buffer_store_dword v59, off, s[0:3], 0 offset:92
	buffer_store_dword v58, off, s[0:3], 0 offset:88
	v_cmpx_lt_u32_e32 10, v0
	s_cbranch_execz .LBB27_157
; %bb.156:
	s_clause 0x1
	buffer_load_dword v58, off, s[0:3], 0 offset:80
	buffer_load_dword v59, off, s[0:3], 0 offset:84
	v_mov_b32_e32 v60, 0
	buffer_store_dword v60, off, s[0:3], 0 offset:80
	buffer_store_dword v60, off, s[0:3], 0 offset:84
	s_waitcnt vmcnt(0)
	ds_write_b64 v57, v[58:59]
.LBB27_157:
	s_or_b32 exec_lo, exec_lo, s4
	s_waitcnt lgkmcnt(0)
	s_waitcnt_vscnt null, 0x0
	s_barrier
	buffer_gl0_inv
	s_clause 0x1c
	buffer_load_dword v67, off, s[0:3], 0 offset:88
	buffer_load_dword v68, off, s[0:3], 0 offset:92
	;; [unrolled: 1-line block ×29, first 2 shown]
	v_mov_b32_e32 v58, 0
	buffer_load_dword v92, off, s[0:3], 0 offset:204
	s_mov_b32 s4, exec_lo
	ds_read2_b64 v[59:62], v58 offset0:39 offset1:40
	ds_read2_b64 v[63:66], v58 offset0:41 offset1:42
	s_waitcnt vmcnt(28) lgkmcnt(1)
	v_fma_f64 v[59:60], v[67:68], v[59:60], 0
	s_clause 0x3
	buffer_load_dword v68, off, s[0:3], 0 offset:212
	buffer_load_dword v97, off, s[0:3], 0 offset:216
	;; [unrolled: 1-line block ×4, first 2 shown]
	s_waitcnt vmcnt(30)
	v_fma_f64 v[59:60], v[69:70], v[61:62], v[59:60]
	s_clause 0x1
	buffer_load_dword v69, off, s[0:3], 0 offset:80
	buffer_load_dword v70, off, s[0:3], 0 offset:84
	s_waitcnt vmcnt(30) lgkmcnt(0)
	v_fma_f64 v[59:60], v[71:72], v[63:64], v[59:60]
	s_waitcnt vmcnt(28)
	v_fma_f64 v[71:72], v[73:74], v[65:66], v[59:60]
	ds_read2_b64 v[59:62], v58 offset0:43 offset1:44
	ds_read2_b64 v[63:66], v58 offset0:45 offset1:46
	s_waitcnt vmcnt(26) lgkmcnt(1)
	v_fma_f64 v[59:60], v[75:76], v[59:60], v[71:72]
	s_waitcnt vmcnt(24)
	v_fma_f64 v[59:60], v[77:78], v[61:62], v[59:60]
	s_waitcnt vmcnt(22) lgkmcnt(0)
	v_fma_f64 v[59:60], v[79:80], v[63:64], v[59:60]
	s_waitcnt vmcnt(17)
	v_fma_f64 v[71:72], v[81:82], v[65:66], v[59:60]
	ds_read2_b64 v[59:62], v58 offset0:47 offset1:48
	ds_read2_b64 v[63:66], v58 offset0:49 offset1:50
	s_waitcnt vmcnt(16) lgkmcnt(1)
	v_fma_f64 v[59:60], v[87:88], v[59:60], v[71:72]
	s_waitcnt vmcnt(15)
	v_fma_f64 v[59:60], v[85:86], v[61:62], v[59:60]
	;; [unrolled: 10-line block ×3, first 2 shown]
	ds_read_b64 v[61:62], v58 offset:440
	s_waitcnt vmcnt(6) lgkmcnt(1)
	v_fma_f64 v[59:60], v[91:92], v[63:64], v[59:60]
	s_waitcnt vmcnt(3)
	v_fma_f64 v[59:60], v[67:68], v[65:66], v[59:60]
	s_waitcnt vmcnt(2) lgkmcnt(0)
	v_fma_f64 v[59:60], v[97:98], v[61:62], v[59:60]
	s_waitcnt vmcnt(0)
	v_add_f64 v[59:60], v[69:70], -v[59:60]
	buffer_store_dword v60, off, s[0:3], 0 offset:84
	buffer_store_dword v59, off, s[0:3], 0 offset:80
	v_cmpx_lt_u32_e32 9, v0
	s_cbranch_execz .LBB27_159
; %bb.158:
	s_clause 0x1
	buffer_load_dword v59, off, s[0:3], 0 offset:72
	buffer_load_dword v60, off, s[0:3], 0 offset:76
	buffer_store_dword v58, off, s[0:3], 0 offset:72
	buffer_store_dword v58, off, s[0:3], 0 offset:76
	s_waitcnt vmcnt(0)
	ds_write_b64 v57, v[59:60]
.LBB27_159:
	s_or_b32 exec_lo, exec_lo, s4
	s_waitcnt lgkmcnt(0)
	s_waitcnt_vscnt null, 0x0
	s_barrier
	buffer_gl0_inv
	s_clause 0x1c
	buffer_load_dword v67, off, s[0:3], 0 offset:80
	buffer_load_dword v68, off, s[0:3], 0 offset:84
	;; [unrolled: 1-line block ×29, first 2 shown]
	ds_read_b128 v[59:62], v58 offset:304
	ds_read_b128 v[63:66], v58 offset:320
	buffer_load_dword v92, off, s[0:3], 0 offset:196
	s_mov_b32 s4, exec_lo
	s_waitcnt vmcnt(28) lgkmcnt(1)
	v_fma_f64 v[59:60], v[67:68], v[59:60], 0
	s_clause 0x5
	buffer_load_dword v68, off, s[0:3], 0 offset:204
	buffer_load_dword v97, off, s[0:3], 0 offset:216
	;; [unrolled: 1-line block ×6, first 2 shown]
	s_waitcnt vmcnt(32)
	v_fma_f64 v[59:60], v[69:70], v[61:62], v[59:60]
	s_waitcnt vmcnt(30) lgkmcnt(0)
	v_fma_f64 v[59:60], v[71:72], v[63:64], v[59:60]
	s_waitcnt vmcnt(28)
	v_fma_f64 v[69:70], v[73:74], v[65:66], v[59:60]
	ds_read_b128 v[59:62], v58 offset:336
	s_clause 0x1
	buffer_load_dword v71, off, s[0:3], 0 offset:72
	buffer_load_dword v72, off, s[0:3], 0 offset:76
	ds_read_b128 v[63:66], v58 offset:352
	s_waitcnt vmcnt(28) lgkmcnt(1)
	v_fma_f64 v[59:60], v[75:76], v[59:60], v[69:70]
	s_waitcnt vmcnt(26)
	v_fma_f64 v[59:60], v[77:78], v[61:62], v[59:60]
	s_waitcnt vmcnt(24) lgkmcnt(0)
	v_fma_f64 v[59:60], v[79:80], v[63:64], v[59:60]
	s_waitcnt vmcnt(19)
	v_fma_f64 v[69:70], v[81:82], v[65:66], v[59:60]
	ds_read_b128 v[59:62], v58 offset:368
	ds_read_b128 v[63:66], v58 offset:384
	s_waitcnt vmcnt(18) lgkmcnt(1)
	v_fma_f64 v[59:60], v[87:88], v[59:60], v[69:70]
	s_waitcnt vmcnt(17)
	v_fma_f64 v[59:60], v[85:86], v[61:62], v[59:60]
	s_waitcnt vmcnt(16) lgkmcnt(0)
	v_fma_f64 v[59:60], v[83:84], v[63:64], v[59:60]
	s_waitcnt vmcnt(11)
	v_fma_f64 v[69:70], v[89:90], v[65:66], v[59:60]
	ds_read_b128 v[59:62], v58 offset:400
	;; [unrolled: 10-line block ×3, first 2 shown]
	s_waitcnt vmcnt(3) lgkmcnt(0)
	v_fma_f64 v[58:59], v[99:100], v[58:59], v[62:63]
	s_waitcnt vmcnt(2)
	v_fma_f64 v[58:59], v[97:98], v[60:61], v[58:59]
	s_waitcnt vmcnt(0)
	v_add_f64 v[58:59], v[71:72], -v[58:59]
	buffer_store_dword v59, off, s[0:3], 0 offset:76
	buffer_store_dword v58, off, s[0:3], 0 offset:72
	v_cmpx_lt_u32_e32 8, v0
	s_cbranch_execz .LBB27_161
; %bb.160:
	s_clause 0x1
	buffer_load_dword v58, off, s[0:3], 0 offset:64
	buffer_load_dword v59, off, s[0:3], 0 offset:68
	v_mov_b32_e32 v60, 0
	buffer_store_dword v60, off, s[0:3], 0 offset:64
	buffer_store_dword v60, off, s[0:3], 0 offset:68
	s_waitcnt vmcnt(0)
	ds_write_b64 v57, v[58:59]
.LBB27_161:
	s_or_b32 exec_lo, exec_lo, s4
	s_waitcnt lgkmcnt(0)
	s_waitcnt_vscnt null, 0x0
	s_barrier
	buffer_gl0_inv
	s_clause 0x1c
	buffer_load_dword v67, off, s[0:3], 0 offset:72
	buffer_load_dword v68, off, s[0:3], 0 offset:76
	;; [unrolled: 1-line block ×29, first 2 shown]
	v_mov_b32_e32 v58, 0
	buffer_load_dword v92, off, s[0:3], 0 offset:188
	s_mov_b32 s4, exec_lo
	ds_read2_b64 v[59:62], v58 offset0:37 offset1:38
	ds_read2_b64 v[63:66], v58 offset0:39 offset1:40
	s_waitcnt vmcnt(28) lgkmcnt(1)
	v_fma_f64 v[59:60], v[67:68], v[59:60], 0
	s_clause 0x7
	buffer_load_dword v68, off, s[0:3], 0 offset:196
	buffer_load_dword v97, off, s[0:3], 0 offset:216
	;; [unrolled: 1-line block ×8, first 2 shown]
	s_waitcnt vmcnt(34)
	v_fma_f64 v[59:60], v[69:70], v[61:62], v[59:60]
	s_waitcnt vmcnt(32) lgkmcnt(0)
	v_fma_f64 v[59:60], v[71:72], v[63:64], v[59:60]
	s_waitcnt vmcnt(30)
	v_fma_f64 v[69:70], v[73:74], v[65:66], v[59:60]
	ds_read2_b64 v[59:62], v58 offset0:41 offset1:42
	ds_read2_b64 v[63:66], v58 offset0:43 offset1:44
	s_waitcnt vmcnt(28) lgkmcnt(1)
	v_fma_f64 v[59:60], v[75:76], v[59:60], v[69:70]
	s_clause 0x1
	buffer_load_dword v69, off, s[0:3], 0 offset:64
	buffer_load_dword v70, off, s[0:3], 0 offset:68
	s_waitcnt vmcnt(28)
	v_fma_f64 v[59:60], v[77:78], v[61:62], v[59:60]
	s_waitcnt vmcnt(26) lgkmcnt(0)
	v_fma_f64 v[59:60], v[79:80], v[63:64], v[59:60]
	s_waitcnt vmcnt(21)
	v_fma_f64 v[71:72], v[81:82], v[65:66], v[59:60]
	ds_read2_b64 v[59:62], v58 offset0:45 offset1:46
	ds_read2_b64 v[63:66], v58 offset0:47 offset1:48
	s_waitcnt vmcnt(20) lgkmcnt(1)
	v_fma_f64 v[59:60], v[87:88], v[59:60], v[71:72]
	s_waitcnt vmcnt(19)
	v_fma_f64 v[59:60], v[85:86], v[61:62], v[59:60]
	s_waitcnt vmcnt(18) lgkmcnt(0)
	v_fma_f64 v[59:60], v[83:84], v[63:64], v[59:60]
	s_waitcnt vmcnt(13)
	v_fma_f64 v[71:72], v[89:90], v[65:66], v[59:60]
	ds_read2_b64 v[59:62], v58 offset0:49 offset1:50
	ds_read2_b64 v[63:66], v58 offset0:51 offset1:52
	s_waitcnt vmcnt(12) lgkmcnt(1)
	v_fma_f64 v[59:60], v[95:96], v[59:60], v[71:72]
	s_waitcnt vmcnt(11)
	v_fma_f64 v[59:60], v[93:94], v[61:62], v[59:60]
	s_waitcnt vmcnt(10) lgkmcnt(0)
	v_fma_f64 v[59:60], v[91:92], v[63:64], v[59:60]
	s_waitcnt vmcnt(5)
	v_fma_f64 v[63:64], v[67:68], v[65:66], v[59:60]
	ds_read2_b64 v[59:62], v58 offset0:53 offset1:54
	ds_read_b64 v[65:66], v58 offset:440
	s_waitcnt vmcnt(4) lgkmcnt(1)
	v_fma_f64 v[59:60], v[101:102], v[59:60], v[63:64]
	s_waitcnt vmcnt(3)
	v_fma_f64 v[59:60], v[99:100], v[61:62], v[59:60]
	s_waitcnt vmcnt(2) lgkmcnt(0)
	v_fma_f64 v[59:60], v[97:98], v[65:66], v[59:60]
	s_waitcnt vmcnt(0)
	v_add_f64 v[59:60], v[69:70], -v[59:60]
	buffer_store_dword v60, off, s[0:3], 0 offset:68
	buffer_store_dword v59, off, s[0:3], 0 offset:64
	v_cmpx_lt_u32_e32 7, v0
	s_cbranch_execz .LBB27_163
; %bb.162:
	s_clause 0x1
	buffer_load_dword v59, off, s[0:3], 0 offset:56
	buffer_load_dword v60, off, s[0:3], 0 offset:60
	buffer_store_dword v58, off, s[0:3], 0 offset:56
	buffer_store_dword v58, off, s[0:3], 0 offset:60
	s_waitcnt vmcnt(0)
	ds_write_b64 v57, v[59:60]
.LBB27_163:
	s_or_b32 exec_lo, exec_lo, s4
	s_waitcnt lgkmcnt(0)
	s_waitcnt_vscnt null, 0x0
	s_barrier
	buffer_gl0_inv
	s_clause 0x1c
	buffer_load_dword v67, off, s[0:3], 0 offset:64
	buffer_load_dword v68, off, s[0:3], 0 offset:68
	;; [unrolled: 1-line block ×29, first 2 shown]
	ds_read_b128 v[59:62], v58 offset:288
	ds_read_b128 v[63:66], v58 offset:304
	buffer_load_dword v92, off, s[0:3], 0 offset:180
	s_mov_b32 s4, exec_lo
	s_waitcnt vmcnt(28) lgkmcnt(1)
	v_fma_f64 v[59:60], v[67:68], v[59:60], 0
	s_clause 0x7
	buffer_load_dword v68, off, s[0:3], 0 offset:188
	buffer_load_dword v97, off, s[0:3], 0 offset:208
	buffer_load_dword v99, off, s[0:3], 0 offset:200
	buffer_load_dword v101, off, s[0:3], 0 offset:192
	buffer_load_dword v67, off, s[0:3], 0 offset:184
	buffer_load_dword v102, off, s[0:3], 0 offset:196
	buffer_load_dword v100, off, s[0:3], 0 offset:204
	buffer_load_dword v98, off, s[0:3], 0 offset:212
	s_waitcnt vmcnt(34)
	v_fma_f64 v[59:60], v[69:70], v[61:62], v[59:60]
	s_waitcnt vmcnt(32) lgkmcnt(0)
	v_fma_f64 v[59:60], v[71:72], v[63:64], v[59:60]
	s_waitcnt vmcnt(30)
	v_fma_f64 v[69:70], v[73:74], v[65:66], v[59:60]
	ds_read_b128 v[59:62], v58 offset:320
	ds_read_b128 v[63:66], v58 offset:336
	s_waitcnt vmcnt(28) lgkmcnt(1)
	v_fma_f64 v[59:60], v[75:76], v[59:60], v[69:70]
	s_clause 0x3
	buffer_load_dword v70, off, s[0:3], 0 offset:220
	buffer_load_dword v69, off, s[0:3], 0 offset:216
	;; [unrolled: 1-line block ×4, first 2 shown]
	s_waitcnt vmcnt(30)
	v_fma_f64 v[59:60], v[77:78], v[61:62], v[59:60]
	s_waitcnt vmcnt(28) lgkmcnt(0)
	v_fma_f64 v[59:60], v[79:80], v[63:64], v[59:60]
	s_waitcnt vmcnt(23)
	v_fma_f64 v[73:74], v[81:82], v[65:66], v[59:60]
	ds_read_b128 v[59:62], v58 offset:352
	ds_read_b128 v[63:66], v58 offset:368
	s_waitcnt vmcnt(22) lgkmcnt(1)
	v_fma_f64 v[59:60], v[87:88], v[59:60], v[73:74]
	s_waitcnt vmcnt(21)
	v_fma_f64 v[59:60], v[85:86], v[61:62], v[59:60]
	s_waitcnt vmcnt(20) lgkmcnt(0)
	v_fma_f64 v[59:60], v[83:84], v[63:64], v[59:60]
	s_waitcnt vmcnt(15)
	v_fma_f64 v[73:74], v[89:90], v[65:66], v[59:60]
	ds_read_b128 v[59:62], v58 offset:384
	ds_read_b128 v[63:66], v58 offset:400
	s_waitcnt vmcnt(14) lgkmcnt(1)
	v_fma_f64 v[59:60], v[95:96], v[59:60], v[73:74]
	;; [unrolled: 10-line block ×3, first 2 shown]
	s_waitcnt vmcnt(5)
	v_fma_f64 v[58:59], v[99:100], v[61:62], v[58:59]
	s_waitcnt vmcnt(4) lgkmcnt(0)
	v_fma_f64 v[58:59], v[97:98], v[63:64], v[58:59]
	s_waitcnt vmcnt(2)
	v_fma_f64 v[58:59], v[69:70], v[65:66], v[58:59]
	s_waitcnt vmcnt(0)
	v_add_f64 v[58:59], v[71:72], -v[58:59]
	buffer_store_dword v59, off, s[0:3], 0 offset:60
	buffer_store_dword v58, off, s[0:3], 0 offset:56
	v_cmpx_lt_u32_e32 6, v0
	s_cbranch_execz .LBB27_165
; %bb.164:
	s_clause 0x1
	buffer_load_dword v58, off, s[0:3], 0 offset:48
	buffer_load_dword v59, off, s[0:3], 0 offset:52
	v_mov_b32_e32 v60, 0
	buffer_store_dword v60, off, s[0:3], 0 offset:48
	buffer_store_dword v60, off, s[0:3], 0 offset:52
	s_waitcnt vmcnt(0)
	ds_write_b64 v57, v[58:59]
.LBB27_165:
	s_or_b32 exec_lo, exec_lo, s4
	s_waitcnt lgkmcnt(0)
	s_waitcnt_vscnt null, 0x0
	s_barrier
	buffer_gl0_inv
	s_clause 0x1c
	buffer_load_dword v67, off, s[0:3], 0 offset:56
	buffer_load_dword v68, off, s[0:3], 0 offset:60
	;; [unrolled: 1-line block ×29, first 2 shown]
	v_mov_b32_e32 v58, 0
	buffer_load_dword v92, off, s[0:3], 0 offset:172
	s_mov_b32 s4, exec_lo
	ds_read2_b64 v[59:62], v58 offset0:35 offset1:36
	ds_read2_b64 v[63:66], v58 offset0:37 offset1:38
	s_waitcnt vmcnt(28) lgkmcnt(1)
	v_fma_f64 v[59:60], v[67:68], v[59:60], 0
	s_clause 0x7
	buffer_load_dword v68, off, s[0:3], 0 offset:180
	buffer_load_dword v97, off, s[0:3], 0 offset:200
	;; [unrolled: 1-line block ×8, first 2 shown]
	s_waitcnt vmcnt(34)
	v_fma_f64 v[59:60], v[69:70], v[61:62], v[59:60]
	s_waitcnt vmcnt(32) lgkmcnt(0)
	v_fma_f64 v[59:60], v[71:72], v[63:64], v[59:60]
	s_waitcnt vmcnt(30)
	v_fma_f64 v[69:70], v[73:74], v[65:66], v[59:60]
	ds_read2_b64 v[59:62], v58 offset0:39 offset1:40
	ds_read2_b64 v[63:66], v58 offset0:41 offset1:42
	s_waitcnt vmcnt(28) lgkmcnt(1)
	v_fma_f64 v[59:60], v[75:76], v[59:60], v[69:70]
	s_clause 0x5
	buffer_load_dword v70, off, s[0:3], 0 offset:212
	buffer_load_dword v71, off, s[0:3], 0 offset:216
	;; [unrolled: 1-line block ×6, first 2 shown]
	s_waitcnt vmcnt(32)
	v_fma_f64 v[59:60], v[77:78], v[61:62], v[59:60]
	s_waitcnt vmcnt(30) lgkmcnt(0)
	v_fma_f64 v[59:60], v[79:80], v[63:64], v[59:60]
	s_waitcnt vmcnt(25)
	v_fma_f64 v[75:76], v[81:82], v[65:66], v[59:60]
	ds_read2_b64 v[59:62], v58 offset0:43 offset1:44
	ds_read2_b64 v[63:66], v58 offset0:45 offset1:46
	s_waitcnt vmcnt(24) lgkmcnt(1)
	v_fma_f64 v[59:60], v[87:88], v[59:60], v[75:76]
	s_waitcnt vmcnt(23)
	v_fma_f64 v[59:60], v[85:86], v[61:62], v[59:60]
	s_waitcnt vmcnt(22) lgkmcnt(0)
	v_fma_f64 v[59:60], v[83:84], v[63:64], v[59:60]
	s_waitcnt vmcnt(17)
	v_fma_f64 v[75:76], v[89:90], v[65:66], v[59:60]
	ds_read2_b64 v[59:62], v58 offset0:47 offset1:48
	ds_read2_b64 v[63:66], v58 offset0:49 offset1:50
	s_waitcnt vmcnt(16) lgkmcnt(1)
	v_fma_f64 v[59:60], v[95:96], v[59:60], v[75:76]
	;; [unrolled: 10-line block ×3, first 2 shown]
	s_waitcnt vmcnt(7)
	v_fma_f64 v[59:60], v[99:100], v[61:62], v[59:60]
	ds_read_b64 v[61:62], v58 offset:440
	s_waitcnt vmcnt(6) lgkmcnt(1)
	v_fma_f64 v[59:60], v[97:98], v[63:64], v[59:60]
	s_waitcnt vmcnt(3)
	v_fma_f64 v[59:60], v[69:70], v[65:66], v[59:60]
	s_waitcnt vmcnt(2) lgkmcnt(0)
	v_fma_f64 v[59:60], v[71:72], v[61:62], v[59:60]
	s_waitcnt vmcnt(0)
	v_add_f64 v[59:60], v[73:74], -v[59:60]
	buffer_store_dword v60, off, s[0:3], 0 offset:52
	buffer_store_dword v59, off, s[0:3], 0 offset:48
	v_cmpx_lt_u32_e32 5, v0
	s_cbranch_execz .LBB27_167
; %bb.166:
	s_clause 0x1
	buffer_load_dword v59, off, s[0:3], 0 offset:40
	buffer_load_dword v60, off, s[0:3], 0 offset:44
	buffer_store_dword v58, off, s[0:3], 0 offset:40
	buffer_store_dword v58, off, s[0:3], 0 offset:44
	s_waitcnt vmcnt(0)
	ds_write_b64 v57, v[59:60]
.LBB27_167:
	s_or_b32 exec_lo, exec_lo, s4
	s_waitcnt lgkmcnt(0)
	s_waitcnt_vscnt null, 0x0
	s_barrier
	buffer_gl0_inv
	s_clause 0x1c
	buffer_load_dword v67, off, s[0:3], 0 offset:48
	buffer_load_dword v68, off, s[0:3], 0 offset:52
	buffer_load_dword v69, off, s[0:3], 0 offset:56
	buffer_load_dword v70, off, s[0:3], 0 offset:60
	buffer_load_dword v71, off, s[0:3], 0 offset:64
	buffer_load_dword v72, off, s[0:3], 0 offset:68
	buffer_load_dword v73, off, s[0:3], 0 offset:72
	buffer_load_dword v74, off, s[0:3], 0 offset:76
	buffer_load_dword v75, off, s[0:3], 0 offset:80
	buffer_load_dword v76, off, s[0:3], 0 offset:84
	buffer_load_dword v77, off, s[0:3], 0 offset:88
	buffer_load_dword v78, off, s[0:3], 0 offset:92
	buffer_load_dword v79, off, s[0:3], 0 offset:96
	buffer_load_dword v80, off, s[0:3], 0 offset:100
	buffer_load_dword v82, off, s[0:3], 0 offset:108
	buffer_load_dword v83, off, s[0:3], 0 offset:128
	buffer_load_dword v85, off, s[0:3], 0 offset:120
	buffer_load_dword v87, off, s[0:3], 0 offset:112
	buffer_load_dword v81, off, s[0:3], 0 offset:104
	buffer_load_dword v88, off, s[0:3], 0 offset:116
	buffer_load_dword v86, off, s[0:3], 0 offset:124
	buffer_load_dword v84, off, s[0:3], 0 offset:132
	buffer_load_dword v90, off, s[0:3], 0 offset:140
	buffer_load_dword v91, off, s[0:3], 0 offset:160
	buffer_load_dword v93, off, s[0:3], 0 offset:152
	buffer_load_dword v95, off, s[0:3], 0 offset:144
	buffer_load_dword v89, off, s[0:3], 0 offset:136
	buffer_load_dword v96, off, s[0:3], 0 offset:148
	buffer_load_dword v94, off, s[0:3], 0 offset:156
	ds_read_b128 v[59:62], v58 offset:272
	ds_read_b128 v[63:66], v58 offset:288
	buffer_load_dword v92, off, s[0:3], 0 offset:164
	s_mov_b32 s4, exec_lo
	s_waitcnt vmcnt(28) lgkmcnt(1)
	v_fma_f64 v[59:60], v[67:68], v[59:60], 0
	s_clause 0x7
	buffer_load_dword v68, off, s[0:3], 0 offset:172
	buffer_load_dword v97, off, s[0:3], 0 offset:192
	;; [unrolled: 1-line block ×8, first 2 shown]
	s_waitcnt vmcnt(34)
	v_fma_f64 v[59:60], v[69:70], v[61:62], v[59:60]
	s_waitcnt vmcnt(32) lgkmcnt(0)
	v_fma_f64 v[59:60], v[71:72], v[63:64], v[59:60]
	s_waitcnt vmcnt(30)
	v_fma_f64 v[69:70], v[73:74], v[65:66], v[59:60]
	ds_read_b128 v[59:62], v58 offset:304
	ds_read_b128 v[63:66], v58 offset:320
	s_waitcnt vmcnt(28) lgkmcnt(1)
	v_fma_f64 v[59:60], v[75:76], v[59:60], v[69:70]
	s_clause 0x5
	buffer_load_dword v70, off, s[0:3], 0 offset:204
	buffer_load_dword v71, off, s[0:3], 0 offset:216
	;; [unrolled: 1-line block ×6, first 2 shown]
	s_waitcnt vmcnt(32)
	v_fma_f64 v[59:60], v[77:78], v[61:62], v[59:60]
	s_waitcnt vmcnt(30) lgkmcnt(0)
	v_fma_f64 v[59:60], v[79:80], v[63:64], v[59:60]
	s_waitcnt vmcnt(25)
	v_fma_f64 v[75:76], v[81:82], v[65:66], v[59:60]
	ds_read_b128 v[59:62], v58 offset:336
	s_clause 0x1
	buffer_load_dword v77, off, s[0:3], 0 offset:40
	buffer_load_dword v78, off, s[0:3], 0 offset:44
	ds_read_b128 v[63:66], v58 offset:352
	s_waitcnt vmcnt(26) lgkmcnt(1)
	v_fma_f64 v[59:60], v[87:88], v[59:60], v[75:76]
	s_waitcnt vmcnt(25)
	v_fma_f64 v[59:60], v[85:86], v[61:62], v[59:60]
	s_waitcnt vmcnt(24) lgkmcnt(0)
	v_fma_f64 v[59:60], v[83:84], v[63:64], v[59:60]
	s_waitcnt vmcnt(19)
	v_fma_f64 v[75:76], v[89:90], v[65:66], v[59:60]
	ds_read_b128 v[59:62], v58 offset:368
	ds_read_b128 v[63:66], v58 offset:384
	s_waitcnt vmcnt(18) lgkmcnt(1)
	v_fma_f64 v[59:60], v[95:96], v[59:60], v[75:76]
	s_waitcnt vmcnt(17)
	v_fma_f64 v[59:60], v[93:94], v[61:62], v[59:60]
	s_waitcnt vmcnt(16) lgkmcnt(0)
	v_fma_f64 v[59:60], v[91:92], v[63:64], v[59:60]
	s_waitcnt vmcnt(11)
	v_fma_f64 v[67:68], v[67:68], v[65:66], v[59:60]
	ds_read_b128 v[59:62], v58 offset:400
	;; [unrolled: 10-line block ×3, first 2 shown]
	s_waitcnt vmcnt(3) lgkmcnt(0)
	v_fma_f64 v[58:59], v[73:74], v[58:59], v[62:63]
	s_waitcnt vmcnt(2)
	v_fma_f64 v[58:59], v[71:72], v[60:61], v[58:59]
	s_waitcnt vmcnt(0)
	v_add_f64 v[58:59], v[77:78], -v[58:59]
	buffer_store_dword v59, off, s[0:3], 0 offset:44
	buffer_store_dword v58, off, s[0:3], 0 offset:40
	v_cmpx_lt_u32_e32 4, v0
	s_cbranch_execz .LBB27_169
; %bb.168:
	s_clause 0x1
	buffer_load_dword v58, off, s[0:3], 0 offset:32
	buffer_load_dword v59, off, s[0:3], 0 offset:36
	v_mov_b32_e32 v60, 0
	buffer_store_dword v60, off, s[0:3], 0 offset:32
	buffer_store_dword v60, off, s[0:3], 0 offset:36
	s_waitcnt vmcnt(0)
	ds_write_b64 v57, v[58:59]
.LBB27_169:
	s_or_b32 exec_lo, exec_lo, s4
	s_waitcnt lgkmcnt(0)
	s_waitcnt_vscnt null, 0x0
	s_barrier
	buffer_gl0_inv
	s_clause 0x1c
	buffer_load_dword v67, off, s[0:3], 0 offset:40
	buffer_load_dword v68, off, s[0:3], 0 offset:44
	;; [unrolled: 1-line block ×29, first 2 shown]
	v_mov_b32_e32 v58, 0
	buffer_load_dword v92, off, s[0:3], 0 offset:156
	s_mov_b32 s4, exec_lo
	ds_read2_b64 v[59:62], v58 offset0:33 offset1:34
	ds_read2_b64 v[63:66], v58 offset0:35 offset1:36
	s_waitcnt vmcnt(28) lgkmcnt(1)
	v_fma_f64 v[59:60], v[67:68], v[59:60], 0
	s_clause 0x7
	buffer_load_dword v68, off, s[0:3], 0 offset:164
	buffer_load_dword v97, off, s[0:3], 0 offset:184
	;; [unrolled: 1-line block ×8, first 2 shown]
	s_waitcnt vmcnt(34)
	v_fma_f64 v[59:60], v[69:70], v[61:62], v[59:60]
	s_waitcnt vmcnt(32) lgkmcnt(0)
	v_fma_f64 v[59:60], v[71:72], v[63:64], v[59:60]
	s_waitcnt vmcnt(30)
	v_fma_f64 v[69:70], v[73:74], v[65:66], v[59:60]
	ds_read2_b64 v[59:62], v58 offset0:37 offset1:38
	ds_read2_b64 v[63:66], v58 offset0:39 offset1:40
	s_waitcnt vmcnt(28) lgkmcnt(1)
	v_fma_f64 v[59:60], v[75:76], v[59:60], v[69:70]
	s_clause 0x7
	buffer_load_dword v70, off, s[0:3], 0 offset:196
	buffer_load_dword v71, off, s[0:3], 0 offset:216
	;; [unrolled: 1-line block ×8, first 2 shown]
	s_waitcnt vmcnt(34)
	v_fma_f64 v[59:60], v[77:78], v[61:62], v[59:60]
	s_waitcnt vmcnt(32) lgkmcnt(0)
	v_fma_f64 v[59:60], v[79:80], v[63:64], v[59:60]
	s_waitcnt vmcnt(27)
	v_fma_f64 v[77:78], v[81:82], v[65:66], v[59:60]
	ds_read2_b64 v[59:62], v58 offset0:41 offset1:42
	ds_read2_b64 v[63:66], v58 offset0:43 offset1:44
	s_waitcnt vmcnt(26) lgkmcnt(1)
	v_fma_f64 v[59:60], v[87:88], v[59:60], v[77:78]
	s_clause 0x1
	buffer_load_dword v77, off, s[0:3], 0 offset:32
	buffer_load_dword v78, off, s[0:3], 0 offset:36
	s_waitcnt vmcnt(27)
	v_fma_f64 v[59:60], v[85:86], v[61:62], v[59:60]
	s_waitcnt vmcnt(26) lgkmcnt(0)
	v_fma_f64 v[59:60], v[83:84], v[63:64], v[59:60]
	s_waitcnt vmcnt(21)
	v_fma_f64 v[79:80], v[89:90], v[65:66], v[59:60]
	ds_read2_b64 v[59:62], v58 offset0:45 offset1:46
	ds_read2_b64 v[63:66], v58 offset0:47 offset1:48
	s_waitcnt vmcnt(20) lgkmcnt(1)
	v_fma_f64 v[59:60], v[95:96], v[59:60], v[79:80]
	s_waitcnt vmcnt(19)
	v_fma_f64 v[59:60], v[93:94], v[61:62], v[59:60]
	s_waitcnt vmcnt(18) lgkmcnt(0)
	v_fma_f64 v[59:60], v[91:92], v[63:64], v[59:60]
	s_waitcnt vmcnt(13)
	v_fma_f64 v[67:68], v[67:68], v[65:66], v[59:60]
	ds_read2_b64 v[59:62], v58 offset0:49 offset1:50
	ds_read2_b64 v[63:66], v58 offset0:51 offset1:52
	s_waitcnt vmcnt(12) lgkmcnt(1)
	v_fma_f64 v[59:60], v[101:102], v[59:60], v[67:68]
	s_waitcnt vmcnt(11)
	v_fma_f64 v[59:60], v[99:100], v[61:62], v[59:60]
	s_waitcnt vmcnt(10) lgkmcnt(0)
	v_fma_f64 v[59:60], v[97:98], v[63:64], v[59:60]
	s_waitcnt vmcnt(5)
	v_fma_f64 v[63:64], v[69:70], v[65:66], v[59:60]
	ds_read2_b64 v[59:62], v58 offset0:53 offset1:54
	ds_read_b64 v[65:66], v58 offset:440
	s_waitcnt vmcnt(4) lgkmcnt(1)
	v_fma_f64 v[59:60], v[75:76], v[59:60], v[63:64]
	s_waitcnt vmcnt(3)
	v_fma_f64 v[59:60], v[73:74], v[61:62], v[59:60]
	s_waitcnt vmcnt(2) lgkmcnt(0)
	v_fma_f64 v[59:60], v[71:72], v[65:66], v[59:60]
	s_waitcnt vmcnt(0)
	v_add_f64 v[59:60], v[77:78], -v[59:60]
	buffer_store_dword v60, off, s[0:3], 0 offset:36
	buffer_store_dword v59, off, s[0:3], 0 offset:32
	v_cmpx_lt_u32_e32 3, v0
	s_cbranch_execz .LBB27_171
; %bb.170:
	s_clause 0x1
	buffer_load_dword v59, off, s[0:3], 0 offset:24
	buffer_load_dword v60, off, s[0:3], 0 offset:28
	buffer_store_dword v58, off, s[0:3], 0 offset:24
	buffer_store_dword v58, off, s[0:3], 0 offset:28
	s_waitcnt vmcnt(0)
	ds_write_b64 v57, v[59:60]
.LBB27_171:
	s_or_b32 exec_lo, exec_lo, s4
	s_waitcnt lgkmcnt(0)
	s_waitcnt_vscnt null, 0x0
	s_barrier
	buffer_gl0_inv
	s_clause 0x1c
	buffer_load_dword v67, off, s[0:3], 0 offset:32
	buffer_load_dword v68, off, s[0:3], 0 offset:36
	;; [unrolled: 1-line block ×29, first 2 shown]
	ds_read_b128 v[59:62], v58 offset:256
	ds_read_b128 v[63:66], v58 offset:272
	buffer_load_dword v92, off, s[0:3], 0 offset:148
	s_mov_b32 s4, exec_lo
	s_waitcnt vmcnt(28) lgkmcnt(1)
	v_fma_f64 v[59:60], v[67:68], v[59:60], 0
	s_clause 0x7
	buffer_load_dword v68, off, s[0:3], 0 offset:156
	buffer_load_dword v97, off, s[0:3], 0 offset:176
	;; [unrolled: 1-line block ×8, first 2 shown]
	s_waitcnt vmcnt(34)
	v_fma_f64 v[59:60], v[69:70], v[61:62], v[59:60]
	s_waitcnt vmcnt(32) lgkmcnt(0)
	v_fma_f64 v[59:60], v[71:72], v[63:64], v[59:60]
	s_waitcnt vmcnt(30)
	v_fma_f64 v[69:70], v[73:74], v[65:66], v[59:60]
	ds_read_b128 v[59:62], v58 offset:288
	ds_read_b128 v[63:66], v58 offset:304
	s_waitcnt vmcnt(28) lgkmcnt(1)
	v_fma_f64 v[59:60], v[75:76], v[59:60], v[69:70]
	s_clause 0x7
	buffer_load_dword v70, off, s[0:3], 0 offset:188
	buffer_load_dword v71, off, s[0:3], 0 offset:208
	;; [unrolled: 1-line block ×8, first 2 shown]
	s_waitcnt vmcnt(34)
	v_fma_f64 v[59:60], v[77:78], v[61:62], v[59:60]
	s_waitcnt vmcnt(32) lgkmcnt(0)
	v_fma_f64 v[59:60], v[79:80], v[63:64], v[59:60]
	s_waitcnt vmcnt(27)
	v_fma_f64 v[77:78], v[81:82], v[65:66], v[59:60]
	ds_read_b128 v[59:62], v58 offset:320
	ds_read_b128 v[63:66], v58 offset:336
	s_waitcnt vmcnt(26) lgkmcnt(1)
	v_fma_f64 v[59:60], v[87:88], v[59:60], v[77:78]
	s_clause 0x3
	buffer_load_dword v78, off, s[0:3], 0 offset:220
	buffer_load_dword v77, off, s[0:3], 0 offset:216
	;; [unrolled: 1-line block ×4, first 2 shown]
	s_waitcnt vmcnt(29)
	v_fma_f64 v[59:60], v[85:86], v[61:62], v[59:60]
	s_waitcnt vmcnt(28) lgkmcnt(0)
	v_fma_f64 v[59:60], v[83:84], v[63:64], v[59:60]
	s_waitcnt vmcnt(23)
	v_fma_f64 v[81:82], v[89:90], v[65:66], v[59:60]
	ds_read_b128 v[59:62], v58 offset:352
	ds_read_b128 v[63:66], v58 offset:368
	s_waitcnt vmcnt(22) lgkmcnt(1)
	v_fma_f64 v[59:60], v[95:96], v[59:60], v[81:82]
	s_waitcnt vmcnt(21)
	v_fma_f64 v[59:60], v[93:94], v[61:62], v[59:60]
	s_waitcnt vmcnt(20) lgkmcnt(0)
	v_fma_f64 v[59:60], v[91:92], v[63:64], v[59:60]
	s_waitcnt vmcnt(15)
	v_fma_f64 v[67:68], v[67:68], v[65:66], v[59:60]
	ds_read_b128 v[59:62], v58 offset:384
	ds_read_b128 v[63:66], v58 offset:400
	s_waitcnt vmcnt(14) lgkmcnt(1)
	v_fma_f64 v[59:60], v[101:102], v[59:60], v[67:68]
	;; [unrolled: 10-line block ×3, first 2 shown]
	s_waitcnt vmcnt(5)
	v_fma_f64 v[58:59], v[73:74], v[61:62], v[58:59]
	s_waitcnt vmcnt(4) lgkmcnt(0)
	v_fma_f64 v[58:59], v[71:72], v[63:64], v[58:59]
	s_waitcnt vmcnt(2)
	v_fma_f64 v[58:59], v[77:78], v[65:66], v[58:59]
	s_waitcnt vmcnt(0)
	v_add_f64 v[58:59], v[79:80], -v[58:59]
	buffer_store_dword v59, off, s[0:3], 0 offset:28
	buffer_store_dword v58, off, s[0:3], 0 offset:24
	v_cmpx_lt_u32_e32 2, v0
	s_cbranch_execz .LBB27_173
; %bb.172:
	s_clause 0x1
	buffer_load_dword v58, off, s[0:3], 0 offset:16
	buffer_load_dword v59, off, s[0:3], 0 offset:20
	v_mov_b32_e32 v60, 0
	buffer_store_dword v60, off, s[0:3], 0 offset:16
	buffer_store_dword v60, off, s[0:3], 0 offset:20
	s_waitcnt vmcnt(0)
	ds_write_b64 v57, v[58:59]
.LBB27_173:
	s_or_b32 exec_lo, exec_lo, s4
	s_waitcnt lgkmcnt(0)
	s_waitcnt_vscnt null, 0x0
	s_barrier
	buffer_gl0_inv
	s_clause 0x1c
	buffer_load_dword v67, off, s[0:3], 0 offset:24
	buffer_load_dword v68, off, s[0:3], 0 offset:28
	;; [unrolled: 1-line block ×29, first 2 shown]
	v_mov_b32_e32 v58, 0
	buffer_load_dword v92, off, s[0:3], 0 offset:140
	s_mov_b32 s4, exec_lo
	ds_read2_b64 v[59:62], v58 offset0:31 offset1:32
	ds_read2_b64 v[63:66], v58 offset0:33 offset1:34
	s_waitcnt vmcnt(28) lgkmcnt(1)
	v_fma_f64 v[59:60], v[67:68], v[59:60], 0
	s_clause 0x7
	buffer_load_dword v68, off, s[0:3], 0 offset:148
	buffer_load_dword v97, off, s[0:3], 0 offset:168
	;; [unrolled: 1-line block ×8, first 2 shown]
	s_waitcnt vmcnt(34)
	v_fma_f64 v[59:60], v[69:70], v[61:62], v[59:60]
	s_waitcnt vmcnt(32) lgkmcnt(0)
	v_fma_f64 v[59:60], v[71:72], v[63:64], v[59:60]
	s_waitcnt vmcnt(30)
	v_fma_f64 v[69:70], v[73:74], v[65:66], v[59:60]
	ds_read2_b64 v[59:62], v58 offset0:35 offset1:36
	ds_read2_b64 v[63:66], v58 offset0:37 offset1:38
	s_waitcnt vmcnt(28) lgkmcnt(1)
	v_fma_f64 v[59:60], v[75:76], v[59:60], v[69:70]
	s_clause 0x7
	buffer_load_dword v70, off, s[0:3], 0 offset:180
	buffer_load_dword v71, off, s[0:3], 0 offset:200
	;; [unrolled: 1-line block ×8, first 2 shown]
	s_waitcnt vmcnt(34)
	v_fma_f64 v[59:60], v[77:78], v[61:62], v[59:60]
	s_waitcnt vmcnt(32) lgkmcnt(0)
	v_fma_f64 v[59:60], v[79:80], v[63:64], v[59:60]
	s_waitcnt vmcnt(27)
	v_fma_f64 v[77:78], v[81:82], v[65:66], v[59:60]
	ds_read2_b64 v[59:62], v58 offset0:39 offset1:40
	ds_read2_b64 v[63:66], v58 offset0:41 offset1:42
	s_waitcnt vmcnt(26) lgkmcnt(1)
	v_fma_f64 v[59:60], v[87:88], v[59:60], v[77:78]
	s_clause 0x5
	buffer_load_dword v78, off, s[0:3], 0 offset:212
	buffer_load_dword v79, off, s[0:3], 0 offset:216
	;; [unrolled: 1-line block ×6, first 2 shown]
	s_waitcnt vmcnt(31)
	v_fma_f64 v[59:60], v[85:86], v[61:62], v[59:60]
	s_waitcnt vmcnt(30) lgkmcnt(0)
	v_fma_f64 v[59:60], v[83:84], v[63:64], v[59:60]
	s_waitcnt vmcnt(25)
	v_fma_f64 v[83:84], v[89:90], v[65:66], v[59:60]
	ds_read2_b64 v[59:62], v58 offset0:43 offset1:44
	ds_read2_b64 v[63:66], v58 offset0:45 offset1:46
	s_waitcnt vmcnt(24) lgkmcnt(1)
	v_fma_f64 v[59:60], v[95:96], v[59:60], v[83:84]
	s_waitcnt vmcnt(23)
	v_fma_f64 v[59:60], v[93:94], v[61:62], v[59:60]
	s_waitcnt vmcnt(22) lgkmcnt(0)
	v_fma_f64 v[59:60], v[91:92], v[63:64], v[59:60]
	s_waitcnt vmcnt(17)
	v_fma_f64 v[67:68], v[67:68], v[65:66], v[59:60]
	ds_read2_b64 v[59:62], v58 offset0:47 offset1:48
	ds_read2_b64 v[63:66], v58 offset0:49 offset1:50
	s_waitcnt vmcnt(16) lgkmcnt(1)
	v_fma_f64 v[59:60], v[101:102], v[59:60], v[67:68]
	;; [unrolled: 10-line block ×3, first 2 shown]
	s_waitcnt vmcnt(7)
	v_fma_f64 v[59:60], v[73:74], v[61:62], v[59:60]
	ds_read_b64 v[61:62], v58 offset:440
	s_waitcnt vmcnt(6) lgkmcnt(1)
	v_fma_f64 v[59:60], v[71:72], v[63:64], v[59:60]
	s_waitcnt vmcnt(3)
	v_fma_f64 v[59:60], v[77:78], v[65:66], v[59:60]
	s_waitcnt vmcnt(2) lgkmcnt(0)
	v_fma_f64 v[59:60], v[79:80], v[61:62], v[59:60]
	s_waitcnt vmcnt(0)
	v_add_f64 v[59:60], v[81:82], -v[59:60]
	buffer_store_dword v60, off, s[0:3], 0 offset:20
	buffer_store_dword v59, off, s[0:3], 0 offset:16
	v_cmpx_lt_u32_e32 1, v0
	s_cbranch_execz .LBB27_175
; %bb.174:
	s_clause 0x1
	buffer_load_dword v59, off, s[0:3], 0 offset:8
	buffer_load_dword v60, off, s[0:3], 0 offset:12
	buffer_store_dword v58, off, s[0:3], 0 offset:8
	buffer_store_dword v58, off, s[0:3], 0 offset:12
	s_waitcnt vmcnt(0)
	ds_write_b64 v57, v[59:60]
.LBB27_175:
	s_or_b32 exec_lo, exec_lo, s4
	s_waitcnt lgkmcnt(0)
	s_waitcnt_vscnt null, 0x0
	s_barrier
	buffer_gl0_inv
	s_clause 0x1c
	buffer_load_dword v67, off, s[0:3], 0 offset:16
	buffer_load_dword v68, off, s[0:3], 0 offset:20
	;; [unrolled: 1-line block ×29, first 2 shown]
	ds_read_b128 v[59:62], v58 offset:240
	ds_read_b128 v[63:66], v58 offset:256
	buffer_load_dword v92, off, s[0:3], 0 offset:132
	s_mov_b32 s4, exec_lo
	s_waitcnt vmcnt(28) lgkmcnt(1)
	v_fma_f64 v[59:60], v[67:68], v[59:60], 0
	s_clause 0x7
	buffer_load_dword v68, off, s[0:3], 0 offset:140
	buffer_load_dword v97, off, s[0:3], 0 offset:160
	;; [unrolled: 1-line block ×8, first 2 shown]
	s_waitcnt vmcnt(34)
	v_fma_f64 v[59:60], v[69:70], v[61:62], v[59:60]
	s_waitcnt vmcnt(32) lgkmcnt(0)
	v_fma_f64 v[59:60], v[71:72], v[63:64], v[59:60]
	s_waitcnt vmcnt(30)
	v_fma_f64 v[69:70], v[73:74], v[65:66], v[59:60]
	ds_read_b128 v[59:62], v58 offset:272
	ds_read_b128 v[63:66], v58 offset:288
	s_waitcnt vmcnt(28) lgkmcnt(1)
	v_fma_f64 v[59:60], v[75:76], v[59:60], v[69:70]
	s_clause 0x7
	buffer_load_dword v70, off, s[0:3], 0 offset:172
	buffer_load_dword v71, off, s[0:3], 0 offset:192
	;; [unrolled: 1-line block ×8, first 2 shown]
	s_waitcnt vmcnt(34)
	v_fma_f64 v[59:60], v[77:78], v[61:62], v[59:60]
	s_waitcnt vmcnt(32) lgkmcnt(0)
	v_fma_f64 v[59:60], v[79:80], v[63:64], v[59:60]
	s_waitcnt vmcnt(27)
	v_fma_f64 v[77:78], v[81:82], v[65:66], v[59:60]
	ds_read_b128 v[59:62], v58 offset:304
	ds_read_b128 v[63:66], v58 offset:320
	s_waitcnt vmcnt(26) lgkmcnt(1)
	v_fma_f64 v[59:60], v[87:88], v[59:60], v[77:78]
	s_clause 0x5
	buffer_load_dword v78, off, s[0:3], 0 offset:204
	buffer_load_dword v79, off, s[0:3], 0 offset:216
	;; [unrolled: 1-line block ×6, first 2 shown]
	s_waitcnt vmcnt(31)
	v_fma_f64 v[59:60], v[85:86], v[61:62], v[59:60]
	s_waitcnt vmcnt(30) lgkmcnt(0)
	v_fma_f64 v[59:60], v[83:84], v[63:64], v[59:60]
	s_waitcnt vmcnt(25)
	v_fma_f64 v[83:84], v[89:90], v[65:66], v[59:60]
	ds_read_b128 v[59:62], v58 offset:336
	s_clause 0x1
	buffer_load_dword v85, off, s[0:3], 0 offset:8
	buffer_load_dword v86, off, s[0:3], 0 offset:12
	ds_read_b128 v[63:66], v58 offset:352
	s_waitcnt vmcnt(26) lgkmcnt(1)
	v_fma_f64 v[59:60], v[95:96], v[59:60], v[83:84]
	s_waitcnt vmcnt(25)
	v_fma_f64 v[59:60], v[93:94], v[61:62], v[59:60]
	s_waitcnt vmcnt(24) lgkmcnt(0)
	v_fma_f64 v[59:60], v[91:92], v[63:64], v[59:60]
	s_waitcnt vmcnt(19)
	v_fma_f64 v[67:68], v[67:68], v[65:66], v[59:60]
	ds_read_b128 v[59:62], v58 offset:368
	ds_read_b128 v[63:66], v58 offset:384
	s_waitcnt vmcnt(18) lgkmcnt(1)
	v_fma_f64 v[59:60], v[101:102], v[59:60], v[67:68]
	s_waitcnt vmcnt(17)
	v_fma_f64 v[59:60], v[99:100], v[61:62], v[59:60]
	s_waitcnt vmcnt(16) lgkmcnt(0)
	v_fma_f64 v[59:60], v[97:98], v[63:64], v[59:60]
	s_waitcnt vmcnt(11)
	v_fma_f64 v[67:68], v[69:70], v[65:66], v[59:60]
	ds_read_b128 v[59:62], v58 offset:400
	;; [unrolled: 10-line block ×3, first 2 shown]
	s_waitcnt vmcnt(3) lgkmcnt(0)
	v_fma_f64 v[58:59], v[81:82], v[58:59], v[62:63]
	s_waitcnt vmcnt(2)
	v_fma_f64 v[58:59], v[79:80], v[60:61], v[58:59]
	s_waitcnt vmcnt(0)
	v_add_f64 v[58:59], v[85:86], -v[58:59]
	buffer_store_dword v59, off, s[0:3], 0 offset:12
	buffer_store_dword v58, off, s[0:3], 0 offset:8
	v_cmpx_ne_u32_e32 0, v0
	s_cbranch_execz .LBB27_177
; %bb.176:
	s_clause 0x1
	buffer_load_dword v58, off, s[0:3], 0
	buffer_load_dword v59, off, s[0:3], 0 offset:4
	v_mov_b32_e32 v0, 0
	buffer_store_dword v0, off, s[0:3], 0
	buffer_store_dword v0, off, s[0:3], 0 offset:4
	s_waitcnt vmcnt(0)
	ds_write_b64 v57, v[58:59]
.LBB27_177:
	s_or_b32 exec_lo, exec_lo, s4
	s_waitcnt lgkmcnt(0)
	s_waitcnt_vscnt null, 0x0
	s_barrier
	buffer_gl0_inv
	s_clause 0x1c
	buffer_load_dword v65, off, s[0:3], 0 offset:8
	buffer_load_dword v66, off, s[0:3], 0 offset:12
	;; [unrolled: 1-line block ×29, first 2 shown]
	v_mov_b32_e32 v0, 0
	buffer_load_dword v90, off, s[0:3], 0 offset:124
	s_and_b32 vcc_lo, exec_lo, s22
	ds_read2_b64 v[57:60], v0 offset0:29 offset1:30
	ds_read2_b64 v[61:64], v0 offset0:31 offset1:32
	s_clause 0x7
	buffer_load_dword v96, off, s[0:3], 0 offset:132
	buffer_load_dword v97, off, s[0:3], 0 offset:152
	;; [unrolled: 1-line block ×8, first 2 shown]
	s_waitcnt vmcnt(36) lgkmcnt(1)
	v_fma_f64 v[57:58], v[65:66], v[57:58], 0
	s_waitcnt vmcnt(34)
	v_fma_f64 v[57:58], v[67:68], v[59:60], v[57:58]
	s_waitcnt vmcnt(32) lgkmcnt(0)
	v_fma_f64 v[57:58], v[69:70], v[61:62], v[57:58]
	s_waitcnt vmcnt(30)
	v_fma_f64 v[65:66], v[71:72], v[63:64], v[57:58]
	ds_read2_b64 v[57:60], v0 offset0:33 offset1:34
	ds_read2_b64 v[61:64], v0 offset0:35 offset1:36
	s_waitcnt vmcnt(28) lgkmcnt(1)
	v_fma_f64 v[57:58], v[73:74], v[57:58], v[65:66]
	s_clause 0x7
	buffer_load_dword v68, off, s[0:3], 0 offset:164
	buffer_load_dword v69, off, s[0:3], 0 offset:184
	;; [unrolled: 1-line block ×8, first 2 shown]
	s_waitcnt vmcnt(34)
	v_fma_f64 v[57:58], v[75:76], v[59:60], v[57:58]
	s_waitcnt vmcnt(32) lgkmcnt(0)
	v_fma_f64 v[57:58], v[77:78], v[61:62], v[57:58]
	s_waitcnt vmcnt(27)
	v_fma_f64 v[65:66], v[79:80], v[63:64], v[57:58]
	ds_read2_b64 v[57:60], v0 offset0:37 offset1:38
	ds_read2_b64 v[61:64], v0 offset0:39 offset1:40
	s_waitcnt vmcnt(26) lgkmcnt(1)
	v_fma_f64 v[65:66], v[85:86], v[57:58], v[65:66]
	s_clause 0x6
	buffer_load_dword v76, off, s[0:3], 0 offset:196
	buffer_load_dword v77, off, s[0:3], 0 offset:216
	;; [unrolled: 1-line block ×7, first 2 shown]
	s_waitcnt vmcnt(32)
	v_fma_f64 v[58:59], v[83:84], v[59:60], v[65:66]
	s_waitcnt vmcnt(31) lgkmcnt(0)
	v_fma_f64 v[59:60], v[81:82], v[61:62], v[58:59]
	buffer_load_dword v58, off, s[0:3], 0 offset:212
	s_waitcnt vmcnt(27)
	v_fma_f64 v[81:82], v[87:88], v[63:64], v[59:60]
	ds_read2_b64 v[59:62], v0 offset0:41 offset1:42
	ds_read2_b64 v[63:66], v0 offset0:43 offset1:44
	s_waitcnt vmcnt(26) lgkmcnt(1)
	v_fma_f64 v[59:60], v[93:94], v[59:60], v[81:82]
	s_clause 0x1
	buffer_load_dword v81, off, s[0:3], 0
	buffer_load_dword v82, off, s[0:3], 0 offset:4
	s_waitcnt vmcnt(27)
	v_fma_f64 v[59:60], v[91:92], v[61:62], v[59:60]
	s_waitcnt vmcnt(26) lgkmcnt(0)
	v_fma_f64 v[59:60], v[89:90], v[63:64], v[59:60]
	s_waitcnt vmcnt(21)
	v_fma_f64 v[83:84], v[95:96], v[65:66], v[59:60]
	ds_read2_b64 v[59:62], v0 offset0:45 offset1:46
	ds_read2_b64 v[63:66], v0 offset0:47 offset1:48
	s_waitcnt vmcnt(20) lgkmcnt(1)
	v_fma_f64 v[59:60], v[101:102], v[59:60], v[83:84]
	s_waitcnt vmcnt(19)
	v_fma_f64 v[59:60], v[99:100], v[61:62], v[59:60]
	s_waitcnt vmcnt(18) lgkmcnt(0)
	v_fma_f64 v[59:60], v[97:98], v[63:64], v[59:60]
	s_waitcnt vmcnt(13)
	v_fma_f64 v[67:68], v[67:68], v[65:66], v[59:60]
	ds_read2_b64 v[59:62], v0 offset0:49 offset1:50
	ds_read2_b64 v[63:66], v0 offset0:51 offset1:52
	s_waitcnt vmcnt(12) lgkmcnt(1)
	v_fma_f64 v[59:60], v[73:74], v[59:60], v[67:68]
	s_waitcnt vmcnt(11)
	v_fma_f64 v[59:60], v[71:72], v[61:62], v[59:60]
	s_waitcnt vmcnt(10) lgkmcnt(0)
	v_fma_f64 v[59:60], v[69:70], v[63:64], v[59:60]
	s_waitcnt vmcnt(5)
	v_fma_f64 v[63:64], v[75:76], v[65:66], v[59:60]
	ds_read2_b64 v[59:62], v0 offset0:53 offset1:54
	ds_read_b64 v[65:66], v0 offset:440
	s_waitcnt vmcnt(4) lgkmcnt(1)
	v_fma_f64 v[59:60], v[79:80], v[59:60], v[63:64]
	s_waitcnt vmcnt(2)
	v_fma_f64 v[59:60], v[57:58], v[61:62], v[59:60]
	s_waitcnt lgkmcnt(0)
	v_fma_f64 v[59:60], v[77:78], v[65:66], v[59:60]
	s_waitcnt vmcnt(0)
	v_add_f64 v[59:60], v[81:82], -v[59:60]
	buffer_store_dword v60, off, s[0:3], 0 offset:4
	buffer_store_dword v59, off, s[0:3], 0
	s_cbranch_vccz .LBB27_232
; %bb.178:
	global_load_dword v0, v0, s[20:21] offset:104
	s_waitcnt vmcnt(0)
	v_add_nc_u32_e32 v0, -1, v0
	v_cmp_ne_u32_e32 vcc_lo, 26, v0
	s_cbranch_vccz .LBB27_180
; %bb.179:
	v_lshlrev_b32_e32 v0, 3, v0
	s_clause 0x1
	buffer_load_dword v59, v0, s[0:3], 0 offen offset:4
	buffer_load_dword v60, v0, s[0:3], 0 offen
	s_waitcnt vmcnt(1)
	buffer_store_dword v59, off, s[0:3], 0 offset:212
	s_waitcnt vmcnt(0)
	buffer_store_dword v60, off, s[0:3], 0 offset:208
	buffer_store_dword v58, v0, s[0:3], 0 offen offset:4
	buffer_store_dword v57, v0, s[0:3], 0 offen
.LBB27_180:
	v_mov_b32_e32 v0, 0
	global_load_dword v57, v0, s[20:21] offset:100
	s_waitcnt vmcnt(0)
	v_add_nc_u32_e32 v57, -1, v57
	v_cmp_eq_u32_e32 vcc_lo, 25, v57
	s_cbranch_vccnz .LBB27_182
; %bb.181:
	v_lshlrev_b32_e32 v57, 3, v57
	s_clause 0x3
	buffer_load_dword v58, v57, s[0:3], 0 offen
	buffer_load_dword v59, v57, s[0:3], 0 offen offset:4
	buffer_load_dword v60, off, s[0:3], 0 offset:200
	buffer_load_dword v61, off, s[0:3], 0 offset:204
	s_waitcnt vmcnt(3)
	buffer_store_dword v58, off, s[0:3], 0 offset:200
	s_waitcnt vmcnt(2)
	buffer_store_dword v59, off, s[0:3], 0 offset:204
	s_waitcnt vmcnt(1)
	buffer_store_dword v60, v57, s[0:3], 0 offen
	s_waitcnt vmcnt(0)
	buffer_store_dword v61, v57, s[0:3], 0 offen offset:4
.LBB27_182:
	global_load_dword v0, v0, s[20:21] offset:96
	s_waitcnt vmcnt(0)
	v_add_nc_u32_e32 v0, -1, v0
	v_cmp_eq_u32_e32 vcc_lo, 24, v0
	s_cbranch_vccnz .LBB27_184
; %bb.183:
	v_lshlrev_b32_e32 v0, 3, v0
	s_clause 0x3
	buffer_load_dword v57, v0, s[0:3], 0 offen
	buffer_load_dword v58, v0, s[0:3], 0 offen offset:4
	buffer_load_dword v59, off, s[0:3], 0 offset:196
	buffer_load_dword v60, off, s[0:3], 0 offset:192
	s_waitcnt vmcnt(3)
	buffer_store_dword v57, off, s[0:3], 0 offset:192
	s_waitcnt vmcnt(2)
	buffer_store_dword v58, off, s[0:3], 0 offset:196
	s_waitcnt vmcnt(1)
	buffer_store_dword v59, v0, s[0:3], 0 offen offset:4
	s_waitcnt vmcnt(0)
	buffer_store_dword v60, v0, s[0:3], 0 offen
.LBB27_184:
	v_mov_b32_e32 v0, 0
	global_load_dword v57, v0, s[20:21] offset:92
	s_waitcnt vmcnt(0)
	v_add_nc_u32_e32 v57, -1, v57
	v_cmp_eq_u32_e32 vcc_lo, 23, v57
	s_cbranch_vccnz .LBB27_186
; %bb.185:
	v_lshlrev_b32_e32 v57, 3, v57
	s_clause 0x3
	buffer_load_dword v58, v57, s[0:3], 0 offen
	buffer_load_dword v59, v57, s[0:3], 0 offen offset:4
	buffer_load_dword v60, off, s[0:3], 0 offset:184
	buffer_load_dword v61, off, s[0:3], 0 offset:188
	s_waitcnt vmcnt(3)
	buffer_store_dword v58, off, s[0:3], 0 offset:184
	s_waitcnt vmcnt(2)
	buffer_store_dword v59, off, s[0:3], 0 offset:188
	s_waitcnt vmcnt(1)
	buffer_store_dword v60, v57, s[0:3], 0 offen
	s_waitcnt vmcnt(0)
	buffer_store_dword v61, v57, s[0:3], 0 offen offset:4
.LBB27_186:
	global_load_dword v0, v0, s[20:21] offset:88
	s_waitcnt vmcnt(0)
	v_add_nc_u32_e32 v0, -1, v0
	v_cmp_eq_u32_e32 vcc_lo, 22, v0
	s_cbranch_vccnz .LBB27_188
; %bb.187:
	v_lshlrev_b32_e32 v0, 3, v0
	s_clause 0x3
	buffer_load_dword v57, v0, s[0:3], 0 offen
	buffer_load_dword v58, v0, s[0:3], 0 offen offset:4
	buffer_load_dword v59, off, s[0:3], 0 offset:180
	buffer_load_dword v60, off, s[0:3], 0 offset:176
	s_waitcnt vmcnt(3)
	buffer_store_dword v57, off, s[0:3], 0 offset:176
	s_waitcnt vmcnt(2)
	buffer_store_dword v58, off, s[0:3], 0 offset:180
	s_waitcnt vmcnt(1)
	buffer_store_dword v59, v0, s[0:3], 0 offen offset:4
	s_waitcnt vmcnt(0)
	buffer_store_dword v60, v0, s[0:3], 0 offen
.LBB27_188:
	;; [unrolled: 43-line block ×12, first 2 shown]
	v_mov_b32_e32 v0, 0
	global_load_dword v57, v0, s[20:21] offset:4
	s_waitcnt vmcnt(0)
	v_add_nc_u32_e32 v57, -1, v57
	v_cmp_eq_u32_e32 vcc_lo, 1, v57
	s_cbranch_vccnz .LBB27_230
; %bb.229:
	v_lshlrev_b32_e32 v57, 3, v57
	s_clause 0x3
	buffer_load_dword v58, v57, s[0:3], 0 offen
	buffer_load_dword v59, v57, s[0:3], 0 offen offset:4
	buffer_load_dword v60, off, s[0:3], 0 offset:8
	buffer_load_dword v61, off, s[0:3], 0 offset:12
	s_waitcnt vmcnt(3)
	buffer_store_dword v58, off, s[0:3], 0 offset:8
	s_waitcnt vmcnt(2)
	buffer_store_dword v59, off, s[0:3], 0 offset:12
	s_waitcnt vmcnt(1)
	buffer_store_dword v60, v57, s[0:3], 0 offen
	s_waitcnt vmcnt(0)
	buffer_store_dword v61, v57, s[0:3], 0 offen offset:4
.LBB27_230:
	global_load_dword v0, v0, s[20:21]
	s_clause 0x1
	buffer_load_dword v59, off, s[0:3], 0
	buffer_load_dword v60, off, s[0:3], 0 offset:4
	s_waitcnt vmcnt(2)
	v_add_nc_u32_e32 v0, -1, v0
	v_cmp_eq_u32_e32 vcc_lo, 0, v0
	s_cbranch_vccnz .LBB27_232
; %bb.231:
	v_lshlrev_b32_e32 v0, 3, v0
	s_clause 0x1
	buffer_load_dword v57, v0, s[0:3], 0 offen offset:4
	buffer_load_dword v58, v0, s[0:3], 0 offen
	s_waitcnt vmcnt(1)
	buffer_store_dword v57, off, s[0:3], 0 offset:4
	s_waitcnt vmcnt(0)
	buffer_store_dword v58, off, s[0:3], 0
	buffer_store_dword v60, v0, s[0:3], 0 offen offset:4
	buffer_store_dword v59, v0, s[0:3], 0 offen
	s_clause 0x1
	buffer_load_dword v59, off, s[0:3], 0
	buffer_load_dword v60, off, s[0:3], 0 offset:4
.LBB27_232:
	s_waitcnt vmcnt(0)
	global_store_dwordx2 v[1:2], v[59:60], off
	s_clause 0x35
	buffer_load_dword v0, off, s[0:3], 0 offset:8
	buffer_load_dword v1, off, s[0:3], 0 offset:12
	;; [unrolled: 1-line block ×54, first 2 shown]
	s_waitcnt vmcnt(52)
	global_store_dwordx2 v[3:4], v[0:1], off
	s_waitcnt vmcnt(50)
	global_store_dwordx2 v[5:6], v[57:58], off
	;; [unrolled: 2-line block ×27, first 2 shown]
	s_endpgm
	.section	.rodata,"a",@progbits
	.p2align	6, 0x0
	.amdhsa_kernel _ZN9rocsolver6v33100L18getri_kernel_smallILi28EdPdEEvT1_iilPiilS4_bb
		.amdhsa_group_segment_fixed_size 456
		.amdhsa_private_segment_fixed_size 240
		.amdhsa_kernarg_size 60
		.amdhsa_user_sgpr_count 6
		.amdhsa_user_sgpr_private_segment_buffer 1
		.amdhsa_user_sgpr_dispatch_ptr 0
		.amdhsa_user_sgpr_queue_ptr 0
		.amdhsa_user_sgpr_kernarg_segment_ptr 1
		.amdhsa_user_sgpr_dispatch_id 0
		.amdhsa_user_sgpr_flat_scratch_init 0
		.amdhsa_user_sgpr_private_segment_size 0
		.amdhsa_wavefront_size32 1
		.amdhsa_uses_dynamic_stack 0
		.amdhsa_system_sgpr_private_segment_wavefront_offset 1
		.amdhsa_system_sgpr_workgroup_id_x 1
		.amdhsa_system_sgpr_workgroup_id_y 0
		.amdhsa_system_sgpr_workgroup_id_z 0
		.amdhsa_system_sgpr_workgroup_info 0
		.amdhsa_system_vgpr_workitem_id 0
		.amdhsa_next_free_vgpr 109
		.amdhsa_next_free_sgpr 23
		.amdhsa_reserve_vcc 1
		.amdhsa_reserve_flat_scratch 0
		.amdhsa_float_round_mode_32 0
		.amdhsa_float_round_mode_16_64 0
		.amdhsa_float_denorm_mode_32 3
		.amdhsa_float_denorm_mode_16_64 3
		.amdhsa_dx10_clamp 1
		.amdhsa_ieee_mode 1
		.amdhsa_fp16_overflow 0
		.amdhsa_workgroup_processor_mode 1
		.amdhsa_memory_ordered 1
		.amdhsa_forward_progress 1
		.amdhsa_shared_vgpr_count 0
		.amdhsa_exception_fp_ieee_invalid_op 0
		.amdhsa_exception_fp_denorm_src 0
		.amdhsa_exception_fp_ieee_div_zero 0
		.amdhsa_exception_fp_ieee_overflow 0
		.amdhsa_exception_fp_ieee_underflow 0
		.amdhsa_exception_fp_ieee_inexact 0
		.amdhsa_exception_int_div_zero 0
	.end_amdhsa_kernel
	.section	.text._ZN9rocsolver6v33100L18getri_kernel_smallILi28EdPdEEvT1_iilPiilS4_bb,"axG",@progbits,_ZN9rocsolver6v33100L18getri_kernel_smallILi28EdPdEEvT1_iilPiilS4_bb,comdat
.Lfunc_end27:
	.size	_ZN9rocsolver6v33100L18getri_kernel_smallILi28EdPdEEvT1_iilPiilS4_bb, .Lfunc_end27-_ZN9rocsolver6v33100L18getri_kernel_smallILi28EdPdEEvT1_iilPiilS4_bb
                                        ; -- End function
	.set _ZN9rocsolver6v33100L18getri_kernel_smallILi28EdPdEEvT1_iilPiilS4_bb.num_vgpr, 109
	.set _ZN9rocsolver6v33100L18getri_kernel_smallILi28EdPdEEvT1_iilPiilS4_bb.num_agpr, 0
	.set _ZN9rocsolver6v33100L18getri_kernel_smallILi28EdPdEEvT1_iilPiilS4_bb.numbered_sgpr, 23
	.set _ZN9rocsolver6v33100L18getri_kernel_smallILi28EdPdEEvT1_iilPiilS4_bb.num_named_barrier, 0
	.set _ZN9rocsolver6v33100L18getri_kernel_smallILi28EdPdEEvT1_iilPiilS4_bb.private_seg_size, 240
	.set _ZN9rocsolver6v33100L18getri_kernel_smallILi28EdPdEEvT1_iilPiilS4_bb.uses_vcc, 1
	.set _ZN9rocsolver6v33100L18getri_kernel_smallILi28EdPdEEvT1_iilPiilS4_bb.uses_flat_scratch, 0
	.set _ZN9rocsolver6v33100L18getri_kernel_smallILi28EdPdEEvT1_iilPiilS4_bb.has_dyn_sized_stack, 0
	.set _ZN9rocsolver6v33100L18getri_kernel_smallILi28EdPdEEvT1_iilPiilS4_bb.has_recursion, 0
	.set _ZN9rocsolver6v33100L18getri_kernel_smallILi28EdPdEEvT1_iilPiilS4_bb.has_indirect_call, 0
	.section	.AMDGPU.csdata,"",@progbits
; Kernel info:
; codeLenInByte = 28084
; TotalNumSgprs: 25
; NumVgprs: 109
; ScratchSize: 240
; MemoryBound: 0
; FloatMode: 240
; IeeeMode: 1
; LDSByteSize: 456 bytes/workgroup (compile time only)
; SGPRBlocks: 0
; VGPRBlocks: 13
; NumSGPRsForWavesPerEU: 25
; NumVGPRsForWavesPerEU: 109
; Occupancy: 9
; WaveLimiterHint : 1
; COMPUTE_PGM_RSRC2:SCRATCH_EN: 1
; COMPUTE_PGM_RSRC2:USER_SGPR: 6
; COMPUTE_PGM_RSRC2:TRAP_HANDLER: 0
; COMPUTE_PGM_RSRC2:TGID_X_EN: 1
; COMPUTE_PGM_RSRC2:TGID_Y_EN: 0
; COMPUTE_PGM_RSRC2:TGID_Z_EN: 0
; COMPUTE_PGM_RSRC2:TIDIG_COMP_CNT: 0
	.section	.text._ZN9rocsolver6v33100L18getri_kernel_smallILi29EdPdEEvT1_iilPiilS4_bb,"axG",@progbits,_ZN9rocsolver6v33100L18getri_kernel_smallILi29EdPdEEvT1_iilPiilS4_bb,comdat
	.globl	_ZN9rocsolver6v33100L18getri_kernel_smallILi29EdPdEEvT1_iilPiilS4_bb ; -- Begin function _ZN9rocsolver6v33100L18getri_kernel_smallILi29EdPdEEvT1_iilPiilS4_bb
	.p2align	8
	.type	_ZN9rocsolver6v33100L18getri_kernel_smallILi29EdPdEEvT1_iilPiilS4_bb,@function
_ZN9rocsolver6v33100L18getri_kernel_smallILi29EdPdEEvT1_iilPiilS4_bb: ; @_ZN9rocsolver6v33100L18getri_kernel_smallILi29EdPdEEvT1_iilPiilS4_bb
; %bb.0:
	s_add_u32 s0, s0, s7
	s_addc_u32 s1, s1, 0
	s_mov_b32 s7, exec_lo
	v_cmpx_gt_u32_e32 29, v0
	s_cbranch_execz .LBB28_126
; %bb.1:
	s_clause 0x2
	s_load_dword s7, s[4:5], 0x38
	s_load_dwordx4 s[16:19], s[4:5], 0x10
	s_load_dwordx4 s[8:11], s[4:5], 0x28
                                        ; implicit-def: $sgpr20_sgpr21
	s_waitcnt lgkmcnt(0)
	s_bitcmp1_b32 s7, 8
	s_cselect_b32 s22, -1, 0
	s_bfe_u32 s12, s7, 0x10008
	s_ashr_i32 s7, s6, 31
	s_cmp_eq_u32 s12, 0
	s_cbranch_scc1 .LBB28_3
; %bb.2:
	s_load_dword s12, s[4:5], 0x20
	s_mul_i32 s13, s8, s7
	s_mul_hi_u32 s14, s8, s6
	s_mul_i32 s9, s9, s6
	s_add_i32 s13, s14, s13
	s_mul_i32 s8, s8, s6
	s_add_i32 s9, s13, s9
	s_lshl_b64 s[8:9], s[8:9], 2
	s_waitcnt lgkmcnt(0)
	s_ashr_i32 s13, s12, 31
	s_add_u32 s14, s18, s8
	s_addc_u32 s15, s19, s9
	s_lshl_b64 s[8:9], s[12:13], 2
	s_add_u32 s20, s14, s8
	s_addc_u32 s21, s15, s9
.LBB28_3:
	s_clause 0x1
	s_load_dwordx4 s[12:15], s[4:5], 0x0
	s_load_dword s18, s[4:5], 0x38
	s_mul_i32 s4, s16, s7
	s_mul_hi_u32 s5, s16, s6
	s_mul_i32 s8, s17, s6
	s_add_i32 s5, s5, s4
	s_mul_i32 s4, s16, s6
	s_add_i32 s5, s5, s8
	v_lshlrev_b32_e32 v61, 3, v0
	s_lshl_b64 s[4:5], s[4:5], 3
	s_waitcnt lgkmcnt(0)
	v_add3_u32 v1, s15, s15, v0
	s_ashr_i32 s9, s14, 31
	s_mov_b32 s8, s14
	s_add_u32 s12, s12, s4
	s_addc_u32 s13, s13, s5
	v_add_nc_u32_e32 v3, s15, v1
	v_ashrrev_i32_e32 v2, 31, v1
	s_lshl_b64 s[4:5], s[8:9], 3
	s_mov_b32 s8, s15
	s_add_u32 s4, s12, s4
	v_add_nc_u32_e32 v7, s15, v3
	v_ashrrev_i32_e32 v4, 31, v3
	v_lshlrev_b64 v[1:2], 3, v[1:2]
	s_addc_u32 s5, s13, s5
	v_add_co_u32 v43, s12, s4, v61
	v_ashrrev_i32_e32 v8, 31, v7
	s_ashr_i32 s9, s15, 31
	v_lshlrev_b64 v[3:4], 3, v[3:4]
	v_add_co_ci_u32_e64 v44, null, s5, 0, s12
	s_lshl_b64 s[8:9], s[8:9], 3
	v_add_co_u32 v1, vcc_lo, s4, v1
	v_lshlrev_b64 v[5:6], 3, v[7:8]
	v_add_co_ci_u32_e64 v2, null, s5, v2, vcc_lo
	v_add_co_u32 v11, vcc_lo, v43, s8
	v_add_co_ci_u32_e64 v12, null, s9, v44, vcc_lo
	v_add_co_u32 v3, vcc_lo, s4, v3
	;; [unrolled: 2-line block ×3, first 2 shown]
	v_add_co_ci_u32_e64 v6, null, s5, v6, vcc_lo
	s_clause 0x4
	global_load_dwordx2 v[59:60], v61, s[4:5]
	global_load_dwordx2 v[62:63], v[11:12], off
	global_load_dwordx2 v[64:65], v[1:2], off
	global_load_dwordx2 v[66:67], v[3:4], off
	global_load_dwordx2 v[68:69], v[5:6], off
	v_add_nc_u32_e32 v7, s15, v7
	s_bitcmp0_b32 s18, 0
	v_add_nc_u32_e32 v9, s15, v7
	v_ashrrev_i32_e32 v8, 31, v7
	v_add_nc_u32_e32 v13, s15, v9
	v_ashrrev_i32_e32 v10, 31, v9
	v_lshlrev_b64 v[7:8], 3, v[7:8]
	v_add_nc_u32_e32 v15, s15, v13
	v_ashrrev_i32_e32 v14, 31, v13
	v_lshlrev_b64 v[9:10], 3, v[9:10]
	v_add_co_u32 v7, vcc_lo, s4, v7
	v_add_nc_u32_e32 v17, s15, v15
	v_ashrrev_i32_e32 v16, 31, v15
	v_lshlrev_b64 v[13:14], 3, v[13:14]
	v_add_co_ci_u32_e64 v8, null, s5, v8, vcc_lo
	v_add_nc_u32_e32 v19, s15, v17
	v_ashrrev_i32_e32 v18, 31, v17
	v_lshlrev_b64 v[15:16], 3, v[15:16]
	v_add_co_u32 v9, vcc_lo, s4, v9
	v_add_nc_u32_e32 v21, s15, v19
	v_ashrrev_i32_e32 v20, 31, v19
	v_lshlrev_b64 v[17:18], 3, v[17:18]
	v_add_co_ci_u32_e64 v10, null, s5, v10, vcc_lo
	v_add_nc_u32_e32 v23, s15, v21
	v_ashrrev_i32_e32 v22, 31, v21
	v_add_co_u32 v13, vcc_lo, s4, v13
	v_lshlrev_b64 v[19:20], 3, v[19:20]
	v_add_nc_u32_e32 v25, s15, v23
	v_ashrrev_i32_e32 v24, 31, v23
	v_add_co_ci_u32_e64 v14, null, s5, v14, vcc_lo
	v_add_co_u32 v15, vcc_lo, s4, v15
	v_add_nc_u32_e32 v27, s15, v25
	v_ashrrev_i32_e32 v26, 31, v25
	v_lshlrev_b64 v[21:22], 3, v[21:22]
	v_add_co_ci_u32_e64 v16, null, s5, v16, vcc_lo
	v_add_nc_u32_e32 v29, s15, v27
	v_ashrrev_i32_e32 v28, 31, v27
	v_add_co_u32 v17, vcc_lo, s4, v17
	v_lshlrev_b64 v[23:24], 3, v[23:24]
	v_add_nc_u32_e32 v31, s15, v29
	v_ashrrev_i32_e32 v30, 31, v29
	v_add_co_ci_u32_e64 v18, null, s5, v18, vcc_lo
	v_add_co_u32 v19, vcc_lo, s4, v19
	v_add_nc_u32_e32 v33, s15, v31
	v_lshlrev_b64 v[25:26], 3, v[25:26]
	v_ashrrev_i32_e32 v32, 31, v31
	v_add_co_ci_u32_e64 v20, null, s5, v20, vcc_lo
	v_add_nc_u32_e32 v35, s15, v33
	v_add_co_u32 v21, vcc_lo, s4, v21
	v_lshlrev_b64 v[27:28], 3, v[27:28]
	v_ashrrev_i32_e32 v34, 31, v33
	v_add_nc_u32_e32 v37, s15, v35
	v_add_co_ci_u32_e64 v22, null, s5, v22, vcc_lo
	v_add_co_u32 v23, vcc_lo, s4, v23
	v_add_nc_u32_e32 v39, s15, v37
	v_lshlrev_b64 v[29:30], 3, v[29:30]
	v_ashrrev_i32_e32 v36, 31, v35
	v_add_co_ci_u32_e64 v24, null, s5, v24, vcc_lo
	v_add_nc_u32_e32 v41, s15, v39
	v_add_co_u32 v25, vcc_lo, s4, v25
	v_lshlrev_b64 v[31:32], 3, v[31:32]
	v_ashrrev_i32_e32 v38, 31, v37
	v_add_nc_u32_e32 v45, s15, v41
	;; [unrolled: 11-line block ×3, first 2 shown]
	v_add_co_ci_u32_e64 v30, null, s5, v30, vcc_lo
	v_add_co_u32 v31, vcc_lo, s4, v31
	v_add_nc_u32_e32 v53, s15, v51
	v_lshlrev_b64 v[37:38], 3, v[37:38]
	v_ashrrev_i32_e32 v46, 31, v45
	v_add_co_ci_u32_e64 v32, null, s5, v32, vcc_lo
	v_add_co_u32 v33, vcc_lo, s4, v33
	v_lshlrev_b64 v[39:40], 3, v[39:40]
	v_ashrrev_i32_e32 v48, 31, v47
	v_add_nc_u32_e32 v55, s15, v53
	v_add_co_ci_u32_e64 v34, null, s5, v34, vcc_lo
	v_add_co_u32 v35, vcc_lo, s4, v35
	v_lshlrev_b64 v[41:42], 3, v[41:42]
	v_ashrrev_i32_e32 v50, 31, v49
	v_add_co_ci_u32_e64 v36, null, s5, v36, vcc_lo
	v_add_co_u32 v37, vcc_lo, s4, v37
	v_lshlrev_b64 v[45:46], 3, v[45:46]
	v_ashrrev_i32_e32 v52, 31, v51
	v_add_co_ci_u32_e64 v38, null, s5, v38, vcc_lo
	v_add_co_u32 v39, vcc_lo, s4, v39
	v_lshlrev_b64 v[47:48], 3, v[47:48]
	v_add_nc_u32_e32 v57, s15, v55
	v_ashrrev_i32_e32 v54, 31, v53
	v_add_co_ci_u32_e64 v40, null, s5, v40, vcc_lo
	v_add_co_u32 v41, vcc_lo, s4, v41
	v_lshlrev_b64 v[49:50], 3, v[49:50]
	v_ashrrev_i32_e32 v56, 31, v55
	v_add_co_ci_u32_e64 v42, null, s5, v42, vcc_lo
	v_add_co_u32 v45, vcc_lo, s4, v45
	v_lshlrev_b64 v[51:52], 3, v[51:52]
	;; [unrolled: 4-line block ×3, first 2 shown]
	v_add_co_ci_u32_e64 v48, null, s5, v48, vcc_lo
	v_add_co_u32 v49, vcc_lo, s4, v49
	v_lshlrev_b64 v[55:56], 3, v[55:56]
	v_add_co_ci_u32_e64 v50, null, s5, v50, vcc_lo
	v_add_co_u32 v51, vcc_lo, s4, v51
	v_lshlrev_b64 v[102:103], 3, v[57:58]
	v_add_co_ci_u32_e64 v52, null, s5, v52, vcc_lo
	v_add_co_u32 v53, vcc_lo, s4, v53
	v_add_co_ci_u32_e64 v54, null, s5, v54, vcc_lo
	v_add_co_u32 v57, vcc_lo, s4, v55
	;; [unrolled: 2-line block ×3, first 2 shown]
	s_clause 0xf
	global_load_dwordx2 v[70:71], v[7:8], off
	global_load_dwordx2 v[72:73], v[9:10], off
	;; [unrolled: 1-line block ×16, first 2 shown]
	v_add_co_ci_u32_e64 v56, null, s5, v103, vcc_lo
	s_mov_b32 s5, -1
	s_waitcnt vmcnt(20)
	buffer_store_dword v60, off, s[0:3], 0 offset:4
	buffer_store_dword v59, off, s[0:3], 0
	s_clause 0x3
	global_load_dwordx2 v[59:60], v[41:42], off
	global_load_dwordx2 v[102:103], v[45:46], off
	;; [unrolled: 1-line block ×4, first 2 shown]
	s_waitcnt vmcnt(23)
	buffer_store_dword v63, off, s[0:3], 0 offset:12
	buffer_store_dword v62, off, s[0:3], 0 offset:8
	global_load_dwordx2 v[62:63], v[51:52], off
	s_waitcnt vmcnt(23)
	buffer_store_dword v65, off, s[0:3], 0 offset:20
	buffer_store_dword v64, off, s[0:3], 0 offset:16
	s_waitcnt vmcnt(22)
	buffer_store_dword v67, off, s[0:3], 0 offset:28
	buffer_store_dword v66, off, s[0:3], 0 offset:24
	s_clause 0x1
	global_load_dwordx2 v[64:65], v[53:54], off
	global_load_dwordx2 v[66:67], v[57:58], off
	s_waitcnt vmcnt(23)
	buffer_store_dword v69, off, s[0:3], 0 offset:36
	buffer_store_dword v68, off, s[0:3], 0 offset:32
	global_load_dwordx2 v[68:69], v[55:56], off
	s_waitcnt vmcnt(23)
	buffer_store_dword v71, off, s[0:3], 0 offset:44
	buffer_store_dword v70, off, s[0:3], 0 offset:40
	s_waitcnt vmcnt(22)
	buffer_store_dword v73, off, s[0:3], 0 offset:52
	buffer_store_dword v72, off, s[0:3], 0 offset:48
	;; [unrolled: 3-line block ×24, first 2 shown]
	s_cbranch_scc1 .LBB28_124
; %bb.4:
	v_cmp_eq_u32_e64 s4, 0, v0
	s_and_saveexec_b32 s5, s4
; %bb.5:
	v_mov_b32_e32 v59, 0
	ds_write_b32 v59, v59 offset:232
; %bb.6:
	s_or_b32 exec_lo, exec_lo, s5
	v_lshl_add_u32 v59, v0, 3, 0
	s_waitcnt lgkmcnt(0)
	s_waitcnt_vscnt null, 0x0
	s_barrier
	buffer_gl0_inv
	s_mov_b32 s8, exec_lo
	s_clause 0x1
	buffer_load_dword v62, v59, s[0:3], 0 offen
	buffer_load_dword v63, v59, s[0:3], 0 offen offset:4
	s_waitcnt vmcnt(0)
	v_cmpx_eq_f64_e32 0, v[62:63]
	s_cbranch_execz .LBB28_10
; %bb.7:
	v_mov_b32_e32 v60, 0
	s_mov_b32 s9, 0
	ds_read_b32 v62, v60 offset:232
	s_waitcnt lgkmcnt(0)
	v_readfirstlane_b32 s5, v62
	v_add_nc_u32_e32 v62, 1, v0
	s_cmp_eq_u32 s5, 0
	v_cmp_gt_i32_e32 vcc_lo, s5, v62
	s_cselect_b32 s12, -1, 0
	s_or_b32 s12, s12, vcc_lo
	s_and_b32 exec_lo, exec_lo, s12
	s_cbranch_execz .LBB28_10
; %bb.8:
	v_mov_b32_e32 v63, s5
.LBB28_9:                               ; =>This Inner Loop Header: Depth=1
	ds_cmpst_rtn_b32 v63, v60, v63, v62 offset:232
	s_waitcnt lgkmcnt(0)
	v_cmp_ne_u32_e32 vcc_lo, 0, v63
	v_cmp_le_i32_e64 s5, v63, v62
	s_and_b32 s5, vcc_lo, s5
	s_and_b32 s5, exec_lo, s5
	s_or_b32 s9, s5, s9
	s_andn2_b32 exec_lo, exec_lo, s9
	s_cbranch_execnz .LBB28_9
.LBB28_10:
	s_or_b32 exec_lo, exec_lo, s8
	v_mov_b32_e32 v60, 0
	s_barrier
	buffer_gl0_inv
	ds_read_b32 v62, v60 offset:232
	s_and_saveexec_b32 s5, s4
	s_cbranch_execz .LBB28_12
; %bb.11:
	s_lshl_b64 s[8:9], s[6:7], 2
	s_add_u32 s8, s10, s8
	s_addc_u32 s9, s11, s9
	s_waitcnt lgkmcnt(0)
	global_store_dword v60, v62, s[8:9]
.LBB28_12:
	s_or_b32 exec_lo, exec_lo, s5
	s_waitcnt lgkmcnt(0)
	v_cmp_ne_u32_e32 vcc_lo, 0, v62
	s_mov_b32 s5, 0
	s_cbranch_vccnz .LBB28_124
; %bb.13:
	s_clause 0x1
	buffer_load_dword v62, v59, s[0:3], 0 offen
	buffer_load_dword v63, v59, s[0:3], 0 offen offset:4
	s_waitcnt vmcnt(0)
	v_div_scale_f64 v[64:65], null, v[62:63], v[62:63], 1.0
	v_div_scale_f64 v[70:71], vcc_lo, 1.0, v[62:63], 1.0
	v_rcp_f64_e32 v[66:67], v[64:65]
	v_fma_f64 v[68:69], -v[64:65], v[66:67], 1.0
	v_fma_f64 v[66:67], v[66:67], v[68:69], v[66:67]
	v_fma_f64 v[68:69], -v[64:65], v[66:67], 1.0
	v_fma_f64 v[66:67], v[66:67], v[68:69], v[66:67]
	v_mul_f64 v[68:69], v[70:71], v[66:67]
	v_fma_f64 v[64:65], -v[64:65], v[68:69], v[70:71]
	v_div_fmas_f64 v[64:65], v[64:65], v[66:67], v[68:69]
	v_div_fixup_f64 v[63:64], v[64:65], v[62:63], 1.0
	v_add_nc_u32_e32 v62, 0xf0, v61
	buffer_store_dword v64, v59, s[0:3], 0 offen offset:4
	buffer_store_dword v63, v59, s[0:3], 0 offen
	s_clause 0x1
	buffer_load_dword v66, off, s[0:3], 0 offset:12
	buffer_load_dword v65, off, s[0:3], 0 offset:8
	v_xor_b32_e32 v64, 0x80000000, v64
	s_waitcnt vmcnt(0)
	ds_write2_b64 v61, v[63:64], v[65:66] offset1:30
	s_waitcnt lgkmcnt(0)
	s_waitcnt_vscnt null, 0x0
	s_barrier
	buffer_gl0_inv
	s_and_saveexec_b32 s5, s4
	s_cbranch_execz .LBB28_15
; %bb.14:
	s_clause 0x1
	buffer_load_dword v63, v59, s[0:3], 0 offen
	buffer_load_dword v64, v59, s[0:3], 0 offen offset:4
	ds_read_b64 v[65:66], v62
	v_mov_b32_e32 v60, 0
	ds_read_b64 v[67:68], v60 offset:8
	s_waitcnt vmcnt(0) lgkmcnt(1)
	v_fma_f64 v[63:64], v[63:64], v[65:66], 0
	s_waitcnt lgkmcnt(0)
	v_mul_f64 v[63:64], v[63:64], v[67:68]
	buffer_store_dword v63, off, s[0:3], 0 offset:8
	buffer_store_dword v64, off, s[0:3], 0 offset:12
.LBB28_15:
	s_or_b32 exec_lo, exec_lo, s5
	s_waitcnt_vscnt null, 0x0
	s_barrier
	buffer_gl0_inv
	s_clause 0x1
	buffer_load_dword v63, off, s[0:3], 0 offset:16
	buffer_load_dword v64, off, s[0:3], 0 offset:20
	s_mov_b32 s5, exec_lo
	s_waitcnt vmcnt(0)
	ds_write_b64 v62, v[63:64]
	s_waitcnt lgkmcnt(0)
	s_barrier
	buffer_gl0_inv
	v_cmpx_gt_u32_e32 2, v0
	s_cbranch_execz .LBB28_19
; %bb.16:
	s_clause 0x1
	buffer_load_dword v63, v59, s[0:3], 0 offen
	buffer_load_dword v64, v59, s[0:3], 0 offen offset:4
	ds_read_b64 v[59:60], v62
	s_waitcnt vmcnt(0) lgkmcnt(0)
	v_fma_f64 v[59:60], v[63:64], v[59:60], 0
	s_and_saveexec_b32 s8, s4
	s_cbranch_execz .LBB28_18
; %bb.17:
	s_clause 0x1
	buffer_load_dword v63, off, s[0:3], 0 offset:8
	buffer_load_dword v64, off, s[0:3], 0 offset:12
	v_mov_b32_e32 v65, 0
	ds_read_b64 v[65:66], v65 offset:248
	s_waitcnt vmcnt(0) lgkmcnt(0)
	v_fma_f64 v[59:60], v[63:64], v[65:66], v[59:60]
.LBB28_18:
	s_or_b32 exec_lo, exec_lo, s8
	v_mov_b32_e32 v63, 0
	ds_read_b64 v[63:64], v63 offset:16
	s_waitcnt lgkmcnt(0)
	v_mul_f64 v[59:60], v[59:60], v[63:64]
	buffer_store_dword v60, off, s[0:3], 0 offset:20
	buffer_store_dword v59, off, s[0:3], 0 offset:16
.LBB28_19:
	s_or_b32 exec_lo, exec_lo, s5
	s_waitcnt_vscnt null, 0x0
	s_barrier
	buffer_gl0_inv
	s_clause 0x1
	buffer_load_dword v59, off, s[0:3], 0 offset:24
	buffer_load_dword v60, off, s[0:3], 0 offset:28
	v_add_nc_u32_e32 v63, -1, v0
	s_mov_b32 s4, exec_lo
	s_waitcnt vmcnt(0)
	ds_write_b64 v62, v[59:60]
	s_waitcnt lgkmcnt(0)
	s_barrier
	buffer_gl0_inv
	v_cmpx_gt_u32_e32 3, v0
	s_cbranch_execz .LBB28_23
; %bb.20:
	v_mov_b32_e32 v59, 0
	v_add_nc_u32_e32 v64, -1, v0
	v_add_nc_u32_e32 v65, 0xf0, v61
	v_mov_b32_e32 v60, 0
	v_mov_b32_e32 v66, v61
	s_mov_b32 s5, 0
.LBB28_21:                              ; =>This Inner Loop Header: Depth=1
	s_clause 0x1
	buffer_load_dword v67, v66, s[0:3], 0 offen
	buffer_load_dword v68, v66, s[0:3], 0 offen offset:4
	ds_read_b64 v[69:70], v65
	v_add_nc_u32_e32 v64, 1, v64
	v_add_nc_u32_e32 v65, 8, v65
	v_add_nc_u32_e32 v66, 8, v66
	v_cmp_lt_u32_e32 vcc_lo, 1, v64
	s_or_b32 s5, vcc_lo, s5
	s_waitcnt vmcnt(0) lgkmcnt(0)
	v_fma_f64 v[59:60], v[67:68], v[69:70], v[59:60]
	s_andn2_b32 exec_lo, exec_lo, s5
	s_cbranch_execnz .LBB28_21
; %bb.22:
	s_or_b32 exec_lo, exec_lo, s5
	v_mov_b32_e32 v64, 0
	ds_read_b64 v[64:65], v64 offset:24
	s_waitcnt lgkmcnt(0)
	v_mul_f64 v[59:60], v[59:60], v[64:65]
	buffer_store_dword v60, off, s[0:3], 0 offset:28
	buffer_store_dword v59, off, s[0:3], 0 offset:24
.LBB28_23:
	s_or_b32 exec_lo, exec_lo, s4
	s_waitcnt_vscnt null, 0x0
	s_barrier
	buffer_gl0_inv
	s_clause 0x1
	buffer_load_dword v59, off, s[0:3], 0 offset:32
	buffer_load_dword v60, off, s[0:3], 0 offset:36
	s_mov_b32 s4, exec_lo
	s_waitcnt vmcnt(0)
	ds_write_b64 v62, v[59:60]
	s_waitcnt lgkmcnt(0)
	s_barrier
	buffer_gl0_inv
	v_cmpx_gt_u32_e32 4, v0
	s_cbranch_execz .LBB28_27
; %bb.24:
	v_mov_b32_e32 v59, 0
	v_add_nc_u32_e32 v64, -1, v0
	v_add_nc_u32_e32 v65, 0xf0, v61
	v_mov_b32_e32 v60, 0
	v_mov_b32_e32 v66, v61
	s_mov_b32 s5, 0
.LBB28_25:                              ; =>This Inner Loop Header: Depth=1
	s_clause 0x1
	buffer_load_dword v67, v66, s[0:3], 0 offen
	buffer_load_dword v68, v66, s[0:3], 0 offen offset:4
	ds_read_b64 v[69:70], v65
	v_add_nc_u32_e32 v64, 1, v64
	v_add_nc_u32_e32 v65, 8, v65
	v_add_nc_u32_e32 v66, 8, v66
	v_cmp_lt_u32_e32 vcc_lo, 2, v64
	s_or_b32 s5, vcc_lo, s5
	s_waitcnt vmcnt(0) lgkmcnt(0)
	v_fma_f64 v[59:60], v[67:68], v[69:70], v[59:60]
	s_andn2_b32 exec_lo, exec_lo, s5
	s_cbranch_execnz .LBB28_25
; %bb.26:
	s_or_b32 exec_lo, exec_lo, s5
	v_mov_b32_e32 v64, 0
	ds_read_b64 v[64:65], v64 offset:32
	s_waitcnt lgkmcnt(0)
	v_mul_f64 v[59:60], v[59:60], v[64:65]
	buffer_store_dword v60, off, s[0:3], 0 offset:36
	buffer_store_dword v59, off, s[0:3], 0 offset:32
.LBB28_27:
	s_or_b32 exec_lo, exec_lo, s4
	s_waitcnt_vscnt null, 0x0
	s_barrier
	buffer_gl0_inv
	s_clause 0x1
	buffer_load_dword v59, off, s[0:3], 0 offset:40
	buffer_load_dword v60, off, s[0:3], 0 offset:44
	;; [unrolled: 45-line block ×20, first 2 shown]
	s_mov_b32 s4, exec_lo
	s_waitcnt vmcnt(0)
	ds_write_b64 v62, v[59:60]
	s_waitcnt lgkmcnt(0)
	s_barrier
	buffer_gl0_inv
	v_cmpx_gt_u32_e32 23, v0
	s_cbranch_execz .LBB28_103
; %bb.100:
	v_mov_b32_e32 v59, 0
	v_add_nc_u32_e32 v64, -1, v0
	v_add_nc_u32_e32 v65, 0xf0, v61
	v_mov_b32_e32 v60, 0
	v_mov_b32_e32 v66, v61
	s_mov_b32 s5, 0
.LBB28_101:                             ; =>This Inner Loop Header: Depth=1
	s_clause 0x1
	buffer_load_dword v67, v66, s[0:3], 0 offen
	buffer_load_dword v68, v66, s[0:3], 0 offen offset:4
	ds_read_b64 v[69:70], v65
	v_add_nc_u32_e32 v64, 1, v64
	v_add_nc_u32_e32 v65, 8, v65
	v_add_nc_u32_e32 v66, 8, v66
	v_cmp_lt_u32_e32 vcc_lo, 21, v64
	s_or_b32 s5, vcc_lo, s5
	s_waitcnt vmcnt(0) lgkmcnt(0)
	v_fma_f64 v[59:60], v[67:68], v[69:70], v[59:60]
	s_andn2_b32 exec_lo, exec_lo, s5
	s_cbranch_execnz .LBB28_101
; %bb.102:
	s_or_b32 exec_lo, exec_lo, s5
	v_mov_b32_e32 v64, 0
	ds_read_b64 v[64:65], v64 offset:184
	s_waitcnt lgkmcnt(0)
	v_mul_f64 v[59:60], v[59:60], v[64:65]
	buffer_store_dword v60, off, s[0:3], 0 offset:188
	buffer_store_dword v59, off, s[0:3], 0 offset:184
.LBB28_103:
	s_or_b32 exec_lo, exec_lo, s4
	s_waitcnt_vscnt null, 0x0
	s_barrier
	buffer_gl0_inv
	s_clause 0x1
	buffer_load_dword v59, off, s[0:3], 0 offset:192
	buffer_load_dword v60, off, s[0:3], 0 offset:196
	s_mov_b32 s4, exec_lo
	s_waitcnt vmcnt(0)
	ds_write_b64 v62, v[59:60]
	s_waitcnt lgkmcnt(0)
	s_barrier
	buffer_gl0_inv
	v_cmpx_gt_u32_e32 24, v0
	s_cbranch_execz .LBB28_107
; %bb.104:
	v_mov_b32_e32 v59, 0
	v_add_nc_u32_e32 v64, -1, v0
	v_add_nc_u32_e32 v65, 0xf0, v61
	v_mov_b32_e32 v60, 0
	v_mov_b32_e32 v66, v61
	s_mov_b32 s5, 0
.LBB28_105:                             ; =>This Inner Loop Header: Depth=1
	s_clause 0x1
	buffer_load_dword v67, v66, s[0:3], 0 offen
	buffer_load_dword v68, v66, s[0:3], 0 offen offset:4
	ds_read_b64 v[69:70], v65
	v_add_nc_u32_e32 v64, 1, v64
	v_add_nc_u32_e32 v65, 8, v65
	v_add_nc_u32_e32 v66, 8, v66
	v_cmp_lt_u32_e32 vcc_lo, 22, v64
	s_or_b32 s5, vcc_lo, s5
	s_waitcnt vmcnt(0) lgkmcnt(0)
	v_fma_f64 v[59:60], v[67:68], v[69:70], v[59:60]
	s_andn2_b32 exec_lo, exec_lo, s5
	s_cbranch_execnz .LBB28_105
; %bb.106:
	s_or_b32 exec_lo, exec_lo, s5
	v_mov_b32_e32 v64, 0
	ds_read_b64 v[64:65], v64 offset:192
	s_waitcnt lgkmcnt(0)
	v_mul_f64 v[59:60], v[59:60], v[64:65]
	buffer_store_dword v60, off, s[0:3], 0 offset:196
	buffer_store_dword v59, off, s[0:3], 0 offset:192
.LBB28_107:
	s_or_b32 exec_lo, exec_lo, s4
	s_waitcnt_vscnt null, 0x0
	s_barrier
	buffer_gl0_inv
	s_clause 0x1
	buffer_load_dword v59, off, s[0:3], 0 offset:200
	buffer_load_dword v60, off, s[0:3], 0 offset:204
	;; [unrolled: 45-line block ×5, first 2 shown]
	s_mov_b32 s4, exec_lo
	s_waitcnt vmcnt(0)
	ds_write_b64 v62, v[59:60]
	s_waitcnt lgkmcnt(0)
	s_barrier
	buffer_gl0_inv
	v_cmpx_ne_u32_e32 28, v0
	s_cbranch_execz .LBB28_123
; %bb.120:
	v_mov_b32_e32 v59, 0
	v_mov_b32_e32 v60, 0
	s_mov_b32 s5, 0
.LBB28_121:                             ; =>This Inner Loop Header: Depth=1
	s_clause 0x1
	buffer_load_dword v64, v61, s[0:3], 0 offen
	buffer_load_dword v65, v61, s[0:3], 0 offen offset:4
	ds_read_b64 v[66:67], v62
	v_add_nc_u32_e32 v63, 1, v63
	v_add_nc_u32_e32 v62, 8, v62
	;; [unrolled: 1-line block ×3, first 2 shown]
	v_cmp_lt_u32_e32 vcc_lo, 26, v63
	s_or_b32 s5, vcc_lo, s5
	s_waitcnt vmcnt(0) lgkmcnt(0)
	v_fma_f64 v[59:60], v[64:65], v[66:67], v[59:60]
	s_andn2_b32 exec_lo, exec_lo, s5
	s_cbranch_execnz .LBB28_121
; %bb.122:
	s_or_b32 exec_lo, exec_lo, s5
	v_mov_b32_e32 v61, 0
	ds_read_b64 v[61:62], v61 offset:224
	s_waitcnt lgkmcnt(0)
	v_mul_f64 v[59:60], v[59:60], v[61:62]
	buffer_store_dword v60, off, s[0:3], 0 offset:228
	buffer_store_dword v59, off, s[0:3], 0 offset:224
.LBB28_123:
	s_or_b32 exec_lo, exec_lo, s4
	s_mov_b32 s5, -1
	s_waitcnt_vscnt null, 0x0
	s_barrier
	buffer_gl0_inv
.LBB28_124:
	s_and_b32 vcc_lo, exec_lo, s5
	s_cbranch_vccz .LBB28_126
; %bb.125:
	s_lshl_b64 s[4:5], s[6:7], 2
	v_mov_b32_e32 v59, 0
	s_add_u32 s4, s10, s4
	s_addc_u32 s5, s11, s5
	global_load_dword v59, v59, s[4:5]
	s_waitcnt vmcnt(0)
	v_cmp_ne_u32_e32 vcc_lo, 0, v59
	s_cbranch_vccz .LBB28_127
.LBB28_126:
	s_endpgm
.LBB28_127:
	v_lshl_add_u32 v59, v0, 3, 0xf0
	s_mov_b32 s4, exec_lo
	v_cmpx_eq_u32_e32 28, v0
	s_cbranch_execz .LBB28_129
; %bb.128:
	s_clause 0x1
	buffer_load_dword v60, off, s[0:3], 0 offset:216
	buffer_load_dword v61, off, s[0:3], 0 offset:220
	v_mov_b32_e32 v62, 0
	buffer_store_dword v62, off, s[0:3], 0 offset:216
	buffer_store_dword v62, off, s[0:3], 0 offset:220
	s_waitcnt vmcnt(0)
	ds_write_b64 v59, v[60:61]
.LBB28_129:
	s_or_b32 exec_lo, exec_lo, s4
	s_waitcnt lgkmcnt(0)
	s_waitcnt_vscnt null, 0x0
	s_barrier
	buffer_gl0_inv
	s_clause 0x3
	buffer_load_dword v61, off, s[0:3], 0 offset:224
	buffer_load_dword v62, off, s[0:3], 0 offset:228
	;; [unrolled: 1-line block ×4, first 2 shown]
	v_mov_b32_e32 v60, 0
	s_mov_b32 s4, exec_lo
	ds_read_b64 v[65:66], v60 offset:464
	s_waitcnt vmcnt(2) lgkmcnt(0)
	v_fma_f64 v[61:62], v[61:62], v[65:66], 0
	s_waitcnt vmcnt(0)
	v_add_f64 v[61:62], v[63:64], -v[61:62]
	buffer_store_dword v61, off, s[0:3], 0 offset:216
	buffer_store_dword v62, off, s[0:3], 0 offset:220
	v_cmpx_lt_u32_e32 26, v0
	s_cbranch_execz .LBB28_131
; %bb.130:
	s_clause 0x1
	buffer_load_dword v61, off, s[0:3], 0 offset:208
	buffer_load_dword v62, off, s[0:3], 0 offset:212
	buffer_store_dword v60, off, s[0:3], 0 offset:208
	buffer_store_dword v60, off, s[0:3], 0 offset:212
	s_waitcnt vmcnt(0)
	ds_write_b64 v59, v[61:62]
.LBB28_131:
	s_or_b32 exec_lo, exec_lo, s4
	s_waitcnt lgkmcnt(0)
	s_waitcnt_vscnt null, 0x0
	s_barrier
	buffer_gl0_inv
	s_clause 0x5
	buffer_load_dword v64, off, s[0:3], 0 offset:216
	buffer_load_dword v65, off, s[0:3], 0 offset:220
	;; [unrolled: 1-line block ×6, first 2 shown]
	ds_read2_b64 v[60:63], v60 offset0:57 offset1:58
	s_mov_b32 s4, exec_lo
	s_waitcnt vmcnt(4) lgkmcnt(0)
	v_fma_f64 v[60:61], v[64:65], v[60:61], 0
	s_waitcnt vmcnt(2)
	v_fma_f64 v[60:61], v[66:67], v[62:63], v[60:61]
	s_waitcnt vmcnt(0)
	v_add_f64 v[60:61], v[68:69], -v[60:61]
	buffer_store_dword v60, off, s[0:3], 0 offset:208
	buffer_store_dword v61, off, s[0:3], 0 offset:212
	v_cmpx_lt_u32_e32 25, v0
	s_cbranch_execz .LBB28_133
; %bb.132:
	s_clause 0x1
	buffer_load_dword v60, off, s[0:3], 0 offset:200
	buffer_load_dword v61, off, s[0:3], 0 offset:204
	v_mov_b32_e32 v62, 0
	buffer_store_dword v62, off, s[0:3], 0 offset:200
	buffer_store_dword v62, off, s[0:3], 0 offset:204
	s_waitcnt vmcnt(0)
	ds_write_b64 v59, v[60:61]
.LBB28_133:
	s_or_b32 exec_lo, exec_lo, s4
	s_waitcnt lgkmcnt(0)
	s_waitcnt_vscnt null, 0x0
	s_barrier
	buffer_gl0_inv
	s_clause 0x7
	buffer_load_dword v65, off, s[0:3], 0 offset:208
	buffer_load_dword v66, off, s[0:3], 0 offset:212
	;; [unrolled: 1-line block ×8, first 2 shown]
	v_mov_b32_e32 v60, 0
	ds_read_b128 v[61:64], v60 offset:448
	ds_read_b64 v[73:74], v60 offset:464
	s_mov_b32 s4, exec_lo
	s_waitcnt vmcnt(6) lgkmcnt(1)
	v_fma_f64 v[61:62], v[65:66], v[61:62], 0
	s_waitcnt vmcnt(4)
	v_fma_f64 v[61:62], v[67:68], v[63:64], v[61:62]
	s_waitcnt vmcnt(2) lgkmcnt(0)
	v_fma_f64 v[61:62], v[69:70], v[73:74], v[61:62]
	s_waitcnt vmcnt(0)
	v_add_f64 v[61:62], v[71:72], -v[61:62]
	buffer_store_dword v61, off, s[0:3], 0 offset:200
	buffer_store_dword v62, off, s[0:3], 0 offset:204
	v_cmpx_lt_u32_e32 24, v0
	s_cbranch_execz .LBB28_135
; %bb.134:
	s_clause 0x1
	buffer_load_dword v61, off, s[0:3], 0 offset:192
	buffer_load_dword v62, off, s[0:3], 0 offset:196
	buffer_store_dword v60, off, s[0:3], 0 offset:192
	buffer_store_dword v60, off, s[0:3], 0 offset:196
	s_waitcnt vmcnt(0)
	ds_write_b64 v59, v[61:62]
.LBB28_135:
	s_or_b32 exec_lo, exec_lo, s4
	s_waitcnt lgkmcnt(0)
	s_waitcnt_vscnt null, 0x0
	s_barrier
	buffer_gl0_inv
	s_clause 0x9
	buffer_load_dword v69, off, s[0:3], 0 offset:200
	buffer_load_dword v70, off, s[0:3], 0 offset:204
	;; [unrolled: 1-line block ×10, first 2 shown]
	ds_read2_b64 v[61:64], v60 offset0:55 offset1:56
	ds_read2_b64 v[65:68], v60 offset0:57 offset1:58
	s_mov_b32 s4, exec_lo
	s_waitcnt vmcnt(8) lgkmcnt(1)
	v_fma_f64 v[60:61], v[69:70], v[61:62], 0
	s_waitcnt vmcnt(6)
	v_fma_f64 v[60:61], v[71:72], v[63:64], v[60:61]
	s_waitcnt vmcnt(4) lgkmcnt(0)
	v_fma_f64 v[60:61], v[73:74], v[65:66], v[60:61]
	s_waitcnt vmcnt(2)
	v_fma_f64 v[60:61], v[75:76], v[67:68], v[60:61]
	s_waitcnt vmcnt(0)
	v_add_f64 v[60:61], v[77:78], -v[60:61]
	buffer_store_dword v60, off, s[0:3], 0 offset:192
	buffer_store_dword v61, off, s[0:3], 0 offset:196
	v_cmpx_lt_u32_e32 23, v0
	s_cbranch_execz .LBB28_137
; %bb.136:
	s_clause 0x1
	buffer_load_dword v60, off, s[0:3], 0 offset:184
	buffer_load_dword v61, off, s[0:3], 0 offset:188
	v_mov_b32_e32 v62, 0
	buffer_store_dword v62, off, s[0:3], 0 offset:184
	buffer_store_dword v62, off, s[0:3], 0 offset:188
	s_waitcnt vmcnt(0)
	ds_write_b64 v59, v[60:61]
.LBB28_137:
	s_or_b32 exec_lo, exec_lo, s4
	s_waitcnt lgkmcnt(0)
	s_waitcnt_vscnt null, 0x0
	s_barrier
	buffer_gl0_inv
	s_clause 0xb
	buffer_load_dword v69, off, s[0:3], 0 offset:192
	buffer_load_dword v70, off, s[0:3], 0 offset:196
	;; [unrolled: 1-line block ×12, first 2 shown]
	v_mov_b32_e32 v60, 0
	ds_read_b128 v[61:64], v60 offset:432
	ds_read_b128 v[65:68], v60 offset:448
	s_mov_b32 s4, exec_lo
	s_waitcnt vmcnt(10) lgkmcnt(1)
	v_fma_f64 v[61:62], v[69:70], v[61:62], 0
	s_waitcnt vmcnt(8)
	v_fma_f64 v[61:62], v[71:72], v[63:64], v[61:62]
	ds_read_b64 v[63:64], v60 offset:464
	s_waitcnt vmcnt(6) lgkmcnt(1)
	v_fma_f64 v[61:62], v[73:74], v[65:66], v[61:62]
	s_waitcnt vmcnt(4)
	v_fma_f64 v[61:62], v[75:76], v[67:68], v[61:62]
	s_waitcnt vmcnt(2) lgkmcnt(0)
	v_fma_f64 v[61:62], v[77:78], v[63:64], v[61:62]
	s_waitcnt vmcnt(0)
	v_add_f64 v[61:62], v[79:80], -v[61:62]
	buffer_store_dword v61, off, s[0:3], 0 offset:184
	buffer_store_dword v62, off, s[0:3], 0 offset:188
	v_cmpx_lt_u32_e32 22, v0
	s_cbranch_execz .LBB28_139
; %bb.138:
	s_clause 0x1
	buffer_load_dword v61, off, s[0:3], 0 offset:176
	buffer_load_dword v62, off, s[0:3], 0 offset:180
	buffer_store_dword v60, off, s[0:3], 0 offset:176
	buffer_store_dword v60, off, s[0:3], 0 offset:180
	s_waitcnt vmcnt(0)
	ds_write_b64 v59, v[61:62]
.LBB28_139:
	s_or_b32 exec_lo, exec_lo, s4
	s_waitcnt lgkmcnt(0)
	s_waitcnt_vscnt null, 0x0
	s_barrier
	buffer_gl0_inv
	s_clause 0xd
	buffer_load_dword v69, off, s[0:3], 0 offset:184
	buffer_load_dword v70, off, s[0:3], 0 offset:188
	;; [unrolled: 1-line block ×14, first 2 shown]
	ds_read2_b64 v[61:64], v60 offset0:53 offset1:54
	ds_read2_b64 v[65:68], v60 offset0:55 offset1:56
	s_mov_b32 s4, exec_lo
	s_waitcnt vmcnt(12) lgkmcnt(1)
	v_fma_f64 v[61:62], v[69:70], v[61:62], 0
	s_waitcnt vmcnt(10)
	v_fma_f64 v[61:62], v[71:72], v[63:64], v[61:62]
	s_waitcnt vmcnt(8) lgkmcnt(0)
	v_fma_f64 v[61:62], v[73:74], v[65:66], v[61:62]
	s_waitcnt vmcnt(6)
	v_fma_f64 v[64:65], v[75:76], v[67:68], v[61:62]
	ds_read2_b64 v[60:63], v60 offset0:57 offset1:58
	s_waitcnt vmcnt(4) lgkmcnt(0)
	v_fma_f64 v[60:61], v[77:78], v[60:61], v[64:65]
	s_waitcnt vmcnt(2)
	v_fma_f64 v[60:61], v[79:80], v[62:63], v[60:61]
	s_waitcnt vmcnt(0)
	v_add_f64 v[60:61], v[81:82], -v[60:61]
	buffer_store_dword v60, off, s[0:3], 0 offset:176
	buffer_store_dword v61, off, s[0:3], 0 offset:180
	v_cmpx_lt_u32_e32 21, v0
	s_cbranch_execz .LBB28_141
; %bb.140:
	s_clause 0x1
	buffer_load_dword v60, off, s[0:3], 0 offset:168
	buffer_load_dword v61, off, s[0:3], 0 offset:172
	v_mov_b32_e32 v62, 0
	buffer_store_dword v62, off, s[0:3], 0 offset:168
	buffer_store_dword v62, off, s[0:3], 0 offset:172
	s_waitcnt vmcnt(0)
	ds_write_b64 v59, v[60:61]
.LBB28_141:
	s_or_b32 exec_lo, exec_lo, s4
	s_waitcnt lgkmcnt(0)
	s_waitcnt_vscnt null, 0x0
	s_barrier
	buffer_gl0_inv
	s_clause 0xf
	buffer_load_dword v69, off, s[0:3], 0 offset:176
	buffer_load_dword v70, off, s[0:3], 0 offset:180
	buffer_load_dword v71, off, s[0:3], 0 offset:184
	buffer_load_dword v72, off, s[0:3], 0 offset:188
	buffer_load_dword v73, off, s[0:3], 0 offset:192
	buffer_load_dword v74, off, s[0:3], 0 offset:196
	buffer_load_dword v75, off, s[0:3], 0 offset:200
	buffer_load_dword v76, off, s[0:3], 0 offset:204
	buffer_load_dword v77, off, s[0:3], 0 offset:208
	buffer_load_dword v78, off, s[0:3], 0 offset:212
	buffer_load_dword v79, off, s[0:3], 0 offset:216
	buffer_load_dword v80, off, s[0:3], 0 offset:220
	buffer_load_dword v81, off, s[0:3], 0 offset:224
	buffer_load_dword v82, off, s[0:3], 0 offset:228
	buffer_load_dword v83, off, s[0:3], 0 offset:168
	buffer_load_dword v84, off, s[0:3], 0 offset:172
	v_mov_b32_e32 v60, 0
	ds_read_b128 v[61:64], v60 offset:416
	ds_read_b128 v[65:68], v60 offset:432
	s_mov_b32 s4, exec_lo
	s_waitcnt vmcnt(14) lgkmcnt(1)
	v_fma_f64 v[61:62], v[69:70], v[61:62], 0
	s_waitcnt vmcnt(12)
	v_fma_f64 v[61:62], v[71:72], v[63:64], v[61:62]
	s_waitcnt vmcnt(10) lgkmcnt(0)
	v_fma_f64 v[61:62], v[73:74], v[65:66], v[61:62]
	s_waitcnt vmcnt(8)
	v_fma_f64 v[65:66], v[75:76], v[67:68], v[61:62]
	ds_read_b128 v[61:64], v60 offset:448
	ds_read_b64 v[67:68], v60 offset:464
	s_waitcnt vmcnt(6) lgkmcnt(1)
	v_fma_f64 v[61:62], v[77:78], v[61:62], v[65:66]
	s_waitcnt vmcnt(4)
	v_fma_f64 v[61:62], v[79:80], v[63:64], v[61:62]
	s_waitcnt vmcnt(2) lgkmcnt(0)
	v_fma_f64 v[61:62], v[81:82], v[67:68], v[61:62]
	s_waitcnt vmcnt(0)
	v_add_f64 v[61:62], v[83:84], -v[61:62]
	buffer_store_dword v61, off, s[0:3], 0 offset:168
	buffer_store_dword v62, off, s[0:3], 0 offset:172
	v_cmpx_lt_u32_e32 20, v0
	s_cbranch_execz .LBB28_143
; %bb.142:
	s_clause 0x1
	buffer_load_dword v61, off, s[0:3], 0 offset:160
	buffer_load_dword v62, off, s[0:3], 0 offset:164
	buffer_store_dword v60, off, s[0:3], 0 offset:160
	buffer_store_dword v60, off, s[0:3], 0 offset:164
	s_waitcnt vmcnt(0)
	ds_write_b64 v59, v[61:62]
.LBB28_143:
	s_or_b32 exec_lo, exec_lo, s4
	s_waitcnt lgkmcnt(0)
	s_waitcnt_vscnt null, 0x0
	s_barrier
	buffer_gl0_inv
	s_clause 0x11
	buffer_load_dword v69, off, s[0:3], 0 offset:168
	buffer_load_dword v70, off, s[0:3], 0 offset:172
	buffer_load_dword v71, off, s[0:3], 0 offset:176
	buffer_load_dword v72, off, s[0:3], 0 offset:180
	buffer_load_dword v73, off, s[0:3], 0 offset:184
	buffer_load_dword v74, off, s[0:3], 0 offset:188
	buffer_load_dword v75, off, s[0:3], 0 offset:192
	buffer_load_dword v76, off, s[0:3], 0 offset:196
	buffer_load_dword v77, off, s[0:3], 0 offset:200
	buffer_load_dword v78, off, s[0:3], 0 offset:204
	buffer_load_dword v79, off, s[0:3], 0 offset:208
	buffer_load_dword v80, off, s[0:3], 0 offset:212
	buffer_load_dword v81, off, s[0:3], 0 offset:216
	buffer_load_dword v82, off, s[0:3], 0 offset:220
	buffer_load_dword v84, off, s[0:3], 0 offset:228
	buffer_load_dword v83, off, s[0:3], 0 offset:224
	buffer_load_dword v85, off, s[0:3], 0 offset:160
	buffer_load_dword v86, off, s[0:3], 0 offset:164
	ds_read2_b64 v[61:64], v60 offset0:51 offset1:52
	ds_read2_b64 v[65:68], v60 offset0:53 offset1:54
	s_mov_b32 s4, exec_lo
	s_waitcnt vmcnt(16) lgkmcnt(1)
	v_fma_f64 v[61:62], v[69:70], v[61:62], 0
	s_waitcnt vmcnt(14)
	v_fma_f64 v[61:62], v[71:72], v[63:64], v[61:62]
	s_waitcnt vmcnt(12) lgkmcnt(0)
	v_fma_f64 v[61:62], v[73:74], v[65:66], v[61:62]
	s_waitcnt vmcnt(10)
	v_fma_f64 v[69:70], v[75:76], v[67:68], v[61:62]
	ds_read2_b64 v[61:64], v60 offset0:55 offset1:56
	ds_read2_b64 v[65:68], v60 offset0:57 offset1:58
	s_waitcnt vmcnt(8) lgkmcnt(1)
	v_fma_f64 v[60:61], v[77:78], v[61:62], v[69:70]
	s_waitcnt vmcnt(6)
	v_fma_f64 v[60:61], v[79:80], v[63:64], v[60:61]
	s_waitcnt vmcnt(4) lgkmcnt(0)
	v_fma_f64 v[60:61], v[81:82], v[65:66], v[60:61]
	s_waitcnt vmcnt(2)
	v_fma_f64 v[60:61], v[83:84], v[67:68], v[60:61]
	s_waitcnt vmcnt(0)
	v_add_f64 v[60:61], v[85:86], -v[60:61]
	buffer_store_dword v60, off, s[0:3], 0 offset:160
	buffer_store_dword v61, off, s[0:3], 0 offset:164
	v_cmpx_lt_u32_e32 19, v0
	s_cbranch_execz .LBB28_145
; %bb.144:
	s_clause 0x1
	buffer_load_dword v60, off, s[0:3], 0 offset:152
	buffer_load_dword v61, off, s[0:3], 0 offset:156
	v_mov_b32_e32 v62, 0
	buffer_store_dword v62, off, s[0:3], 0 offset:152
	buffer_store_dword v62, off, s[0:3], 0 offset:156
	s_waitcnt vmcnt(0)
	ds_write_b64 v59, v[60:61]
.LBB28_145:
	s_or_b32 exec_lo, exec_lo, s4
	s_waitcnt lgkmcnt(0)
	s_waitcnt_vscnt null, 0x0
	s_barrier
	buffer_gl0_inv
	s_clause 0x13
	buffer_load_dword v69, off, s[0:3], 0 offset:160
	buffer_load_dword v70, off, s[0:3], 0 offset:164
	;; [unrolled: 1-line block ×20, first 2 shown]
	v_mov_b32_e32 v60, 0
	ds_read_b128 v[61:64], v60 offset:400
	ds_read_b128 v[65:68], v60 offset:416
	s_mov_b32 s4, exec_lo
	s_waitcnt vmcnt(18) lgkmcnt(1)
	v_fma_f64 v[61:62], v[69:70], v[61:62], 0
	s_waitcnt vmcnt(16)
	v_fma_f64 v[61:62], v[71:72], v[63:64], v[61:62]
	s_waitcnt vmcnt(14) lgkmcnt(0)
	v_fma_f64 v[61:62], v[73:74], v[65:66], v[61:62]
	s_waitcnt vmcnt(12)
	v_fma_f64 v[69:70], v[75:76], v[67:68], v[61:62]
	ds_read_b128 v[61:64], v60 offset:432
	ds_read_b128 v[65:68], v60 offset:448
	s_waitcnt vmcnt(10) lgkmcnt(1)
	v_fma_f64 v[61:62], v[77:78], v[61:62], v[69:70]
	s_waitcnt vmcnt(8)
	v_fma_f64 v[61:62], v[79:80], v[63:64], v[61:62]
	ds_read_b64 v[63:64], v60 offset:464
	s_waitcnt vmcnt(6) lgkmcnt(1)
	v_fma_f64 v[61:62], v[81:82], v[65:66], v[61:62]
	s_waitcnt vmcnt(3)
	v_fma_f64 v[61:62], v[83:84], v[67:68], v[61:62]
	s_waitcnt vmcnt(2) lgkmcnt(0)
	v_fma_f64 v[61:62], v[85:86], v[63:64], v[61:62]
	s_waitcnt vmcnt(0)
	v_add_f64 v[61:62], v[87:88], -v[61:62]
	buffer_store_dword v61, off, s[0:3], 0 offset:152
	buffer_store_dword v62, off, s[0:3], 0 offset:156
	v_cmpx_lt_u32_e32 18, v0
	s_cbranch_execz .LBB28_147
; %bb.146:
	s_clause 0x1
	buffer_load_dword v61, off, s[0:3], 0 offset:144
	buffer_load_dword v62, off, s[0:3], 0 offset:148
	buffer_store_dword v60, off, s[0:3], 0 offset:144
	buffer_store_dword v60, off, s[0:3], 0 offset:148
	s_waitcnt vmcnt(0)
	ds_write_b64 v59, v[61:62]
.LBB28_147:
	s_or_b32 exec_lo, exec_lo, s4
	s_waitcnt lgkmcnt(0)
	s_waitcnt_vscnt null, 0x0
	s_barrier
	buffer_gl0_inv
	s_clause 0x15
	buffer_load_dword v69, off, s[0:3], 0 offset:152
	buffer_load_dword v70, off, s[0:3], 0 offset:156
	;; [unrolled: 1-line block ×22, first 2 shown]
	ds_read2_b64 v[61:64], v60 offset0:49 offset1:50
	ds_read2_b64 v[65:68], v60 offset0:51 offset1:52
	s_mov_b32 s4, exec_lo
	s_waitcnt vmcnt(20) lgkmcnt(1)
	v_fma_f64 v[61:62], v[69:70], v[61:62], 0
	s_waitcnt vmcnt(18)
	v_fma_f64 v[61:62], v[71:72], v[63:64], v[61:62]
	s_waitcnt vmcnt(16) lgkmcnt(0)
	v_fma_f64 v[61:62], v[73:74], v[65:66], v[61:62]
	s_waitcnt vmcnt(14)
	v_fma_f64 v[69:70], v[75:76], v[67:68], v[61:62]
	ds_read2_b64 v[61:64], v60 offset0:53 offset1:54
	ds_read2_b64 v[65:68], v60 offset0:55 offset1:56
	s_waitcnt vmcnt(12) lgkmcnt(1)
	v_fma_f64 v[61:62], v[77:78], v[61:62], v[69:70]
	s_waitcnt vmcnt(10)
	v_fma_f64 v[61:62], v[79:80], v[63:64], v[61:62]
	s_waitcnt vmcnt(8) lgkmcnt(0)
	v_fma_f64 v[61:62], v[81:82], v[65:66], v[61:62]
	s_waitcnt vmcnt(4)
	v_fma_f64 v[64:65], v[83:84], v[67:68], v[61:62]
	ds_read2_b64 v[60:63], v60 offset0:57 offset1:58
	s_waitcnt vmcnt(3) lgkmcnt(0)
	v_fma_f64 v[60:61], v[87:88], v[60:61], v[64:65]
	s_waitcnt vmcnt(2)
	v_fma_f64 v[60:61], v[85:86], v[62:63], v[60:61]
	s_waitcnt vmcnt(0)
	v_add_f64 v[60:61], v[89:90], -v[60:61]
	buffer_store_dword v60, off, s[0:3], 0 offset:144
	buffer_store_dword v61, off, s[0:3], 0 offset:148
	v_cmpx_lt_u32_e32 17, v0
	s_cbranch_execz .LBB28_149
; %bb.148:
	s_clause 0x1
	buffer_load_dword v60, off, s[0:3], 0 offset:136
	buffer_load_dword v61, off, s[0:3], 0 offset:140
	v_mov_b32_e32 v62, 0
	buffer_store_dword v62, off, s[0:3], 0 offset:136
	buffer_store_dword v62, off, s[0:3], 0 offset:140
	s_waitcnt vmcnt(0)
	ds_write_b64 v59, v[60:61]
.LBB28_149:
	s_or_b32 exec_lo, exec_lo, s4
	s_waitcnt lgkmcnt(0)
	s_waitcnt_vscnt null, 0x0
	s_barrier
	buffer_gl0_inv
	s_clause 0x17
	buffer_load_dword v69, off, s[0:3], 0 offset:144
	buffer_load_dword v70, off, s[0:3], 0 offset:148
	;; [unrolled: 1-line block ×24, first 2 shown]
	v_mov_b32_e32 v60, 0
	ds_read_b128 v[61:64], v60 offset:384
	ds_read_b128 v[65:68], v60 offset:400
	s_mov_b32 s4, exec_lo
	s_waitcnt vmcnt(22) lgkmcnt(1)
	v_fma_f64 v[61:62], v[69:70], v[61:62], 0
	s_waitcnt vmcnt(20)
	v_fma_f64 v[61:62], v[71:72], v[63:64], v[61:62]
	s_waitcnt vmcnt(18) lgkmcnt(0)
	v_fma_f64 v[61:62], v[73:74], v[65:66], v[61:62]
	s_waitcnt vmcnt(16)
	v_fma_f64 v[69:70], v[75:76], v[67:68], v[61:62]
	ds_read_b128 v[61:64], v60 offset:416
	ds_read_b128 v[65:68], v60 offset:432
	s_waitcnt vmcnt(14) lgkmcnt(1)
	v_fma_f64 v[61:62], v[77:78], v[61:62], v[69:70]
	s_waitcnt vmcnt(12)
	v_fma_f64 v[61:62], v[79:80], v[63:64], v[61:62]
	s_waitcnt vmcnt(10) lgkmcnt(0)
	v_fma_f64 v[61:62], v[81:82], v[65:66], v[61:62]
	s_waitcnt vmcnt(5)
	v_fma_f64 v[65:66], v[83:84], v[67:68], v[61:62]
	ds_read_b128 v[61:64], v60 offset:448
	ds_read_b64 v[67:68], v60 offset:464
	s_waitcnt vmcnt(4) lgkmcnt(1)
	v_fma_f64 v[61:62], v[89:90], v[61:62], v[65:66]
	s_waitcnt vmcnt(3)
	v_fma_f64 v[61:62], v[87:88], v[63:64], v[61:62]
	s_waitcnt vmcnt(2) lgkmcnt(0)
	v_fma_f64 v[61:62], v[85:86], v[67:68], v[61:62]
	s_waitcnt vmcnt(0)
	v_add_f64 v[61:62], v[91:92], -v[61:62]
	buffer_store_dword v62, off, s[0:3], 0 offset:140
	buffer_store_dword v61, off, s[0:3], 0 offset:136
	v_cmpx_lt_u32_e32 16, v0
	s_cbranch_execz .LBB28_151
; %bb.150:
	s_clause 0x1
	buffer_load_dword v61, off, s[0:3], 0 offset:128
	buffer_load_dword v62, off, s[0:3], 0 offset:132
	buffer_store_dword v60, off, s[0:3], 0 offset:128
	buffer_store_dword v60, off, s[0:3], 0 offset:132
	s_waitcnt vmcnt(0)
	ds_write_b64 v59, v[61:62]
.LBB28_151:
	s_or_b32 exec_lo, exec_lo, s4
	s_waitcnt lgkmcnt(0)
	s_waitcnt_vscnt null, 0x0
	s_barrier
	buffer_gl0_inv
	s_clause 0x19
	buffer_load_dword v65, off, s[0:3], 0 offset:136
	buffer_load_dword v66, off, s[0:3], 0 offset:140
	;; [unrolled: 1-line block ×26, first 2 shown]
	ds_read2_b64 v[61:64], v60 offset0:47 offset1:48
	s_mov_b32 s4, exec_lo
	s_waitcnt vmcnt(24) lgkmcnt(0)
	v_fma_f64 v[61:62], v[65:66], v[61:62], 0
	s_waitcnt vmcnt(22)
	v_fma_f64 v[65:66], v[67:68], v[63:64], v[61:62]
	ds_read2_b64 v[61:64], v60 offset0:49 offset1:50
	s_waitcnt vmcnt(20) lgkmcnt(0)
	v_fma_f64 v[61:62], v[69:70], v[61:62], v[65:66]
	s_waitcnt vmcnt(18)
	v_fma_f64 v[65:66], v[71:72], v[63:64], v[61:62]
	ds_read2_b64 v[61:64], v60 offset0:51 offset1:52
	;; [unrolled: 5-line block ×5, first 2 shown]
	s_waitcnt vmcnt(4) lgkmcnt(0)
	v_fma_f64 v[60:61], v[85:86], v[60:61], v[64:65]
	s_waitcnt vmcnt(2)
	v_fma_f64 v[60:61], v[87:88], v[62:63], v[60:61]
	s_waitcnt vmcnt(0)
	v_add_f64 v[60:61], v[89:90], -v[60:61]
	buffer_store_dword v61, off, s[0:3], 0 offset:132
	buffer_store_dword v60, off, s[0:3], 0 offset:128
	v_cmpx_lt_u32_e32 15, v0
	s_cbranch_execz .LBB28_153
; %bb.152:
	s_clause 0x1
	buffer_load_dword v60, off, s[0:3], 0 offset:120
	buffer_load_dword v61, off, s[0:3], 0 offset:124
	v_mov_b32_e32 v62, 0
	buffer_store_dword v62, off, s[0:3], 0 offset:120
	buffer_store_dword v62, off, s[0:3], 0 offset:124
	s_waitcnt vmcnt(0)
	ds_write_b64 v59, v[60:61]
.LBB28_153:
	s_or_b32 exec_lo, exec_lo, s4
	s_waitcnt lgkmcnt(0)
	s_waitcnt_vscnt null, 0x0
	s_barrier
	buffer_gl0_inv
	s_clause 0x1b
	buffer_load_dword v65, off, s[0:3], 0 offset:128
	buffer_load_dword v66, off, s[0:3], 0 offset:132
	;; [unrolled: 1-line block ×28, first 2 shown]
	v_mov_b32_e32 v60, 0
	s_mov_b32 s4, exec_lo
	ds_read_b128 v[61:64], v60 offset:368
	s_waitcnt vmcnt(26) lgkmcnt(0)
	v_fma_f64 v[61:62], v[65:66], v[61:62], 0
	s_waitcnt vmcnt(24)
	v_fma_f64 v[65:66], v[67:68], v[63:64], v[61:62]
	ds_read_b128 v[61:64], v60 offset:384
	s_waitcnt vmcnt(22) lgkmcnt(0)
	v_fma_f64 v[61:62], v[69:70], v[61:62], v[65:66]
	s_waitcnt vmcnt(20)
	v_fma_f64 v[65:66], v[71:72], v[63:64], v[61:62]
	;; [unrolled: 5-line block ×6, first 2 shown]
	ds_read_b64 v[63:64], v60 offset:464
	s_waitcnt vmcnt(2) lgkmcnt(0)
	v_fma_f64 v[61:62], v[89:90], v[63:64], v[61:62]
	s_waitcnt vmcnt(0)
	v_add_f64 v[61:62], v[91:92], -v[61:62]
	buffer_store_dword v62, off, s[0:3], 0 offset:124
	buffer_store_dword v61, off, s[0:3], 0 offset:120
	v_cmpx_lt_u32_e32 14, v0
	s_cbranch_execz .LBB28_155
; %bb.154:
	s_clause 0x1
	buffer_load_dword v61, off, s[0:3], 0 offset:112
	buffer_load_dword v62, off, s[0:3], 0 offset:116
	buffer_store_dword v60, off, s[0:3], 0 offset:112
	buffer_store_dword v60, off, s[0:3], 0 offset:116
	s_waitcnt vmcnt(0)
	ds_write_b64 v59, v[61:62]
.LBB28_155:
	s_or_b32 exec_lo, exec_lo, s4
	s_waitcnt lgkmcnt(0)
	s_waitcnt_vscnt null, 0x0
	s_barrier
	buffer_gl0_inv
	s_clause 0x1b
	buffer_load_dword v65, off, s[0:3], 0 offset:120
	buffer_load_dword v66, off, s[0:3], 0 offset:124
	;; [unrolled: 1-line block ×28, first 2 shown]
	ds_read2_b64 v[61:64], v60 offset0:45 offset1:46
	s_clause 0x1
	buffer_load_dword v93, off, s[0:3], 0 offset:112
	buffer_load_dword v94, off, s[0:3], 0 offset:116
	s_mov_b32 s4, exec_lo
	s_waitcnt vmcnt(28) lgkmcnt(0)
	v_fma_f64 v[61:62], v[65:66], v[61:62], 0
	s_waitcnt vmcnt(26)
	v_fma_f64 v[65:66], v[67:68], v[63:64], v[61:62]
	ds_read2_b64 v[61:64], v60 offset0:47 offset1:48
	s_waitcnt vmcnt(24) lgkmcnt(0)
	v_fma_f64 v[61:62], v[69:70], v[61:62], v[65:66]
	s_waitcnt vmcnt(22)
	v_fma_f64 v[65:66], v[71:72], v[63:64], v[61:62]
	ds_read2_b64 v[61:64], v60 offset0:49 offset1:50
	;; [unrolled: 5-line block ×6, first 2 shown]
	s_waitcnt vmcnt(4) lgkmcnt(0)
	v_fma_f64 v[60:61], v[89:90], v[60:61], v[64:65]
	s_waitcnt vmcnt(2)
	v_fma_f64 v[60:61], v[91:92], v[62:63], v[60:61]
	s_waitcnt vmcnt(0)
	v_add_f64 v[60:61], v[93:94], -v[60:61]
	buffer_store_dword v61, off, s[0:3], 0 offset:116
	buffer_store_dword v60, off, s[0:3], 0 offset:112
	v_cmpx_lt_u32_e32 13, v0
	s_cbranch_execz .LBB28_157
; %bb.156:
	s_clause 0x1
	buffer_load_dword v60, off, s[0:3], 0 offset:104
	buffer_load_dword v61, off, s[0:3], 0 offset:108
	v_mov_b32_e32 v62, 0
	buffer_store_dword v62, off, s[0:3], 0 offset:104
	buffer_store_dword v62, off, s[0:3], 0 offset:108
	s_waitcnt vmcnt(0)
	ds_write_b64 v59, v[60:61]
.LBB28_157:
	s_or_b32 exec_lo, exec_lo, s4
	s_waitcnt lgkmcnt(0)
	s_waitcnt_vscnt null, 0x0
	s_barrier
	buffer_gl0_inv
	s_clause 0x1c
	buffer_load_dword v69, off, s[0:3], 0 offset:112
	buffer_load_dword v70, off, s[0:3], 0 offset:116
	;; [unrolled: 1-line block ×29, first 2 shown]
	v_mov_b32_e32 v60, 0
	buffer_load_dword v94, off, s[0:3], 0 offset:228
	s_mov_b32 s4, exec_lo
	ds_read_b128 v[61:64], v60 offset:352
	ds_read_b128 v[65:68], v60 offset:368
	s_waitcnt vmcnt(28) lgkmcnt(1)
	v_fma_f64 v[61:62], v[69:70], v[61:62], 0
	s_clause 0x1
	buffer_load_dword v69, off, s[0:3], 0 offset:104
	buffer_load_dword v70, off, s[0:3], 0 offset:108
	s_waitcnt vmcnt(28)
	v_fma_f64 v[61:62], v[71:72], v[63:64], v[61:62]
	s_waitcnt vmcnt(26) lgkmcnt(0)
	v_fma_f64 v[61:62], v[73:74], v[65:66], v[61:62]
	s_waitcnt vmcnt(24)
	v_fma_f64 v[71:72], v[75:76], v[67:68], v[61:62]
	ds_read_b128 v[61:64], v60 offset:384
	ds_read_b128 v[65:68], v60 offset:400
	s_waitcnt vmcnt(22) lgkmcnt(1)
	v_fma_f64 v[61:62], v[77:78], v[61:62], v[71:72]
	s_waitcnt vmcnt(20)
	v_fma_f64 v[61:62], v[79:80], v[63:64], v[61:62]
	s_waitcnt vmcnt(18) lgkmcnt(0)
	v_fma_f64 v[61:62], v[81:82], v[65:66], v[61:62]
	s_waitcnt vmcnt(13)
	v_fma_f64 v[71:72], v[83:84], v[67:68], v[61:62]
	ds_read_b128 v[61:64], v60 offset:416
	ds_read_b128 v[65:68], v60 offset:432
	s_waitcnt vmcnt(12) lgkmcnt(1)
	v_fma_f64 v[61:62], v[89:90], v[61:62], v[71:72]
	s_waitcnt vmcnt(11)
	v_fma_f64 v[61:62], v[87:88], v[63:64], v[61:62]
	s_waitcnt vmcnt(10) lgkmcnt(0)
	v_fma_f64 v[61:62], v[85:86], v[65:66], v[61:62]
	s_waitcnt vmcnt(5)
	v_fma_f64 v[65:66], v[91:92], v[67:68], v[61:62]
	ds_read_b128 v[61:64], v60 offset:448
	ds_read_b64 v[67:68], v60 offset:464
	s_waitcnt vmcnt(4) lgkmcnt(1)
	v_fma_f64 v[61:62], v[97:98], v[61:62], v[65:66]
	s_waitcnt vmcnt(3)
	v_fma_f64 v[61:62], v[95:96], v[63:64], v[61:62]
	s_waitcnt vmcnt(2) lgkmcnt(0)
	v_fma_f64 v[61:62], v[93:94], v[67:68], v[61:62]
	s_waitcnt vmcnt(0)
	v_add_f64 v[61:62], v[69:70], -v[61:62]
	buffer_store_dword v62, off, s[0:3], 0 offset:108
	buffer_store_dword v61, off, s[0:3], 0 offset:104
	v_cmpx_lt_u32_e32 12, v0
	s_cbranch_execz .LBB28_159
; %bb.158:
	s_clause 0x1
	buffer_load_dword v61, off, s[0:3], 0 offset:96
	buffer_load_dword v62, off, s[0:3], 0 offset:100
	buffer_store_dword v60, off, s[0:3], 0 offset:96
	buffer_store_dword v60, off, s[0:3], 0 offset:100
	s_waitcnt vmcnt(0)
	ds_write_b64 v59, v[61:62]
.LBB28_159:
	s_or_b32 exec_lo, exec_lo, s4
	s_waitcnt lgkmcnt(0)
	s_waitcnt_vscnt null, 0x0
	s_barrier
	buffer_gl0_inv
	s_clause 0x1c
	buffer_load_dword v69, off, s[0:3], 0 offset:104
	buffer_load_dword v70, off, s[0:3], 0 offset:108
	;; [unrolled: 1-line block ×29, first 2 shown]
	ds_read2_b64 v[61:64], v60 offset0:43 offset1:44
	ds_read2_b64 v[65:68], v60 offset0:45 offset1:46
	buffer_load_dword v94, off, s[0:3], 0 offset:220
	s_mov_b32 s4, exec_lo
	s_waitcnt vmcnt(28) lgkmcnt(1)
	v_fma_f64 v[61:62], v[69:70], v[61:62], 0
	s_clause 0x1
	buffer_load_dword v70, off, s[0:3], 0 offset:228
	buffer_load_dword v69, off, s[0:3], 0 offset:224
	s_waitcnt vmcnt(28)
	v_fma_f64 v[61:62], v[71:72], v[63:64], v[61:62]
	s_clause 0x1
	buffer_load_dword v71, off, s[0:3], 0 offset:96
	buffer_load_dword v72, off, s[0:3], 0 offset:100
	s_waitcnt vmcnt(28) lgkmcnt(0)
	v_fma_f64 v[61:62], v[73:74], v[65:66], v[61:62]
	s_waitcnt vmcnt(26)
	v_fma_f64 v[73:74], v[75:76], v[67:68], v[61:62]
	ds_read2_b64 v[61:64], v60 offset0:47 offset1:48
	ds_read2_b64 v[65:68], v60 offset0:49 offset1:50
	s_waitcnt vmcnt(24) lgkmcnt(1)
	v_fma_f64 v[61:62], v[77:78], v[61:62], v[73:74]
	s_waitcnt vmcnt(22)
	v_fma_f64 v[61:62], v[79:80], v[63:64], v[61:62]
	s_waitcnt vmcnt(20) lgkmcnt(0)
	v_fma_f64 v[61:62], v[81:82], v[65:66], v[61:62]
	s_waitcnt vmcnt(15)
	v_fma_f64 v[73:74], v[83:84], v[67:68], v[61:62]
	ds_read2_b64 v[61:64], v60 offset0:51 offset1:52
	ds_read2_b64 v[65:68], v60 offset0:53 offset1:54
	s_waitcnt vmcnt(14) lgkmcnt(1)
	v_fma_f64 v[61:62], v[89:90], v[61:62], v[73:74]
	s_waitcnt vmcnt(13)
	v_fma_f64 v[61:62], v[87:88], v[63:64], v[61:62]
	;; [unrolled: 10-line block ×3, first 2 shown]
	s_waitcnt vmcnt(4) lgkmcnt(0)
	v_fma_f64 v[60:61], v[93:94], v[65:66], v[60:61]
	s_waitcnt vmcnt(2)
	v_fma_f64 v[60:61], v[69:70], v[67:68], v[60:61]
	s_waitcnt vmcnt(0)
	v_add_f64 v[60:61], v[71:72], -v[60:61]
	buffer_store_dword v61, off, s[0:3], 0 offset:100
	buffer_store_dword v60, off, s[0:3], 0 offset:96
	v_cmpx_lt_u32_e32 11, v0
	s_cbranch_execz .LBB28_161
; %bb.160:
	s_clause 0x1
	buffer_load_dword v60, off, s[0:3], 0 offset:88
	buffer_load_dword v61, off, s[0:3], 0 offset:92
	v_mov_b32_e32 v62, 0
	buffer_store_dword v62, off, s[0:3], 0 offset:88
	buffer_store_dword v62, off, s[0:3], 0 offset:92
	s_waitcnt vmcnt(0)
	ds_write_b64 v59, v[60:61]
.LBB28_161:
	s_or_b32 exec_lo, exec_lo, s4
	s_waitcnt lgkmcnt(0)
	s_waitcnt_vscnt null, 0x0
	s_barrier
	buffer_gl0_inv
	s_clause 0x1c
	buffer_load_dword v69, off, s[0:3], 0 offset:96
	buffer_load_dword v70, off, s[0:3], 0 offset:100
	;; [unrolled: 1-line block ×29, first 2 shown]
	v_mov_b32_e32 v60, 0
	buffer_load_dword v94, off, s[0:3], 0 offset:212
	s_mov_b32 s4, exec_lo
	ds_read_b128 v[61:64], v60 offset:336
	ds_read_b128 v[65:68], v60 offset:352
	s_waitcnt vmcnt(28) lgkmcnt(1)
	v_fma_f64 v[61:62], v[69:70], v[61:62], 0
	s_clause 0x3
	buffer_load_dword v70, off, s[0:3], 0 offset:220
	buffer_load_dword v99, off, s[0:3], 0 offset:224
	;; [unrolled: 1-line block ×4, first 2 shown]
	s_waitcnt vmcnt(30)
	v_fma_f64 v[61:62], v[71:72], v[63:64], v[61:62]
	s_clause 0x1
	buffer_load_dword v71, off, s[0:3], 0 offset:88
	buffer_load_dword v72, off, s[0:3], 0 offset:92
	s_waitcnt vmcnt(30) lgkmcnt(0)
	v_fma_f64 v[61:62], v[73:74], v[65:66], v[61:62]
	s_waitcnt vmcnt(28)
	v_fma_f64 v[73:74], v[75:76], v[67:68], v[61:62]
	ds_read_b128 v[61:64], v60 offset:368
	ds_read_b128 v[65:68], v60 offset:384
	s_waitcnt vmcnt(26) lgkmcnt(1)
	v_fma_f64 v[61:62], v[77:78], v[61:62], v[73:74]
	s_waitcnt vmcnt(24)
	v_fma_f64 v[61:62], v[79:80], v[63:64], v[61:62]
	s_waitcnt vmcnt(22) lgkmcnt(0)
	v_fma_f64 v[61:62], v[81:82], v[65:66], v[61:62]
	s_waitcnt vmcnt(17)
	v_fma_f64 v[73:74], v[83:84], v[67:68], v[61:62]
	ds_read_b128 v[61:64], v60 offset:400
	ds_read_b128 v[65:68], v60 offset:416
	s_waitcnt vmcnt(16) lgkmcnt(1)
	v_fma_f64 v[61:62], v[89:90], v[61:62], v[73:74]
	s_waitcnt vmcnt(15)
	v_fma_f64 v[61:62], v[87:88], v[63:64], v[61:62]
	s_waitcnt vmcnt(14) lgkmcnt(0)
	v_fma_f64 v[61:62], v[85:86], v[65:66], v[61:62]
	s_waitcnt vmcnt(9)
	v_fma_f64 v[73:74], v[91:92], v[67:68], v[61:62]
	ds_read_b128 v[61:64], v60 offset:432
	ds_read_b128 v[65:68], v60 offset:448
	s_waitcnt vmcnt(8) lgkmcnt(1)
	v_fma_f64 v[61:62], v[97:98], v[61:62], v[73:74]
	s_waitcnt vmcnt(7)
	v_fma_f64 v[61:62], v[95:96], v[63:64], v[61:62]
	ds_read_b64 v[63:64], v60 offset:464
	s_waitcnt vmcnt(6) lgkmcnt(1)
	v_fma_f64 v[61:62], v[93:94], v[65:66], v[61:62]
	s_waitcnt vmcnt(3)
	v_fma_f64 v[61:62], v[69:70], v[67:68], v[61:62]
	s_waitcnt vmcnt(2) lgkmcnt(0)
	v_fma_f64 v[61:62], v[99:100], v[63:64], v[61:62]
	s_waitcnt vmcnt(0)
	v_add_f64 v[61:62], v[71:72], -v[61:62]
	buffer_store_dword v62, off, s[0:3], 0 offset:92
	buffer_store_dword v61, off, s[0:3], 0 offset:88
	v_cmpx_lt_u32_e32 10, v0
	s_cbranch_execz .LBB28_163
; %bb.162:
	s_clause 0x1
	buffer_load_dword v61, off, s[0:3], 0 offset:80
	buffer_load_dword v62, off, s[0:3], 0 offset:84
	buffer_store_dword v60, off, s[0:3], 0 offset:80
	buffer_store_dword v60, off, s[0:3], 0 offset:84
	s_waitcnt vmcnt(0)
	ds_write_b64 v59, v[61:62]
.LBB28_163:
	s_or_b32 exec_lo, exec_lo, s4
	s_waitcnt lgkmcnt(0)
	s_waitcnt_vscnt null, 0x0
	s_barrier
	buffer_gl0_inv
	s_clause 0x1c
	buffer_load_dword v69, off, s[0:3], 0 offset:88
	buffer_load_dword v70, off, s[0:3], 0 offset:92
	;; [unrolled: 1-line block ×29, first 2 shown]
	ds_read2_b64 v[61:64], v60 offset0:41 offset1:42
	ds_read2_b64 v[65:68], v60 offset0:43 offset1:44
	buffer_load_dword v94, off, s[0:3], 0 offset:204
	s_mov_b32 s4, exec_lo
	s_waitcnt vmcnt(28) lgkmcnt(1)
	v_fma_f64 v[61:62], v[69:70], v[61:62], 0
	s_clause 0x5
	buffer_load_dword v70, off, s[0:3], 0 offset:212
	buffer_load_dword v99, off, s[0:3], 0 offset:224
	;; [unrolled: 1-line block ×6, first 2 shown]
	s_waitcnt vmcnt(32)
	v_fma_f64 v[61:62], v[71:72], v[63:64], v[61:62]
	s_waitcnt vmcnt(30) lgkmcnt(0)
	v_fma_f64 v[61:62], v[73:74], v[65:66], v[61:62]
	s_waitcnt vmcnt(28)
	v_fma_f64 v[71:72], v[75:76], v[67:68], v[61:62]
	ds_read2_b64 v[61:64], v60 offset0:45 offset1:46
	s_clause 0x1
	buffer_load_dword v73, off, s[0:3], 0 offset:80
	buffer_load_dword v74, off, s[0:3], 0 offset:84
	ds_read2_b64 v[65:68], v60 offset0:47 offset1:48
	s_waitcnt vmcnt(28) lgkmcnt(1)
	v_fma_f64 v[61:62], v[77:78], v[61:62], v[71:72]
	s_waitcnt vmcnt(26)
	v_fma_f64 v[61:62], v[79:80], v[63:64], v[61:62]
	s_waitcnt vmcnt(24) lgkmcnt(0)
	v_fma_f64 v[61:62], v[81:82], v[65:66], v[61:62]
	s_waitcnt vmcnt(19)
	v_fma_f64 v[71:72], v[83:84], v[67:68], v[61:62]
	ds_read2_b64 v[61:64], v60 offset0:49 offset1:50
	ds_read2_b64 v[65:68], v60 offset0:51 offset1:52
	s_waitcnt vmcnt(18) lgkmcnt(1)
	v_fma_f64 v[61:62], v[89:90], v[61:62], v[71:72]
	s_waitcnt vmcnt(17)
	v_fma_f64 v[61:62], v[87:88], v[63:64], v[61:62]
	s_waitcnt vmcnt(16) lgkmcnt(0)
	v_fma_f64 v[61:62], v[85:86], v[65:66], v[61:62]
	s_waitcnt vmcnt(11)
	v_fma_f64 v[71:72], v[91:92], v[67:68], v[61:62]
	ds_read2_b64 v[61:64], v60 offset0:53 offset1:54
	;; [unrolled: 10-line block ×3, first 2 shown]
	s_waitcnt vmcnt(3) lgkmcnt(0)
	v_fma_f64 v[60:61], v[101:102], v[60:61], v[64:65]
	s_waitcnt vmcnt(2)
	v_fma_f64 v[60:61], v[99:100], v[62:63], v[60:61]
	s_waitcnt vmcnt(0)
	v_add_f64 v[60:61], v[73:74], -v[60:61]
	buffer_store_dword v61, off, s[0:3], 0 offset:84
	buffer_store_dword v60, off, s[0:3], 0 offset:80
	v_cmpx_lt_u32_e32 9, v0
	s_cbranch_execz .LBB28_165
; %bb.164:
	s_clause 0x1
	buffer_load_dword v60, off, s[0:3], 0 offset:72
	buffer_load_dword v61, off, s[0:3], 0 offset:76
	v_mov_b32_e32 v62, 0
	buffer_store_dword v62, off, s[0:3], 0 offset:72
	buffer_store_dword v62, off, s[0:3], 0 offset:76
	s_waitcnt vmcnt(0)
	ds_write_b64 v59, v[60:61]
.LBB28_165:
	s_or_b32 exec_lo, exec_lo, s4
	s_waitcnt lgkmcnt(0)
	s_waitcnt_vscnt null, 0x0
	s_barrier
	buffer_gl0_inv
	s_clause 0x1c
	buffer_load_dword v69, off, s[0:3], 0 offset:80
	buffer_load_dword v70, off, s[0:3], 0 offset:84
	;; [unrolled: 1-line block ×29, first 2 shown]
	v_mov_b32_e32 v60, 0
	buffer_load_dword v94, off, s[0:3], 0 offset:196
	s_mov_b32 s4, exec_lo
	ds_read_b128 v[61:64], v60 offset:320
	ds_read_b128 v[65:68], v60 offset:336
	s_waitcnt vmcnt(28) lgkmcnt(1)
	v_fma_f64 v[61:62], v[69:70], v[61:62], 0
	s_clause 0x7
	buffer_load_dword v70, off, s[0:3], 0 offset:204
	buffer_load_dword v99, off, s[0:3], 0 offset:224
	;; [unrolled: 1-line block ×8, first 2 shown]
	s_waitcnt vmcnt(34)
	v_fma_f64 v[61:62], v[71:72], v[63:64], v[61:62]
	s_waitcnt vmcnt(32) lgkmcnt(0)
	v_fma_f64 v[61:62], v[73:74], v[65:66], v[61:62]
	s_waitcnt vmcnt(30)
	v_fma_f64 v[71:72], v[75:76], v[67:68], v[61:62]
	ds_read_b128 v[61:64], v60 offset:352
	ds_read_b128 v[65:68], v60 offset:368
	s_waitcnt vmcnt(28) lgkmcnt(1)
	v_fma_f64 v[61:62], v[77:78], v[61:62], v[71:72]
	s_clause 0x1
	buffer_load_dword v71, off, s[0:3], 0 offset:72
	buffer_load_dword v72, off, s[0:3], 0 offset:76
	s_waitcnt vmcnt(28)
	v_fma_f64 v[61:62], v[79:80], v[63:64], v[61:62]
	s_waitcnt vmcnt(26) lgkmcnt(0)
	v_fma_f64 v[61:62], v[81:82], v[65:66], v[61:62]
	s_waitcnt vmcnt(21)
	v_fma_f64 v[73:74], v[83:84], v[67:68], v[61:62]
	ds_read_b128 v[61:64], v60 offset:384
	ds_read_b128 v[65:68], v60 offset:400
	s_waitcnt vmcnt(20) lgkmcnt(1)
	v_fma_f64 v[61:62], v[89:90], v[61:62], v[73:74]
	s_waitcnt vmcnt(19)
	v_fma_f64 v[61:62], v[87:88], v[63:64], v[61:62]
	s_waitcnt vmcnt(18) lgkmcnt(0)
	v_fma_f64 v[61:62], v[85:86], v[65:66], v[61:62]
	s_waitcnt vmcnt(13)
	v_fma_f64 v[73:74], v[91:92], v[67:68], v[61:62]
	ds_read_b128 v[61:64], v60 offset:416
	ds_read_b128 v[65:68], v60 offset:432
	s_waitcnt vmcnt(12) lgkmcnt(1)
	v_fma_f64 v[61:62], v[97:98], v[61:62], v[73:74]
	s_waitcnt vmcnt(11)
	v_fma_f64 v[61:62], v[95:96], v[63:64], v[61:62]
	s_waitcnt vmcnt(10) lgkmcnt(0)
	v_fma_f64 v[61:62], v[93:94], v[65:66], v[61:62]
	s_waitcnt vmcnt(5)
	v_fma_f64 v[65:66], v[69:70], v[67:68], v[61:62]
	ds_read_b128 v[61:64], v60 offset:448
	ds_read_b64 v[67:68], v60 offset:464
	s_waitcnt vmcnt(4) lgkmcnt(1)
	v_fma_f64 v[61:62], v[103:104], v[61:62], v[65:66]
	s_waitcnt vmcnt(3)
	v_fma_f64 v[61:62], v[101:102], v[63:64], v[61:62]
	s_waitcnt vmcnt(2) lgkmcnt(0)
	v_fma_f64 v[61:62], v[99:100], v[67:68], v[61:62]
	s_waitcnt vmcnt(0)
	v_add_f64 v[61:62], v[71:72], -v[61:62]
	buffer_store_dword v62, off, s[0:3], 0 offset:76
	buffer_store_dword v61, off, s[0:3], 0 offset:72
	v_cmpx_lt_u32_e32 8, v0
	s_cbranch_execz .LBB28_167
; %bb.166:
	s_clause 0x1
	buffer_load_dword v61, off, s[0:3], 0 offset:64
	buffer_load_dword v62, off, s[0:3], 0 offset:68
	buffer_store_dword v60, off, s[0:3], 0 offset:64
	buffer_store_dword v60, off, s[0:3], 0 offset:68
	s_waitcnt vmcnt(0)
	ds_write_b64 v59, v[61:62]
.LBB28_167:
	s_or_b32 exec_lo, exec_lo, s4
	s_waitcnt lgkmcnt(0)
	s_waitcnt_vscnt null, 0x0
	s_barrier
	buffer_gl0_inv
	s_clause 0x1c
	buffer_load_dword v69, off, s[0:3], 0 offset:72
	buffer_load_dword v70, off, s[0:3], 0 offset:76
	;; [unrolled: 1-line block ×29, first 2 shown]
	ds_read2_b64 v[61:64], v60 offset0:39 offset1:40
	ds_read2_b64 v[65:68], v60 offset0:41 offset1:42
	buffer_load_dword v94, off, s[0:3], 0 offset:188
	s_mov_b32 s4, exec_lo
	s_waitcnt vmcnt(28) lgkmcnt(1)
	v_fma_f64 v[61:62], v[69:70], v[61:62], 0
	s_clause 0x7
	buffer_load_dword v70, off, s[0:3], 0 offset:196
	buffer_load_dword v99, off, s[0:3], 0 offset:216
	;; [unrolled: 1-line block ×8, first 2 shown]
	s_waitcnt vmcnt(34)
	v_fma_f64 v[61:62], v[71:72], v[63:64], v[61:62]
	s_waitcnt vmcnt(32) lgkmcnt(0)
	v_fma_f64 v[61:62], v[73:74], v[65:66], v[61:62]
	s_waitcnt vmcnt(30)
	v_fma_f64 v[71:72], v[75:76], v[67:68], v[61:62]
	ds_read2_b64 v[61:64], v60 offset0:43 offset1:44
	ds_read2_b64 v[65:68], v60 offset0:45 offset1:46
	s_waitcnt vmcnt(28) lgkmcnt(1)
	v_fma_f64 v[61:62], v[77:78], v[61:62], v[71:72]
	s_clause 0x3
	buffer_load_dword v72, off, s[0:3], 0 offset:228
	buffer_load_dword v71, off, s[0:3], 0 offset:224
	;; [unrolled: 1-line block ×4, first 2 shown]
	s_waitcnt vmcnt(30)
	v_fma_f64 v[61:62], v[79:80], v[63:64], v[61:62]
	s_waitcnt vmcnt(28) lgkmcnt(0)
	v_fma_f64 v[61:62], v[81:82], v[65:66], v[61:62]
	s_waitcnt vmcnt(23)
	v_fma_f64 v[75:76], v[83:84], v[67:68], v[61:62]
	ds_read2_b64 v[61:64], v60 offset0:47 offset1:48
	ds_read2_b64 v[65:68], v60 offset0:49 offset1:50
	s_waitcnt vmcnt(22) lgkmcnt(1)
	v_fma_f64 v[61:62], v[89:90], v[61:62], v[75:76]
	s_waitcnt vmcnt(21)
	v_fma_f64 v[61:62], v[87:88], v[63:64], v[61:62]
	s_waitcnt vmcnt(20) lgkmcnt(0)
	v_fma_f64 v[61:62], v[85:86], v[65:66], v[61:62]
	s_waitcnt vmcnt(15)
	v_fma_f64 v[75:76], v[91:92], v[67:68], v[61:62]
	ds_read2_b64 v[61:64], v60 offset0:51 offset1:52
	ds_read2_b64 v[65:68], v60 offset0:53 offset1:54
	s_waitcnt vmcnt(14) lgkmcnt(1)
	v_fma_f64 v[61:62], v[97:98], v[61:62], v[75:76]
	;; [unrolled: 10-line block ×3, first 2 shown]
	s_waitcnt vmcnt(5)
	v_fma_f64 v[60:61], v[101:102], v[63:64], v[60:61]
	s_waitcnt vmcnt(4) lgkmcnt(0)
	v_fma_f64 v[60:61], v[99:100], v[65:66], v[60:61]
	s_waitcnt vmcnt(2)
	v_fma_f64 v[60:61], v[71:72], v[67:68], v[60:61]
	s_waitcnt vmcnt(0)
	v_add_f64 v[60:61], v[73:74], -v[60:61]
	buffer_store_dword v61, off, s[0:3], 0 offset:68
	buffer_store_dword v60, off, s[0:3], 0 offset:64
	v_cmpx_lt_u32_e32 7, v0
	s_cbranch_execz .LBB28_169
; %bb.168:
	s_clause 0x1
	buffer_load_dword v60, off, s[0:3], 0 offset:56
	buffer_load_dword v61, off, s[0:3], 0 offset:60
	v_mov_b32_e32 v62, 0
	buffer_store_dword v62, off, s[0:3], 0 offset:56
	buffer_store_dword v62, off, s[0:3], 0 offset:60
	s_waitcnt vmcnt(0)
	ds_write_b64 v59, v[60:61]
.LBB28_169:
	s_or_b32 exec_lo, exec_lo, s4
	s_waitcnt lgkmcnt(0)
	s_waitcnt_vscnt null, 0x0
	s_barrier
	buffer_gl0_inv
	s_clause 0x1c
	buffer_load_dword v69, off, s[0:3], 0 offset:64
	buffer_load_dword v70, off, s[0:3], 0 offset:68
	;; [unrolled: 1-line block ×29, first 2 shown]
	v_mov_b32_e32 v60, 0
	buffer_load_dword v94, off, s[0:3], 0 offset:180
	s_mov_b32 s4, exec_lo
	ds_read_b128 v[61:64], v60 offset:304
	ds_read_b128 v[65:68], v60 offset:320
	s_waitcnt vmcnt(28) lgkmcnt(1)
	v_fma_f64 v[61:62], v[69:70], v[61:62], 0
	s_clause 0x7
	buffer_load_dword v70, off, s[0:3], 0 offset:188
	buffer_load_dword v99, off, s[0:3], 0 offset:208
	;; [unrolled: 1-line block ×8, first 2 shown]
	s_waitcnt vmcnt(34)
	v_fma_f64 v[61:62], v[71:72], v[63:64], v[61:62]
	s_waitcnt vmcnt(32) lgkmcnt(0)
	v_fma_f64 v[61:62], v[73:74], v[65:66], v[61:62]
	s_waitcnt vmcnt(30)
	v_fma_f64 v[71:72], v[75:76], v[67:68], v[61:62]
	ds_read_b128 v[61:64], v60 offset:336
	ds_read_b128 v[65:68], v60 offset:352
	s_waitcnt vmcnt(28) lgkmcnt(1)
	v_fma_f64 v[61:62], v[77:78], v[61:62], v[71:72]
	s_clause 0x5
	buffer_load_dword v72, off, s[0:3], 0 offset:220
	buffer_load_dword v73, off, s[0:3], 0 offset:224
	;; [unrolled: 1-line block ×6, first 2 shown]
	s_waitcnt vmcnt(32)
	v_fma_f64 v[61:62], v[79:80], v[63:64], v[61:62]
	s_waitcnt vmcnt(30) lgkmcnt(0)
	v_fma_f64 v[61:62], v[81:82], v[65:66], v[61:62]
	s_waitcnt vmcnt(25)
	v_fma_f64 v[77:78], v[83:84], v[67:68], v[61:62]
	ds_read_b128 v[61:64], v60 offset:368
	ds_read_b128 v[65:68], v60 offset:384
	s_waitcnt vmcnt(24) lgkmcnt(1)
	v_fma_f64 v[61:62], v[89:90], v[61:62], v[77:78]
	s_waitcnt vmcnt(23)
	v_fma_f64 v[61:62], v[87:88], v[63:64], v[61:62]
	s_waitcnt vmcnt(22) lgkmcnt(0)
	v_fma_f64 v[61:62], v[85:86], v[65:66], v[61:62]
	s_waitcnt vmcnt(17)
	v_fma_f64 v[77:78], v[91:92], v[67:68], v[61:62]
	ds_read_b128 v[61:64], v60 offset:400
	ds_read_b128 v[65:68], v60 offset:416
	s_waitcnt vmcnt(16) lgkmcnt(1)
	v_fma_f64 v[61:62], v[97:98], v[61:62], v[77:78]
	;; [unrolled: 10-line block ×3, first 2 shown]
	s_waitcnt vmcnt(7)
	v_fma_f64 v[61:62], v[101:102], v[63:64], v[61:62]
	ds_read_b64 v[63:64], v60 offset:464
	s_waitcnt vmcnt(6) lgkmcnt(1)
	v_fma_f64 v[61:62], v[99:100], v[65:66], v[61:62]
	s_waitcnt vmcnt(3)
	v_fma_f64 v[61:62], v[71:72], v[67:68], v[61:62]
	s_waitcnt vmcnt(2) lgkmcnt(0)
	v_fma_f64 v[61:62], v[73:74], v[63:64], v[61:62]
	s_waitcnt vmcnt(0)
	v_add_f64 v[61:62], v[75:76], -v[61:62]
	buffer_store_dword v62, off, s[0:3], 0 offset:60
	buffer_store_dword v61, off, s[0:3], 0 offset:56
	v_cmpx_lt_u32_e32 6, v0
	s_cbranch_execz .LBB28_171
; %bb.170:
	s_clause 0x1
	buffer_load_dword v61, off, s[0:3], 0 offset:48
	buffer_load_dword v62, off, s[0:3], 0 offset:52
	buffer_store_dword v60, off, s[0:3], 0 offset:48
	buffer_store_dword v60, off, s[0:3], 0 offset:52
	s_waitcnt vmcnt(0)
	ds_write_b64 v59, v[61:62]
.LBB28_171:
	s_or_b32 exec_lo, exec_lo, s4
	s_waitcnt lgkmcnt(0)
	s_waitcnt_vscnt null, 0x0
	s_barrier
	buffer_gl0_inv
	s_clause 0x1c
	buffer_load_dword v69, off, s[0:3], 0 offset:56
	buffer_load_dword v70, off, s[0:3], 0 offset:60
	;; [unrolled: 1-line block ×29, first 2 shown]
	ds_read2_b64 v[61:64], v60 offset0:37 offset1:38
	ds_read2_b64 v[65:68], v60 offset0:39 offset1:40
	buffer_load_dword v94, off, s[0:3], 0 offset:172
	s_mov_b32 s4, exec_lo
	s_waitcnt vmcnt(28) lgkmcnt(1)
	v_fma_f64 v[61:62], v[69:70], v[61:62], 0
	s_clause 0x7
	buffer_load_dword v70, off, s[0:3], 0 offset:180
	buffer_load_dword v99, off, s[0:3], 0 offset:200
	;; [unrolled: 1-line block ×8, first 2 shown]
	s_waitcnt vmcnt(34)
	v_fma_f64 v[61:62], v[71:72], v[63:64], v[61:62]
	s_waitcnt vmcnt(32) lgkmcnt(0)
	v_fma_f64 v[61:62], v[73:74], v[65:66], v[61:62]
	s_waitcnt vmcnt(30)
	v_fma_f64 v[71:72], v[75:76], v[67:68], v[61:62]
	ds_read2_b64 v[61:64], v60 offset0:41 offset1:42
	ds_read2_b64 v[65:68], v60 offset0:43 offset1:44
	s_waitcnt vmcnt(28) lgkmcnt(1)
	v_fma_f64 v[61:62], v[77:78], v[61:62], v[71:72]
	s_clause 0x5
	buffer_load_dword v72, off, s[0:3], 0 offset:212
	buffer_load_dword v73, off, s[0:3], 0 offset:224
	;; [unrolled: 1-line block ×6, first 2 shown]
	s_waitcnt vmcnt(32)
	v_fma_f64 v[61:62], v[79:80], v[63:64], v[61:62]
	s_waitcnt vmcnt(30) lgkmcnt(0)
	v_fma_f64 v[61:62], v[81:82], v[65:66], v[61:62]
	s_waitcnt vmcnt(25)
	v_fma_f64 v[77:78], v[83:84], v[67:68], v[61:62]
	ds_read2_b64 v[61:64], v60 offset0:45 offset1:46
	s_clause 0x1
	buffer_load_dword v79, off, s[0:3], 0 offset:48
	buffer_load_dword v80, off, s[0:3], 0 offset:52
	ds_read2_b64 v[65:68], v60 offset0:47 offset1:48
	s_waitcnt vmcnt(26) lgkmcnt(1)
	v_fma_f64 v[61:62], v[89:90], v[61:62], v[77:78]
	s_waitcnt vmcnt(25)
	v_fma_f64 v[61:62], v[87:88], v[63:64], v[61:62]
	s_waitcnt vmcnt(24) lgkmcnt(0)
	v_fma_f64 v[61:62], v[85:86], v[65:66], v[61:62]
	s_waitcnt vmcnt(19)
	v_fma_f64 v[77:78], v[91:92], v[67:68], v[61:62]
	ds_read2_b64 v[61:64], v60 offset0:49 offset1:50
	ds_read2_b64 v[65:68], v60 offset0:51 offset1:52
	s_waitcnt vmcnt(18) lgkmcnt(1)
	v_fma_f64 v[61:62], v[97:98], v[61:62], v[77:78]
	s_waitcnt vmcnt(17)
	v_fma_f64 v[61:62], v[95:96], v[63:64], v[61:62]
	s_waitcnt vmcnt(16) lgkmcnt(0)
	v_fma_f64 v[61:62], v[93:94], v[65:66], v[61:62]
	s_waitcnt vmcnt(11)
	v_fma_f64 v[69:70], v[69:70], v[67:68], v[61:62]
	ds_read2_b64 v[61:64], v60 offset0:53 offset1:54
	;; [unrolled: 10-line block ×3, first 2 shown]
	s_waitcnt vmcnt(3) lgkmcnt(0)
	v_fma_f64 v[60:61], v[75:76], v[60:61], v[64:65]
	s_waitcnt vmcnt(2)
	v_fma_f64 v[60:61], v[73:74], v[62:63], v[60:61]
	s_waitcnt vmcnt(0)
	v_add_f64 v[60:61], v[79:80], -v[60:61]
	buffer_store_dword v61, off, s[0:3], 0 offset:52
	buffer_store_dword v60, off, s[0:3], 0 offset:48
	v_cmpx_lt_u32_e32 5, v0
	s_cbranch_execz .LBB28_173
; %bb.172:
	s_clause 0x1
	buffer_load_dword v60, off, s[0:3], 0 offset:40
	buffer_load_dword v61, off, s[0:3], 0 offset:44
	v_mov_b32_e32 v62, 0
	buffer_store_dword v62, off, s[0:3], 0 offset:40
	buffer_store_dword v62, off, s[0:3], 0 offset:44
	s_waitcnt vmcnt(0)
	ds_write_b64 v59, v[60:61]
.LBB28_173:
	s_or_b32 exec_lo, exec_lo, s4
	s_waitcnt lgkmcnt(0)
	s_waitcnt_vscnt null, 0x0
	s_barrier
	buffer_gl0_inv
	s_clause 0x1c
	buffer_load_dword v69, off, s[0:3], 0 offset:48
	buffer_load_dword v70, off, s[0:3], 0 offset:52
	;; [unrolled: 1-line block ×29, first 2 shown]
	v_mov_b32_e32 v60, 0
	buffer_load_dword v94, off, s[0:3], 0 offset:164
	s_mov_b32 s4, exec_lo
	ds_read_b128 v[61:64], v60 offset:288
	ds_read_b128 v[65:68], v60 offset:304
	s_waitcnt vmcnt(28) lgkmcnt(1)
	v_fma_f64 v[61:62], v[69:70], v[61:62], 0
	s_clause 0x7
	buffer_load_dword v70, off, s[0:3], 0 offset:172
	buffer_load_dword v99, off, s[0:3], 0 offset:192
	;; [unrolled: 1-line block ×8, first 2 shown]
	s_waitcnt vmcnt(34)
	v_fma_f64 v[61:62], v[71:72], v[63:64], v[61:62]
	s_waitcnt vmcnt(32) lgkmcnt(0)
	v_fma_f64 v[61:62], v[73:74], v[65:66], v[61:62]
	s_waitcnt vmcnt(30)
	v_fma_f64 v[71:72], v[75:76], v[67:68], v[61:62]
	ds_read_b128 v[61:64], v60 offset:320
	ds_read_b128 v[65:68], v60 offset:336
	s_waitcnt vmcnt(28) lgkmcnt(1)
	v_fma_f64 v[61:62], v[77:78], v[61:62], v[71:72]
	s_clause 0x7
	buffer_load_dword v72, off, s[0:3], 0 offset:204
	buffer_load_dword v73, off, s[0:3], 0 offset:224
	;; [unrolled: 1-line block ×8, first 2 shown]
	s_waitcnt vmcnt(34)
	v_fma_f64 v[61:62], v[79:80], v[63:64], v[61:62]
	s_waitcnt vmcnt(32) lgkmcnt(0)
	v_fma_f64 v[61:62], v[81:82], v[65:66], v[61:62]
	s_waitcnt vmcnt(27)
	v_fma_f64 v[79:80], v[83:84], v[67:68], v[61:62]
	ds_read_b128 v[61:64], v60 offset:352
	ds_read_b128 v[65:68], v60 offset:368
	s_waitcnt vmcnt(26) lgkmcnt(1)
	v_fma_f64 v[61:62], v[89:90], v[61:62], v[79:80]
	s_clause 0x1
	buffer_load_dword v79, off, s[0:3], 0 offset:40
	buffer_load_dword v80, off, s[0:3], 0 offset:44
	s_waitcnt vmcnt(27)
	v_fma_f64 v[61:62], v[87:88], v[63:64], v[61:62]
	s_waitcnt vmcnt(26) lgkmcnt(0)
	v_fma_f64 v[61:62], v[85:86], v[65:66], v[61:62]
	s_waitcnt vmcnt(21)
	v_fma_f64 v[81:82], v[91:92], v[67:68], v[61:62]
	ds_read_b128 v[61:64], v60 offset:384
	ds_read_b128 v[65:68], v60 offset:400
	s_waitcnt vmcnt(20) lgkmcnt(1)
	v_fma_f64 v[61:62], v[97:98], v[61:62], v[81:82]
	s_waitcnt vmcnt(19)
	v_fma_f64 v[61:62], v[95:96], v[63:64], v[61:62]
	s_waitcnt vmcnt(18) lgkmcnt(0)
	v_fma_f64 v[61:62], v[93:94], v[65:66], v[61:62]
	s_waitcnt vmcnt(13)
	v_fma_f64 v[69:70], v[69:70], v[67:68], v[61:62]
	ds_read_b128 v[61:64], v60 offset:416
	ds_read_b128 v[65:68], v60 offset:432
	s_waitcnt vmcnt(12) lgkmcnt(1)
	v_fma_f64 v[61:62], v[103:104], v[61:62], v[69:70]
	s_waitcnt vmcnt(11)
	v_fma_f64 v[61:62], v[101:102], v[63:64], v[61:62]
	s_waitcnt vmcnt(10) lgkmcnt(0)
	v_fma_f64 v[61:62], v[99:100], v[65:66], v[61:62]
	s_waitcnt vmcnt(5)
	v_fma_f64 v[65:66], v[71:72], v[67:68], v[61:62]
	ds_read_b128 v[61:64], v60 offset:448
	ds_read_b64 v[67:68], v60 offset:464
	s_waitcnt vmcnt(4) lgkmcnt(1)
	v_fma_f64 v[61:62], v[77:78], v[61:62], v[65:66]
	s_waitcnt vmcnt(3)
	v_fma_f64 v[61:62], v[75:76], v[63:64], v[61:62]
	s_waitcnt vmcnt(2) lgkmcnt(0)
	v_fma_f64 v[61:62], v[73:74], v[67:68], v[61:62]
	s_waitcnt vmcnt(0)
	v_add_f64 v[61:62], v[79:80], -v[61:62]
	buffer_store_dword v62, off, s[0:3], 0 offset:44
	buffer_store_dword v61, off, s[0:3], 0 offset:40
	v_cmpx_lt_u32_e32 4, v0
	s_cbranch_execz .LBB28_175
; %bb.174:
	s_clause 0x1
	buffer_load_dword v61, off, s[0:3], 0 offset:32
	buffer_load_dword v62, off, s[0:3], 0 offset:36
	buffer_store_dword v60, off, s[0:3], 0 offset:32
	buffer_store_dword v60, off, s[0:3], 0 offset:36
	s_waitcnt vmcnt(0)
	ds_write_b64 v59, v[61:62]
.LBB28_175:
	s_or_b32 exec_lo, exec_lo, s4
	s_waitcnt lgkmcnt(0)
	s_waitcnt_vscnt null, 0x0
	s_barrier
	buffer_gl0_inv
	s_clause 0x1c
	buffer_load_dword v69, off, s[0:3], 0 offset:40
	buffer_load_dword v70, off, s[0:3], 0 offset:44
	;; [unrolled: 1-line block ×29, first 2 shown]
	ds_read2_b64 v[61:64], v60 offset0:35 offset1:36
	ds_read2_b64 v[65:68], v60 offset0:37 offset1:38
	buffer_load_dword v94, off, s[0:3], 0 offset:156
	s_mov_b32 s4, exec_lo
	s_waitcnt vmcnt(28) lgkmcnt(1)
	v_fma_f64 v[61:62], v[69:70], v[61:62], 0
	s_clause 0x7
	buffer_load_dword v70, off, s[0:3], 0 offset:164
	buffer_load_dword v99, off, s[0:3], 0 offset:184
	;; [unrolled: 1-line block ×8, first 2 shown]
	s_waitcnt vmcnt(34)
	v_fma_f64 v[61:62], v[71:72], v[63:64], v[61:62]
	s_waitcnt vmcnt(32) lgkmcnt(0)
	v_fma_f64 v[61:62], v[73:74], v[65:66], v[61:62]
	s_waitcnt vmcnt(30)
	v_fma_f64 v[71:72], v[75:76], v[67:68], v[61:62]
	ds_read2_b64 v[61:64], v60 offset0:39 offset1:40
	ds_read2_b64 v[65:68], v60 offset0:41 offset1:42
	s_waitcnt vmcnt(28) lgkmcnt(1)
	v_fma_f64 v[61:62], v[77:78], v[61:62], v[71:72]
	s_clause 0x7
	buffer_load_dword v72, off, s[0:3], 0 offset:196
	buffer_load_dword v73, off, s[0:3], 0 offset:216
	;; [unrolled: 1-line block ×8, first 2 shown]
	s_waitcnt vmcnt(34)
	v_fma_f64 v[61:62], v[79:80], v[63:64], v[61:62]
	s_waitcnt vmcnt(32) lgkmcnt(0)
	v_fma_f64 v[61:62], v[81:82], v[65:66], v[61:62]
	s_waitcnt vmcnt(27)
	v_fma_f64 v[79:80], v[83:84], v[67:68], v[61:62]
	ds_read2_b64 v[61:64], v60 offset0:43 offset1:44
	ds_read2_b64 v[65:68], v60 offset0:45 offset1:46
	s_waitcnt vmcnt(26) lgkmcnt(1)
	v_fma_f64 v[61:62], v[89:90], v[61:62], v[79:80]
	s_clause 0x3
	buffer_load_dword v80, off, s[0:3], 0 offset:228
	buffer_load_dword v79, off, s[0:3], 0 offset:224
	;; [unrolled: 1-line block ×4, first 2 shown]
	s_waitcnt vmcnt(29)
	v_fma_f64 v[61:62], v[87:88], v[63:64], v[61:62]
	s_waitcnt vmcnt(28) lgkmcnt(0)
	v_fma_f64 v[61:62], v[85:86], v[65:66], v[61:62]
	s_waitcnt vmcnt(23)
	v_fma_f64 v[83:84], v[91:92], v[67:68], v[61:62]
	ds_read2_b64 v[61:64], v60 offset0:47 offset1:48
	ds_read2_b64 v[65:68], v60 offset0:49 offset1:50
	s_waitcnt vmcnt(22) lgkmcnt(1)
	v_fma_f64 v[61:62], v[97:98], v[61:62], v[83:84]
	s_waitcnt vmcnt(21)
	v_fma_f64 v[61:62], v[95:96], v[63:64], v[61:62]
	s_waitcnt vmcnt(20) lgkmcnt(0)
	v_fma_f64 v[61:62], v[93:94], v[65:66], v[61:62]
	s_waitcnt vmcnt(15)
	v_fma_f64 v[69:70], v[69:70], v[67:68], v[61:62]
	ds_read2_b64 v[61:64], v60 offset0:51 offset1:52
	ds_read2_b64 v[65:68], v60 offset0:53 offset1:54
	s_waitcnt vmcnt(14) lgkmcnt(1)
	v_fma_f64 v[61:62], v[103:104], v[61:62], v[69:70]
	;; [unrolled: 10-line block ×3, first 2 shown]
	s_waitcnt vmcnt(5)
	v_fma_f64 v[60:61], v[75:76], v[63:64], v[60:61]
	s_waitcnt vmcnt(4) lgkmcnt(0)
	v_fma_f64 v[60:61], v[73:74], v[65:66], v[60:61]
	s_waitcnt vmcnt(2)
	v_fma_f64 v[60:61], v[79:80], v[67:68], v[60:61]
	s_waitcnt vmcnt(0)
	v_add_f64 v[60:61], v[81:82], -v[60:61]
	buffer_store_dword v61, off, s[0:3], 0 offset:36
	buffer_store_dword v60, off, s[0:3], 0 offset:32
	v_cmpx_lt_u32_e32 3, v0
	s_cbranch_execz .LBB28_177
; %bb.176:
	s_clause 0x1
	buffer_load_dword v60, off, s[0:3], 0 offset:24
	buffer_load_dword v61, off, s[0:3], 0 offset:28
	v_mov_b32_e32 v62, 0
	buffer_store_dword v62, off, s[0:3], 0 offset:24
	buffer_store_dword v62, off, s[0:3], 0 offset:28
	s_waitcnt vmcnt(0)
	ds_write_b64 v59, v[60:61]
.LBB28_177:
	s_or_b32 exec_lo, exec_lo, s4
	s_waitcnt lgkmcnt(0)
	s_waitcnt_vscnt null, 0x0
	s_barrier
	buffer_gl0_inv
	s_clause 0x1c
	buffer_load_dword v69, off, s[0:3], 0 offset:32
	buffer_load_dword v70, off, s[0:3], 0 offset:36
	;; [unrolled: 1-line block ×29, first 2 shown]
	v_mov_b32_e32 v60, 0
	buffer_load_dword v94, off, s[0:3], 0 offset:148
	s_mov_b32 s4, exec_lo
	ds_read_b128 v[61:64], v60 offset:272
	ds_read_b128 v[65:68], v60 offset:288
	s_waitcnt vmcnt(28) lgkmcnt(1)
	v_fma_f64 v[61:62], v[69:70], v[61:62], 0
	s_clause 0x7
	buffer_load_dword v70, off, s[0:3], 0 offset:156
	buffer_load_dword v99, off, s[0:3], 0 offset:176
	;; [unrolled: 1-line block ×8, first 2 shown]
	s_waitcnt vmcnt(34)
	v_fma_f64 v[61:62], v[71:72], v[63:64], v[61:62]
	s_waitcnt vmcnt(32) lgkmcnt(0)
	v_fma_f64 v[61:62], v[73:74], v[65:66], v[61:62]
	s_waitcnt vmcnt(30)
	v_fma_f64 v[71:72], v[75:76], v[67:68], v[61:62]
	ds_read_b128 v[61:64], v60 offset:304
	ds_read_b128 v[65:68], v60 offset:320
	s_waitcnt vmcnt(28) lgkmcnt(1)
	v_fma_f64 v[61:62], v[77:78], v[61:62], v[71:72]
	s_clause 0x7
	buffer_load_dword v72, off, s[0:3], 0 offset:188
	buffer_load_dword v73, off, s[0:3], 0 offset:208
	;; [unrolled: 1-line block ×8, first 2 shown]
	s_waitcnt vmcnt(34)
	v_fma_f64 v[61:62], v[79:80], v[63:64], v[61:62]
	s_waitcnt vmcnt(32) lgkmcnt(0)
	v_fma_f64 v[61:62], v[81:82], v[65:66], v[61:62]
	s_waitcnt vmcnt(27)
	v_fma_f64 v[79:80], v[83:84], v[67:68], v[61:62]
	ds_read_b128 v[61:64], v60 offset:336
	ds_read_b128 v[65:68], v60 offset:352
	s_waitcnt vmcnt(26) lgkmcnt(1)
	v_fma_f64 v[61:62], v[89:90], v[61:62], v[79:80]
	s_clause 0x5
	buffer_load_dword v80, off, s[0:3], 0 offset:220
	buffer_load_dword v81, off, s[0:3], 0 offset:224
	;; [unrolled: 1-line block ×6, first 2 shown]
	s_waitcnt vmcnt(31)
	v_fma_f64 v[61:62], v[87:88], v[63:64], v[61:62]
	s_waitcnt vmcnt(30) lgkmcnt(0)
	v_fma_f64 v[61:62], v[85:86], v[65:66], v[61:62]
	s_waitcnt vmcnt(25)
	v_fma_f64 v[85:86], v[91:92], v[67:68], v[61:62]
	ds_read_b128 v[61:64], v60 offset:368
	ds_read_b128 v[65:68], v60 offset:384
	s_waitcnt vmcnt(24) lgkmcnt(1)
	v_fma_f64 v[61:62], v[97:98], v[61:62], v[85:86]
	s_waitcnt vmcnt(23)
	v_fma_f64 v[61:62], v[95:96], v[63:64], v[61:62]
	s_waitcnt vmcnt(22) lgkmcnt(0)
	v_fma_f64 v[61:62], v[93:94], v[65:66], v[61:62]
	s_waitcnt vmcnt(17)
	v_fma_f64 v[69:70], v[69:70], v[67:68], v[61:62]
	ds_read_b128 v[61:64], v60 offset:400
	ds_read_b128 v[65:68], v60 offset:416
	s_waitcnt vmcnt(16) lgkmcnt(1)
	v_fma_f64 v[61:62], v[103:104], v[61:62], v[69:70]
	s_waitcnt vmcnt(15)
	v_fma_f64 v[61:62], v[101:102], v[63:64], v[61:62]
	s_waitcnt vmcnt(14) lgkmcnt(0)
	v_fma_f64 v[61:62], v[99:100], v[65:66], v[61:62]
	s_waitcnt vmcnt(9)
	v_fma_f64 v[69:70], v[71:72], v[67:68], v[61:62]
	ds_read_b128 v[61:64], v60 offset:432
	ds_read_b128 v[65:68], v60 offset:448
	s_waitcnt vmcnt(8) lgkmcnt(1)
	v_fma_f64 v[61:62], v[77:78], v[61:62], v[69:70]
	s_waitcnt vmcnt(7)
	v_fma_f64 v[61:62], v[75:76], v[63:64], v[61:62]
	ds_read_b64 v[63:64], v60 offset:464
	s_waitcnt vmcnt(6) lgkmcnt(1)
	v_fma_f64 v[61:62], v[73:74], v[65:66], v[61:62]
	s_waitcnt vmcnt(3)
	v_fma_f64 v[61:62], v[79:80], v[67:68], v[61:62]
	s_waitcnt vmcnt(2) lgkmcnt(0)
	v_fma_f64 v[61:62], v[81:82], v[63:64], v[61:62]
	s_waitcnt vmcnt(0)
	v_add_f64 v[61:62], v[83:84], -v[61:62]
	buffer_store_dword v62, off, s[0:3], 0 offset:28
	buffer_store_dword v61, off, s[0:3], 0 offset:24
	v_cmpx_lt_u32_e32 2, v0
	s_cbranch_execz .LBB28_179
; %bb.178:
	s_clause 0x1
	buffer_load_dword v61, off, s[0:3], 0 offset:16
	buffer_load_dword v62, off, s[0:3], 0 offset:20
	buffer_store_dword v60, off, s[0:3], 0 offset:16
	buffer_store_dword v60, off, s[0:3], 0 offset:20
	s_waitcnt vmcnt(0)
	ds_write_b64 v59, v[61:62]
.LBB28_179:
	s_or_b32 exec_lo, exec_lo, s4
	s_waitcnt lgkmcnt(0)
	s_waitcnt_vscnt null, 0x0
	s_barrier
	buffer_gl0_inv
	s_clause 0x1c
	buffer_load_dword v69, off, s[0:3], 0 offset:24
	buffer_load_dword v70, off, s[0:3], 0 offset:28
	;; [unrolled: 1-line block ×29, first 2 shown]
	ds_read2_b64 v[61:64], v60 offset0:33 offset1:34
	ds_read2_b64 v[65:68], v60 offset0:35 offset1:36
	buffer_load_dword v94, off, s[0:3], 0 offset:140
	s_mov_b32 s4, exec_lo
	s_waitcnt vmcnt(28) lgkmcnt(1)
	v_fma_f64 v[61:62], v[69:70], v[61:62], 0
	s_clause 0x7
	buffer_load_dword v70, off, s[0:3], 0 offset:148
	buffer_load_dword v99, off, s[0:3], 0 offset:168
	;; [unrolled: 1-line block ×8, first 2 shown]
	s_waitcnt vmcnt(34)
	v_fma_f64 v[61:62], v[71:72], v[63:64], v[61:62]
	s_waitcnt vmcnt(32) lgkmcnt(0)
	v_fma_f64 v[61:62], v[73:74], v[65:66], v[61:62]
	s_waitcnt vmcnt(30)
	v_fma_f64 v[71:72], v[75:76], v[67:68], v[61:62]
	ds_read2_b64 v[61:64], v60 offset0:37 offset1:38
	ds_read2_b64 v[65:68], v60 offset0:39 offset1:40
	s_waitcnt vmcnt(28) lgkmcnt(1)
	v_fma_f64 v[61:62], v[77:78], v[61:62], v[71:72]
	s_clause 0x7
	buffer_load_dword v72, off, s[0:3], 0 offset:180
	buffer_load_dword v73, off, s[0:3], 0 offset:200
	;; [unrolled: 1-line block ×8, first 2 shown]
	s_waitcnt vmcnt(34)
	v_fma_f64 v[61:62], v[79:80], v[63:64], v[61:62]
	s_waitcnt vmcnt(32) lgkmcnt(0)
	v_fma_f64 v[61:62], v[81:82], v[65:66], v[61:62]
	s_waitcnt vmcnt(27)
	v_fma_f64 v[79:80], v[83:84], v[67:68], v[61:62]
	ds_read2_b64 v[61:64], v60 offset0:41 offset1:42
	ds_read2_b64 v[65:68], v60 offset0:43 offset1:44
	s_waitcnt vmcnt(26) lgkmcnt(1)
	v_fma_f64 v[61:62], v[89:90], v[61:62], v[79:80]
	s_clause 0x5
	buffer_load_dword v80, off, s[0:3], 0 offset:212
	buffer_load_dword v81, off, s[0:3], 0 offset:224
	;; [unrolled: 1-line block ×6, first 2 shown]
	s_waitcnt vmcnt(31)
	v_fma_f64 v[61:62], v[87:88], v[63:64], v[61:62]
	s_waitcnt vmcnt(30) lgkmcnt(0)
	v_fma_f64 v[61:62], v[85:86], v[65:66], v[61:62]
	s_waitcnt vmcnt(25)
	v_fma_f64 v[85:86], v[91:92], v[67:68], v[61:62]
	ds_read2_b64 v[61:64], v60 offset0:45 offset1:46
	s_clause 0x1
	buffer_load_dword v87, off, s[0:3], 0 offset:16
	buffer_load_dword v88, off, s[0:3], 0 offset:20
	ds_read2_b64 v[65:68], v60 offset0:47 offset1:48
	s_waitcnt vmcnt(26) lgkmcnt(1)
	v_fma_f64 v[61:62], v[97:98], v[61:62], v[85:86]
	s_waitcnt vmcnt(25)
	v_fma_f64 v[61:62], v[95:96], v[63:64], v[61:62]
	s_waitcnt vmcnt(24) lgkmcnt(0)
	v_fma_f64 v[61:62], v[93:94], v[65:66], v[61:62]
	s_waitcnt vmcnt(19)
	v_fma_f64 v[69:70], v[69:70], v[67:68], v[61:62]
	ds_read2_b64 v[61:64], v60 offset0:49 offset1:50
	ds_read2_b64 v[65:68], v60 offset0:51 offset1:52
	s_waitcnt vmcnt(18) lgkmcnt(1)
	v_fma_f64 v[61:62], v[103:104], v[61:62], v[69:70]
	s_waitcnt vmcnt(17)
	v_fma_f64 v[61:62], v[101:102], v[63:64], v[61:62]
	s_waitcnt vmcnt(16) lgkmcnt(0)
	v_fma_f64 v[61:62], v[99:100], v[65:66], v[61:62]
	s_waitcnt vmcnt(11)
	v_fma_f64 v[69:70], v[71:72], v[67:68], v[61:62]
	ds_read2_b64 v[61:64], v60 offset0:53 offset1:54
	ds_read2_b64 v[65:68], v60 offset0:55 offset1:56
	s_waitcnt vmcnt(10) lgkmcnt(1)
	v_fma_f64 v[61:62], v[77:78], v[61:62], v[69:70]
	s_waitcnt vmcnt(9)
	v_fma_f64 v[61:62], v[75:76], v[63:64], v[61:62]
	s_waitcnt vmcnt(8) lgkmcnt(0)
	v_fma_f64 v[61:62], v[73:74], v[65:66], v[61:62]
	s_waitcnt vmcnt(4)
	v_fma_f64 v[64:65], v[79:80], v[67:68], v[61:62]
	ds_read2_b64 v[60:63], v60 offset0:57 offset1:58
	s_waitcnt vmcnt(3) lgkmcnt(0)
	v_fma_f64 v[60:61], v[83:84], v[60:61], v[64:65]
	s_waitcnt vmcnt(2)
	v_fma_f64 v[60:61], v[81:82], v[62:63], v[60:61]
	s_waitcnt vmcnt(0)
	v_add_f64 v[60:61], v[87:88], -v[60:61]
	buffer_store_dword v61, off, s[0:3], 0 offset:20
	buffer_store_dword v60, off, s[0:3], 0 offset:16
	v_cmpx_lt_u32_e32 1, v0
	s_cbranch_execz .LBB28_181
; %bb.180:
	s_clause 0x1
	buffer_load_dword v60, off, s[0:3], 0 offset:8
	buffer_load_dword v61, off, s[0:3], 0 offset:12
	v_mov_b32_e32 v62, 0
	buffer_store_dword v62, off, s[0:3], 0 offset:8
	buffer_store_dword v62, off, s[0:3], 0 offset:12
	s_waitcnt vmcnt(0)
	ds_write_b64 v59, v[60:61]
.LBB28_181:
	s_or_b32 exec_lo, exec_lo, s4
	s_waitcnt lgkmcnt(0)
	s_waitcnt_vscnt null, 0x0
	s_barrier
	buffer_gl0_inv
	s_clause 0x1c
	buffer_load_dword v70, off, s[0:3], 0 offset:16
	buffer_load_dword v71, off, s[0:3], 0 offset:20
	;; [unrolled: 1-line block ×29, first 2 shown]
	v_mov_b32_e32 v61, 0
	buffer_load_dword v95, off, s[0:3], 0 offset:132
	s_mov_b32 s4, exec_lo
	ds_read_b128 v[62:65], v61 offset:256
	ds_read_b128 v[66:69], v61 offset:272
	s_waitcnt vmcnt(28) lgkmcnt(1)
	v_fma_f64 v[62:63], v[70:71], v[62:63], 0
	s_clause 0x7
	buffer_load_dword v71, off, s[0:3], 0 offset:140
	buffer_load_dword v100, off, s[0:3], 0 offset:160
	buffer_load_dword v102, off, s[0:3], 0 offset:152
	buffer_load_dword v104, off, s[0:3], 0 offset:144
	buffer_load_dword v70, off, s[0:3], 0 offset:136
	buffer_load_dword v105, off, s[0:3], 0 offset:148
	buffer_load_dword v103, off, s[0:3], 0 offset:156
	buffer_load_dword v101, off, s[0:3], 0 offset:164
	s_waitcnt vmcnt(34)
	v_fma_f64 v[62:63], v[72:73], v[64:65], v[62:63]
	s_waitcnt vmcnt(32) lgkmcnt(0)
	v_fma_f64 v[62:63], v[74:75], v[66:67], v[62:63]
	s_waitcnt vmcnt(30)
	v_fma_f64 v[72:73], v[76:77], v[68:69], v[62:63]
	ds_read_b128 v[62:65], v61 offset:288
	ds_read_b128 v[66:69], v61 offset:304
	s_waitcnt vmcnt(28) lgkmcnt(1)
	v_fma_f64 v[62:63], v[78:79], v[62:63], v[72:73]
	s_clause 0x7
	buffer_load_dword v73, off, s[0:3], 0 offset:172
	buffer_load_dword v74, off, s[0:3], 0 offset:192
	buffer_load_dword v76, off, s[0:3], 0 offset:184
	buffer_load_dword v78, off, s[0:3], 0 offset:176
	buffer_load_dword v72, off, s[0:3], 0 offset:168
	buffer_load_dword v79, off, s[0:3], 0 offset:180
	buffer_load_dword v77, off, s[0:3], 0 offset:188
	buffer_load_dword v75, off, s[0:3], 0 offset:196
	s_waitcnt vmcnt(34)
	v_fma_f64 v[62:63], v[80:81], v[64:65], v[62:63]
	s_waitcnt vmcnt(32) lgkmcnt(0)
	v_fma_f64 v[62:63], v[82:83], v[66:67], v[62:63]
	s_waitcnt vmcnt(27)
	v_fma_f64 v[80:81], v[84:85], v[68:69], v[62:63]
	;; [unrolled: 19-line block ×3, first 2 shown]
	ds_read_b128 v[62:65], v61 offset:352
	ds_read_b128 v[66:69], v61 offset:368
	s_waitcnt vmcnt(26) lgkmcnt(1)
	v_fma_f64 v[62:63], v[98:99], v[62:63], v[86:87]
	s_clause 0x1
	buffer_load_dword v86, off, s[0:3], 0 offset:8
	buffer_load_dword v87, off, s[0:3], 0 offset:12
	s_waitcnt vmcnt(27)
	v_fma_f64 v[62:63], v[96:97], v[64:65], v[62:63]
	s_waitcnt vmcnt(26) lgkmcnt(0)
	v_fma_f64 v[62:63], v[94:95], v[66:67], v[62:63]
	s_waitcnt vmcnt(21)
	v_fma_f64 v[70:71], v[70:71], v[68:69], v[62:63]
	ds_read_b128 v[62:65], v61 offset:384
	ds_read_b128 v[66:69], v61 offset:400
	s_waitcnt vmcnt(20) lgkmcnt(1)
	v_fma_f64 v[62:63], v[104:105], v[62:63], v[70:71]
	s_waitcnt vmcnt(19)
	v_fma_f64 v[62:63], v[102:103], v[64:65], v[62:63]
	s_waitcnt vmcnt(18) lgkmcnt(0)
	v_fma_f64 v[62:63], v[100:101], v[66:67], v[62:63]
	s_waitcnt vmcnt(13)
	v_fma_f64 v[70:71], v[72:73], v[68:69], v[62:63]
	ds_read_b128 v[62:65], v61 offset:416
	ds_read_b128 v[66:69], v61 offset:432
	s_waitcnt vmcnt(12) lgkmcnt(1)
	v_fma_f64 v[62:63], v[78:79], v[62:63], v[70:71]
	s_waitcnt vmcnt(11)
	v_fma_f64 v[62:63], v[76:77], v[64:65], v[62:63]
	s_waitcnt vmcnt(10) lgkmcnt(0)
	v_fma_f64 v[62:63], v[74:75], v[66:67], v[62:63]
	s_waitcnt vmcnt(5)
	v_fma_f64 v[66:67], v[80:81], v[68:69], v[62:63]
	ds_read_b128 v[62:65], v61 offset:448
	ds_read_b64 v[68:69], v61 offset:464
	s_waitcnt vmcnt(4) lgkmcnt(1)
	v_fma_f64 v[62:63], v[90:91], v[62:63], v[66:67]
	s_waitcnt vmcnt(3)
	v_fma_f64 v[62:63], v[84:85], v[64:65], v[62:63]
	s_waitcnt vmcnt(2) lgkmcnt(0)
	v_fma_f64 v[62:63], v[82:83], v[68:69], v[62:63]
	s_waitcnt vmcnt(0)
	v_add_f64 v[62:63], v[86:87], -v[62:63]
	buffer_store_dword v63, off, s[0:3], 0 offset:12
	buffer_store_dword v62, off, s[0:3], 0 offset:8
	v_cmpx_ne_u32_e32 0, v0
	s_cbranch_execz .LBB28_183
; %bb.182:
	s_clause 0x1
	buffer_load_dword v62, off, s[0:3], 0
	buffer_load_dword v63, off, s[0:3], 0 offset:4
	buffer_store_dword v61, off, s[0:3], 0
	buffer_store_dword v61, off, s[0:3], 0 offset:4
	s_waitcnt vmcnt(0)
	ds_write_b64 v59, v[62:63]
.LBB28_183:
	s_or_b32 exec_lo, exec_lo, s4
	s_waitcnt lgkmcnt(0)
	s_waitcnt_vscnt null, 0x0
	s_barrier
	buffer_gl0_inv
	s_clause 0x1c
	buffer_load_dword v59, off, s[0:3], 0 offset:8
	buffer_load_dword v60, off, s[0:3], 0 offset:12
	;; [unrolled: 1-line block ×29, first 2 shown]
	ds_read2_b64 v[62:65], v61 offset0:31 offset1:32
	ds_read2_b64 v[66:69], v61 offset0:33 offset1:34
	s_clause 0x8
	buffer_load_dword v93, off, s[0:3], 0 offset:124
	buffer_load_dword v99, off, s[0:3], 0 offset:132
	;; [unrolled: 1-line block ×9, first 2 shown]
	s_and_b32 vcc_lo, exec_lo, s22
	s_waitcnt vmcnt(36) lgkmcnt(1)
	v_fma_f64 v[59:60], v[59:60], v[62:63], 0
	s_waitcnt vmcnt(34)
	v_fma_f64 v[59:60], v[70:71], v[64:65], v[59:60]
	ds_read2_b64 v[62:65], v61 offset0:35 offset1:36
	s_waitcnt vmcnt(32) lgkmcnt(1)
	v_fma_f64 v[59:60], v[72:73], v[66:67], v[59:60]
	s_waitcnt vmcnt(30)
	v_fma_f64 v[59:60], v[74:75], v[68:69], v[59:60]
	ds_read2_b64 v[66:69], v61 offset0:37 offset1:38
	s_waitcnt vmcnt(28) lgkmcnt(1)
	v_fma_f64 v[59:60], v[76:77], v[62:63], v[59:60]
	s_clause 0x7
	buffer_load_dword v71, off, s[0:3], 0 offset:164
	buffer_load_dword v72, off, s[0:3], 0 offset:184
	;; [unrolled: 1-line block ×8, first 2 shown]
	s_waitcnt vmcnt(34)
	v_fma_f64 v[59:60], v[78:79], v[64:65], v[59:60]
	ds_read2_b64 v[62:65], v61 offset0:39 offset1:40
	s_waitcnt vmcnt(32) lgkmcnt(1)
	v_fma_f64 v[59:60], v[80:81], v[66:67], v[59:60]
	s_waitcnt vmcnt(27)
	v_fma_f64 v[59:60], v[82:83], v[68:69], v[59:60]
	ds_read2_b64 v[66:69], v61 offset0:41 offset1:42
	s_waitcnt vmcnt(26) lgkmcnt(1)
	v_fma_f64 v[62:63], v[88:89], v[62:63], v[59:60]
	s_clause 0x7
	buffer_load_dword v79, off, s[0:3], 0 offset:196
	buffer_load_dword v59, off, s[0:3], 0 offset:216
	;; [unrolled: 1-line block ×8, first 2 shown]
	s_waitcnt vmcnt(33)
	v_fma_f64 v[62:63], v[86:87], v[64:65], v[62:63]
	s_waitcnt vmcnt(32) lgkmcnt(0)
	v_fma_f64 v[62:63], v[84:85], v[66:67], v[62:63]
	s_waitcnt vmcnt(27)
	v_fma_f64 v[84:85], v[90:91], v[68:69], v[62:63]
	ds_read2_b64 v[62:65], v61 offset0:43 offset1:44
	ds_read2_b64 v[66:69], v61 offset0:45 offset1:46
	s_waitcnt vmcnt(26) lgkmcnt(1)
	v_fma_f64 v[62:63], v[96:97], v[62:63], v[84:85]
	s_clause 0x3
	buffer_load_dword v85, off, s[0:3], 0 offset:228
	buffer_load_dword v84, off, s[0:3], 0 offset:224
	buffer_load_dword v86, off, s[0:3], 0
	buffer_load_dword v87, off, s[0:3], 0 offset:4
	s_waitcnt vmcnt(29)
	v_fma_f64 v[62:63], v[94:95], v[64:65], v[62:63]
	s_waitcnt vmcnt(28) lgkmcnt(0)
	v_fma_f64 v[62:63], v[92:93], v[66:67], v[62:63]
	s_waitcnt vmcnt(23)
	v_fma_f64 v[88:89], v[98:99], v[68:69], v[62:63]
	ds_read2_b64 v[62:65], v61 offset0:47 offset1:48
	ds_read2_b64 v[66:69], v61 offset0:49 offset1:50
	s_waitcnt vmcnt(22) lgkmcnt(1)
	v_fma_f64 v[62:63], v[104:105], v[62:63], v[88:89]
	s_waitcnt vmcnt(21)
	v_fma_f64 v[62:63], v[102:103], v[64:65], v[62:63]
	s_waitcnt vmcnt(20) lgkmcnt(0)
	v_fma_f64 v[62:63], v[100:101], v[66:67], v[62:63]
	s_waitcnt vmcnt(15)
	v_fma_f64 v[70:71], v[70:71], v[68:69], v[62:63]
	ds_read2_b64 v[62:65], v61 offset0:51 offset1:52
	ds_read2_b64 v[66:69], v61 offset0:53 offset1:54
	s_waitcnt vmcnt(14) lgkmcnt(1)
	v_fma_f64 v[62:63], v[76:77], v[62:63], v[70:71]
	;; [unrolled: 10-line block ×3, first 2 shown]
	s_waitcnt vmcnt(5)
	v_fma_f64 v[61:62], v[80:81], v[64:65], v[61:62]
	s_waitcnt vmcnt(4) lgkmcnt(0)
	v_fma_f64 v[61:62], v[59:60], v[66:67], v[61:62]
	s_waitcnt vmcnt(2)
	v_fma_f64 v[61:62], v[84:85], v[68:69], v[61:62]
	s_waitcnt vmcnt(0)
	v_add_f64 v[61:62], v[86:87], -v[61:62]
	buffer_store_dword v62, off, s[0:3], 0 offset:4
	buffer_store_dword v61, off, s[0:3], 0
	s_cbranch_vccz .LBB28_240
; %bb.184:
	v_mov_b32_e32 v0, 0
	global_load_dword v61, v0, s[20:21] offset:108
	s_waitcnt vmcnt(0)
	v_add_nc_u32_e32 v61, -1, v61
	v_cmp_ne_u32_e32 vcc_lo, 27, v61
	s_cbranch_vccz .LBB28_186
; %bb.185:
	v_lshlrev_b32_e32 v61, 3, v61
	s_clause 0x1
	buffer_load_dword v62, v61, s[0:3], 0 offen
	buffer_load_dword v63, v61, s[0:3], 0 offen offset:4
	s_waitcnt vmcnt(1)
	buffer_store_dword v62, off, s[0:3], 0 offset:216
	s_waitcnt vmcnt(0)
	buffer_store_dword v63, off, s[0:3], 0 offset:220
	buffer_store_dword v59, v61, s[0:3], 0 offen
	buffer_store_dword v60, v61, s[0:3], 0 offen offset:4
.LBB28_186:
	global_load_dword v0, v0, s[20:21] offset:104
	s_waitcnt vmcnt(0)
	v_add_nc_u32_e32 v0, -1, v0
	v_cmp_eq_u32_e32 vcc_lo, 26, v0
	s_cbranch_vccnz .LBB28_188
; %bb.187:
	v_lshlrev_b32_e32 v0, 3, v0
	s_clause 0x3
	buffer_load_dword v59, v0, s[0:3], 0 offen
	buffer_load_dword v60, v0, s[0:3], 0 offen offset:4
	buffer_load_dword v61, off, s[0:3], 0 offset:212
	buffer_load_dword v62, off, s[0:3], 0 offset:208
	s_waitcnt vmcnt(3)
	buffer_store_dword v59, off, s[0:3], 0 offset:208
	s_waitcnt vmcnt(2)
	buffer_store_dword v60, off, s[0:3], 0 offset:212
	s_waitcnt vmcnt(1)
	buffer_store_dword v61, v0, s[0:3], 0 offen offset:4
	s_waitcnt vmcnt(0)
	buffer_store_dword v62, v0, s[0:3], 0 offen
.LBB28_188:
	v_mov_b32_e32 v0, 0
	global_load_dword v59, v0, s[20:21] offset:100
	s_waitcnt vmcnt(0)
	v_add_nc_u32_e32 v59, -1, v59
	v_cmp_eq_u32_e32 vcc_lo, 25, v59
	s_cbranch_vccnz .LBB28_190
; %bb.189:
	v_lshlrev_b32_e32 v59, 3, v59
	s_clause 0x3
	buffer_load_dword v60, v59, s[0:3], 0 offen
	buffer_load_dword v61, v59, s[0:3], 0 offen offset:4
	buffer_load_dword v62, off, s[0:3], 0 offset:200
	buffer_load_dword v63, off, s[0:3], 0 offset:204
	s_waitcnt vmcnt(3)
	buffer_store_dword v60, off, s[0:3], 0 offset:200
	s_waitcnt vmcnt(2)
	buffer_store_dword v61, off, s[0:3], 0 offset:204
	s_waitcnt vmcnt(1)
	buffer_store_dword v62, v59, s[0:3], 0 offen
	s_waitcnt vmcnt(0)
	buffer_store_dword v63, v59, s[0:3], 0 offen offset:4
.LBB28_190:
	global_load_dword v0, v0, s[20:21] offset:96
	s_waitcnt vmcnt(0)
	v_add_nc_u32_e32 v0, -1, v0
	v_cmp_eq_u32_e32 vcc_lo, 24, v0
	s_cbranch_vccnz .LBB28_192
; %bb.191:
	v_lshlrev_b32_e32 v0, 3, v0
	s_clause 0x3
	buffer_load_dword v59, v0, s[0:3], 0 offen
	buffer_load_dword v60, v0, s[0:3], 0 offen offset:4
	buffer_load_dword v61, off, s[0:3], 0 offset:196
	buffer_load_dword v62, off, s[0:3], 0 offset:192
	s_waitcnt vmcnt(3)
	buffer_store_dword v59, off, s[0:3], 0 offset:192
	s_waitcnt vmcnt(2)
	buffer_store_dword v60, off, s[0:3], 0 offset:196
	s_waitcnt vmcnt(1)
	buffer_store_dword v61, v0, s[0:3], 0 offen offset:4
	s_waitcnt vmcnt(0)
	buffer_store_dword v62, v0, s[0:3], 0 offen
.LBB28_192:
	v_mov_b32_e32 v0, 0
	global_load_dword v59, v0, s[20:21] offset:92
	s_waitcnt vmcnt(0)
	v_add_nc_u32_e32 v59, -1, v59
	v_cmp_eq_u32_e32 vcc_lo, 23, v59
	s_cbranch_vccnz .LBB28_194
; %bb.193:
	v_lshlrev_b32_e32 v59, 3, v59
	s_clause 0x3
	buffer_load_dword v60, v59, s[0:3], 0 offen
	buffer_load_dword v61, v59, s[0:3], 0 offen offset:4
	buffer_load_dword v62, off, s[0:3], 0 offset:184
	buffer_load_dword v63, off, s[0:3], 0 offset:188
	s_waitcnt vmcnt(3)
	buffer_store_dword v60, off, s[0:3], 0 offset:184
	s_waitcnt vmcnt(2)
	buffer_store_dword v61, off, s[0:3], 0 offset:188
	s_waitcnt vmcnt(1)
	buffer_store_dword v62, v59, s[0:3], 0 offen
	s_waitcnt vmcnt(0)
	buffer_store_dword v63, v59, s[0:3], 0 offen offset:4
.LBB28_194:
	;; [unrolled: 43-line block ×13, first 2 shown]
	global_load_dword v0, v0, s[20:21]
	s_clause 0x1
	buffer_load_dword v61, off, s[0:3], 0
	buffer_load_dword v62, off, s[0:3], 0 offset:4
	s_waitcnt vmcnt(2)
	v_add_nc_u32_e32 v0, -1, v0
	v_cmp_eq_u32_e32 vcc_lo, 0, v0
	s_cbranch_vccnz .LBB28_240
; %bb.239:
	v_lshlrev_b32_e32 v0, 3, v0
	s_clause 0x1
	buffer_load_dword v59, v0, s[0:3], 0 offen offset:4
	buffer_load_dword v60, v0, s[0:3], 0 offen
	s_waitcnt vmcnt(1)
	buffer_store_dword v59, off, s[0:3], 0 offset:4
	s_waitcnt vmcnt(0)
	buffer_store_dword v60, off, s[0:3], 0
	buffer_store_dword v62, v0, s[0:3], 0 offen offset:4
	buffer_store_dword v61, v0, s[0:3], 0 offen
	s_clause 0x1
	buffer_load_dword v61, off, s[0:3], 0
	buffer_load_dword v62, off, s[0:3], 0 offset:4
.LBB28_240:
	s_clause 0x1
	buffer_load_dword v59, off, s[0:3], 0 offset:8
	buffer_load_dword v60, off, s[0:3], 0 offset:12
	s_waitcnt vmcnt(2)
	global_store_dwordx2 v[43:44], v[61:62], off
	s_clause 0x2d
	buffer_load_dword v43, off, s[0:3], 0 offset:16
	buffer_load_dword v44, off, s[0:3], 0 offset:20
	;; [unrolled: 1-line block ×46, first 2 shown]
	s_waitcnt vmcnt(46)
	global_store_dwordx2 v[11:12], v[59:60], off
	s_clause 0x7
	buffer_load_dword v11, off, s[0:3], 0 offset:200
	buffer_load_dword v12, off, s[0:3], 0 offset:204
	;; [unrolled: 1-line block ×8, first 2 shown]
	s_waitcnt vmcnt(52)
	global_store_dwordx2 v[1:2], v[43:44], off
	s_waitcnt vmcnt(50)
	global_store_dwordx2 v[3:4], v[61:62], off
	;; [unrolled: 2-line block ×27, first 2 shown]
	s_endpgm
	.section	.rodata,"a",@progbits
	.p2align	6, 0x0
	.amdhsa_kernel _ZN9rocsolver6v33100L18getri_kernel_smallILi29EdPdEEvT1_iilPiilS4_bb
		.amdhsa_group_segment_fixed_size 472
		.amdhsa_private_segment_fixed_size 240
		.amdhsa_kernarg_size 60
		.amdhsa_user_sgpr_count 6
		.amdhsa_user_sgpr_private_segment_buffer 1
		.amdhsa_user_sgpr_dispatch_ptr 0
		.amdhsa_user_sgpr_queue_ptr 0
		.amdhsa_user_sgpr_kernarg_segment_ptr 1
		.amdhsa_user_sgpr_dispatch_id 0
		.amdhsa_user_sgpr_flat_scratch_init 0
		.amdhsa_user_sgpr_private_segment_size 0
		.amdhsa_wavefront_size32 1
		.amdhsa_uses_dynamic_stack 0
		.amdhsa_system_sgpr_private_segment_wavefront_offset 1
		.amdhsa_system_sgpr_workgroup_id_x 1
		.amdhsa_system_sgpr_workgroup_id_y 0
		.amdhsa_system_sgpr_workgroup_id_z 0
		.amdhsa_system_sgpr_workgroup_info 0
		.amdhsa_system_vgpr_workitem_id 0
		.amdhsa_next_free_vgpr 109
		.amdhsa_next_free_sgpr 23
		.amdhsa_reserve_vcc 1
		.amdhsa_reserve_flat_scratch 0
		.amdhsa_float_round_mode_32 0
		.amdhsa_float_round_mode_16_64 0
		.amdhsa_float_denorm_mode_32 3
		.amdhsa_float_denorm_mode_16_64 3
		.amdhsa_dx10_clamp 1
		.amdhsa_ieee_mode 1
		.amdhsa_fp16_overflow 0
		.amdhsa_workgroup_processor_mode 1
		.amdhsa_memory_ordered 1
		.amdhsa_forward_progress 1
		.amdhsa_shared_vgpr_count 0
		.amdhsa_exception_fp_ieee_invalid_op 0
		.amdhsa_exception_fp_denorm_src 0
		.amdhsa_exception_fp_ieee_div_zero 0
		.amdhsa_exception_fp_ieee_overflow 0
		.amdhsa_exception_fp_ieee_underflow 0
		.amdhsa_exception_fp_ieee_inexact 0
		.amdhsa_exception_int_div_zero 0
	.end_amdhsa_kernel
	.section	.text._ZN9rocsolver6v33100L18getri_kernel_smallILi29EdPdEEvT1_iilPiilS4_bb,"axG",@progbits,_ZN9rocsolver6v33100L18getri_kernel_smallILi29EdPdEEvT1_iilPiilS4_bb,comdat
.Lfunc_end28:
	.size	_ZN9rocsolver6v33100L18getri_kernel_smallILi29EdPdEEvT1_iilPiilS4_bb, .Lfunc_end28-_ZN9rocsolver6v33100L18getri_kernel_smallILi29EdPdEEvT1_iilPiilS4_bb
                                        ; -- End function
	.set _ZN9rocsolver6v33100L18getri_kernel_smallILi29EdPdEEvT1_iilPiilS4_bb.num_vgpr, 109
	.set _ZN9rocsolver6v33100L18getri_kernel_smallILi29EdPdEEvT1_iilPiilS4_bb.num_agpr, 0
	.set _ZN9rocsolver6v33100L18getri_kernel_smallILi29EdPdEEvT1_iilPiilS4_bb.numbered_sgpr, 23
	.set _ZN9rocsolver6v33100L18getri_kernel_smallILi29EdPdEEvT1_iilPiilS4_bb.num_named_barrier, 0
	.set _ZN9rocsolver6v33100L18getri_kernel_smallILi29EdPdEEvT1_iilPiilS4_bb.private_seg_size, 240
	.set _ZN9rocsolver6v33100L18getri_kernel_smallILi29EdPdEEvT1_iilPiilS4_bb.uses_vcc, 1
	.set _ZN9rocsolver6v33100L18getri_kernel_smallILi29EdPdEEvT1_iilPiilS4_bb.uses_flat_scratch, 0
	.set _ZN9rocsolver6v33100L18getri_kernel_smallILi29EdPdEEvT1_iilPiilS4_bb.has_dyn_sized_stack, 0
	.set _ZN9rocsolver6v33100L18getri_kernel_smallILi29EdPdEEvT1_iilPiilS4_bb.has_recursion, 0
	.set _ZN9rocsolver6v33100L18getri_kernel_smallILi29EdPdEEvT1_iilPiilS4_bb.has_indirect_call, 0
	.section	.AMDGPU.csdata,"",@progbits
; Kernel info:
; codeLenInByte = 29552
; TotalNumSgprs: 25
; NumVgprs: 109
; ScratchSize: 240
; MemoryBound: 0
; FloatMode: 240
; IeeeMode: 1
; LDSByteSize: 472 bytes/workgroup (compile time only)
; SGPRBlocks: 0
; VGPRBlocks: 13
; NumSGPRsForWavesPerEU: 25
; NumVGPRsForWavesPerEU: 109
; Occupancy: 9
; WaveLimiterHint : 1
; COMPUTE_PGM_RSRC2:SCRATCH_EN: 1
; COMPUTE_PGM_RSRC2:USER_SGPR: 6
; COMPUTE_PGM_RSRC2:TRAP_HANDLER: 0
; COMPUTE_PGM_RSRC2:TGID_X_EN: 1
; COMPUTE_PGM_RSRC2:TGID_Y_EN: 0
; COMPUTE_PGM_RSRC2:TGID_Z_EN: 0
; COMPUTE_PGM_RSRC2:TIDIG_COMP_CNT: 0
	.section	.text._ZN9rocsolver6v33100L18getri_kernel_smallILi30EdPdEEvT1_iilPiilS4_bb,"axG",@progbits,_ZN9rocsolver6v33100L18getri_kernel_smallILi30EdPdEEvT1_iilPiilS4_bb,comdat
	.globl	_ZN9rocsolver6v33100L18getri_kernel_smallILi30EdPdEEvT1_iilPiilS4_bb ; -- Begin function _ZN9rocsolver6v33100L18getri_kernel_smallILi30EdPdEEvT1_iilPiilS4_bb
	.p2align	8
	.type	_ZN9rocsolver6v33100L18getri_kernel_smallILi30EdPdEEvT1_iilPiilS4_bb,@function
_ZN9rocsolver6v33100L18getri_kernel_smallILi30EdPdEEvT1_iilPiilS4_bb: ; @_ZN9rocsolver6v33100L18getri_kernel_smallILi30EdPdEEvT1_iilPiilS4_bb
; %bb.0:
	s_add_u32 s0, s0, s7
	s_addc_u32 s1, s1, 0
	s_mov_b32 s7, exec_lo
	v_cmpx_gt_u32_e32 30, v0
	s_cbranch_execz .LBB29_130
; %bb.1:
	s_clause 0x2
	s_load_dword s7, s[4:5], 0x38
	s_load_dwordx4 s[16:19], s[4:5], 0x10
	s_load_dwordx4 s[8:11], s[4:5], 0x28
                                        ; implicit-def: $sgpr20_sgpr21
	s_waitcnt lgkmcnt(0)
	s_bitcmp1_b32 s7, 8
	s_cselect_b32 s22, -1, 0
	s_bfe_u32 s12, s7, 0x10008
	s_ashr_i32 s7, s6, 31
	s_cmp_eq_u32 s12, 0
	s_cbranch_scc1 .LBB29_3
; %bb.2:
	s_load_dword s12, s[4:5], 0x20
	s_mul_i32 s13, s8, s7
	s_mul_hi_u32 s14, s8, s6
	s_mul_i32 s9, s9, s6
	s_add_i32 s13, s14, s13
	s_mul_i32 s8, s8, s6
	s_add_i32 s9, s13, s9
	s_lshl_b64 s[8:9], s[8:9], 2
	s_waitcnt lgkmcnt(0)
	s_ashr_i32 s13, s12, 31
	s_add_u32 s14, s18, s8
	s_addc_u32 s15, s19, s9
	s_lshl_b64 s[8:9], s[12:13], 2
	s_add_u32 s20, s14, s8
	s_addc_u32 s21, s15, s9
.LBB29_3:
	s_clause 0x1
	s_load_dwordx4 s[12:15], s[4:5], 0x0
	s_load_dword s18, s[4:5], 0x38
	s_mul_i32 s4, s16, s7
	s_mul_hi_u32 s5, s16, s6
	s_mul_i32 s8, s17, s6
	s_add_i32 s5, s5, s4
	s_mul_i32 s4, s16, s6
	s_add_i32 s5, s5, s8
	v_lshlrev_b32_e32 v63, 3, v0
	s_lshl_b64 s[4:5], s[4:5], 3
	s_waitcnt lgkmcnt(0)
	v_add3_u32 v1, s15, s15, v0
	s_ashr_i32 s9, s14, 31
	s_mov_b32 s8, s14
	s_add_u32 s12, s12, s4
	s_addc_u32 s13, s13, s5
	v_add_nc_u32_e32 v3, s15, v1
	v_ashrrev_i32_e32 v2, 31, v1
	s_lshl_b64 s[4:5], s[8:9], 3
	s_mov_b32 s16, s15
	s_add_u32 s4, s12, s4
	v_add_nc_u32_e32 v5, s15, v3
	v_ashrrev_i32_e32 v4, 31, v3
	v_lshlrev_b64 v[1:2], 3, v[1:2]
	s_addc_u32 s5, s13, s5
	v_add_co_u32 v43, s8, s4, v63
	v_add_nc_u32_e32 v7, s15, v5
	v_ashrrev_i32_e32 v6, 31, v5
	s_ashr_i32 s17, s15, 31
	v_lshlrev_b64 v[3:4], 3, v[3:4]
	v_add_co_ci_u32_e64 v44, null, s5, 0, s8
	v_add_nc_u32_e32 v13, s15, v7
	v_ashrrev_i32_e32 v8, 31, v7
	s_lshl_b64 s[8:9], s[16:17], 3
	v_add_co_u32 v9, vcc_lo, s4, v1
	v_ashrrev_i32_e32 v14, 31, v13
	v_lshlrev_b64 v[5:6], 3, v[5:6]
	v_add_co_ci_u32_e64 v10, null, s5, v2, vcc_lo
	v_add_co_u32 v11, vcc_lo, v43, s8
	v_lshlrev_b64 v[7:8], 3, v[7:8]
	v_add_co_ci_u32_e64 v12, null, s9, v44, vcc_lo
	v_add_co_u32 v1, vcc_lo, s4, v3
	;; [unrolled: 3-line block ×3, first 2 shown]
	v_add_co_ci_u32_e64 v4, null, s5, v6, vcc_lo
	v_add_co_u32 v5, vcc_lo, s4, v7
	v_add_co_ci_u32_e64 v6, null, s5, v8, vcc_lo
	v_add_co_u32 v7, vcc_lo, s4, v14
	v_add_co_ci_u32_e64 v8, null, s5, v15, vcc_lo
	s_clause 0x6
	global_load_dwordx2 v[61:62], v63, s[4:5]
	global_load_dwordx2 v[64:65], v[11:12], off
	global_load_dwordx2 v[66:67], v[9:10], off
	;; [unrolled: 1-line block ×6, first 2 shown]
	v_add_nc_u32_e32 v13, s15, v13
	s_bitcmp0_b32 s18, 0
	v_add_nc_u32_e32 v15, s15, v13
	v_ashrrev_i32_e32 v14, 31, v13
	v_add_nc_u32_e32 v17, s15, v15
	v_ashrrev_i32_e32 v16, 31, v15
	v_lshlrev_b64 v[13:14], 3, v[13:14]
	v_add_nc_u32_e32 v19, s15, v17
	v_ashrrev_i32_e32 v18, 31, v17
	v_lshlrev_b64 v[15:16], 3, v[15:16]
	v_add_co_u32 v13, vcc_lo, s4, v13
	v_add_nc_u32_e32 v21, s15, v19
	v_ashrrev_i32_e32 v20, 31, v19
	v_lshlrev_b64 v[17:18], 3, v[17:18]
	v_add_co_ci_u32_e64 v14, null, s5, v14, vcc_lo
	v_add_nc_u32_e32 v23, s15, v21
	v_ashrrev_i32_e32 v22, 31, v21
	v_lshlrev_b64 v[19:20], 3, v[19:20]
	v_add_co_u32 v15, vcc_lo, s4, v15
	v_add_nc_u32_e32 v25, s15, v23
	v_ashrrev_i32_e32 v24, 31, v23
	v_lshlrev_b64 v[21:22], 3, v[21:22]
	v_add_co_ci_u32_e64 v16, null, s5, v16, vcc_lo
	v_add_nc_u32_e32 v27, s15, v25
	v_ashrrev_i32_e32 v26, 31, v25
	v_add_co_u32 v17, vcc_lo, s4, v17
	v_lshlrev_b64 v[23:24], 3, v[23:24]
	v_add_nc_u32_e32 v29, s15, v27
	v_ashrrev_i32_e32 v28, 31, v27
	v_add_co_ci_u32_e64 v18, null, s5, v18, vcc_lo
	v_add_co_u32 v19, vcc_lo, s4, v19
	v_add_nc_u32_e32 v31, s15, v29
	v_ashrrev_i32_e32 v30, 31, v29
	v_lshlrev_b64 v[25:26], 3, v[25:26]
	v_add_co_ci_u32_e64 v20, null, s5, v20, vcc_lo
	v_add_nc_u32_e32 v33, s15, v31
	v_ashrrev_i32_e32 v32, 31, v31
	v_add_co_u32 v21, vcc_lo, s4, v21
	v_lshlrev_b64 v[27:28], 3, v[27:28]
	v_add_nc_u32_e32 v35, s15, v33
	v_ashrrev_i32_e32 v34, 31, v33
	v_add_co_ci_u32_e64 v22, null, s5, v22, vcc_lo
	v_add_co_u32 v23, vcc_lo, s4, v23
	v_add_nc_u32_e32 v37, s15, v35
	v_lshlrev_b64 v[29:30], 3, v[29:30]
	v_ashrrev_i32_e32 v36, 31, v35
	v_add_co_ci_u32_e64 v24, null, s5, v24, vcc_lo
	v_add_nc_u32_e32 v39, s15, v37
	v_add_co_u32 v25, vcc_lo, s4, v25
	v_lshlrev_b64 v[31:32], 3, v[31:32]
	v_ashrrev_i32_e32 v38, 31, v37
	v_add_nc_u32_e32 v41, s15, v39
	v_add_co_ci_u32_e64 v26, null, s5, v26, vcc_lo
	v_add_co_u32 v27, vcc_lo, s4, v27
	v_add_nc_u32_e32 v45, s15, v41
	v_lshlrev_b64 v[33:34], 3, v[33:34]
	v_ashrrev_i32_e32 v40, 31, v39
	v_add_co_ci_u32_e64 v28, null, s5, v28, vcc_lo
	v_add_nc_u32_e32 v47, s15, v45
	v_add_co_u32 v29, vcc_lo, s4, v29
	v_lshlrev_b64 v[35:36], 3, v[35:36]
	v_ashrrev_i32_e32 v42, 31, v41
	v_add_nc_u32_e32 v49, s15, v47
	;; [unrolled: 11-line block ×3, first 2 shown]
	v_add_co_ci_u32_e64 v34, null, s5, v34, vcc_lo
	v_add_co_u32 v35, vcc_lo, s4, v35
	v_lshlrev_b64 v[41:42], 3, v[41:42]
	v_ashrrev_i32_e32 v50, 31, v49
	v_add_nc_u32_e32 v57, s15, v55
	v_add_co_ci_u32_e64 v36, null, s5, v36, vcc_lo
	v_add_co_u32 v37, vcc_lo, s4, v37
	v_lshlrev_b64 v[45:46], 3, v[45:46]
	v_ashrrev_i32_e32 v52, 31, v51
	v_add_co_ci_u32_e64 v38, null, s5, v38, vcc_lo
	v_add_co_u32 v39, vcc_lo, s4, v39
	v_lshlrev_b64 v[47:48], 3, v[47:48]
	v_ashrrev_i32_e32 v54, 31, v53
	v_add_co_ci_u32_e64 v40, null, s5, v40, vcc_lo
	v_add_co_u32 v41, vcc_lo, s4, v41
	v_lshlrev_b64 v[49:50], 3, v[49:50]
	v_add_nc_u32_e32 v59, s15, v57
	v_ashrrev_i32_e32 v56, 31, v55
	v_add_co_ci_u32_e64 v42, null, s5, v42, vcc_lo
	v_add_co_u32 v45, vcc_lo, s4, v45
	v_lshlrev_b64 v[51:52], 3, v[51:52]
	v_ashrrev_i32_e32 v58, 31, v57
	v_add_co_ci_u32_e64 v46, null, s5, v46, vcc_lo
	v_add_co_u32 v47, vcc_lo, s4, v47
	v_lshlrev_b64 v[53:54], 3, v[53:54]
	;; [unrolled: 4-line block ×3, first 2 shown]
	v_add_co_ci_u32_e64 v50, null, s5, v50, vcc_lo
	v_add_co_u32 v51, vcc_lo, s4, v51
	v_lshlrev_b64 v[57:58], 3, v[57:58]
	v_add_co_ci_u32_e64 v52, null, s5, v52, vcc_lo
	v_add_co_u32 v53, vcc_lo, s4, v53
	v_lshlrev_b64 v[104:105], 3, v[59:60]
	v_add_co_ci_u32_e64 v54, null, s5, v54, vcc_lo
	v_add_co_u32 v55, vcc_lo, s4, v55
	v_add_co_ci_u32_e64 v56, null, s5, v56, vcc_lo
	v_add_co_u32 v59, vcc_lo, s4, v57
	;; [unrolled: 2-line block ×3, first 2 shown]
	s_clause 0xd
	global_load_dwordx2 v[76:77], v[13:14], off
	global_load_dwordx2 v[78:79], v[15:16], off
	;; [unrolled: 1-line block ×14, first 2 shown]
	v_add_co_ci_u32_e64 v58, null, s5, v105, vcc_lo
	s_mov_b32 s5, -1
	s_waitcnt vmcnt(20)
	buffer_store_dword v62, off, s[0:3], 0 offset:4
	buffer_store_dword v61, off, s[0:3], 0
	s_waitcnt vmcnt(19)
	buffer_store_dword v65, off, s[0:3], 0 offset:12
	buffer_store_dword v64, off, s[0:3], 0 offset:8
	s_clause 0x3
	global_load_dwordx2 v[61:62], v[41:42], off
	global_load_dwordx2 v[64:65], v[45:46], off
	;; [unrolled: 1-line block ×4, first 2 shown]
	s_waitcnt vmcnt(22)
	buffer_store_dword v67, off, s[0:3], 0 offset:20
	buffer_store_dword v66, off, s[0:3], 0 offset:16
	s_waitcnt vmcnt(21)
	buffer_store_dword v69, off, s[0:3], 0 offset:28
	buffer_store_dword v68, off, s[0:3], 0 offset:24
	s_clause 0x1
	global_load_dwordx2 v[66:67], v[51:52], off
	global_load_dwordx2 v[68:69], v[53:54], off
	s_waitcnt vmcnt(22)
	buffer_store_dword v71, off, s[0:3], 0 offset:36
	buffer_store_dword v70, off, s[0:3], 0 offset:32
	s_waitcnt vmcnt(21)
	buffer_store_dword v73, off, s[0:3], 0 offset:44
	buffer_store_dword v72, off, s[0:3], 0 offset:40
	s_clause 0x1
	global_load_dwordx2 v[70:71], v[55:56], off
	global_load_dwordx2 v[72:73], v[59:60], off
	s_waitcnt vmcnt(22)
	buffer_store_dword v75, off, s[0:3], 0 offset:52
	buffer_store_dword v74, off, s[0:3], 0 offset:48
	global_load_dwordx2 v[74:75], v[57:58], off
	s_waitcnt vmcnt(22)
	buffer_store_dword v77, off, s[0:3], 0 offset:60
	buffer_store_dword v76, off, s[0:3], 0 offset:56
	s_waitcnt vmcnt(21)
	buffer_store_dword v79, off, s[0:3], 0 offset:68
	buffer_store_dword v78, off, s[0:3], 0 offset:64
	s_waitcnt vmcnt(20)
	buffer_store_dword v80, off, s[0:3], 0 offset:72
	buffer_store_dword v81, off, s[0:3], 0 offset:76
	s_waitcnt vmcnt(19)
	buffer_store_dword v82, off, s[0:3], 0 offset:80
	buffer_store_dword v83, off, s[0:3], 0 offset:84
	s_waitcnt vmcnt(18)
	buffer_store_dword v84, off, s[0:3], 0 offset:88
	buffer_store_dword v85, off, s[0:3], 0 offset:92
	s_waitcnt vmcnt(17)
	buffer_store_dword v86, off, s[0:3], 0 offset:96
	buffer_store_dword v87, off, s[0:3], 0 offset:100
	s_waitcnt vmcnt(16)
	buffer_store_dword v88, off, s[0:3], 0 offset:104
	buffer_store_dword v89, off, s[0:3], 0 offset:108
	s_waitcnt vmcnt(15)
	buffer_store_dword v91, off, s[0:3], 0 offset:116
	buffer_store_dword v90, off, s[0:3], 0 offset:112
	s_waitcnt vmcnt(14)
	buffer_store_dword v92, off, s[0:3], 0 offset:120
	buffer_store_dword v93, off, s[0:3], 0 offset:124
	s_waitcnt vmcnt(13)
	buffer_store_dword v94, off, s[0:3], 0 offset:128
	buffer_store_dword v95, off, s[0:3], 0 offset:132
	s_waitcnt vmcnt(12)
	buffer_store_dword v96, off, s[0:3], 0 offset:136
	buffer_store_dword v97, off, s[0:3], 0 offset:140
	s_waitcnt vmcnt(11)
	buffer_store_dword v98, off, s[0:3], 0 offset:144
	buffer_store_dword v99, off, s[0:3], 0 offset:148
	s_waitcnt vmcnt(10)
	buffer_store_dword v101, off, s[0:3], 0 offset:156
	buffer_store_dword v100, off, s[0:3], 0 offset:152
	s_waitcnt vmcnt(9)
	buffer_store_dword v103, off, s[0:3], 0 offset:164
	buffer_store_dword v102, off, s[0:3], 0 offset:160
	s_waitcnt vmcnt(8)
	buffer_store_dword v61, off, s[0:3], 0 offset:168
	buffer_store_dword v62, off, s[0:3], 0 offset:172
	s_waitcnt vmcnt(7)
	buffer_store_dword v64, off, s[0:3], 0 offset:176
	buffer_store_dword v65, off, s[0:3], 0 offset:180
	s_waitcnt vmcnt(6)
	buffer_store_dword v104, off, s[0:3], 0 offset:184
	buffer_store_dword v105, off, s[0:3], 0 offset:188
	s_waitcnt vmcnt(5)
	buffer_store_dword v106, off, s[0:3], 0 offset:192
	buffer_store_dword v107, off, s[0:3], 0 offset:196
	s_waitcnt vmcnt(4)
	buffer_store_dword v67, off, s[0:3], 0 offset:204
	buffer_store_dword v66, off, s[0:3], 0 offset:200
	s_waitcnt vmcnt(3)
	buffer_store_dword v69, off, s[0:3], 0 offset:212
	buffer_store_dword v68, off, s[0:3], 0 offset:208
	s_waitcnt vmcnt(2)
	buffer_store_dword v70, off, s[0:3], 0 offset:216
	buffer_store_dword v71, off, s[0:3], 0 offset:220
	s_waitcnt vmcnt(1)
	buffer_store_dword v72, off, s[0:3], 0 offset:224
	buffer_store_dword v73, off, s[0:3], 0 offset:228
	s_waitcnt vmcnt(0)
	buffer_store_dword v74, off, s[0:3], 0 offset:232
	buffer_store_dword v75, off, s[0:3], 0 offset:236
	s_cbranch_scc1 .LBB29_128
; %bb.4:
	v_cmp_eq_u32_e64 s4, 0, v0
	s_and_saveexec_b32 s5, s4
; %bb.5:
	v_mov_b32_e32 v61, 0
	ds_write_b32 v61, v61 offset:480
; %bb.6:
	s_or_b32 exec_lo, exec_lo, s5
	v_lshl_add_u32 v61, v0, 3, 0
	s_waitcnt lgkmcnt(0)
	s_waitcnt_vscnt null, 0x0
	s_barrier
	buffer_gl0_inv
	s_mov_b32 s8, exec_lo
	s_clause 0x1
	buffer_load_dword v64, v61, s[0:3], 0 offen
	buffer_load_dword v65, v61, s[0:3], 0 offen offset:4
	s_waitcnt vmcnt(0)
	v_cmpx_eq_f64_e32 0, v[64:65]
	s_cbranch_execz .LBB29_10
; %bb.7:
	v_mov_b32_e32 v62, 0
	s_mov_b32 s9, 0
	ds_read_b32 v64, v62 offset:480
	s_waitcnt lgkmcnt(0)
	v_readfirstlane_b32 s5, v64
	v_add_nc_u32_e32 v64, 1, v0
	s_cmp_eq_u32 s5, 0
	v_cmp_gt_i32_e32 vcc_lo, s5, v64
	s_cselect_b32 s12, -1, 0
	s_or_b32 s12, s12, vcc_lo
	s_and_b32 exec_lo, exec_lo, s12
	s_cbranch_execz .LBB29_10
; %bb.8:
	v_mov_b32_e32 v65, s5
.LBB29_9:                               ; =>This Inner Loop Header: Depth=1
	ds_cmpst_rtn_b32 v65, v62, v65, v64 offset:480
	s_waitcnt lgkmcnt(0)
	v_cmp_ne_u32_e32 vcc_lo, 0, v65
	v_cmp_le_i32_e64 s5, v65, v64
	s_and_b32 s5, vcc_lo, s5
	s_and_b32 s5, exec_lo, s5
	s_or_b32 s9, s5, s9
	s_andn2_b32 exec_lo, exec_lo, s9
	s_cbranch_execnz .LBB29_9
.LBB29_10:
	s_or_b32 exec_lo, exec_lo, s8
	v_mov_b32_e32 v62, 0
	s_barrier
	buffer_gl0_inv
	ds_read_b32 v64, v62 offset:480
	s_and_saveexec_b32 s5, s4
	s_cbranch_execz .LBB29_12
; %bb.11:
	s_lshl_b64 s[8:9], s[6:7], 2
	s_add_u32 s8, s10, s8
	s_addc_u32 s9, s11, s9
	s_waitcnt lgkmcnt(0)
	global_store_dword v62, v64, s[8:9]
.LBB29_12:
	s_or_b32 exec_lo, exec_lo, s5
	s_waitcnt lgkmcnt(0)
	v_cmp_ne_u32_e32 vcc_lo, 0, v64
	s_mov_b32 s5, 0
	s_cbranch_vccnz .LBB29_128
; %bb.13:
	s_clause 0x1
	buffer_load_dword v64, v61, s[0:3], 0 offen
	buffer_load_dword v65, v61, s[0:3], 0 offen offset:4
	s_waitcnt vmcnt(0)
	v_div_scale_f64 v[66:67], null, v[64:65], v[64:65], 1.0
	v_div_scale_f64 v[72:73], vcc_lo, 1.0, v[64:65], 1.0
	v_rcp_f64_e32 v[68:69], v[66:67]
	v_fma_f64 v[70:71], -v[66:67], v[68:69], 1.0
	v_fma_f64 v[68:69], v[68:69], v[70:71], v[68:69]
	v_fma_f64 v[70:71], -v[66:67], v[68:69], 1.0
	v_fma_f64 v[68:69], v[68:69], v[70:71], v[68:69]
	v_mul_f64 v[70:71], v[72:73], v[68:69]
	v_fma_f64 v[66:67], -v[66:67], v[70:71], v[72:73]
	v_div_fmas_f64 v[66:67], v[66:67], v[68:69], v[70:71]
	v_div_fixup_f64 v[65:66], v[66:67], v[64:65], 1.0
	v_add_nc_u32_e32 v64, 0xf0, v63
	buffer_store_dword v66, v61, s[0:3], 0 offen offset:4
	buffer_store_dword v65, v61, s[0:3], 0 offen
	s_clause 0x1
	buffer_load_dword v68, off, s[0:3], 0 offset:12
	buffer_load_dword v67, off, s[0:3], 0 offset:8
	v_xor_b32_e32 v66, 0x80000000, v66
	s_waitcnt vmcnt(0)
	ds_write2_b64 v63, v[65:66], v[67:68] offset1:30
	s_waitcnt lgkmcnt(0)
	s_waitcnt_vscnt null, 0x0
	s_barrier
	buffer_gl0_inv
	s_and_saveexec_b32 s5, s4
	s_cbranch_execz .LBB29_15
; %bb.14:
	s_clause 0x1
	buffer_load_dword v65, v61, s[0:3], 0 offen
	buffer_load_dword v66, v61, s[0:3], 0 offen offset:4
	ds_read_b64 v[67:68], v64
	v_mov_b32_e32 v62, 0
	ds_read_b64 v[69:70], v62 offset:8
	s_waitcnt vmcnt(0) lgkmcnt(1)
	v_fma_f64 v[65:66], v[65:66], v[67:68], 0
	s_waitcnt lgkmcnt(0)
	v_mul_f64 v[65:66], v[65:66], v[69:70]
	buffer_store_dword v65, off, s[0:3], 0 offset:8
	buffer_store_dword v66, off, s[0:3], 0 offset:12
.LBB29_15:
	s_or_b32 exec_lo, exec_lo, s5
	s_waitcnt_vscnt null, 0x0
	s_barrier
	buffer_gl0_inv
	s_clause 0x1
	buffer_load_dword v65, off, s[0:3], 0 offset:16
	buffer_load_dword v66, off, s[0:3], 0 offset:20
	s_mov_b32 s5, exec_lo
	s_waitcnt vmcnt(0)
	ds_write_b64 v64, v[65:66]
	s_waitcnt lgkmcnt(0)
	s_barrier
	buffer_gl0_inv
	v_cmpx_gt_u32_e32 2, v0
	s_cbranch_execz .LBB29_19
; %bb.16:
	s_clause 0x1
	buffer_load_dword v65, v61, s[0:3], 0 offen
	buffer_load_dword v66, v61, s[0:3], 0 offen offset:4
	ds_read_b64 v[61:62], v64
	s_waitcnt vmcnt(0) lgkmcnt(0)
	v_fma_f64 v[61:62], v[65:66], v[61:62], 0
	s_and_saveexec_b32 s8, s4
	s_cbranch_execz .LBB29_18
; %bb.17:
	s_clause 0x1
	buffer_load_dword v65, off, s[0:3], 0 offset:8
	buffer_load_dword v66, off, s[0:3], 0 offset:12
	v_mov_b32_e32 v67, 0
	ds_read_b64 v[67:68], v67 offset:248
	s_waitcnt vmcnt(0) lgkmcnt(0)
	v_fma_f64 v[61:62], v[65:66], v[67:68], v[61:62]
.LBB29_18:
	s_or_b32 exec_lo, exec_lo, s8
	v_mov_b32_e32 v65, 0
	ds_read_b64 v[65:66], v65 offset:16
	s_waitcnt lgkmcnt(0)
	v_mul_f64 v[61:62], v[61:62], v[65:66]
	buffer_store_dword v62, off, s[0:3], 0 offset:20
	buffer_store_dword v61, off, s[0:3], 0 offset:16
.LBB29_19:
	s_or_b32 exec_lo, exec_lo, s5
	s_waitcnt_vscnt null, 0x0
	s_barrier
	buffer_gl0_inv
	s_clause 0x1
	buffer_load_dword v61, off, s[0:3], 0 offset:24
	buffer_load_dword v62, off, s[0:3], 0 offset:28
	v_add_nc_u32_e32 v65, -1, v0
	s_mov_b32 s4, exec_lo
	s_waitcnt vmcnt(0)
	ds_write_b64 v64, v[61:62]
	s_waitcnt lgkmcnt(0)
	s_barrier
	buffer_gl0_inv
	v_cmpx_gt_u32_e32 3, v0
	s_cbranch_execz .LBB29_23
; %bb.20:
	v_mov_b32_e32 v61, 0
	v_add_nc_u32_e32 v66, -1, v0
	v_add_nc_u32_e32 v67, 0xf0, v63
	v_mov_b32_e32 v62, 0
	v_mov_b32_e32 v68, v63
	s_mov_b32 s5, 0
.LBB29_21:                              ; =>This Inner Loop Header: Depth=1
	s_clause 0x1
	buffer_load_dword v69, v68, s[0:3], 0 offen
	buffer_load_dword v70, v68, s[0:3], 0 offen offset:4
	ds_read_b64 v[71:72], v67
	v_add_nc_u32_e32 v66, 1, v66
	v_add_nc_u32_e32 v67, 8, v67
	v_add_nc_u32_e32 v68, 8, v68
	v_cmp_lt_u32_e32 vcc_lo, 1, v66
	s_or_b32 s5, vcc_lo, s5
	s_waitcnt vmcnt(0) lgkmcnt(0)
	v_fma_f64 v[61:62], v[69:70], v[71:72], v[61:62]
	s_andn2_b32 exec_lo, exec_lo, s5
	s_cbranch_execnz .LBB29_21
; %bb.22:
	s_or_b32 exec_lo, exec_lo, s5
	v_mov_b32_e32 v66, 0
	ds_read_b64 v[66:67], v66 offset:24
	s_waitcnt lgkmcnt(0)
	v_mul_f64 v[61:62], v[61:62], v[66:67]
	buffer_store_dword v62, off, s[0:3], 0 offset:28
	buffer_store_dword v61, off, s[0:3], 0 offset:24
.LBB29_23:
	s_or_b32 exec_lo, exec_lo, s4
	s_waitcnt_vscnt null, 0x0
	s_barrier
	buffer_gl0_inv
	s_clause 0x1
	buffer_load_dword v61, off, s[0:3], 0 offset:32
	buffer_load_dword v62, off, s[0:3], 0 offset:36
	s_mov_b32 s4, exec_lo
	s_waitcnt vmcnt(0)
	ds_write_b64 v64, v[61:62]
	s_waitcnt lgkmcnt(0)
	s_barrier
	buffer_gl0_inv
	v_cmpx_gt_u32_e32 4, v0
	s_cbranch_execz .LBB29_27
; %bb.24:
	v_mov_b32_e32 v61, 0
	v_add_nc_u32_e32 v66, -1, v0
	v_add_nc_u32_e32 v67, 0xf0, v63
	v_mov_b32_e32 v62, 0
	v_mov_b32_e32 v68, v63
	s_mov_b32 s5, 0
.LBB29_25:                              ; =>This Inner Loop Header: Depth=1
	s_clause 0x1
	buffer_load_dword v69, v68, s[0:3], 0 offen
	buffer_load_dword v70, v68, s[0:3], 0 offen offset:4
	ds_read_b64 v[71:72], v67
	v_add_nc_u32_e32 v66, 1, v66
	v_add_nc_u32_e32 v67, 8, v67
	v_add_nc_u32_e32 v68, 8, v68
	v_cmp_lt_u32_e32 vcc_lo, 2, v66
	s_or_b32 s5, vcc_lo, s5
	s_waitcnt vmcnt(0) lgkmcnt(0)
	v_fma_f64 v[61:62], v[69:70], v[71:72], v[61:62]
	s_andn2_b32 exec_lo, exec_lo, s5
	s_cbranch_execnz .LBB29_25
; %bb.26:
	s_or_b32 exec_lo, exec_lo, s5
	v_mov_b32_e32 v66, 0
	ds_read_b64 v[66:67], v66 offset:32
	s_waitcnt lgkmcnt(0)
	v_mul_f64 v[61:62], v[61:62], v[66:67]
	buffer_store_dword v62, off, s[0:3], 0 offset:36
	buffer_store_dword v61, off, s[0:3], 0 offset:32
.LBB29_27:
	s_or_b32 exec_lo, exec_lo, s4
	s_waitcnt_vscnt null, 0x0
	s_barrier
	buffer_gl0_inv
	s_clause 0x1
	buffer_load_dword v61, off, s[0:3], 0 offset:40
	buffer_load_dword v62, off, s[0:3], 0 offset:44
	s_mov_b32 s4, exec_lo
	s_waitcnt vmcnt(0)
	ds_write_b64 v64, v[61:62]
	s_waitcnt lgkmcnt(0)
	s_barrier
	buffer_gl0_inv
	v_cmpx_gt_u32_e32 5, v0
	s_cbranch_execz .LBB29_31
; %bb.28:
	v_mov_b32_e32 v61, 0
	v_add_nc_u32_e32 v66, -1, v0
	v_add_nc_u32_e32 v67, 0xf0, v63
	v_mov_b32_e32 v62, 0
	v_mov_b32_e32 v68, v63
	s_mov_b32 s5, 0
.LBB29_29:                              ; =>This Inner Loop Header: Depth=1
	s_clause 0x1
	buffer_load_dword v69, v68, s[0:3], 0 offen
	buffer_load_dword v70, v68, s[0:3], 0 offen offset:4
	ds_read_b64 v[71:72], v67
	v_add_nc_u32_e32 v66, 1, v66
	v_add_nc_u32_e32 v67, 8, v67
	v_add_nc_u32_e32 v68, 8, v68
	v_cmp_lt_u32_e32 vcc_lo, 3, v66
	s_or_b32 s5, vcc_lo, s5
	s_waitcnt vmcnt(0) lgkmcnt(0)
	v_fma_f64 v[61:62], v[69:70], v[71:72], v[61:62]
	s_andn2_b32 exec_lo, exec_lo, s5
	s_cbranch_execnz .LBB29_29
; %bb.30:
	s_or_b32 exec_lo, exec_lo, s5
	v_mov_b32_e32 v66, 0
	ds_read_b64 v[66:67], v66 offset:40
	s_waitcnt lgkmcnt(0)
	v_mul_f64 v[61:62], v[61:62], v[66:67]
	buffer_store_dword v62, off, s[0:3], 0 offset:44
	buffer_store_dword v61, off, s[0:3], 0 offset:40
.LBB29_31:
	s_or_b32 exec_lo, exec_lo, s4
	s_waitcnt_vscnt null, 0x0
	s_barrier
	buffer_gl0_inv
	s_clause 0x1
	buffer_load_dword v61, off, s[0:3], 0 offset:48
	buffer_load_dword v62, off, s[0:3], 0 offset:52
	s_mov_b32 s4, exec_lo
	s_waitcnt vmcnt(0)
	ds_write_b64 v64, v[61:62]
	s_waitcnt lgkmcnt(0)
	s_barrier
	buffer_gl0_inv
	v_cmpx_gt_u32_e32 6, v0
	s_cbranch_execz .LBB29_35
; %bb.32:
	v_mov_b32_e32 v61, 0
	v_add_nc_u32_e32 v66, -1, v0
	v_add_nc_u32_e32 v67, 0xf0, v63
	v_mov_b32_e32 v62, 0
	v_mov_b32_e32 v68, v63
	s_mov_b32 s5, 0
.LBB29_33:                              ; =>This Inner Loop Header: Depth=1
	s_clause 0x1
	buffer_load_dword v69, v68, s[0:3], 0 offen
	buffer_load_dword v70, v68, s[0:3], 0 offen offset:4
	ds_read_b64 v[71:72], v67
	v_add_nc_u32_e32 v66, 1, v66
	v_add_nc_u32_e32 v67, 8, v67
	v_add_nc_u32_e32 v68, 8, v68
	v_cmp_lt_u32_e32 vcc_lo, 4, v66
	s_or_b32 s5, vcc_lo, s5
	s_waitcnt vmcnt(0) lgkmcnt(0)
	v_fma_f64 v[61:62], v[69:70], v[71:72], v[61:62]
	s_andn2_b32 exec_lo, exec_lo, s5
	s_cbranch_execnz .LBB29_33
; %bb.34:
	s_or_b32 exec_lo, exec_lo, s5
	v_mov_b32_e32 v66, 0
	ds_read_b64 v[66:67], v66 offset:48
	s_waitcnt lgkmcnt(0)
	v_mul_f64 v[61:62], v[61:62], v[66:67]
	buffer_store_dword v62, off, s[0:3], 0 offset:52
	buffer_store_dword v61, off, s[0:3], 0 offset:48
.LBB29_35:
	s_or_b32 exec_lo, exec_lo, s4
	s_waitcnt_vscnt null, 0x0
	s_barrier
	buffer_gl0_inv
	s_clause 0x1
	buffer_load_dword v61, off, s[0:3], 0 offset:56
	buffer_load_dword v62, off, s[0:3], 0 offset:60
	s_mov_b32 s4, exec_lo
	s_waitcnt vmcnt(0)
	ds_write_b64 v64, v[61:62]
	s_waitcnt lgkmcnt(0)
	s_barrier
	buffer_gl0_inv
	v_cmpx_gt_u32_e32 7, v0
	s_cbranch_execz .LBB29_39
; %bb.36:
	v_mov_b32_e32 v61, 0
	v_add_nc_u32_e32 v66, -1, v0
	v_add_nc_u32_e32 v67, 0xf0, v63
	v_mov_b32_e32 v62, 0
	v_mov_b32_e32 v68, v63
	s_mov_b32 s5, 0
.LBB29_37:                              ; =>This Inner Loop Header: Depth=1
	s_clause 0x1
	buffer_load_dword v69, v68, s[0:3], 0 offen
	buffer_load_dword v70, v68, s[0:3], 0 offen offset:4
	ds_read_b64 v[71:72], v67
	v_add_nc_u32_e32 v66, 1, v66
	v_add_nc_u32_e32 v67, 8, v67
	v_add_nc_u32_e32 v68, 8, v68
	v_cmp_lt_u32_e32 vcc_lo, 5, v66
	s_or_b32 s5, vcc_lo, s5
	s_waitcnt vmcnt(0) lgkmcnt(0)
	v_fma_f64 v[61:62], v[69:70], v[71:72], v[61:62]
	s_andn2_b32 exec_lo, exec_lo, s5
	s_cbranch_execnz .LBB29_37
; %bb.38:
	s_or_b32 exec_lo, exec_lo, s5
	v_mov_b32_e32 v66, 0
	ds_read_b64 v[66:67], v66 offset:56
	s_waitcnt lgkmcnt(0)
	v_mul_f64 v[61:62], v[61:62], v[66:67]
	buffer_store_dword v62, off, s[0:3], 0 offset:60
	buffer_store_dword v61, off, s[0:3], 0 offset:56
.LBB29_39:
	s_or_b32 exec_lo, exec_lo, s4
	s_waitcnt_vscnt null, 0x0
	s_barrier
	buffer_gl0_inv
	s_clause 0x1
	buffer_load_dword v61, off, s[0:3], 0 offset:64
	buffer_load_dword v62, off, s[0:3], 0 offset:68
	s_mov_b32 s4, exec_lo
	s_waitcnt vmcnt(0)
	ds_write_b64 v64, v[61:62]
	s_waitcnt lgkmcnt(0)
	s_barrier
	buffer_gl0_inv
	v_cmpx_gt_u32_e32 8, v0
	s_cbranch_execz .LBB29_43
; %bb.40:
	v_mov_b32_e32 v61, 0
	v_add_nc_u32_e32 v66, -1, v0
	v_add_nc_u32_e32 v67, 0xf0, v63
	v_mov_b32_e32 v62, 0
	v_mov_b32_e32 v68, v63
	s_mov_b32 s5, 0
.LBB29_41:                              ; =>This Inner Loop Header: Depth=1
	s_clause 0x1
	buffer_load_dword v69, v68, s[0:3], 0 offen
	buffer_load_dword v70, v68, s[0:3], 0 offen offset:4
	ds_read_b64 v[71:72], v67
	v_add_nc_u32_e32 v66, 1, v66
	v_add_nc_u32_e32 v67, 8, v67
	v_add_nc_u32_e32 v68, 8, v68
	v_cmp_lt_u32_e32 vcc_lo, 6, v66
	s_or_b32 s5, vcc_lo, s5
	s_waitcnt vmcnt(0) lgkmcnt(0)
	v_fma_f64 v[61:62], v[69:70], v[71:72], v[61:62]
	s_andn2_b32 exec_lo, exec_lo, s5
	s_cbranch_execnz .LBB29_41
; %bb.42:
	s_or_b32 exec_lo, exec_lo, s5
	v_mov_b32_e32 v66, 0
	ds_read_b64 v[66:67], v66 offset:64
	s_waitcnt lgkmcnt(0)
	v_mul_f64 v[61:62], v[61:62], v[66:67]
	buffer_store_dword v62, off, s[0:3], 0 offset:68
	buffer_store_dword v61, off, s[0:3], 0 offset:64
.LBB29_43:
	s_or_b32 exec_lo, exec_lo, s4
	s_waitcnt_vscnt null, 0x0
	s_barrier
	buffer_gl0_inv
	s_clause 0x1
	buffer_load_dword v61, off, s[0:3], 0 offset:72
	buffer_load_dword v62, off, s[0:3], 0 offset:76
	s_mov_b32 s4, exec_lo
	s_waitcnt vmcnt(0)
	ds_write_b64 v64, v[61:62]
	s_waitcnt lgkmcnt(0)
	s_barrier
	buffer_gl0_inv
	v_cmpx_gt_u32_e32 9, v0
	s_cbranch_execz .LBB29_47
; %bb.44:
	v_mov_b32_e32 v61, 0
	v_add_nc_u32_e32 v66, -1, v0
	v_add_nc_u32_e32 v67, 0xf0, v63
	v_mov_b32_e32 v62, 0
	v_mov_b32_e32 v68, v63
	s_mov_b32 s5, 0
.LBB29_45:                              ; =>This Inner Loop Header: Depth=1
	s_clause 0x1
	buffer_load_dword v69, v68, s[0:3], 0 offen
	buffer_load_dword v70, v68, s[0:3], 0 offen offset:4
	ds_read_b64 v[71:72], v67
	v_add_nc_u32_e32 v66, 1, v66
	v_add_nc_u32_e32 v67, 8, v67
	v_add_nc_u32_e32 v68, 8, v68
	v_cmp_lt_u32_e32 vcc_lo, 7, v66
	s_or_b32 s5, vcc_lo, s5
	s_waitcnt vmcnt(0) lgkmcnt(0)
	v_fma_f64 v[61:62], v[69:70], v[71:72], v[61:62]
	s_andn2_b32 exec_lo, exec_lo, s5
	s_cbranch_execnz .LBB29_45
; %bb.46:
	s_or_b32 exec_lo, exec_lo, s5
	v_mov_b32_e32 v66, 0
	ds_read_b64 v[66:67], v66 offset:72
	s_waitcnt lgkmcnt(0)
	v_mul_f64 v[61:62], v[61:62], v[66:67]
	buffer_store_dword v62, off, s[0:3], 0 offset:76
	buffer_store_dword v61, off, s[0:3], 0 offset:72
.LBB29_47:
	s_or_b32 exec_lo, exec_lo, s4
	s_waitcnt_vscnt null, 0x0
	s_barrier
	buffer_gl0_inv
	s_clause 0x1
	buffer_load_dword v61, off, s[0:3], 0 offset:80
	buffer_load_dword v62, off, s[0:3], 0 offset:84
	s_mov_b32 s4, exec_lo
	s_waitcnt vmcnt(0)
	ds_write_b64 v64, v[61:62]
	s_waitcnt lgkmcnt(0)
	s_barrier
	buffer_gl0_inv
	v_cmpx_gt_u32_e32 10, v0
	s_cbranch_execz .LBB29_51
; %bb.48:
	v_mov_b32_e32 v61, 0
	v_add_nc_u32_e32 v66, -1, v0
	v_add_nc_u32_e32 v67, 0xf0, v63
	v_mov_b32_e32 v62, 0
	v_mov_b32_e32 v68, v63
	s_mov_b32 s5, 0
.LBB29_49:                              ; =>This Inner Loop Header: Depth=1
	s_clause 0x1
	buffer_load_dword v69, v68, s[0:3], 0 offen
	buffer_load_dword v70, v68, s[0:3], 0 offen offset:4
	ds_read_b64 v[71:72], v67
	v_add_nc_u32_e32 v66, 1, v66
	v_add_nc_u32_e32 v67, 8, v67
	v_add_nc_u32_e32 v68, 8, v68
	v_cmp_lt_u32_e32 vcc_lo, 8, v66
	s_or_b32 s5, vcc_lo, s5
	s_waitcnt vmcnt(0) lgkmcnt(0)
	v_fma_f64 v[61:62], v[69:70], v[71:72], v[61:62]
	s_andn2_b32 exec_lo, exec_lo, s5
	s_cbranch_execnz .LBB29_49
; %bb.50:
	s_or_b32 exec_lo, exec_lo, s5
	v_mov_b32_e32 v66, 0
	ds_read_b64 v[66:67], v66 offset:80
	s_waitcnt lgkmcnt(0)
	v_mul_f64 v[61:62], v[61:62], v[66:67]
	buffer_store_dword v62, off, s[0:3], 0 offset:84
	buffer_store_dword v61, off, s[0:3], 0 offset:80
.LBB29_51:
	s_or_b32 exec_lo, exec_lo, s4
	s_waitcnt_vscnt null, 0x0
	s_barrier
	buffer_gl0_inv
	s_clause 0x1
	buffer_load_dword v61, off, s[0:3], 0 offset:88
	buffer_load_dword v62, off, s[0:3], 0 offset:92
	s_mov_b32 s4, exec_lo
	s_waitcnt vmcnt(0)
	ds_write_b64 v64, v[61:62]
	s_waitcnt lgkmcnt(0)
	s_barrier
	buffer_gl0_inv
	v_cmpx_gt_u32_e32 11, v0
	s_cbranch_execz .LBB29_55
; %bb.52:
	v_mov_b32_e32 v61, 0
	v_add_nc_u32_e32 v66, -1, v0
	v_add_nc_u32_e32 v67, 0xf0, v63
	v_mov_b32_e32 v62, 0
	v_mov_b32_e32 v68, v63
	s_mov_b32 s5, 0
.LBB29_53:                              ; =>This Inner Loop Header: Depth=1
	s_clause 0x1
	buffer_load_dword v69, v68, s[0:3], 0 offen
	buffer_load_dword v70, v68, s[0:3], 0 offen offset:4
	ds_read_b64 v[71:72], v67
	v_add_nc_u32_e32 v66, 1, v66
	v_add_nc_u32_e32 v67, 8, v67
	v_add_nc_u32_e32 v68, 8, v68
	v_cmp_lt_u32_e32 vcc_lo, 9, v66
	s_or_b32 s5, vcc_lo, s5
	s_waitcnt vmcnt(0) lgkmcnt(0)
	v_fma_f64 v[61:62], v[69:70], v[71:72], v[61:62]
	s_andn2_b32 exec_lo, exec_lo, s5
	s_cbranch_execnz .LBB29_53
; %bb.54:
	s_or_b32 exec_lo, exec_lo, s5
	v_mov_b32_e32 v66, 0
	ds_read_b64 v[66:67], v66 offset:88
	s_waitcnt lgkmcnt(0)
	v_mul_f64 v[61:62], v[61:62], v[66:67]
	buffer_store_dword v62, off, s[0:3], 0 offset:92
	buffer_store_dword v61, off, s[0:3], 0 offset:88
.LBB29_55:
	s_or_b32 exec_lo, exec_lo, s4
	s_waitcnt_vscnt null, 0x0
	s_barrier
	buffer_gl0_inv
	s_clause 0x1
	buffer_load_dword v61, off, s[0:3], 0 offset:96
	buffer_load_dword v62, off, s[0:3], 0 offset:100
	s_mov_b32 s4, exec_lo
	s_waitcnt vmcnt(0)
	ds_write_b64 v64, v[61:62]
	s_waitcnt lgkmcnt(0)
	s_barrier
	buffer_gl0_inv
	v_cmpx_gt_u32_e32 12, v0
	s_cbranch_execz .LBB29_59
; %bb.56:
	v_mov_b32_e32 v61, 0
	v_add_nc_u32_e32 v66, -1, v0
	v_add_nc_u32_e32 v67, 0xf0, v63
	v_mov_b32_e32 v62, 0
	v_mov_b32_e32 v68, v63
	s_mov_b32 s5, 0
.LBB29_57:                              ; =>This Inner Loop Header: Depth=1
	s_clause 0x1
	buffer_load_dword v69, v68, s[0:3], 0 offen
	buffer_load_dword v70, v68, s[0:3], 0 offen offset:4
	ds_read_b64 v[71:72], v67
	v_add_nc_u32_e32 v66, 1, v66
	v_add_nc_u32_e32 v67, 8, v67
	v_add_nc_u32_e32 v68, 8, v68
	v_cmp_lt_u32_e32 vcc_lo, 10, v66
	s_or_b32 s5, vcc_lo, s5
	s_waitcnt vmcnt(0) lgkmcnt(0)
	v_fma_f64 v[61:62], v[69:70], v[71:72], v[61:62]
	s_andn2_b32 exec_lo, exec_lo, s5
	s_cbranch_execnz .LBB29_57
; %bb.58:
	s_or_b32 exec_lo, exec_lo, s5
	v_mov_b32_e32 v66, 0
	ds_read_b64 v[66:67], v66 offset:96
	s_waitcnt lgkmcnt(0)
	v_mul_f64 v[61:62], v[61:62], v[66:67]
	buffer_store_dword v62, off, s[0:3], 0 offset:100
	buffer_store_dword v61, off, s[0:3], 0 offset:96
.LBB29_59:
	s_or_b32 exec_lo, exec_lo, s4
	s_waitcnt_vscnt null, 0x0
	s_barrier
	buffer_gl0_inv
	s_clause 0x1
	buffer_load_dword v61, off, s[0:3], 0 offset:104
	buffer_load_dword v62, off, s[0:3], 0 offset:108
	s_mov_b32 s4, exec_lo
	s_waitcnt vmcnt(0)
	ds_write_b64 v64, v[61:62]
	s_waitcnt lgkmcnt(0)
	s_barrier
	buffer_gl0_inv
	v_cmpx_gt_u32_e32 13, v0
	s_cbranch_execz .LBB29_63
; %bb.60:
	v_mov_b32_e32 v61, 0
	v_add_nc_u32_e32 v66, -1, v0
	v_add_nc_u32_e32 v67, 0xf0, v63
	v_mov_b32_e32 v62, 0
	v_mov_b32_e32 v68, v63
	s_mov_b32 s5, 0
.LBB29_61:                              ; =>This Inner Loop Header: Depth=1
	s_clause 0x1
	buffer_load_dword v69, v68, s[0:3], 0 offen
	buffer_load_dword v70, v68, s[0:3], 0 offen offset:4
	ds_read_b64 v[71:72], v67
	v_add_nc_u32_e32 v66, 1, v66
	v_add_nc_u32_e32 v67, 8, v67
	v_add_nc_u32_e32 v68, 8, v68
	v_cmp_lt_u32_e32 vcc_lo, 11, v66
	s_or_b32 s5, vcc_lo, s5
	s_waitcnt vmcnt(0) lgkmcnt(0)
	v_fma_f64 v[61:62], v[69:70], v[71:72], v[61:62]
	s_andn2_b32 exec_lo, exec_lo, s5
	s_cbranch_execnz .LBB29_61
; %bb.62:
	s_or_b32 exec_lo, exec_lo, s5
	v_mov_b32_e32 v66, 0
	ds_read_b64 v[66:67], v66 offset:104
	s_waitcnt lgkmcnt(0)
	v_mul_f64 v[61:62], v[61:62], v[66:67]
	buffer_store_dword v62, off, s[0:3], 0 offset:108
	buffer_store_dword v61, off, s[0:3], 0 offset:104
.LBB29_63:
	s_or_b32 exec_lo, exec_lo, s4
	s_waitcnt_vscnt null, 0x0
	s_barrier
	buffer_gl0_inv
	s_clause 0x1
	buffer_load_dword v61, off, s[0:3], 0 offset:112
	buffer_load_dword v62, off, s[0:3], 0 offset:116
	s_mov_b32 s4, exec_lo
	s_waitcnt vmcnt(0)
	ds_write_b64 v64, v[61:62]
	s_waitcnt lgkmcnt(0)
	s_barrier
	buffer_gl0_inv
	v_cmpx_gt_u32_e32 14, v0
	s_cbranch_execz .LBB29_67
; %bb.64:
	v_mov_b32_e32 v61, 0
	v_add_nc_u32_e32 v66, -1, v0
	v_add_nc_u32_e32 v67, 0xf0, v63
	v_mov_b32_e32 v62, 0
	v_mov_b32_e32 v68, v63
	s_mov_b32 s5, 0
.LBB29_65:                              ; =>This Inner Loop Header: Depth=1
	s_clause 0x1
	buffer_load_dword v69, v68, s[0:3], 0 offen
	buffer_load_dword v70, v68, s[0:3], 0 offen offset:4
	ds_read_b64 v[71:72], v67
	v_add_nc_u32_e32 v66, 1, v66
	v_add_nc_u32_e32 v67, 8, v67
	v_add_nc_u32_e32 v68, 8, v68
	v_cmp_lt_u32_e32 vcc_lo, 12, v66
	s_or_b32 s5, vcc_lo, s5
	s_waitcnt vmcnt(0) lgkmcnt(0)
	v_fma_f64 v[61:62], v[69:70], v[71:72], v[61:62]
	s_andn2_b32 exec_lo, exec_lo, s5
	s_cbranch_execnz .LBB29_65
; %bb.66:
	s_or_b32 exec_lo, exec_lo, s5
	v_mov_b32_e32 v66, 0
	ds_read_b64 v[66:67], v66 offset:112
	s_waitcnt lgkmcnt(0)
	v_mul_f64 v[61:62], v[61:62], v[66:67]
	buffer_store_dword v62, off, s[0:3], 0 offset:116
	buffer_store_dword v61, off, s[0:3], 0 offset:112
.LBB29_67:
	s_or_b32 exec_lo, exec_lo, s4
	s_waitcnt_vscnt null, 0x0
	s_barrier
	buffer_gl0_inv
	s_clause 0x1
	buffer_load_dword v61, off, s[0:3], 0 offset:120
	buffer_load_dword v62, off, s[0:3], 0 offset:124
	s_mov_b32 s4, exec_lo
	s_waitcnt vmcnt(0)
	ds_write_b64 v64, v[61:62]
	s_waitcnt lgkmcnt(0)
	s_barrier
	buffer_gl0_inv
	v_cmpx_gt_u32_e32 15, v0
	s_cbranch_execz .LBB29_71
; %bb.68:
	v_mov_b32_e32 v61, 0
	v_add_nc_u32_e32 v66, -1, v0
	v_add_nc_u32_e32 v67, 0xf0, v63
	v_mov_b32_e32 v62, 0
	v_mov_b32_e32 v68, v63
	s_mov_b32 s5, 0
.LBB29_69:                              ; =>This Inner Loop Header: Depth=1
	s_clause 0x1
	buffer_load_dword v69, v68, s[0:3], 0 offen
	buffer_load_dword v70, v68, s[0:3], 0 offen offset:4
	ds_read_b64 v[71:72], v67
	v_add_nc_u32_e32 v66, 1, v66
	v_add_nc_u32_e32 v67, 8, v67
	v_add_nc_u32_e32 v68, 8, v68
	v_cmp_lt_u32_e32 vcc_lo, 13, v66
	s_or_b32 s5, vcc_lo, s5
	s_waitcnt vmcnt(0) lgkmcnt(0)
	v_fma_f64 v[61:62], v[69:70], v[71:72], v[61:62]
	s_andn2_b32 exec_lo, exec_lo, s5
	s_cbranch_execnz .LBB29_69
; %bb.70:
	s_or_b32 exec_lo, exec_lo, s5
	v_mov_b32_e32 v66, 0
	ds_read_b64 v[66:67], v66 offset:120
	s_waitcnt lgkmcnt(0)
	v_mul_f64 v[61:62], v[61:62], v[66:67]
	buffer_store_dword v62, off, s[0:3], 0 offset:124
	buffer_store_dword v61, off, s[0:3], 0 offset:120
.LBB29_71:
	s_or_b32 exec_lo, exec_lo, s4
	s_waitcnt_vscnt null, 0x0
	s_barrier
	buffer_gl0_inv
	s_clause 0x1
	buffer_load_dword v61, off, s[0:3], 0 offset:128
	buffer_load_dword v62, off, s[0:3], 0 offset:132
	s_mov_b32 s4, exec_lo
	s_waitcnt vmcnt(0)
	ds_write_b64 v64, v[61:62]
	s_waitcnt lgkmcnt(0)
	s_barrier
	buffer_gl0_inv
	v_cmpx_gt_u32_e32 16, v0
	s_cbranch_execz .LBB29_75
; %bb.72:
	v_mov_b32_e32 v61, 0
	v_add_nc_u32_e32 v66, -1, v0
	v_add_nc_u32_e32 v67, 0xf0, v63
	v_mov_b32_e32 v62, 0
	v_mov_b32_e32 v68, v63
	s_mov_b32 s5, 0
.LBB29_73:                              ; =>This Inner Loop Header: Depth=1
	s_clause 0x1
	buffer_load_dword v69, v68, s[0:3], 0 offen
	buffer_load_dword v70, v68, s[0:3], 0 offen offset:4
	ds_read_b64 v[71:72], v67
	v_add_nc_u32_e32 v66, 1, v66
	v_add_nc_u32_e32 v67, 8, v67
	v_add_nc_u32_e32 v68, 8, v68
	v_cmp_lt_u32_e32 vcc_lo, 14, v66
	s_or_b32 s5, vcc_lo, s5
	s_waitcnt vmcnt(0) lgkmcnt(0)
	v_fma_f64 v[61:62], v[69:70], v[71:72], v[61:62]
	s_andn2_b32 exec_lo, exec_lo, s5
	s_cbranch_execnz .LBB29_73
; %bb.74:
	s_or_b32 exec_lo, exec_lo, s5
	v_mov_b32_e32 v66, 0
	ds_read_b64 v[66:67], v66 offset:128
	s_waitcnt lgkmcnt(0)
	v_mul_f64 v[61:62], v[61:62], v[66:67]
	buffer_store_dword v62, off, s[0:3], 0 offset:132
	buffer_store_dword v61, off, s[0:3], 0 offset:128
.LBB29_75:
	s_or_b32 exec_lo, exec_lo, s4
	s_waitcnt_vscnt null, 0x0
	s_barrier
	buffer_gl0_inv
	s_clause 0x1
	buffer_load_dword v61, off, s[0:3], 0 offset:136
	buffer_load_dword v62, off, s[0:3], 0 offset:140
	s_mov_b32 s4, exec_lo
	s_waitcnt vmcnt(0)
	ds_write_b64 v64, v[61:62]
	s_waitcnt lgkmcnt(0)
	s_barrier
	buffer_gl0_inv
	v_cmpx_gt_u32_e32 17, v0
	s_cbranch_execz .LBB29_79
; %bb.76:
	v_mov_b32_e32 v61, 0
	v_add_nc_u32_e32 v66, -1, v0
	v_add_nc_u32_e32 v67, 0xf0, v63
	v_mov_b32_e32 v62, 0
	v_mov_b32_e32 v68, v63
	s_mov_b32 s5, 0
.LBB29_77:                              ; =>This Inner Loop Header: Depth=1
	s_clause 0x1
	buffer_load_dword v69, v68, s[0:3], 0 offen
	buffer_load_dword v70, v68, s[0:3], 0 offen offset:4
	ds_read_b64 v[71:72], v67
	v_add_nc_u32_e32 v66, 1, v66
	v_add_nc_u32_e32 v67, 8, v67
	v_add_nc_u32_e32 v68, 8, v68
	v_cmp_lt_u32_e32 vcc_lo, 15, v66
	s_or_b32 s5, vcc_lo, s5
	s_waitcnt vmcnt(0) lgkmcnt(0)
	v_fma_f64 v[61:62], v[69:70], v[71:72], v[61:62]
	s_andn2_b32 exec_lo, exec_lo, s5
	s_cbranch_execnz .LBB29_77
; %bb.78:
	s_or_b32 exec_lo, exec_lo, s5
	v_mov_b32_e32 v66, 0
	ds_read_b64 v[66:67], v66 offset:136
	s_waitcnt lgkmcnt(0)
	v_mul_f64 v[61:62], v[61:62], v[66:67]
	buffer_store_dword v62, off, s[0:3], 0 offset:140
	buffer_store_dword v61, off, s[0:3], 0 offset:136
.LBB29_79:
	s_or_b32 exec_lo, exec_lo, s4
	s_waitcnt_vscnt null, 0x0
	s_barrier
	buffer_gl0_inv
	s_clause 0x1
	buffer_load_dword v61, off, s[0:3], 0 offset:144
	buffer_load_dword v62, off, s[0:3], 0 offset:148
	s_mov_b32 s4, exec_lo
	s_waitcnt vmcnt(0)
	ds_write_b64 v64, v[61:62]
	s_waitcnt lgkmcnt(0)
	s_barrier
	buffer_gl0_inv
	v_cmpx_gt_u32_e32 18, v0
	s_cbranch_execz .LBB29_83
; %bb.80:
	v_mov_b32_e32 v61, 0
	v_add_nc_u32_e32 v66, -1, v0
	v_add_nc_u32_e32 v67, 0xf0, v63
	v_mov_b32_e32 v62, 0
	v_mov_b32_e32 v68, v63
	s_mov_b32 s5, 0
.LBB29_81:                              ; =>This Inner Loop Header: Depth=1
	s_clause 0x1
	buffer_load_dword v69, v68, s[0:3], 0 offen
	buffer_load_dword v70, v68, s[0:3], 0 offen offset:4
	ds_read_b64 v[71:72], v67
	v_add_nc_u32_e32 v66, 1, v66
	v_add_nc_u32_e32 v67, 8, v67
	v_add_nc_u32_e32 v68, 8, v68
	v_cmp_lt_u32_e32 vcc_lo, 16, v66
	s_or_b32 s5, vcc_lo, s5
	s_waitcnt vmcnt(0) lgkmcnt(0)
	v_fma_f64 v[61:62], v[69:70], v[71:72], v[61:62]
	s_andn2_b32 exec_lo, exec_lo, s5
	s_cbranch_execnz .LBB29_81
; %bb.82:
	s_or_b32 exec_lo, exec_lo, s5
	v_mov_b32_e32 v66, 0
	ds_read_b64 v[66:67], v66 offset:144
	s_waitcnt lgkmcnt(0)
	v_mul_f64 v[61:62], v[61:62], v[66:67]
	buffer_store_dword v62, off, s[0:3], 0 offset:148
	buffer_store_dword v61, off, s[0:3], 0 offset:144
.LBB29_83:
	s_or_b32 exec_lo, exec_lo, s4
	s_waitcnt_vscnt null, 0x0
	s_barrier
	buffer_gl0_inv
	s_clause 0x1
	buffer_load_dword v61, off, s[0:3], 0 offset:152
	buffer_load_dword v62, off, s[0:3], 0 offset:156
	s_mov_b32 s4, exec_lo
	s_waitcnt vmcnt(0)
	ds_write_b64 v64, v[61:62]
	s_waitcnt lgkmcnt(0)
	s_barrier
	buffer_gl0_inv
	v_cmpx_gt_u32_e32 19, v0
	s_cbranch_execz .LBB29_87
; %bb.84:
	v_mov_b32_e32 v61, 0
	v_add_nc_u32_e32 v66, -1, v0
	v_add_nc_u32_e32 v67, 0xf0, v63
	v_mov_b32_e32 v62, 0
	v_mov_b32_e32 v68, v63
	s_mov_b32 s5, 0
.LBB29_85:                              ; =>This Inner Loop Header: Depth=1
	s_clause 0x1
	buffer_load_dword v69, v68, s[0:3], 0 offen
	buffer_load_dword v70, v68, s[0:3], 0 offen offset:4
	ds_read_b64 v[71:72], v67
	v_add_nc_u32_e32 v66, 1, v66
	v_add_nc_u32_e32 v67, 8, v67
	v_add_nc_u32_e32 v68, 8, v68
	v_cmp_lt_u32_e32 vcc_lo, 17, v66
	s_or_b32 s5, vcc_lo, s5
	s_waitcnt vmcnt(0) lgkmcnt(0)
	v_fma_f64 v[61:62], v[69:70], v[71:72], v[61:62]
	s_andn2_b32 exec_lo, exec_lo, s5
	s_cbranch_execnz .LBB29_85
; %bb.86:
	s_or_b32 exec_lo, exec_lo, s5
	v_mov_b32_e32 v66, 0
	ds_read_b64 v[66:67], v66 offset:152
	s_waitcnt lgkmcnt(0)
	v_mul_f64 v[61:62], v[61:62], v[66:67]
	buffer_store_dword v62, off, s[0:3], 0 offset:156
	buffer_store_dword v61, off, s[0:3], 0 offset:152
.LBB29_87:
	s_or_b32 exec_lo, exec_lo, s4
	s_waitcnt_vscnt null, 0x0
	s_barrier
	buffer_gl0_inv
	s_clause 0x1
	buffer_load_dword v61, off, s[0:3], 0 offset:160
	buffer_load_dword v62, off, s[0:3], 0 offset:164
	s_mov_b32 s4, exec_lo
	s_waitcnt vmcnt(0)
	ds_write_b64 v64, v[61:62]
	s_waitcnt lgkmcnt(0)
	s_barrier
	buffer_gl0_inv
	v_cmpx_gt_u32_e32 20, v0
	s_cbranch_execz .LBB29_91
; %bb.88:
	v_mov_b32_e32 v61, 0
	v_add_nc_u32_e32 v66, -1, v0
	v_add_nc_u32_e32 v67, 0xf0, v63
	v_mov_b32_e32 v62, 0
	v_mov_b32_e32 v68, v63
	s_mov_b32 s5, 0
.LBB29_89:                              ; =>This Inner Loop Header: Depth=1
	s_clause 0x1
	buffer_load_dword v69, v68, s[0:3], 0 offen
	buffer_load_dword v70, v68, s[0:3], 0 offen offset:4
	ds_read_b64 v[71:72], v67
	v_add_nc_u32_e32 v66, 1, v66
	v_add_nc_u32_e32 v67, 8, v67
	v_add_nc_u32_e32 v68, 8, v68
	v_cmp_lt_u32_e32 vcc_lo, 18, v66
	s_or_b32 s5, vcc_lo, s5
	s_waitcnt vmcnt(0) lgkmcnt(0)
	v_fma_f64 v[61:62], v[69:70], v[71:72], v[61:62]
	s_andn2_b32 exec_lo, exec_lo, s5
	s_cbranch_execnz .LBB29_89
; %bb.90:
	s_or_b32 exec_lo, exec_lo, s5
	v_mov_b32_e32 v66, 0
	ds_read_b64 v[66:67], v66 offset:160
	s_waitcnt lgkmcnt(0)
	v_mul_f64 v[61:62], v[61:62], v[66:67]
	buffer_store_dword v62, off, s[0:3], 0 offset:164
	buffer_store_dword v61, off, s[0:3], 0 offset:160
.LBB29_91:
	s_or_b32 exec_lo, exec_lo, s4
	s_waitcnt_vscnt null, 0x0
	s_barrier
	buffer_gl0_inv
	s_clause 0x1
	buffer_load_dword v61, off, s[0:3], 0 offset:168
	buffer_load_dword v62, off, s[0:3], 0 offset:172
	s_mov_b32 s4, exec_lo
	s_waitcnt vmcnt(0)
	ds_write_b64 v64, v[61:62]
	s_waitcnt lgkmcnt(0)
	s_barrier
	buffer_gl0_inv
	v_cmpx_gt_u32_e32 21, v0
	s_cbranch_execz .LBB29_95
; %bb.92:
	v_mov_b32_e32 v61, 0
	v_add_nc_u32_e32 v66, -1, v0
	v_add_nc_u32_e32 v67, 0xf0, v63
	v_mov_b32_e32 v62, 0
	v_mov_b32_e32 v68, v63
	s_mov_b32 s5, 0
.LBB29_93:                              ; =>This Inner Loop Header: Depth=1
	s_clause 0x1
	buffer_load_dword v69, v68, s[0:3], 0 offen
	buffer_load_dword v70, v68, s[0:3], 0 offen offset:4
	ds_read_b64 v[71:72], v67
	v_add_nc_u32_e32 v66, 1, v66
	v_add_nc_u32_e32 v67, 8, v67
	v_add_nc_u32_e32 v68, 8, v68
	v_cmp_lt_u32_e32 vcc_lo, 19, v66
	s_or_b32 s5, vcc_lo, s5
	s_waitcnt vmcnt(0) lgkmcnt(0)
	v_fma_f64 v[61:62], v[69:70], v[71:72], v[61:62]
	s_andn2_b32 exec_lo, exec_lo, s5
	s_cbranch_execnz .LBB29_93
; %bb.94:
	s_or_b32 exec_lo, exec_lo, s5
	v_mov_b32_e32 v66, 0
	ds_read_b64 v[66:67], v66 offset:168
	s_waitcnt lgkmcnt(0)
	v_mul_f64 v[61:62], v[61:62], v[66:67]
	buffer_store_dword v62, off, s[0:3], 0 offset:172
	buffer_store_dword v61, off, s[0:3], 0 offset:168
.LBB29_95:
	s_or_b32 exec_lo, exec_lo, s4
	s_waitcnt_vscnt null, 0x0
	s_barrier
	buffer_gl0_inv
	s_clause 0x1
	buffer_load_dword v61, off, s[0:3], 0 offset:176
	buffer_load_dword v62, off, s[0:3], 0 offset:180
	s_mov_b32 s4, exec_lo
	s_waitcnt vmcnt(0)
	ds_write_b64 v64, v[61:62]
	s_waitcnt lgkmcnt(0)
	s_barrier
	buffer_gl0_inv
	v_cmpx_gt_u32_e32 22, v0
	s_cbranch_execz .LBB29_99
; %bb.96:
	v_mov_b32_e32 v61, 0
	v_add_nc_u32_e32 v66, -1, v0
	v_add_nc_u32_e32 v67, 0xf0, v63
	v_mov_b32_e32 v62, 0
	v_mov_b32_e32 v68, v63
	s_mov_b32 s5, 0
.LBB29_97:                              ; =>This Inner Loop Header: Depth=1
	s_clause 0x1
	buffer_load_dword v69, v68, s[0:3], 0 offen
	buffer_load_dword v70, v68, s[0:3], 0 offen offset:4
	ds_read_b64 v[71:72], v67
	v_add_nc_u32_e32 v66, 1, v66
	v_add_nc_u32_e32 v67, 8, v67
	v_add_nc_u32_e32 v68, 8, v68
	v_cmp_lt_u32_e32 vcc_lo, 20, v66
	s_or_b32 s5, vcc_lo, s5
	s_waitcnt vmcnt(0) lgkmcnt(0)
	v_fma_f64 v[61:62], v[69:70], v[71:72], v[61:62]
	s_andn2_b32 exec_lo, exec_lo, s5
	s_cbranch_execnz .LBB29_97
; %bb.98:
	s_or_b32 exec_lo, exec_lo, s5
	v_mov_b32_e32 v66, 0
	ds_read_b64 v[66:67], v66 offset:176
	s_waitcnt lgkmcnt(0)
	v_mul_f64 v[61:62], v[61:62], v[66:67]
	buffer_store_dword v62, off, s[0:3], 0 offset:180
	buffer_store_dword v61, off, s[0:3], 0 offset:176
.LBB29_99:
	s_or_b32 exec_lo, exec_lo, s4
	s_waitcnt_vscnt null, 0x0
	s_barrier
	buffer_gl0_inv
	s_clause 0x1
	buffer_load_dword v61, off, s[0:3], 0 offset:184
	buffer_load_dword v62, off, s[0:3], 0 offset:188
	s_mov_b32 s4, exec_lo
	s_waitcnt vmcnt(0)
	ds_write_b64 v64, v[61:62]
	s_waitcnt lgkmcnt(0)
	s_barrier
	buffer_gl0_inv
	v_cmpx_gt_u32_e32 23, v0
	s_cbranch_execz .LBB29_103
; %bb.100:
	v_mov_b32_e32 v61, 0
	v_add_nc_u32_e32 v66, -1, v0
	v_add_nc_u32_e32 v67, 0xf0, v63
	v_mov_b32_e32 v62, 0
	v_mov_b32_e32 v68, v63
	s_mov_b32 s5, 0
.LBB29_101:                             ; =>This Inner Loop Header: Depth=1
	s_clause 0x1
	buffer_load_dword v69, v68, s[0:3], 0 offen
	buffer_load_dword v70, v68, s[0:3], 0 offen offset:4
	ds_read_b64 v[71:72], v67
	v_add_nc_u32_e32 v66, 1, v66
	v_add_nc_u32_e32 v67, 8, v67
	v_add_nc_u32_e32 v68, 8, v68
	v_cmp_lt_u32_e32 vcc_lo, 21, v66
	s_or_b32 s5, vcc_lo, s5
	s_waitcnt vmcnt(0) lgkmcnt(0)
	v_fma_f64 v[61:62], v[69:70], v[71:72], v[61:62]
	s_andn2_b32 exec_lo, exec_lo, s5
	s_cbranch_execnz .LBB29_101
; %bb.102:
	s_or_b32 exec_lo, exec_lo, s5
	v_mov_b32_e32 v66, 0
	ds_read_b64 v[66:67], v66 offset:184
	s_waitcnt lgkmcnt(0)
	v_mul_f64 v[61:62], v[61:62], v[66:67]
	buffer_store_dword v62, off, s[0:3], 0 offset:188
	buffer_store_dword v61, off, s[0:3], 0 offset:184
.LBB29_103:
	s_or_b32 exec_lo, exec_lo, s4
	s_waitcnt_vscnt null, 0x0
	s_barrier
	buffer_gl0_inv
	s_clause 0x1
	buffer_load_dword v61, off, s[0:3], 0 offset:192
	buffer_load_dword v62, off, s[0:3], 0 offset:196
	s_mov_b32 s4, exec_lo
	s_waitcnt vmcnt(0)
	ds_write_b64 v64, v[61:62]
	s_waitcnt lgkmcnt(0)
	s_barrier
	buffer_gl0_inv
	v_cmpx_gt_u32_e32 24, v0
	s_cbranch_execz .LBB29_107
; %bb.104:
	v_mov_b32_e32 v61, 0
	v_add_nc_u32_e32 v66, -1, v0
	v_add_nc_u32_e32 v67, 0xf0, v63
	v_mov_b32_e32 v62, 0
	v_mov_b32_e32 v68, v63
	s_mov_b32 s5, 0
.LBB29_105:                             ; =>This Inner Loop Header: Depth=1
	s_clause 0x1
	buffer_load_dword v69, v68, s[0:3], 0 offen
	buffer_load_dword v70, v68, s[0:3], 0 offen offset:4
	ds_read_b64 v[71:72], v67
	v_add_nc_u32_e32 v66, 1, v66
	v_add_nc_u32_e32 v67, 8, v67
	v_add_nc_u32_e32 v68, 8, v68
	v_cmp_lt_u32_e32 vcc_lo, 22, v66
	s_or_b32 s5, vcc_lo, s5
	s_waitcnt vmcnt(0) lgkmcnt(0)
	v_fma_f64 v[61:62], v[69:70], v[71:72], v[61:62]
	s_andn2_b32 exec_lo, exec_lo, s5
	s_cbranch_execnz .LBB29_105
; %bb.106:
	s_or_b32 exec_lo, exec_lo, s5
	v_mov_b32_e32 v66, 0
	ds_read_b64 v[66:67], v66 offset:192
	s_waitcnt lgkmcnt(0)
	v_mul_f64 v[61:62], v[61:62], v[66:67]
	buffer_store_dword v62, off, s[0:3], 0 offset:196
	buffer_store_dword v61, off, s[0:3], 0 offset:192
.LBB29_107:
	s_or_b32 exec_lo, exec_lo, s4
	s_waitcnt_vscnt null, 0x0
	s_barrier
	buffer_gl0_inv
	s_clause 0x1
	buffer_load_dword v61, off, s[0:3], 0 offset:200
	buffer_load_dword v62, off, s[0:3], 0 offset:204
	;; [unrolled: 45-line block ×6, first 2 shown]
	s_mov_b32 s4, exec_lo
	s_waitcnt vmcnt(0)
	ds_write_b64 v64, v[61:62]
	s_waitcnt lgkmcnt(0)
	s_barrier
	buffer_gl0_inv
	v_cmpx_ne_u32_e32 29, v0
	s_cbranch_execz .LBB29_127
; %bb.124:
	v_mov_b32_e32 v61, 0
	v_mov_b32_e32 v62, 0
	s_mov_b32 s5, 0
.LBB29_125:                             ; =>This Inner Loop Header: Depth=1
	s_clause 0x1
	buffer_load_dword v66, v63, s[0:3], 0 offen
	buffer_load_dword v67, v63, s[0:3], 0 offen offset:4
	ds_read_b64 v[68:69], v64
	v_add_nc_u32_e32 v65, 1, v65
	v_add_nc_u32_e32 v64, 8, v64
	;; [unrolled: 1-line block ×3, first 2 shown]
	v_cmp_lt_u32_e32 vcc_lo, 27, v65
	s_or_b32 s5, vcc_lo, s5
	s_waitcnt vmcnt(0) lgkmcnt(0)
	v_fma_f64 v[61:62], v[66:67], v[68:69], v[61:62]
	s_andn2_b32 exec_lo, exec_lo, s5
	s_cbranch_execnz .LBB29_125
; %bb.126:
	s_or_b32 exec_lo, exec_lo, s5
	v_mov_b32_e32 v63, 0
	ds_read_b64 v[63:64], v63 offset:232
	s_waitcnt lgkmcnt(0)
	v_mul_f64 v[61:62], v[61:62], v[63:64]
	buffer_store_dword v62, off, s[0:3], 0 offset:236
	buffer_store_dword v61, off, s[0:3], 0 offset:232
.LBB29_127:
	s_or_b32 exec_lo, exec_lo, s4
	s_mov_b32 s5, -1
	s_waitcnt_vscnt null, 0x0
	s_barrier
	buffer_gl0_inv
.LBB29_128:
	s_and_b32 vcc_lo, exec_lo, s5
	s_cbranch_vccz .LBB29_130
; %bb.129:
	s_lshl_b64 s[4:5], s[6:7], 2
	v_mov_b32_e32 v61, 0
	s_add_u32 s4, s10, s4
	s_addc_u32 s5, s11, s5
	global_load_dword v61, v61, s[4:5]
	s_waitcnt vmcnt(0)
	v_cmp_ne_u32_e32 vcc_lo, 0, v61
	s_cbranch_vccz .LBB29_131
.LBB29_130:
	s_endpgm
.LBB29_131:
	v_lshl_add_u32 v61, v0, 3, 0xf0
	s_mov_b32 s4, exec_lo
	v_cmpx_eq_u32_e32 29, v0
	s_cbranch_execz .LBB29_133
; %bb.132:
	s_clause 0x1
	buffer_load_dword v62, off, s[0:3], 0 offset:224
	buffer_load_dword v63, off, s[0:3], 0 offset:228
	v_mov_b32_e32 v64, 0
	buffer_store_dword v64, off, s[0:3], 0 offset:224
	buffer_store_dword v64, off, s[0:3], 0 offset:228
	s_waitcnt vmcnt(0)
	ds_write_b64 v61, v[62:63]
.LBB29_133:
	s_or_b32 exec_lo, exec_lo, s4
	s_waitcnt lgkmcnt(0)
	s_waitcnt_vscnt null, 0x0
	s_barrier
	buffer_gl0_inv
	s_clause 0x3
	buffer_load_dword v63, off, s[0:3], 0 offset:232
	buffer_load_dword v64, off, s[0:3], 0 offset:236
	;; [unrolled: 1-line block ×4, first 2 shown]
	v_mov_b32_e32 v62, 0
	s_mov_b32 s4, exec_lo
	ds_read_b64 v[67:68], v62 offset:472
	s_waitcnt vmcnt(2) lgkmcnt(0)
	v_fma_f64 v[63:64], v[63:64], v[67:68], 0
	s_waitcnt vmcnt(0)
	v_add_f64 v[63:64], v[65:66], -v[63:64]
	buffer_store_dword v63, off, s[0:3], 0 offset:224
	buffer_store_dword v64, off, s[0:3], 0 offset:228
	v_cmpx_lt_u32_e32 27, v0
	s_cbranch_execz .LBB29_135
; %bb.134:
	s_clause 0x1
	buffer_load_dword v63, off, s[0:3], 0 offset:216
	buffer_load_dword v64, off, s[0:3], 0 offset:220
	buffer_store_dword v62, off, s[0:3], 0 offset:216
	buffer_store_dword v62, off, s[0:3], 0 offset:220
	s_waitcnt vmcnt(0)
	ds_write_b64 v61, v[63:64]
.LBB29_135:
	s_or_b32 exec_lo, exec_lo, s4
	s_waitcnt lgkmcnt(0)
	s_waitcnt_vscnt null, 0x0
	s_barrier
	buffer_gl0_inv
	s_clause 0x5
	buffer_load_dword v66, off, s[0:3], 0 offset:224
	buffer_load_dword v67, off, s[0:3], 0 offset:228
	;; [unrolled: 1-line block ×6, first 2 shown]
	ds_read_b128 v[62:65], v62 offset:464
	s_mov_b32 s4, exec_lo
	s_waitcnt vmcnt(4) lgkmcnt(0)
	v_fma_f64 v[62:63], v[66:67], v[62:63], 0
	s_waitcnt vmcnt(2)
	v_fma_f64 v[62:63], v[68:69], v[64:65], v[62:63]
	s_waitcnt vmcnt(0)
	v_add_f64 v[62:63], v[70:71], -v[62:63]
	buffer_store_dword v62, off, s[0:3], 0 offset:216
	buffer_store_dword v63, off, s[0:3], 0 offset:220
	v_cmpx_lt_u32_e32 26, v0
	s_cbranch_execz .LBB29_137
; %bb.136:
	s_clause 0x1
	buffer_load_dword v62, off, s[0:3], 0 offset:208
	buffer_load_dword v63, off, s[0:3], 0 offset:212
	v_mov_b32_e32 v64, 0
	buffer_store_dword v64, off, s[0:3], 0 offset:208
	buffer_store_dword v64, off, s[0:3], 0 offset:212
	s_waitcnt vmcnt(0)
	ds_write_b64 v61, v[62:63]
.LBB29_137:
	s_or_b32 exec_lo, exec_lo, s4
	s_waitcnt lgkmcnt(0)
	s_waitcnt_vscnt null, 0x0
	s_barrier
	buffer_gl0_inv
	s_clause 0x7
	buffer_load_dword v67, off, s[0:3], 0 offset:216
	buffer_load_dword v68, off, s[0:3], 0 offset:220
	;; [unrolled: 1-line block ×8, first 2 shown]
	v_mov_b32_e32 v62, 0
	ds_read2_b64 v[63:66], v62 offset0:57 offset1:58
	ds_read_b64 v[75:76], v62 offset:472
	s_mov_b32 s4, exec_lo
	s_waitcnt vmcnt(6) lgkmcnt(1)
	v_fma_f64 v[63:64], v[67:68], v[63:64], 0
	s_waitcnt vmcnt(4)
	v_fma_f64 v[63:64], v[69:70], v[65:66], v[63:64]
	s_waitcnt vmcnt(2) lgkmcnt(0)
	v_fma_f64 v[63:64], v[71:72], v[75:76], v[63:64]
	s_waitcnt vmcnt(0)
	v_add_f64 v[63:64], v[73:74], -v[63:64]
	buffer_store_dword v63, off, s[0:3], 0 offset:208
	buffer_store_dword v64, off, s[0:3], 0 offset:212
	v_cmpx_lt_u32_e32 25, v0
	s_cbranch_execz .LBB29_139
; %bb.138:
	s_clause 0x1
	buffer_load_dword v63, off, s[0:3], 0 offset:200
	buffer_load_dword v64, off, s[0:3], 0 offset:204
	buffer_store_dword v62, off, s[0:3], 0 offset:200
	buffer_store_dword v62, off, s[0:3], 0 offset:204
	s_waitcnt vmcnt(0)
	ds_write_b64 v61, v[63:64]
.LBB29_139:
	s_or_b32 exec_lo, exec_lo, s4
	s_waitcnt lgkmcnt(0)
	s_waitcnt_vscnt null, 0x0
	s_barrier
	buffer_gl0_inv
	s_clause 0x9
	buffer_load_dword v71, off, s[0:3], 0 offset:208
	buffer_load_dword v72, off, s[0:3], 0 offset:212
	;; [unrolled: 1-line block ×10, first 2 shown]
	ds_read_b128 v[63:66], v62 offset:448
	ds_read_b128 v[67:70], v62 offset:464
	s_mov_b32 s4, exec_lo
	s_waitcnt vmcnt(8) lgkmcnt(1)
	v_fma_f64 v[62:63], v[71:72], v[63:64], 0
	s_waitcnt vmcnt(6)
	v_fma_f64 v[62:63], v[73:74], v[65:66], v[62:63]
	s_waitcnt vmcnt(4) lgkmcnt(0)
	v_fma_f64 v[62:63], v[75:76], v[67:68], v[62:63]
	s_waitcnt vmcnt(2)
	v_fma_f64 v[62:63], v[77:78], v[69:70], v[62:63]
	s_waitcnt vmcnt(0)
	v_add_f64 v[62:63], v[79:80], -v[62:63]
	buffer_store_dword v62, off, s[0:3], 0 offset:200
	buffer_store_dword v63, off, s[0:3], 0 offset:204
	v_cmpx_lt_u32_e32 24, v0
	s_cbranch_execz .LBB29_141
; %bb.140:
	s_clause 0x1
	buffer_load_dword v62, off, s[0:3], 0 offset:192
	buffer_load_dword v63, off, s[0:3], 0 offset:196
	v_mov_b32_e32 v64, 0
	buffer_store_dword v64, off, s[0:3], 0 offset:192
	buffer_store_dword v64, off, s[0:3], 0 offset:196
	s_waitcnt vmcnt(0)
	ds_write_b64 v61, v[62:63]
.LBB29_141:
	s_or_b32 exec_lo, exec_lo, s4
	s_waitcnt lgkmcnt(0)
	s_waitcnt_vscnt null, 0x0
	s_barrier
	buffer_gl0_inv
	s_clause 0xb
	buffer_load_dword v71, off, s[0:3], 0 offset:200
	buffer_load_dword v72, off, s[0:3], 0 offset:204
	;; [unrolled: 1-line block ×12, first 2 shown]
	v_mov_b32_e32 v62, 0
	ds_read2_b64 v[63:66], v62 offset0:55 offset1:56
	ds_read2_b64 v[67:70], v62 offset0:57 offset1:58
	s_mov_b32 s4, exec_lo
	s_waitcnt vmcnt(10) lgkmcnt(1)
	v_fma_f64 v[63:64], v[71:72], v[63:64], 0
	s_waitcnt vmcnt(8)
	v_fma_f64 v[63:64], v[73:74], v[65:66], v[63:64]
	ds_read_b64 v[65:66], v62 offset:472
	s_waitcnt vmcnt(6) lgkmcnt(1)
	v_fma_f64 v[63:64], v[75:76], v[67:68], v[63:64]
	s_waitcnt vmcnt(4)
	v_fma_f64 v[63:64], v[77:78], v[69:70], v[63:64]
	s_waitcnt vmcnt(2) lgkmcnt(0)
	v_fma_f64 v[63:64], v[79:80], v[65:66], v[63:64]
	s_waitcnt vmcnt(0)
	v_add_f64 v[63:64], v[81:82], -v[63:64]
	buffer_store_dword v63, off, s[0:3], 0 offset:192
	buffer_store_dword v64, off, s[0:3], 0 offset:196
	v_cmpx_lt_u32_e32 23, v0
	s_cbranch_execz .LBB29_143
; %bb.142:
	s_clause 0x1
	buffer_load_dword v63, off, s[0:3], 0 offset:184
	buffer_load_dword v64, off, s[0:3], 0 offset:188
	buffer_store_dword v62, off, s[0:3], 0 offset:184
	buffer_store_dword v62, off, s[0:3], 0 offset:188
	s_waitcnt vmcnt(0)
	ds_write_b64 v61, v[63:64]
.LBB29_143:
	s_or_b32 exec_lo, exec_lo, s4
	s_waitcnt lgkmcnt(0)
	s_waitcnt_vscnt null, 0x0
	s_barrier
	buffer_gl0_inv
	s_clause 0xd
	buffer_load_dword v71, off, s[0:3], 0 offset:192
	buffer_load_dword v72, off, s[0:3], 0 offset:196
	buffer_load_dword v73, off, s[0:3], 0 offset:200
	buffer_load_dword v74, off, s[0:3], 0 offset:204
	buffer_load_dword v75, off, s[0:3], 0 offset:208
	buffer_load_dword v76, off, s[0:3], 0 offset:212
	buffer_load_dword v77, off, s[0:3], 0 offset:216
	buffer_load_dword v78, off, s[0:3], 0 offset:220
	buffer_load_dword v79, off, s[0:3], 0 offset:224
	buffer_load_dword v80, off, s[0:3], 0 offset:228
	buffer_load_dword v81, off, s[0:3], 0 offset:232
	buffer_load_dword v82, off, s[0:3], 0 offset:236
	buffer_load_dword v83, off, s[0:3], 0 offset:184
	buffer_load_dword v84, off, s[0:3], 0 offset:188
	ds_read_b128 v[63:66], v62 offset:432
	ds_read_b128 v[67:70], v62 offset:448
	s_mov_b32 s4, exec_lo
	s_waitcnt vmcnt(12) lgkmcnt(1)
	v_fma_f64 v[63:64], v[71:72], v[63:64], 0
	s_waitcnt vmcnt(10)
	v_fma_f64 v[63:64], v[73:74], v[65:66], v[63:64]
	s_waitcnt vmcnt(8) lgkmcnt(0)
	v_fma_f64 v[63:64], v[75:76], v[67:68], v[63:64]
	s_waitcnt vmcnt(6)
	v_fma_f64 v[66:67], v[77:78], v[69:70], v[63:64]
	ds_read_b128 v[62:65], v62 offset:464
	s_waitcnt vmcnt(4) lgkmcnt(0)
	v_fma_f64 v[62:63], v[79:80], v[62:63], v[66:67]
	s_waitcnt vmcnt(2)
	v_fma_f64 v[62:63], v[81:82], v[64:65], v[62:63]
	s_waitcnt vmcnt(0)
	v_add_f64 v[62:63], v[83:84], -v[62:63]
	buffer_store_dword v62, off, s[0:3], 0 offset:184
	buffer_store_dword v63, off, s[0:3], 0 offset:188
	v_cmpx_lt_u32_e32 22, v0
	s_cbranch_execz .LBB29_145
; %bb.144:
	s_clause 0x1
	buffer_load_dword v62, off, s[0:3], 0 offset:176
	buffer_load_dword v63, off, s[0:3], 0 offset:180
	v_mov_b32_e32 v64, 0
	buffer_store_dword v64, off, s[0:3], 0 offset:176
	buffer_store_dword v64, off, s[0:3], 0 offset:180
	s_waitcnt vmcnt(0)
	ds_write_b64 v61, v[62:63]
.LBB29_145:
	s_or_b32 exec_lo, exec_lo, s4
	s_waitcnt lgkmcnt(0)
	s_waitcnt_vscnt null, 0x0
	s_barrier
	buffer_gl0_inv
	s_clause 0xf
	buffer_load_dword v71, off, s[0:3], 0 offset:184
	buffer_load_dword v72, off, s[0:3], 0 offset:188
	;; [unrolled: 1-line block ×16, first 2 shown]
	v_mov_b32_e32 v62, 0
	ds_read2_b64 v[63:66], v62 offset0:53 offset1:54
	ds_read2_b64 v[67:70], v62 offset0:55 offset1:56
	s_mov_b32 s4, exec_lo
	s_waitcnt vmcnt(14) lgkmcnt(1)
	v_fma_f64 v[63:64], v[71:72], v[63:64], 0
	s_waitcnt vmcnt(12)
	v_fma_f64 v[63:64], v[73:74], v[65:66], v[63:64]
	s_waitcnt vmcnt(10) lgkmcnt(0)
	v_fma_f64 v[63:64], v[75:76], v[67:68], v[63:64]
	s_waitcnt vmcnt(8)
	v_fma_f64 v[67:68], v[77:78], v[69:70], v[63:64]
	ds_read2_b64 v[63:66], v62 offset0:57 offset1:58
	ds_read_b64 v[69:70], v62 offset:472
	s_waitcnt vmcnt(6) lgkmcnt(1)
	v_fma_f64 v[63:64], v[79:80], v[63:64], v[67:68]
	s_waitcnt vmcnt(4)
	v_fma_f64 v[63:64], v[81:82], v[65:66], v[63:64]
	s_waitcnt vmcnt(2) lgkmcnt(0)
	v_fma_f64 v[63:64], v[83:84], v[69:70], v[63:64]
	s_waitcnt vmcnt(0)
	v_add_f64 v[63:64], v[85:86], -v[63:64]
	buffer_store_dword v63, off, s[0:3], 0 offset:176
	buffer_store_dword v64, off, s[0:3], 0 offset:180
	v_cmpx_lt_u32_e32 21, v0
	s_cbranch_execz .LBB29_147
; %bb.146:
	s_clause 0x1
	buffer_load_dword v63, off, s[0:3], 0 offset:168
	buffer_load_dword v64, off, s[0:3], 0 offset:172
	buffer_store_dword v62, off, s[0:3], 0 offset:168
	buffer_store_dword v62, off, s[0:3], 0 offset:172
	s_waitcnt vmcnt(0)
	ds_write_b64 v61, v[63:64]
.LBB29_147:
	s_or_b32 exec_lo, exec_lo, s4
	s_waitcnt lgkmcnt(0)
	s_waitcnt_vscnt null, 0x0
	s_barrier
	buffer_gl0_inv
	s_clause 0x11
	buffer_load_dword v71, off, s[0:3], 0 offset:176
	buffer_load_dword v72, off, s[0:3], 0 offset:180
	;; [unrolled: 1-line block ×18, first 2 shown]
	ds_read_b128 v[63:66], v62 offset:416
	ds_read_b128 v[67:70], v62 offset:432
	s_mov_b32 s4, exec_lo
	s_waitcnt vmcnt(16) lgkmcnt(1)
	v_fma_f64 v[63:64], v[71:72], v[63:64], 0
	s_waitcnt vmcnt(14)
	v_fma_f64 v[63:64], v[73:74], v[65:66], v[63:64]
	s_waitcnt vmcnt(12) lgkmcnt(0)
	v_fma_f64 v[63:64], v[75:76], v[67:68], v[63:64]
	s_waitcnt vmcnt(10)
	v_fma_f64 v[71:72], v[77:78], v[69:70], v[63:64]
	ds_read_b128 v[63:66], v62 offset:448
	ds_read_b128 v[67:70], v62 offset:464
	s_waitcnt vmcnt(8) lgkmcnt(1)
	v_fma_f64 v[62:63], v[79:80], v[63:64], v[71:72]
	s_waitcnt vmcnt(6)
	v_fma_f64 v[62:63], v[81:82], v[65:66], v[62:63]
	s_waitcnt vmcnt(4) lgkmcnt(0)
	v_fma_f64 v[62:63], v[83:84], v[67:68], v[62:63]
	s_waitcnt vmcnt(2)
	v_fma_f64 v[62:63], v[85:86], v[69:70], v[62:63]
	s_waitcnt vmcnt(0)
	v_add_f64 v[62:63], v[87:88], -v[62:63]
	buffer_store_dword v62, off, s[0:3], 0 offset:168
	buffer_store_dword v63, off, s[0:3], 0 offset:172
	v_cmpx_lt_u32_e32 20, v0
	s_cbranch_execz .LBB29_149
; %bb.148:
	s_clause 0x1
	buffer_load_dword v62, off, s[0:3], 0 offset:160
	buffer_load_dword v63, off, s[0:3], 0 offset:164
	v_mov_b32_e32 v64, 0
	buffer_store_dword v64, off, s[0:3], 0 offset:160
	buffer_store_dword v64, off, s[0:3], 0 offset:164
	s_waitcnt vmcnt(0)
	ds_write_b64 v61, v[62:63]
.LBB29_149:
	s_or_b32 exec_lo, exec_lo, s4
	s_waitcnt lgkmcnt(0)
	s_waitcnt_vscnt null, 0x0
	s_barrier
	buffer_gl0_inv
	s_clause 0x13
	buffer_load_dword v71, off, s[0:3], 0 offset:168
	buffer_load_dword v72, off, s[0:3], 0 offset:172
	;; [unrolled: 1-line block ×20, first 2 shown]
	v_mov_b32_e32 v62, 0
	ds_read2_b64 v[63:66], v62 offset0:51 offset1:52
	ds_read2_b64 v[67:70], v62 offset0:53 offset1:54
	s_mov_b32 s4, exec_lo
	s_waitcnt vmcnt(18) lgkmcnt(1)
	v_fma_f64 v[63:64], v[71:72], v[63:64], 0
	s_waitcnt vmcnt(16)
	v_fma_f64 v[63:64], v[73:74], v[65:66], v[63:64]
	s_waitcnt vmcnt(14) lgkmcnt(0)
	v_fma_f64 v[63:64], v[75:76], v[67:68], v[63:64]
	s_waitcnt vmcnt(12)
	v_fma_f64 v[71:72], v[77:78], v[69:70], v[63:64]
	ds_read2_b64 v[63:66], v62 offset0:55 offset1:56
	ds_read2_b64 v[67:70], v62 offset0:57 offset1:58
	s_waitcnt vmcnt(10) lgkmcnt(1)
	v_fma_f64 v[63:64], v[79:80], v[63:64], v[71:72]
	s_waitcnt vmcnt(8)
	v_fma_f64 v[63:64], v[81:82], v[65:66], v[63:64]
	ds_read_b64 v[65:66], v62 offset:472
	s_waitcnt vmcnt(6) lgkmcnt(1)
	v_fma_f64 v[63:64], v[83:84], v[67:68], v[63:64]
	s_waitcnt vmcnt(3)
	v_fma_f64 v[63:64], v[85:86], v[69:70], v[63:64]
	s_waitcnt vmcnt(2) lgkmcnt(0)
	v_fma_f64 v[63:64], v[87:88], v[65:66], v[63:64]
	s_waitcnt vmcnt(0)
	v_add_f64 v[63:64], v[89:90], -v[63:64]
	buffer_store_dword v63, off, s[0:3], 0 offset:160
	buffer_store_dword v64, off, s[0:3], 0 offset:164
	v_cmpx_lt_u32_e32 19, v0
	s_cbranch_execz .LBB29_151
; %bb.150:
	s_clause 0x1
	buffer_load_dword v63, off, s[0:3], 0 offset:152
	buffer_load_dword v64, off, s[0:3], 0 offset:156
	buffer_store_dword v62, off, s[0:3], 0 offset:152
	buffer_store_dword v62, off, s[0:3], 0 offset:156
	s_waitcnt vmcnt(0)
	ds_write_b64 v61, v[63:64]
.LBB29_151:
	s_or_b32 exec_lo, exec_lo, s4
	s_waitcnt lgkmcnt(0)
	s_waitcnt_vscnt null, 0x0
	s_barrier
	buffer_gl0_inv
	s_clause 0x15
	buffer_load_dword v71, off, s[0:3], 0 offset:160
	buffer_load_dword v72, off, s[0:3], 0 offset:164
	;; [unrolled: 1-line block ×22, first 2 shown]
	ds_read_b128 v[63:66], v62 offset:400
	ds_read_b128 v[67:70], v62 offset:416
	s_mov_b32 s4, exec_lo
	s_waitcnt vmcnt(20) lgkmcnt(1)
	v_fma_f64 v[63:64], v[71:72], v[63:64], 0
	s_waitcnt vmcnt(18)
	v_fma_f64 v[63:64], v[73:74], v[65:66], v[63:64]
	s_waitcnt vmcnt(16) lgkmcnt(0)
	v_fma_f64 v[63:64], v[75:76], v[67:68], v[63:64]
	s_waitcnt vmcnt(14)
	v_fma_f64 v[71:72], v[77:78], v[69:70], v[63:64]
	ds_read_b128 v[63:66], v62 offset:432
	ds_read_b128 v[67:70], v62 offset:448
	s_waitcnt vmcnt(12) lgkmcnt(1)
	v_fma_f64 v[63:64], v[79:80], v[63:64], v[71:72]
	s_waitcnt vmcnt(10)
	v_fma_f64 v[63:64], v[81:82], v[65:66], v[63:64]
	s_waitcnt vmcnt(8) lgkmcnt(0)
	v_fma_f64 v[63:64], v[83:84], v[67:68], v[63:64]
	s_waitcnt vmcnt(4)
	v_fma_f64 v[66:67], v[85:86], v[69:70], v[63:64]
	ds_read_b128 v[62:65], v62 offset:464
	s_waitcnt vmcnt(3) lgkmcnt(0)
	v_fma_f64 v[62:63], v[89:90], v[62:63], v[66:67]
	s_waitcnt vmcnt(2)
	v_fma_f64 v[62:63], v[87:88], v[64:65], v[62:63]
	s_waitcnt vmcnt(0)
	v_add_f64 v[62:63], v[91:92], -v[62:63]
	buffer_store_dword v62, off, s[0:3], 0 offset:152
	buffer_store_dword v63, off, s[0:3], 0 offset:156
	v_cmpx_lt_u32_e32 18, v0
	s_cbranch_execz .LBB29_153
; %bb.152:
	s_clause 0x1
	buffer_load_dword v62, off, s[0:3], 0 offset:144
	buffer_load_dword v63, off, s[0:3], 0 offset:148
	v_mov_b32_e32 v64, 0
	buffer_store_dword v64, off, s[0:3], 0 offset:144
	buffer_store_dword v64, off, s[0:3], 0 offset:148
	s_waitcnt vmcnt(0)
	ds_write_b64 v61, v[62:63]
.LBB29_153:
	s_or_b32 exec_lo, exec_lo, s4
	s_waitcnt lgkmcnt(0)
	s_waitcnt_vscnt null, 0x0
	s_barrier
	buffer_gl0_inv
	s_clause 0x17
	buffer_load_dword v67, off, s[0:3], 0 offset:152
	buffer_load_dword v68, off, s[0:3], 0 offset:156
	;; [unrolled: 1-line block ×24, first 2 shown]
	v_mov_b32_e32 v62, 0
	s_mov_b32 s4, exec_lo
	ds_read2_b64 v[63:66], v62 offset0:49 offset1:50
	s_waitcnt vmcnt(22) lgkmcnt(0)
	v_fma_f64 v[63:64], v[67:68], v[63:64], 0
	s_waitcnt vmcnt(20)
	v_fma_f64 v[67:68], v[69:70], v[65:66], v[63:64]
	ds_read2_b64 v[63:66], v62 offset0:51 offset1:52
	s_waitcnt vmcnt(18) lgkmcnt(0)
	v_fma_f64 v[63:64], v[71:72], v[63:64], v[67:68]
	s_waitcnt vmcnt(16)
	v_fma_f64 v[67:68], v[73:74], v[65:66], v[63:64]
	;; [unrolled: 5-line block ×5, first 2 shown]
	ds_read_b64 v[65:66], v62 offset:472
	s_waitcnt vmcnt(2) lgkmcnt(0)
	v_fma_f64 v[63:64], v[87:88], v[65:66], v[63:64]
	s_waitcnt vmcnt(0)
	v_add_f64 v[63:64], v[89:90], -v[63:64]
	buffer_store_dword v64, off, s[0:3], 0 offset:148
	buffer_store_dword v63, off, s[0:3], 0 offset:144
	v_cmpx_lt_u32_e32 17, v0
	s_cbranch_execz .LBB29_155
; %bb.154:
	s_clause 0x1
	buffer_load_dword v63, off, s[0:3], 0 offset:136
	buffer_load_dword v64, off, s[0:3], 0 offset:140
	buffer_store_dword v62, off, s[0:3], 0 offset:136
	buffer_store_dword v62, off, s[0:3], 0 offset:140
	s_waitcnt vmcnt(0)
	ds_write_b64 v61, v[63:64]
.LBB29_155:
	s_or_b32 exec_lo, exec_lo, s4
	s_waitcnt lgkmcnt(0)
	s_waitcnt_vscnt null, 0x0
	s_barrier
	buffer_gl0_inv
	s_clause 0x19
	buffer_load_dword v67, off, s[0:3], 0 offset:144
	buffer_load_dword v68, off, s[0:3], 0 offset:148
	;; [unrolled: 1-line block ×26, first 2 shown]
	ds_read_b128 v[63:66], v62 offset:384
	s_mov_b32 s4, exec_lo
	s_waitcnt vmcnt(24) lgkmcnt(0)
	v_fma_f64 v[63:64], v[67:68], v[63:64], 0
	s_waitcnt vmcnt(22)
	v_fma_f64 v[67:68], v[69:70], v[65:66], v[63:64]
	ds_read_b128 v[63:66], v62 offset:400
	s_waitcnt vmcnt(20) lgkmcnt(0)
	v_fma_f64 v[63:64], v[71:72], v[63:64], v[67:68]
	s_waitcnt vmcnt(18)
	v_fma_f64 v[67:68], v[73:74], v[65:66], v[63:64]
	ds_read_b128 v[63:66], v62 offset:416
	;; [unrolled: 5-line block ×5, first 2 shown]
	s_waitcnt vmcnt(4) lgkmcnt(0)
	v_fma_f64 v[62:63], v[87:88], v[62:63], v[66:67]
	s_waitcnt vmcnt(2)
	v_fma_f64 v[62:63], v[89:90], v[64:65], v[62:63]
	s_waitcnt vmcnt(0)
	v_add_f64 v[62:63], v[91:92], -v[62:63]
	buffer_store_dword v63, off, s[0:3], 0 offset:140
	buffer_store_dword v62, off, s[0:3], 0 offset:136
	v_cmpx_lt_u32_e32 16, v0
	s_cbranch_execz .LBB29_157
; %bb.156:
	s_clause 0x1
	buffer_load_dword v62, off, s[0:3], 0 offset:128
	buffer_load_dword v63, off, s[0:3], 0 offset:132
	v_mov_b32_e32 v64, 0
	buffer_store_dword v64, off, s[0:3], 0 offset:128
	buffer_store_dword v64, off, s[0:3], 0 offset:132
	s_waitcnt vmcnt(0)
	ds_write_b64 v61, v[62:63]
.LBB29_157:
	s_or_b32 exec_lo, exec_lo, s4
	s_waitcnt lgkmcnt(0)
	s_waitcnt_vscnt null, 0x0
	s_barrier
	buffer_gl0_inv
	s_clause 0x1b
	buffer_load_dword v67, off, s[0:3], 0 offset:136
	buffer_load_dword v68, off, s[0:3], 0 offset:140
	buffer_load_dword v69, off, s[0:3], 0 offset:144
	buffer_load_dword v70, off, s[0:3], 0 offset:148
	buffer_load_dword v71, off, s[0:3], 0 offset:152
	buffer_load_dword v72, off, s[0:3], 0 offset:156
	buffer_load_dword v73, off, s[0:3], 0 offset:160
	buffer_load_dword v74, off, s[0:3], 0 offset:164
	buffer_load_dword v75, off, s[0:3], 0 offset:168
	buffer_load_dword v76, off, s[0:3], 0 offset:172
	buffer_load_dword v77, off, s[0:3], 0 offset:176
	buffer_load_dword v78, off, s[0:3], 0 offset:180
	buffer_load_dword v79, off, s[0:3], 0 offset:184
	buffer_load_dword v80, off, s[0:3], 0 offset:188
	buffer_load_dword v82, off, s[0:3], 0 offset:196
	buffer_load_dword v81, off, s[0:3], 0 offset:192
	buffer_load_dword v83, off, s[0:3], 0 offset:200
	buffer_load_dword v84, off, s[0:3], 0 offset:204
	buffer_load_dword v85, off, s[0:3], 0 offset:208
	buffer_load_dword v86, off, s[0:3], 0 offset:212
	buffer_load_dword v87, off, s[0:3], 0 offset:216
	buffer_load_dword v88, off, s[0:3], 0 offset:220
	buffer_load_dword v90, off, s[0:3], 0 offset:228
	buffer_load_dword v89, off, s[0:3], 0 offset:224
	buffer_load_dword v91, off, s[0:3], 0 offset:232
	buffer_load_dword v92, off, s[0:3], 0 offset:236
	buffer_load_dword v93, off, s[0:3], 0 offset:128
	buffer_load_dword v94, off, s[0:3], 0 offset:132
	v_mov_b32_e32 v62, 0
	s_mov_b32 s4, exec_lo
	ds_read2_b64 v[63:66], v62 offset0:47 offset1:48
	s_waitcnt vmcnt(26) lgkmcnt(0)
	v_fma_f64 v[63:64], v[67:68], v[63:64], 0
	s_waitcnt vmcnt(24)
	v_fma_f64 v[67:68], v[69:70], v[65:66], v[63:64]
	ds_read2_b64 v[63:66], v62 offset0:49 offset1:50
	s_waitcnt vmcnt(22) lgkmcnt(0)
	v_fma_f64 v[63:64], v[71:72], v[63:64], v[67:68]
	s_waitcnt vmcnt(20)
	v_fma_f64 v[67:68], v[73:74], v[65:66], v[63:64]
	;; [unrolled: 5-line block ×6, first 2 shown]
	ds_read_b64 v[65:66], v62 offset:472
	s_waitcnt vmcnt(2) lgkmcnt(0)
	v_fma_f64 v[63:64], v[91:92], v[65:66], v[63:64]
	s_waitcnt vmcnt(0)
	v_add_f64 v[63:64], v[93:94], -v[63:64]
	buffer_store_dword v64, off, s[0:3], 0 offset:132
	buffer_store_dword v63, off, s[0:3], 0 offset:128
	v_cmpx_lt_u32_e32 15, v0
	s_cbranch_execz .LBB29_159
; %bb.158:
	s_clause 0x1
	buffer_load_dword v63, off, s[0:3], 0 offset:120
	buffer_load_dword v64, off, s[0:3], 0 offset:124
	buffer_store_dword v62, off, s[0:3], 0 offset:120
	buffer_store_dword v62, off, s[0:3], 0 offset:124
	s_waitcnt vmcnt(0)
	ds_write_b64 v61, v[63:64]
.LBB29_159:
	s_or_b32 exec_lo, exec_lo, s4
	s_waitcnt lgkmcnt(0)
	s_waitcnt_vscnt null, 0x0
	s_barrier
	buffer_gl0_inv
	s_clause 0x1b
	buffer_load_dword v71, off, s[0:3], 0 offset:128
	buffer_load_dword v72, off, s[0:3], 0 offset:132
	;; [unrolled: 1-line block ×28, first 2 shown]
	ds_read_b128 v[63:66], v62 offset:368
	s_clause 0x1
	buffer_load_dword v99, off, s[0:3], 0 offset:120
	buffer_load_dword v100, off, s[0:3], 0 offset:124
	ds_read_b128 v[67:70], v62 offset:384
	s_mov_b32 s4, exec_lo
	s_waitcnt vmcnt(28) lgkmcnt(1)
	v_fma_f64 v[63:64], v[71:72], v[63:64], 0
	s_waitcnt vmcnt(26)
	v_fma_f64 v[63:64], v[73:74], v[65:66], v[63:64]
	s_waitcnt vmcnt(24) lgkmcnt(0)
	v_fma_f64 v[63:64], v[75:76], v[67:68], v[63:64]
	s_waitcnt vmcnt(22)
	v_fma_f64 v[71:72], v[77:78], v[69:70], v[63:64]
	ds_read_b128 v[63:66], v62 offset:400
	ds_read_b128 v[67:70], v62 offset:416
	s_waitcnt vmcnt(20) lgkmcnt(1)
	v_fma_f64 v[63:64], v[79:80], v[63:64], v[71:72]
	s_waitcnt vmcnt(18)
	v_fma_f64 v[63:64], v[81:82], v[65:66], v[63:64]
	s_waitcnt vmcnt(16) lgkmcnt(0)
	v_fma_f64 v[63:64], v[83:84], v[67:68], v[63:64]
	s_waitcnt vmcnt(11)
	v_fma_f64 v[71:72], v[85:86], v[69:70], v[63:64]
	ds_read_b128 v[63:66], v62 offset:432
	ds_read_b128 v[67:70], v62 offset:448
	s_waitcnt vmcnt(10) lgkmcnt(1)
	v_fma_f64 v[63:64], v[91:92], v[63:64], v[71:72]
	s_waitcnt vmcnt(9)
	v_fma_f64 v[63:64], v[89:90], v[65:66], v[63:64]
	s_waitcnt vmcnt(8) lgkmcnt(0)
	v_fma_f64 v[63:64], v[87:88], v[67:68], v[63:64]
	s_waitcnt vmcnt(4)
	v_fma_f64 v[66:67], v[93:94], v[69:70], v[63:64]
	ds_read_b128 v[62:65], v62 offset:464
	s_waitcnt vmcnt(3) lgkmcnt(0)
	v_fma_f64 v[62:63], v[97:98], v[62:63], v[66:67]
	s_waitcnt vmcnt(2)
	v_fma_f64 v[62:63], v[95:96], v[64:65], v[62:63]
	s_waitcnt vmcnt(0)
	v_add_f64 v[62:63], v[99:100], -v[62:63]
	buffer_store_dword v63, off, s[0:3], 0 offset:124
	buffer_store_dword v62, off, s[0:3], 0 offset:120
	v_cmpx_lt_u32_e32 14, v0
	s_cbranch_execz .LBB29_161
; %bb.160:
	s_clause 0x1
	buffer_load_dword v62, off, s[0:3], 0 offset:112
	buffer_load_dword v63, off, s[0:3], 0 offset:116
	v_mov_b32_e32 v64, 0
	buffer_store_dword v64, off, s[0:3], 0 offset:112
	buffer_store_dword v64, off, s[0:3], 0 offset:116
	s_waitcnt vmcnt(0)
	ds_write_b64 v61, v[62:63]
.LBB29_161:
	s_or_b32 exec_lo, exec_lo, s4
	s_waitcnt lgkmcnt(0)
	s_waitcnt_vscnt null, 0x0
	s_barrier
	buffer_gl0_inv
	s_clause 0x1c
	buffer_load_dword v71, off, s[0:3], 0 offset:120
	buffer_load_dword v72, off, s[0:3], 0 offset:124
	;; [unrolled: 1-line block ×29, first 2 shown]
	v_mov_b32_e32 v62, 0
	buffer_load_dword v96, off, s[0:3], 0 offset:236
	s_mov_b32 s4, exec_lo
	ds_read2_b64 v[63:66], v62 offset0:45 offset1:46
	ds_read2_b64 v[67:70], v62 offset0:47 offset1:48
	s_waitcnt vmcnt(28) lgkmcnt(1)
	v_fma_f64 v[63:64], v[71:72], v[63:64], 0
	s_clause 0x1
	buffer_load_dword v71, off, s[0:3], 0 offset:112
	buffer_load_dword v72, off, s[0:3], 0 offset:116
	s_waitcnt vmcnt(28)
	v_fma_f64 v[63:64], v[73:74], v[65:66], v[63:64]
	s_waitcnt vmcnt(26) lgkmcnt(0)
	v_fma_f64 v[63:64], v[75:76], v[67:68], v[63:64]
	s_waitcnt vmcnt(24)
	v_fma_f64 v[73:74], v[77:78], v[69:70], v[63:64]
	ds_read2_b64 v[63:66], v62 offset0:49 offset1:50
	ds_read2_b64 v[67:70], v62 offset0:51 offset1:52
	s_waitcnt vmcnt(22) lgkmcnt(1)
	v_fma_f64 v[63:64], v[79:80], v[63:64], v[73:74]
	s_waitcnt vmcnt(20)
	v_fma_f64 v[63:64], v[81:82], v[65:66], v[63:64]
	s_waitcnt vmcnt(18) lgkmcnt(0)
	v_fma_f64 v[63:64], v[83:84], v[67:68], v[63:64]
	s_waitcnt vmcnt(13)
	v_fma_f64 v[73:74], v[85:86], v[69:70], v[63:64]
	ds_read2_b64 v[63:66], v62 offset0:53 offset1:54
	ds_read2_b64 v[67:70], v62 offset0:55 offset1:56
	s_waitcnt vmcnt(12) lgkmcnt(1)
	v_fma_f64 v[63:64], v[91:92], v[63:64], v[73:74]
	s_waitcnt vmcnt(11)
	v_fma_f64 v[63:64], v[89:90], v[65:66], v[63:64]
	s_waitcnt vmcnt(10) lgkmcnt(0)
	v_fma_f64 v[63:64], v[87:88], v[67:68], v[63:64]
	s_waitcnt vmcnt(5)
	v_fma_f64 v[67:68], v[93:94], v[69:70], v[63:64]
	ds_read2_b64 v[63:66], v62 offset0:57 offset1:58
	ds_read_b64 v[69:70], v62 offset:472
	s_waitcnt vmcnt(4) lgkmcnt(1)
	v_fma_f64 v[63:64], v[99:100], v[63:64], v[67:68]
	s_waitcnt vmcnt(3)
	v_fma_f64 v[63:64], v[97:98], v[65:66], v[63:64]
	s_waitcnt vmcnt(2) lgkmcnt(0)
	v_fma_f64 v[63:64], v[95:96], v[69:70], v[63:64]
	s_waitcnt vmcnt(0)
	v_add_f64 v[63:64], v[71:72], -v[63:64]
	buffer_store_dword v64, off, s[0:3], 0 offset:116
	buffer_store_dword v63, off, s[0:3], 0 offset:112
	v_cmpx_lt_u32_e32 13, v0
	s_cbranch_execz .LBB29_163
; %bb.162:
	s_clause 0x1
	buffer_load_dword v63, off, s[0:3], 0 offset:104
	buffer_load_dword v64, off, s[0:3], 0 offset:108
	buffer_store_dword v62, off, s[0:3], 0 offset:104
	buffer_store_dword v62, off, s[0:3], 0 offset:108
	s_waitcnt vmcnt(0)
	ds_write_b64 v61, v[63:64]
.LBB29_163:
	s_or_b32 exec_lo, exec_lo, s4
	s_waitcnt lgkmcnt(0)
	s_waitcnt_vscnt null, 0x0
	s_barrier
	buffer_gl0_inv
	s_clause 0x1c
	buffer_load_dword v71, off, s[0:3], 0 offset:112
	buffer_load_dword v72, off, s[0:3], 0 offset:116
	;; [unrolled: 1-line block ×29, first 2 shown]
	ds_read_b128 v[63:66], v62 offset:352
	ds_read_b128 v[67:70], v62 offset:368
	buffer_load_dword v96, off, s[0:3], 0 offset:228
	s_mov_b32 s4, exec_lo
	s_waitcnt vmcnt(28) lgkmcnt(1)
	v_fma_f64 v[63:64], v[71:72], v[63:64], 0
	s_clause 0x1
	buffer_load_dword v72, off, s[0:3], 0 offset:236
	buffer_load_dword v71, off, s[0:3], 0 offset:232
	s_waitcnt vmcnt(28)
	v_fma_f64 v[63:64], v[73:74], v[65:66], v[63:64]
	s_clause 0x1
	buffer_load_dword v73, off, s[0:3], 0 offset:104
	buffer_load_dword v74, off, s[0:3], 0 offset:108
	s_waitcnt vmcnt(28) lgkmcnt(0)
	v_fma_f64 v[63:64], v[75:76], v[67:68], v[63:64]
	s_waitcnt vmcnt(26)
	v_fma_f64 v[75:76], v[77:78], v[69:70], v[63:64]
	ds_read_b128 v[63:66], v62 offset:384
	ds_read_b128 v[67:70], v62 offset:400
	s_waitcnt vmcnt(24) lgkmcnt(1)
	v_fma_f64 v[63:64], v[79:80], v[63:64], v[75:76]
	s_waitcnt vmcnt(22)
	v_fma_f64 v[63:64], v[81:82], v[65:66], v[63:64]
	s_waitcnt vmcnt(20) lgkmcnt(0)
	v_fma_f64 v[63:64], v[83:84], v[67:68], v[63:64]
	s_waitcnt vmcnt(15)
	v_fma_f64 v[75:76], v[85:86], v[69:70], v[63:64]
	ds_read_b128 v[63:66], v62 offset:416
	ds_read_b128 v[67:70], v62 offset:432
	s_waitcnt vmcnt(14) lgkmcnt(1)
	v_fma_f64 v[63:64], v[91:92], v[63:64], v[75:76]
	s_waitcnt vmcnt(13)
	v_fma_f64 v[63:64], v[89:90], v[65:66], v[63:64]
	;; [unrolled: 10-line block ×3, first 2 shown]
	s_waitcnt vmcnt(4) lgkmcnt(0)
	v_fma_f64 v[62:63], v[95:96], v[67:68], v[62:63]
	s_waitcnt vmcnt(2)
	v_fma_f64 v[62:63], v[71:72], v[69:70], v[62:63]
	s_waitcnt vmcnt(0)
	v_add_f64 v[62:63], v[73:74], -v[62:63]
	buffer_store_dword v63, off, s[0:3], 0 offset:108
	buffer_store_dword v62, off, s[0:3], 0 offset:104
	v_cmpx_lt_u32_e32 12, v0
	s_cbranch_execz .LBB29_165
; %bb.164:
	s_clause 0x1
	buffer_load_dword v62, off, s[0:3], 0 offset:96
	buffer_load_dword v63, off, s[0:3], 0 offset:100
	v_mov_b32_e32 v64, 0
	buffer_store_dword v64, off, s[0:3], 0 offset:96
	buffer_store_dword v64, off, s[0:3], 0 offset:100
	s_waitcnt vmcnt(0)
	ds_write_b64 v61, v[62:63]
.LBB29_165:
	s_or_b32 exec_lo, exec_lo, s4
	s_waitcnt lgkmcnt(0)
	s_waitcnt_vscnt null, 0x0
	s_barrier
	buffer_gl0_inv
	s_clause 0x1c
	buffer_load_dword v71, off, s[0:3], 0 offset:104
	buffer_load_dword v72, off, s[0:3], 0 offset:108
	;; [unrolled: 1-line block ×29, first 2 shown]
	v_mov_b32_e32 v62, 0
	buffer_load_dword v96, off, s[0:3], 0 offset:220
	s_mov_b32 s4, exec_lo
	ds_read2_b64 v[63:66], v62 offset0:43 offset1:44
	ds_read2_b64 v[67:70], v62 offset0:45 offset1:46
	s_waitcnt vmcnt(28) lgkmcnt(1)
	v_fma_f64 v[63:64], v[71:72], v[63:64], 0
	s_clause 0x3
	buffer_load_dword v72, off, s[0:3], 0 offset:228
	buffer_load_dword v101, off, s[0:3], 0 offset:232
	;; [unrolled: 1-line block ×4, first 2 shown]
	s_waitcnt vmcnt(30)
	v_fma_f64 v[63:64], v[73:74], v[65:66], v[63:64]
	s_clause 0x1
	buffer_load_dword v73, off, s[0:3], 0 offset:96
	buffer_load_dword v74, off, s[0:3], 0 offset:100
	s_waitcnt vmcnt(30) lgkmcnt(0)
	v_fma_f64 v[63:64], v[75:76], v[67:68], v[63:64]
	s_waitcnt vmcnt(28)
	v_fma_f64 v[75:76], v[77:78], v[69:70], v[63:64]
	ds_read2_b64 v[63:66], v62 offset0:47 offset1:48
	ds_read2_b64 v[67:70], v62 offset0:49 offset1:50
	s_waitcnt vmcnt(26) lgkmcnt(1)
	v_fma_f64 v[63:64], v[79:80], v[63:64], v[75:76]
	s_waitcnt vmcnt(24)
	v_fma_f64 v[63:64], v[81:82], v[65:66], v[63:64]
	s_waitcnt vmcnt(22) lgkmcnt(0)
	v_fma_f64 v[63:64], v[83:84], v[67:68], v[63:64]
	s_waitcnt vmcnt(17)
	v_fma_f64 v[75:76], v[85:86], v[69:70], v[63:64]
	ds_read2_b64 v[63:66], v62 offset0:51 offset1:52
	ds_read2_b64 v[67:70], v62 offset0:53 offset1:54
	s_waitcnt vmcnt(16) lgkmcnt(1)
	v_fma_f64 v[63:64], v[91:92], v[63:64], v[75:76]
	s_waitcnt vmcnt(15)
	v_fma_f64 v[63:64], v[89:90], v[65:66], v[63:64]
	;; [unrolled: 10-line block ×3, first 2 shown]
	ds_read_b64 v[65:66], v62 offset:472
	s_waitcnt vmcnt(6) lgkmcnt(1)
	v_fma_f64 v[63:64], v[95:96], v[67:68], v[63:64]
	s_waitcnt vmcnt(3)
	v_fma_f64 v[63:64], v[71:72], v[69:70], v[63:64]
	s_waitcnt vmcnt(2) lgkmcnt(0)
	v_fma_f64 v[63:64], v[101:102], v[65:66], v[63:64]
	s_waitcnt vmcnt(0)
	v_add_f64 v[63:64], v[73:74], -v[63:64]
	buffer_store_dword v64, off, s[0:3], 0 offset:100
	buffer_store_dword v63, off, s[0:3], 0 offset:96
	v_cmpx_lt_u32_e32 11, v0
	s_cbranch_execz .LBB29_167
; %bb.166:
	s_clause 0x1
	buffer_load_dword v63, off, s[0:3], 0 offset:88
	buffer_load_dword v64, off, s[0:3], 0 offset:92
	buffer_store_dword v62, off, s[0:3], 0 offset:88
	buffer_store_dword v62, off, s[0:3], 0 offset:92
	s_waitcnt vmcnt(0)
	ds_write_b64 v61, v[63:64]
.LBB29_167:
	s_or_b32 exec_lo, exec_lo, s4
	s_waitcnt lgkmcnt(0)
	s_waitcnt_vscnt null, 0x0
	s_barrier
	buffer_gl0_inv
	s_clause 0x1c
	buffer_load_dword v71, off, s[0:3], 0 offset:96
	buffer_load_dword v72, off, s[0:3], 0 offset:100
	buffer_load_dword v73, off, s[0:3], 0 offset:104
	buffer_load_dword v74, off, s[0:3], 0 offset:108
	buffer_load_dword v75, off, s[0:3], 0 offset:112
	buffer_load_dword v76, off, s[0:3], 0 offset:116
	buffer_load_dword v77, off, s[0:3], 0 offset:120
	buffer_load_dword v78, off, s[0:3], 0 offset:124
	buffer_load_dword v79, off, s[0:3], 0 offset:128
	buffer_load_dword v80, off, s[0:3], 0 offset:132
	buffer_load_dword v81, off, s[0:3], 0 offset:136
	buffer_load_dword v82, off, s[0:3], 0 offset:140
	buffer_load_dword v83, off, s[0:3], 0 offset:144
	buffer_load_dword v84, off, s[0:3], 0 offset:148
	buffer_load_dword v86, off, s[0:3], 0 offset:156
	buffer_load_dword v87, off, s[0:3], 0 offset:176
	buffer_load_dword v89, off, s[0:3], 0 offset:168
	buffer_load_dword v91, off, s[0:3], 0 offset:160
	buffer_load_dword v85, off, s[0:3], 0 offset:152
	buffer_load_dword v92, off, s[0:3], 0 offset:164
	buffer_load_dword v90, off, s[0:3], 0 offset:172
	buffer_load_dword v88, off, s[0:3], 0 offset:180
	buffer_load_dword v94, off, s[0:3], 0 offset:188
	buffer_load_dword v95, off, s[0:3], 0 offset:208
	buffer_load_dword v97, off, s[0:3], 0 offset:200
	buffer_load_dword v99, off, s[0:3], 0 offset:192
	buffer_load_dword v93, off, s[0:3], 0 offset:184
	buffer_load_dword v100, off, s[0:3], 0 offset:196
	buffer_load_dword v98, off, s[0:3], 0 offset:204
	ds_read_b128 v[63:66], v62 offset:336
	ds_read_b128 v[67:70], v62 offset:352
	buffer_load_dword v96, off, s[0:3], 0 offset:212
	s_mov_b32 s4, exec_lo
	s_waitcnt vmcnt(28) lgkmcnt(1)
	v_fma_f64 v[63:64], v[71:72], v[63:64], 0
	s_clause 0x5
	buffer_load_dword v72, off, s[0:3], 0 offset:220
	buffer_load_dword v101, off, s[0:3], 0 offset:232
	;; [unrolled: 1-line block ×6, first 2 shown]
	s_waitcnt vmcnt(32)
	v_fma_f64 v[63:64], v[73:74], v[65:66], v[63:64]
	s_waitcnt vmcnt(30) lgkmcnt(0)
	v_fma_f64 v[63:64], v[75:76], v[67:68], v[63:64]
	s_waitcnt vmcnt(28)
	v_fma_f64 v[73:74], v[77:78], v[69:70], v[63:64]
	ds_read_b128 v[63:66], v62 offset:368
	s_clause 0x1
	buffer_load_dword v75, off, s[0:3], 0 offset:88
	buffer_load_dword v76, off, s[0:3], 0 offset:92
	ds_read_b128 v[67:70], v62 offset:384
	s_waitcnt vmcnt(28) lgkmcnt(1)
	v_fma_f64 v[63:64], v[79:80], v[63:64], v[73:74]
	s_waitcnt vmcnt(26)
	v_fma_f64 v[63:64], v[81:82], v[65:66], v[63:64]
	s_waitcnt vmcnt(24) lgkmcnt(0)
	v_fma_f64 v[63:64], v[83:84], v[67:68], v[63:64]
	s_waitcnt vmcnt(19)
	v_fma_f64 v[73:74], v[85:86], v[69:70], v[63:64]
	ds_read_b128 v[63:66], v62 offset:400
	ds_read_b128 v[67:70], v62 offset:416
	s_waitcnt vmcnt(18) lgkmcnt(1)
	v_fma_f64 v[63:64], v[91:92], v[63:64], v[73:74]
	s_waitcnt vmcnt(17)
	v_fma_f64 v[63:64], v[89:90], v[65:66], v[63:64]
	s_waitcnt vmcnt(16) lgkmcnt(0)
	v_fma_f64 v[63:64], v[87:88], v[67:68], v[63:64]
	s_waitcnt vmcnt(11)
	v_fma_f64 v[73:74], v[93:94], v[69:70], v[63:64]
	ds_read_b128 v[63:66], v62 offset:432
	;; [unrolled: 10-line block ×3, first 2 shown]
	s_waitcnt vmcnt(3) lgkmcnt(0)
	v_fma_f64 v[62:63], v[103:104], v[62:63], v[66:67]
	s_waitcnt vmcnt(2)
	v_fma_f64 v[62:63], v[101:102], v[64:65], v[62:63]
	s_waitcnt vmcnt(0)
	v_add_f64 v[62:63], v[75:76], -v[62:63]
	buffer_store_dword v63, off, s[0:3], 0 offset:92
	buffer_store_dword v62, off, s[0:3], 0 offset:88
	v_cmpx_lt_u32_e32 10, v0
	s_cbranch_execz .LBB29_169
; %bb.168:
	s_clause 0x1
	buffer_load_dword v62, off, s[0:3], 0 offset:80
	buffer_load_dword v63, off, s[0:3], 0 offset:84
	v_mov_b32_e32 v64, 0
	buffer_store_dword v64, off, s[0:3], 0 offset:80
	buffer_store_dword v64, off, s[0:3], 0 offset:84
	s_waitcnt vmcnt(0)
	ds_write_b64 v61, v[62:63]
.LBB29_169:
	s_or_b32 exec_lo, exec_lo, s4
	s_waitcnt lgkmcnt(0)
	s_waitcnt_vscnt null, 0x0
	s_barrier
	buffer_gl0_inv
	s_clause 0x1c
	buffer_load_dword v71, off, s[0:3], 0 offset:88
	buffer_load_dword v72, off, s[0:3], 0 offset:92
	;; [unrolled: 1-line block ×29, first 2 shown]
	v_mov_b32_e32 v62, 0
	buffer_load_dword v96, off, s[0:3], 0 offset:204
	s_mov_b32 s4, exec_lo
	ds_read2_b64 v[63:66], v62 offset0:41 offset1:42
	ds_read2_b64 v[67:70], v62 offset0:43 offset1:44
	s_waitcnt vmcnt(28) lgkmcnt(1)
	v_fma_f64 v[63:64], v[71:72], v[63:64], 0
	s_clause 0x7
	buffer_load_dword v72, off, s[0:3], 0 offset:212
	buffer_load_dword v101, off, s[0:3], 0 offset:232
	;; [unrolled: 1-line block ×8, first 2 shown]
	s_waitcnt vmcnt(34)
	v_fma_f64 v[63:64], v[73:74], v[65:66], v[63:64]
	s_waitcnt vmcnt(32) lgkmcnt(0)
	v_fma_f64 v[63:64], v[75:76], v[67:68], v[63:64]
	s_waitcnt vmcnt(30)
	v_fma_f64 v[73:74], v[77:78], v[69:70], v[63:64]
	ds_read2_b64 v[63:66], v62 offset0:45 offset1:46
	ds_read2_b64 v[67:70], v62 offset0:47 offset1:48
	s_waitcnt vmcnt(28) lgkmcnt(1)
	v_fma_f64 v[63:64], v[79:80], v[63:64], v[73:74]
	s_clause 0x1
	buffer_load_dword v73, off, s[0:3], 0 offset:80
	buffer_load_dword v74, off, s[0:3], 0 offset:84
	s_waitcnt vmcnt(28)
	v_fma_f64 v[63:64], v[81:82], v[65:66], v[63:64]
	s_waitcnt vmcnt(26) lgkmcnt(0)
	v_fma_f64 v[63:64], v[83:84], v[67:68], v[63:64]
	s_waitcnt vmcnt(21)
	v_fma_f64 v[75:76], v[85:86], v[69:70], v[63:64]
	ds_read2_b64 v[63:66], v62 offset0:49 offset1:50
	ds_read2_b64 v[67:70], v62 offset0:51 offset1:52
	s_waitcnt vmcnt(20) lgkmcnt(1)
	v_fma_f64 v[63:64], v[91:92], v[63:64], v[75:76]
	s_waitcnt vmcnt(19)
	v_fma_f64 v[63:64], v[89:90], v[65:66], v[63:64]
	s_waitcnt vmcnt(18) lgkmcnt(0)
	v_fma_f64 v[63:64], v[87:88], v[67:68], v[63:64]
	s_waitcnt vmcnt(13)
	v_fma_f64 v[75:76], v[93:94], v[69:70], v[63:64]
	ds_read2_b64 v[63:66], v62 offset0:53 offset1:54
	ds_read2_b64 v[67:70], v62 offset0:55 offset1:56
	s_waitcnt vmcnt(12) lgkmcnt(1)
	v_fma_f64 v[63:64], v[99:100], v[63:64], v[75:76]
	s_waitcnt vmcnt(11)
	v_fma_f64 v[63:64], v[97:98], v[65:66], v[63:64]
	s_waitcnt vmcnt(10) lgkmcnt(0)
	v_fma_f64 v[63:64], v[95:96], v[67:68], v[63:64]
	s_waitcnt vmcnt(5)
	v_fma_f64 v[67:68], v[71:72], v[69:70], v[63:64]
	ds_read2_b64 v[63:66], v62 offset0:57 offset1:58
	ds_read_b64 v[69:70], v62 offset:472
	s_waitcnt vmcnt(4) lgkmcnt(1)
	v_fma_f64 v[63:64], v[105:106], v[63:64], v[67:68]
	s_waitcnt vmcnt(3)
	v_fma_f64 v[63:64], v[103:104], v[65:66], v[63:64]
	s_waitcnt vmcnt(2) lgkmcnt(0)
	v_fma_f64 v[63:64], v[101:102], v[69:70], v[63:64]
	s_waitcnt vmcnt(0)
	v_add_f64 v[63:64], v[73:74], -v[63:64]
	buffer_store_dword v64, off, s[0:3], 0 offset:84
	buffer_store_dword v63, off, s[0:3], 0 offset:80
	v_cmpx_lt_u32_e32 9, v0
	s_cbranch_execz .LBB29_171
; %bb.170:
	s_clause 0x1
	buffer_load_dword v63, off, s[0:3], 0 offset:72
	buffer_load_dword v64, off, s[0:3], 0 offset:76
	buffer_store_dword v62, off, s[0:3], 0 offset:72
	buffer_store_dword v62, off, s[0:3], 0 offset:76
	s_waitcnt vmcnt(0)
	ds_write_b64 v61, v[63:64]
.LBB29_171:
	s_or_b32 exec_lo, exec_lo, s4
	s_waitcnt lgkmcnt(0)
	s_waitcnt_vscnt null, 0x0
	s_barrier
	buffer_gl0_inv
	s_clause 0x1c
	buffer_load_dword v71, off, s[0:3], 0 offset:80
	buffer_load_dword v72, off, s[0:3], 0 offset:84
	;; [unrolled: 1-line block ×29, first 2 shown]
	ds_read_b128 v[63:66], v62 offset:320
	ds_read_b128 v[67:70], v62 offset:336
	buffer_load_dword v96, off, s[0:3], 0 offset:196
	s_mov_b32 s4, exec_lo
	s_waitcnt vmcnt(28) lgkmcnt(1)
	v_fma_f64 v[63:64], v[71:72], v[63:64], 0
	s_clause 0x7
	buffer_load_dword v72, off, s[0:3], 0 offset:204
	buffer_load_dword v101, off, s[0:3], 0 offset:224
	;; [unrolled: 1-line block ×8, first 2 shown]
	s_waitcnt vmcnt(34)
	v_fma_f64 v[63:64], v[73:74], v[65:66], v[63:64]
	s_waitcnt vmcnt(32) lgkmcnt(0)
	v_fma_f64 v[63:64], v[75:76], v[67:68], v[63:64]
	s_waitcnt vmcnt(30)
	v_fma_f64 v[73:74], v[77:78], v[69:70], v[63:64]
	ds_read_b128 v[63:66], v62 offset:352
	ds_read_b128 v[67:70], v62 offset:368
	s_waitcnt vmcnt(28) lgkmcnt(1)
	v_fma_f64 v[63:64], v[79:80], v[63:64], v[73:74]
	s_clause 0x3
	buffer_load_dword v74, off, s[0:3], 0 offset:236
	buffer_load_dword v73, off, s[0:3], 0 offset:232
	;; [unrolled: 1-line block ×4, first 2 shown]
	s_waitcnt vmcnt(30)
	v_fma_f64 v[63:64], v[81:82], v[65:66], v[63:64]
	s_waitcnt vmcnt(28) lgkmcnt(0)
	v_fma_f64 v[63:64], v[83:84], v[67:68], v[63:64]
	s_waitcnt vmcnt(23)
	v_fma_f64 v[77:78], v[85:86], v[69:70], v[63:64]
	ds_read_b128 v[63:66], v62 offset:384
	ds_read_b128 v[67:70], v62 offset:400
	s_waitcnt vmcnt(22) lgkmcnt(1)
	v_fma_f64 v[63:64], v[91:92], v[63:64], v[77:78]
	s_waitcnt vmcnt(21)
	v_fma_f64 v[63:64], v[89:90], v[65:66], v[63:64]
	s_waitcnt vmcnt(20) lgkmcnt(0)
	v_fma_f64 v[63:64], v[87:88], v[67:68], v[63:64]
	s_waitcnt vmcnt(15)
	v_fma_f64 v[77:78], v[93:94], v[69:70], v[63:64]
	ds_read_b128 v[63:66], v62 offset:416
	ds_read_b128 v[67:70], v62 offset:432
	s_waitcnt vmcnt(14) lgkmcnt(1)
	v_fma_f64 v[63:64], v[99:100], v[63:64], v[77:78]
	;; [unrolled: 10-line block ×3, first 2 shown]
	s_waitcnt vmcnt(5)
	v_fma_f64 v[62:63], v[103:104], v[65:66], v[62:63]
	s_waitcnt vmcnt(4) lgkmcnt(0)
	v_fma_f64 v[62:63], v[101:102], v[67:68], v[62:63]
	s_waitcnt vmcnt(2)
	v_fma_f64 v[62:63], v[73:74], v[69:70], v[62:63]
	s_waitcnt vmcnt(0)
	v_add_f64 v[62:63], v[75:76], -v[62:63]
	buffer_store_dword v63, off, s[0:3], 0 offset:76
	buffer_store_dword v62, off, s[0:3], 0 offset:72
	v_cmpx_lt_u32_e32 8, v0
	s_cbranch_execz .LBB29_173
; %bb.172:
	s_clause 0x1
	buffer_load_dword v62, off, s[0:3], 0 offset:64
	buffer_load_dword v63, off, s[0:3], 0 offset:68
	v_mov_b32_e32 v64, 0
	buffer_store_dword v64, off, s[0:3], 0 offset:64
	buffer_store_dword v64, off, s[0:3], 0 offset:68
	s_waitcnt vmcnt(0)
	ds_write_b64 v61, v[62:63]
.LBB29_173:
	s_or_b32 exec_lo, exec_lo, s4
	s_waitcnt lgkmcnt(0)
	s_waitcnt_vscnt null, 0x0
	s_barrier
	buffer_gl0_inv
	s_clause 0x1c
	buffer_load_dword v71, off, s[0:3], 0 offset:72
	buffer_load_dword v72, off, s[0:3], 0 offset:76
	;; [unrolled: 1-line block ×29, first 2 shown]
	v_mov_b32_e32 v62, 0
	buffer_load_dword v96, off, s[0:3], 0 offset:188
	s_mov_b32 s4, exec_lo
	ds_read2_b64 v[63:66], v62 offset0:39 offset1:40
	ds_read2_b64 v[67:70], v62 offset0:41 offset1:42
	s_waitcnt vmcnt(28) lgkmcnt(1)
	v_fma_f64 v[63:64], v[71:72], v[63:64], 0
	s_clause 0x7
	buffer_load_dword v72, off, s[0:3], 0 offset:196
	buffer_load_dword v101, off, s[0:3], 0 offset:216
	;; [unrolled: 1-line block ×8, first 2 shown]
	s_waitcnt vmcnt(34)
	v_fma_f64 v[63:64], v[73:74], v[65:66], v[63:64]
	s_waitcnt vmcnt(32) lgkmcnt(0)
	v_fma_f64 v[63:64], v[75:76], v[67:68], v[63:64]
	s_waitcnt vmcnt(30)
	v_fma_f64 v[73:74], v[77:78], v[69:70], v[63:64]
	ds_read2_b64 v[63:66], v62 offset0:43 offset1:44
	ds_read2_b64 v[67:70], v62 offset0:45 offset1:46
	s_waitcnt vmcnt(28) lgkmcnt(1)
	v_fma_f64 v[63:64], v[79:80], v[63:64], v[73:74]
	s_clause 0x5
	buffer_load_dword v74, off, s[0:3], 0 offset:228
	buffer_load_dword v75, off, s[0:3], 0 offset:232
	;; [unrolled: 1-line block ×6, first 2 shown]
	s_waitcnt vmcnt(32)
	v_fma_f64 v[63:64], v[81:82], v[65:66], v[63:64]
	s_waitcnt vmcnt(30) lgkmcnt(0)
	v_fma_f64 v[63:64], v[83:84], v[67:68], v[63:64]
	s_waitcnt vmcnt(25)
	v_fma_f64 v[79:80], v[85:86], v[69:70], v[63:64]
	ds_read2_b64 v[63:66], v62 offset0:47 offset1:48
	ds_read2_b64 v[67:70], v62 offset0:49 offset1:50
	s_waitcnt vmcnt(24) lgkmcnt(1)
	v_fma_f64 v[63:64], v[91:92], v[63:64], v[79:80]
	s_waitcnt vmcnt(23)
	v_fma_f64 v[63:64], v[89:90], v[65:66], v[63:64]
	s_waitcnt vmcnt(22) lgkmcnt(0)
	v_fma_f64 v[63:64], v[87:88], v[67:68], v[63:64]
	s_waitcnt vmcnt(17)
	v_fma_f64 v[79:80], v[93:94], v[69:70], v[63:64]
	ds_read2_b64 v[63:66], v62 offset0:51 offset1:52
	ds_read2_b64 v[67:70], v62 offset0:53 offset1:54
	s_waitcnt vmcnt(16) lgkmcnt(1)
	v_fma_f64 v[63:64], v[99:100], v[63:64], v[79:80]
	;; [unrolled: 10-line block ×3, first 2 shown]
	s_waitcnt vmcnt(7)
	v_fma_f64 v[63:64], v[103:104], v[65:66], v[63:64]
	ds_read_b64 v[65:66], v62 offset:472
	s_waitcnt vmcnt(6) lgkmcnt(1)
	v_fma_f64 v[63:64], v[101:102], v[67:68], v[63:64]
	s_waitcnt vmcnt(3)
	v_fma_f64 v[63:64], v[73:74], v[69:70], v[63:64]
	s_waitcnt vmcnt(2) lgkmcnt(0)
	v_fma_f64 v[63:64], v[75:76], v[65:66], v[63:64]
	s_waitcnt vmcnt(0)
	v_add_f64 v[63:64], v[77:78], -v[63:64]
	buffer_store_dword v64, off, s[0:3], 0 offset:68
	buffer_store_dword v63, off, s[0:3], 0 offset:64
	v_cmpx_lt_u32_e32 7, v0
	s_cbranch_execz .LBB29_175
; %bb.174:
	s_clause 0x1
	buffer_load_dword v63, off, s[0:3], 0 offset:56
	buffer_load_dword v64, off, s[0:3], 0 offset:60
	buffer_store_dword v62, off, s[0:3], 0 offset:56
	buffer_store_dword v62, off, s[0:3], 0 offset:60
	s_waitcnt vmcnt(0)
	ds_write_b64 v61, v[63:64]
.LBB29_175:
	s_or_b32 exec_lo, exec_lo, s4
	s_waitcnt lgkmcnt(0)
	s_waitcnt_vscnt null, 0x0
	s_barrier
	buffer_gl0_inv
	s_clause 0x1c
	buffer_load_dword v71, off, s[0:3], 0 offset:64
	buffer_load_dword v72, off, s[0:3], 0 offset:68
	;; [unrolled: 1-line block ×29, first 2 shown]
	ds_read_b128 v[63:66], v62 offset:304
	ds_read_b128 v[67:70], v62 offset:320
	buffer_load_dword v96, off, s[0:3], 0 offset:180
	s_mov_b32 s4, exec_lo
	s_waitcnt vmcnt(28) lgkmcnt(1)
	v_fma_f64 v[63:64], v[71:72], v[63:64], 0
	s_clause 0x7
	buffer_load_dword v72, off, s[0:3], 0 offset:188
	buffer_load_dword v101, off, s[0:3], 0 offset:208
	;; [unrolled: 1-line block ×8, first 2 shown]
	s_waitcnt vmcnt(34)
	v_fma_f64 v[63:64], v[73:74], v[65:66], v[63:64]
	s_waitcnt vmcnt(32) lgkmcnt(0)
	v_fma_f64 v[63:64], v[75:76], v[67:68], v[63:64]
	s_waitcnt vmcnt(30)
	v_fma_f64 v[73:74], v[77:78], v[69:70], v[63:64]
	ds_read_b128 v[63:66], v62 offset:336
	ds_read_b128 v[67:70], v62 offset:352
	s_waitcnt vmcnt(28) lgkmcnt(1)
	v_fma_f64 v[63:64], v[79:80], v[63:64], v[73:74]
	s_clause 0x5
	buffer_load_dword v74, off, s[0:3], 0 offset:220
	buffer_load_dword v75, off, s[0:3], 0 offset:232
	;; [unrolled: 1-line block ×6, first 2 shown]
	s_waitcnt vmcnt(32)
	v_fma_f64 v[63:64], v[81:82], v[65:66], v[63:64]
	s_waitcnt vmcnt(30) lgkmcnt(0)
	v_fma_f64 v[63:64], v[83:84], v[67:68], v[63:64]
	s_waitcnt vmcnt(25)
	v_fma_f64 v[79:80], v[85:86], v[69:70], v[63:64]
	ds_read_b128 v[63:66], v62 offset:368
	s_clause 0x1
	buffer_load_dword v81, off, s[0:3], 0 offset:56
	buffer_load_dword v82, off, s[0:3], 0 offset:60
	ds_read_b128 v[67:70], v62 offset:384
	s_waitcnt vmcnt(26) lgkmcnt(1)
	v_fma_f64 v[63:64], v[91:92], v[63:64], v[79:80]
	s_waitcnt vmcnt(25)
	v_fma_f64 v[63:64], v[89:90], v[65:66], v[63:64]
	s_waitcnt vmcnt(24) lgkmcnt(0)
	v_fma_f64 v[63:64], v[87:88], v[67:68], v[63:64]
	s_waitcnt vmcnt(19)
	v_fma_f64 v[79:80], v[93:94], v[69:70], v[63:64]
	ds_read_b128 v[63:66], v62 offset:400
	ds_read_b128 v[67:70], v62 offset:416
	s_waitcnt vmcnt(18) lgkmcnt(1)
	v_fma_f64 v[63:64], v[99:100], v[63:64], v[79:80]
	s_waitcnt vmcnt(17)
	v_fma_f64 v[63:64], v[97:98], v[65:66], v[63:64]
	s_waitcnt vmcnt(16) lgkmcnt(0)
	v_fma_f64 v[63:64], v[95:96], v[67:68], v[63:64]
	s_waitcnt vmcnt(11)
	v_fma_f64 v[71:72], v[71:72], v[69:70], v[63:64]
	ds_read_b128 v[63:66], v62 offset:432
	;; [unrolled: 10-line block ×3, first 2 shown]
	s_waitcnt vmcnt(3) lgkmcnt(0)
	v_fma_f64 v[62:63], v[77:78], v[62:63], v[66:67]
	s_waitcnt vmcnt(2)
	v_fma_f64 v[62:63], v[75:76], v[64:65], v[62:63]
	s_waitcnt vmcnt(0)
	v_add_f64 v[62:63], v[81:82], -v[62:63]
	buffer_store_dword v63, off, s[0:3], 0 offset:60
	buffer_store_dword v62, off, s[0:3], 0 offset:56
	v_cmpx_lt_u32_e32 6, v0
	s_cbranch_execz .LBB29_177
; %bb.176:
	s_clause 0x1
	buffer_load_dword v62, off, s[0:3], 0 offset:48
	buffer_load_dword v63, off, s[0:3], 0 offset:52
	v_mov_b32_e32 v64, 0
	buffer_store_dword v64, off, s[0:3], 0 offset:48
	buffer_store_dword v64, off, s[0:3], 0 offset:52
	s_waitcnt vmcnt(0)
	ds_write_b64 v61, v[62:63]
.LBB29_177:
	s_or_b32 exec_lo, exec_lo, s4
	s_waitcnt lgkmcnt(0)
	s_waitcnt_vscnt null, 0x0
	s_barrier
	buffer_gl0_inv
	s_clause 0x1c
	buffer_load_dword v71, off, s[0:3], 0 offset:56
	buffer_load_dword v72, off, s[0:3], 0 offset:60
	;; [unrolled: 1-line block ×29, first 2 shown]
	v_mov_b32_e32 v62, 0
	buffer_load_dword v96, off, s[0:3], 0 offset:172
	s_mov_b32 s4, exec_lo
	ds_read2_b64 v[63:66], v62 offset0:37 offset1:38
	ds_read2_b64 v[67:70], v62 offset0:39 offset1:40
	s_waitcnt vmcnt(28) lgkmcnt(1)
	v_fma_f64 v[63:64], v[71:72], v[63:64], 0
	s_clause 0x7
	buffer_load_dword v72, off, s[0:3], 0 offset:180
	buffer_load_dword v101, off, s[0:3], 0 offset:200
	;; [unrolled: 1-line block ×8, first 2 shown]
	s_waitcnt vmcnt(34)
	v_fma_f64 v[63:64], v[73:74], v[65:66], v[63:64]
	s_waitcnt vmcnt(32) lgkmcnt(0)
	v_fma_f64 v[63:64], v[75:76], v[67:68], v[63:64]
	s_waitcnt vmcnt(30)
	v_fma_f64 v[73:74], v[77:78], v[69:70], v[63:64]
	ds_read2_b64 v[63:66], v62 offset0:41 offset1:42
	ds_read2_b64 v[67:70], v62 offset0:43 offset1:44
	s_waitcnt vmcnt(28) lgkmcnt(1)
	v_fma_f64 v[63:64], v[79:80], v[63:64], v[73:74]
	s_clause 0x7
	buffer_load_dword v74, off, s[0:3], 0 offset:212
	buffer_load_dword v75, off, s[0:3], 0 offset:232
	;; [unrolled: 1-line block ×8, first 2 shown]
	s_waitcnt vmcnt(34)
	v_fma_f64 v[63:64], v[81:82], v[65:66], v[63:64]
	s_waitcnt vmcnt(32) lgkmcnt(0)
	v_fma_f64 v[63:64], v[83:84], v[67:68], v[63:64]
	s_waitcnt vmcnt(27)
	v_fma_f64 v[81:82], v[85:86], v[69:70], v[63:64]
	ds_read2_b64 v[63:66], v62 offset0:45 offset1:46
	ds_read2_b64 v[67:70], v62 offset0:47 offset1:48
	s_waitcnt vmcnt(26) lgkmcnt(1)
	v_fma_f64 v[63:64], v[91:92], v[63:64], v[81:82]
	s_clause 0x1
	buffer_load_dword v81, off, s[0:3], 0 offset:48
	buffer_load_dword v82, off, s[0:3], 0 offset:52
	s_waitcnt vmcnt(27)
	v_fma_f64 v[63:64], v[89:90], v[65:66], v[63:64]
	s_waitcnt vmcnt(26) lgkmcnt(0)
	v_fma_f64 v[63:64], v[87:88], v[67:68], v[63:64]
	s_waitcnt vmcnt(21)
	v_fma_f64 v[83:84], v[93:94], v[69:70], v[63:64]
	ds_read2_b64 v[63:66], v62 offset0:49 offset1:50
	ds_read2_b64 v[67:70], v62 offset0:51 offset1:52
	s_waitcnt vmcnt(20) lgkmcnt(1)
	v_fma_f64 v[63:64], v[99:100], v[63:64], v[83:84]
	s_waitcnt vmcnt(19)
	v_fma_f64 v[63:64], v[97:98], v[65:66], v[63:64]
	s_waitcnt vmcnt(18) lgkmcnt(0)
	v_fma_f64 v[63:64], v[95:96], v[67:68], v[63:64]
	s_waitcnt vmcnt(13)
	v_fma_f64 v[71:72], v[71:72], v[69:70], v[63:64]
	ds_read2_b64 v[63:66], v62 offset0:53 offset1:54
	ds_read2_b64 v[67:70], v62 offset0:55 offset1:56
	s_waitcnt vmcnt(12) lgkmcnt(1)
	v_fma_f64 v[63:64], v[105:106], v[63:64], v[71:72]
	s_waitcnt vmcnt(11)
	v_fma_f64 v[63:64], v[103:104], v[65:66], v[63:64]
	s_waitcnt vmcnt(10) lgkmcnt(0)
	v_fma_f64 v[63:64], v[101:102], v[67:68], v[63:64]
	s_waitcnt vmcnt(5)
	v_fma_f64 v[67:68], v[73:74], v[69:70], v[63:64]
	ds_read2_b64 v[63:66], v62 offset0:57 offset1:58
	ds_read_b64 v[69:70], v62 offset:472
	s_waitcnt vmcnt(4) lgkmcnt(1)
	v_fma_f64 v[63:64], v[79:80], v[63:64], v[67:68]
	s_waitcnt vmcnt(3)
	v_fma_f64 v[63:64], v[77:78], v[65:66], v[63:64]
	s_waitcnt vmcnt(2) lgkmcnt(0)
	v_fma_f64 v[63:64], v[75:76], v[69:70], v[63:64]
	s_waitcnt vmcnt(0)
	v_add_f64 v[63:64], v[81:82], -v[63:64]
	buffer_store_dword v64, off, s[0:3], 0 offset:52
	buffer_store_dword v63, off, s[0:3], 0 offset:48
	v_cmpx_lt_u32_e32 5, v0
	s_cbranch_execz .LBB29_179
; %bb.178:
	s_clause 0x1
	buffer_load_dword v63, off, s[0:3], 0 offset:40
	buffer_load_dword v64, off, s[0:3], 0 offset:44
	buffer_store_dword v62, off, s[0:3], 0 offset:40
	buffer_store_dword v62, off, s[0:3], 0 offset:44
	s_waitcnt vmcnt(0)
	ds_write_b64 v61, v[63:64]
.LBB29_179:
	s_or_b32 exec_lo, exec_lo, s4
	s_waitcnt lgkmcnt(0)
	s_waitcnt_vscnt null, 0x0
	s_barrier
	buffer_gl0_inv
	s_clause 0x1c
	buffer_load_dword v71, off, s[0:3], 0 offset:48
	buffer_load_dword v72, off, s[0:3], 0 offset:52
	;; [unrolled: 1-line block ×29, first 2 shown]
	ds_read_b128 v[63:66], v62 offset:288
	ds_read_b128 v[67:70], v62 offset:304
	buffer_load_dword v96, off, s[0:3], 0 offset:164
	s_mov_b32 s4, exec_lo
	s_waitcnt vmcnt(28) lgkmcnt(1)
	v_fma_f64 v[63:64], v[71:72], v[63:64], 0
	s_clause 0x7
	buffer_load_dword v72, off, s[0:3], 0 offset:172
	buffer_load_dword v101, off, s[0:3], 0 offset:192
	buffer_load_dword v103, off, s[0:3], 0 offset:184
	buffer_load_dword v105, off, s[0:3], 0 offset:176
	buffer_load_dword v71, off, s[0:3], 0 offset:168
	buffer_load_dword v106, off, s[0:3], 0 offset:180
	buffer_load_dword v104, off, s[0:3], 0 offset:188
	buffer_load_dword v102, off, s[0:3], 0 offset:196
	s_waitcnt vmcnt(34)
	v_fma_f64 v[63:64], v[73:74], v[65:66], v[63:64]
	s_waitcnt vmcnt(32) lgkmcnt(0)
	v_fma_f64 v[63:64], v[75:76], v[67:68], v[63:64]
	s_waitcnt vmcnt(30)
	v_fma_f64 v[73:74], v[77:78], v[69:70], v[63:64]
	ds_read_b128 v[63:66], v62 offset:320
	ds_read_b128 v[67:70], v62 offset:336
	s_waitcnt vmcnt(28) lgkmcnt(1)
	v_fma_f64 v[63:64], v[79:80], v[63:64], v[73:74]
	s_clause 0x7
	buffer_load_dword v74, off, s[0:3], 0 offset:204
	buffer_load_dword v75, off, s[0:3], 0 offset:224
	;; [unrolled: 1-line block ×8, first 2 shown]
	s_waitcnt vmcnt(34)
	v_fma_f64 v[63:64], v[81:82], v[65:66], v[63:64]
	s_waitcnt vmcnt(32) lgkmcnt(0)
	v_fma_f64 v[63:64], v[83:84], v[67:68], v[63:64]
	s_waitcnt vmcnt(27)
	v_fma_f64 v[81:82], v[85:86], v[69:70], v[63:64]
	ds_read_b128 v[63:66], v62 offset:352
	ds_read_b128 v[67:70], v62 offset:368
	s_waitcnt vmcnt(26) lgkmcnt(1)
	v_fma_f64 v[63:64], v[91:92], v[63:64], v[81:82]
	s_clause 0x3
	buffer_load_dword v82, off, s[0:3], 0 offset:236
	buffer_load_dword v81, off, s[0:3], 0 offset:232
	;; [unrolled: 1-line block ×4, first 2 shown]
	s_waitcnt vmcnt(29)
	v_fma_f64 v[63:64], v[89:90], v[65:66], v[63:64]
	s_waitcnt vmcnt(28) lgkmcnt(0)
	v_fma_f64 v[63:64], v[87:88], v[67:68], v[63:64]
	s_waitcnt vmcnt(23)
	v_fma_f64 v[85:86], v[93:94], v[69:70], v[63:64]
	ds_read_b128 v[63:66], v62 offset:384
	ds_read_b128 v[67:70], v62 offset:400
	s_waitcnt vmcnt(22) lgkmcnt(1)
	v_fma_f64 v[63:64], v[99:100], v[63:64], v[85:86]
	s_waitcnt vmcnt(21)
	v_fma_f64 v[63:64], v[97:98], v[65:66], v[63:64]
	s_waitcnt vmcnt(20) lgkmcnt(0)
	v_fma_f64 v[63:64], v[95:96], v[67:68], v[63:64]
	s_waitcnt vmcnt(15)
	v_fma_f64 v[71:72], v[71:72], v[69:70], v[63:64]
	ds_read_b128 v[63:66], v62 offset:416
	ds_read_b128 v[67:70], v62 offset:432
	s_waitcnt vmcnt(14) lgkmcnt(1)
	v_fma_f64 v[63:64], v[105:106], v[63:64], v[71:72]
	;; [unrolled: 10-line block ×3, first 2 shown]
	s_waitcnt vmcnt(5)
	v_fma_f64 v[62:63], v[77:78], v[65:66], v[62:63]
	s_waitcnt vmcnt(4) lgkmcnt(0)
	v_fma_f64 v[62:63], v[75:76], v[67:68], v[62:63]
	s_waitcnt vmcnt(2)
	v_fma_f64 v[62:63], v[81:82], v[69:70], v[62:63]
	s_waitcnt vmcnt(0)
	v_add_f64 v[62:63], v[83:84], -v[62:63]
	buffer_store_dword v63, off, s[0:3], 0 offset:44
	buffer_store_dword v62, off, s[0:3], 0 offset:40
	v_cmpx_lt_u32_e32 4, v0
	s_cbranch_execz .LBB29_181
; %bb.180:
	s_clause 0x1
	buffer_load_dword v62, off, s[0:3], 0 offset:32
	buffer_load_dword v63, off, s[0:3], 0 offset:36
	v_mov_b32_e32 v64, 0
	buffer_store_dword v64, off, s[0:3], 0 offset:32
	buffer_store_dword v64, off, s[0:3], 0 offset:36
	s_waitcnt vmcnt(0)
	ds_write_b64 v61, v[62:63]
.LBB29_181:
	s_or_b32 exec_lo, exec_lo, s4
	s_waitcnt lgkmcnt(0)
	s_waitcnt_vscnt null, 0x0
	s_barrier
	buffer_gl0_inv
	s_clause 0x1c
	buffer_load_dword v71, off, s[0:3], 0 offset:40
	buffer_load_dword v72, off, s[0:3], 0 offset:44
	;; [unrolled: 1-line block ×29, first 2 shown]
	v_mov_b32_e32 v62, 0
	buffer_load_dword v96, off, s[0:3], 0 offset:156
	s_mov_b32 s4, exec_lo
	ds_read2_b64 v[63:66], v62 offset0:35 offset1:36
	ds_read2_b64 v[67:70], v62 offset0:37 offset1:38
	s_waitcnt vmcnt(28) lgkmcnt(1)
	v_fma_f64 v[63:64], v[71:72], v[63:64], 0
	s_clause 0x7
	buffer_load_dword v72, off, s[0:3], 0 offset:164
	buffer_load_dword v101, off, s[0:3], 0 offset:184
	;; [unrolled: 1-line block ×8, first 2 shown]
	s_waitcnt vmcnt(34)
	v_fma_f64 v[63:64], v[73:74], v[65:66], v[63:64]
	s_waitcnt vmcnt(32) lgkmcnt(0)
	v_fma_f64 v[63:64], v[75:76], v[67:68], v[63:64]
	s_waitcnt vmcnt(30)
	v_fma_f64 v[73:74], v[77:78], v[69:70], v[63:64]
	ds_read2_b64 v[63:66], v62 offset0:39 offset1:40
	ds_read2_b64 v[67:70], v62 offset0:41 offset1:42
	s_waitcnt vmcnt(28) lgkmcnt(1)
	v_fma_f64 v[63:64], v[79:80], v[63:64], v[73:74]
	s_clause 0x7
	buffer_load_dword v74, off, s[0:3], 0 offset:196
	buffer_load_dword v75, off, s[0:3], 0 offset:216
	;; [unrolled: 1-line block ×8, first 2 shown]
	s_waitcnt vmcnt(34)
	v_fma_f64 v[63:64], v[81:82], v[65:66], v[63:64]
	s_waitcnt vmcnt(32) lgkmcnt(0)
	v_fma_f64 v[63:64], v[83:84], v[67:68], v[63:64]
	s_waitcnt vmcnt(27)
	v_fma_f64 v[81:82], v[85:86], v[69:70], v[63:64]
	ds_read2_b64 v[63:66], v62 offset0:43 offset1:44
	ds_read2_b64 v[67:70], v62 offset0:45 offset1:46
	s_waitcnt vmcnt(26) lgkmcnt(1)
	v_fma_f64 v[63:64], v[91:92], v[63:64], v[81:82]
	s_clause 0x5
	buffer_load_dword v82, off, s[0:3], 0 offset:228
	buffer_load_dword v83, off, s[0:3], 0 offset:232
	;; [unrolled: 1-line block ×6, first 2 shown]
	s_waitcnt vmcnt(31)
	v_fma_f64 v[63:64], v[89:90], v[65:66], v[63:64]
	s_waitcnt vmcnt(30) lgkmcnt(0)
	v_fma_f64 v[63:64], v[87:88], v[67:68], v[63:64]
	s_waitcnt vmcnt(25)
	v_fma_f64 v[87:88], v[93:94], v[69:70], v[63:64]
	ds_read2_b64 v[63:66], v62 offset0:47 offset1:48
	ds_read2_b64 v[67:70], v62 offset0:49 offset1:50
	s_waitcnt vmcnt(24) lgkmcnt(1)
	v_fma_f64 v[63:64], v[99:100], v[63:64], v[87:88]
	s_waitcnt vmcnt(23)
	v_fma_f64 v[63:64], v[97:98], v[65:66], v[63:64]
	s_waitcnt vmcnt(22) lgkmcnt(0)
	v_fma_f64 v[63:64], v[95:96], v[67:68], v[63:64]
	s_waitcnt vmcnt(17)
	v_fma_f64 v[71:72], v[71:72], v[69:70], v[63:64]
	ds_read2_b64 v[63:66], v62 offset0:51 offset1:52
	ds_read2_b64 v[67:70], v62 offset0:53 offset1:54
	s_waitcnt vmcnt(16) lgkmcnt(1)
	v_fma_f64 v[63:64], v[105:106], v[63:64], v[71:72]
	;; [unrolled: 10-line block ×3, first 2 shown]
	s_waitcnt vmcnt(7)
	v_fma_f64 v[63:64], v[77:78], v[65:66], v[63:64]
	ds_read_b64 v[65:66], v62 offset:472
	s_waitcnt vmcnt(6) lgkmcnt(1)
	v_fma_f64 v[63:64], v[75:76], v[67:68], v[63:64]
	s_waitcnt vmcnt(3)
	v_fma_f64 v[63:64], v[81:82], v[69:70], v[63:64]
	s_waitcnt vmcnt(2) lgkmcnt(0)
	v_fma_f64 v[63:64], v[83:84], v[65:66], v[63:64]
	s_waitcnt vmcnt(0)
	v_add_f64 v[63:64], v[85:86], -v[63:64]
	buffer_store_dword v64, off, s[0:3], 0 offset:36
	buffer_store_dword v63, off, s[0:3], 0 offset:32
	v_cmpx_lt_u32_e32 3, v0
	s_cbranch_execz .LBB29_183
; %bb.182:
	s_clause 0x1
	buffer_load_dword v63, off, s[0:3], 0 offset:24
	buffer_load_dword v64, off, s[0:3], 0 offset:28
	buffer_store_dword v62, off, s[0:3], 0 offset:24
	buffer_store_dword v62, off, s[0:3], 0 offset:28
	s_waitcnt vmcnt(0)
	ds_write_b64 v61, v[63:64]
.LBB29_183:
	s_or_b32 exec_lo, exec_lo, s4
	s_waitcnt lgkmcnt(0)
	s_waitcnt_vscnt null, 0x0
	s_barrier
	buffer_gl0_inv
	s_clause 0x1c
	buffer_load_dword v71, off, s[0:3], 0 offset:32
	buffer_load_dword v72, off, s[0:3], 0 offset:36
	;; [unrolled: 1-line block ×29, first 2 shown]
	ds_read_b128 v[63:66], v62 offset:272
	ds_read_b128 v[67:70], v62 offset:288
	buffer_load_dword v96, off, s[0:3], 0 offset:148
	s_mov_b32 s4, exec_lo
	s_waitcnt vmcnt(28) lgkmcnt(1)
	v_fma_f64 v[63:64], v[71:72], v[63:64], 0
	s_clause 0x7
	buffer_load_dword v72, off, s[0:3], 0 offset:156
	buffer_load_dword v101, off, s[0:3], 0 offset:176
	;; [unrolled: 1-line block ×8, first 2 shown]
	s_waitcnt vmcnt(34)
	v_fma_f64 v[63:64], v[73:74], v[65:66], v[63:64]
	s_waitcnt vmcnt(32) lgkmcnt(0)
	v_fma_f64 v[63:64], v[75:76], v[67:68], v[63:64]
	s_waitcnt vmcnt(30)
	v_fma_f64 v[73:74], v[77:78], v[69:70], v[63:64]
	ds_read_b128 v[63:66], v62 offset:304
	ds_read_b128 v[67:70], v62 offset:320
	s_waitcnt vmcnt(28) lgkmcnt(1)
	v_fma_f64 v[63:64], v[79:80], v[63:64], v[73:74]
	s_clause 0x7
	buffer_load_dword v74, off, s[0:3], 0 offset:188
	buffer_load_dword v75, off, s[0:3], 0 offset:208
	;; [unrolled: 1-line block ×8, first 2 shown]
	s_waitcnt vmcnt(34)
	v_fma_f64 v[63:64], v[81:82], v[65:66], v[63:64]
	s_waitcnt vmcnt(32) lgkmcnt(0)
	v_fma_f64 v[63:64], v[83:84], v[67:68], v[63:64]
	s_waitcnt vmcnt(27)
	v_fma_f64 v[81:82], v[85:86], v[69:70], v[63:64]
	ds_read_b128 v[63:66], v62 offset:336
	ds_read_b128 v[67:70], v62 offset:352
	s_waitcnt vmcnt(26) lgkmcnt(1)
	v_fma_f64 v[63:64], v[91:92], v[63:64], v[81:82]
	s_clause 0x5
	buffer_load_dword v82, off, s[0:3], 0 offset:220
	buffer_load_dword v83, off, s[0:3], 0 offset:232
	;; [unrolled: 1-line block ×6, first 2 shown]
	s_waitcnt vmcnt(31)
	v_fma_f64 v[63:64], v[89:90], v[65:66], v[63:64]
	s_waitcnt vmcnt(30) lgkmcnt(0)
	v_fma_f64 v[63:64], v[87:88], v[67:68], v[63:64]
	s_waitcnt vmcnt(25)
	v_fma_f64 v[87:88], v[93:94], v[69:70], v[63:64]
	ds_read_b128 v[63:66], v62 offset:368
	s_clause 0x1
	buffer_load_dword v89, off, s[0:3], 0 offset:24
	buffer_load_dword v90, off, s[0:3], 0 offset:28
	ds_read_b128 v[67:70], v62 offset:384
	s_waitcnt vmcnt(26) lgkmcnt(1)
	v_fma_f64 v[63:64], v[99:100], v[63:64], v[87:88]
	s_waitcnt vmcnt(25)
	v_fma_f64 v[63:64], v[97:98], v[65:66], v[63:64]
	s_waitcnt vmcnt(24) lgkmcnt(0)
	v_fma_f64 v[63:64], v[95:96], v[67:68], v[63:64]
	s_waitcnt vmcnt(19)
	v_fma_f64 v[71:72], v[71:72], v[69:70], v[63:64]
	ds_read_b128 v[63:66], v62 offset:400
	ds_read_b128 v[67:70], v62 offset:416
	s_waitcnt vmcnt(18) lgkmcnt(1)
	v_fma_f64 v[63:64], v[105:106], v[63:64], v[71:72]
	s_waitcnt vmcnt(17)
	v_fma_f64 v[63:64], v[103:104], v[65:66], v[63:64]
	s_waitcnt vmcnt(16) lgkmcnt(0)
	v_fma_f64 v[63:64], v[101:102], v[67:68], v[63:64]
	s_waitcnt vmcnt(11)
	v_fma_f64 v[71:72], v[73:74], v[69:70], v[63:64]
	ds_read_b128 v[63:66], v62 offset:432
	;; [unrolled: 10-line block ×3, first 2 shown]
	s_waitcnt vmcnt(3) lgkmcnt(0)
	v_fma_f64 v[62:63], v[85:86], v[62:63], v[66:67]
	s_waitcnt vmcnt(2)
	v_fma_f64 v[62:63], v[83:84], v[64:65], v[62:63]
	s_waitcnt vmcnt(0)
	v_add_f64 v[62:63], v[89:90], -v[62:63]
	buffer_store_dword v63, off, s[0:3], 0 offset:28
	buffer_store_dword v62, off, s[0:3], 0 offset:24
	v_cmpx_lt_u32_e32 2, v0
	s_cbranch_execz .LBB29_185
; %bb.184:
	s_clause 0x1
	buffer_load_dword v62, off, s[0:3], 0 offset:16
	buffer_load_dword v63, off, s[0:3], 0 offset:20
	v_mov_b32_e32 v64, 0
	buffer_store_dword v64, off, s[0:3], 0 offset:16
	buffer_store_dword v64, off, s[0:3], 0 offset:20
	s_waitcnt vmcnt(0)
	ds_write_b64 v61, v[62:63]
.LBB29_185:
	s_or_b32 exec_lo, exec_lo, s4
	s_waitcnt lgkmcnt(0)
	s_waitcnt_vscnt null, 0x0
	s_barrier
	buffer_gl0_inv
	s_clause 0x1c
	buffer_load_dword v71, off, s[0:3], 0 offset:24
	buffer_load_dword v72, off, s[0:3], 0 offset:28
	;; [unrolled: 1-line block ×29, first 2 shown]
	v_mov_b32_e32 v62, 0
	buffer_load_dword v96, off, s[0:3], 0 offset:140
	s_mov_b32 s4, exec_lo
	ds_read2_b64 v[63:66], v62 offset0:33 offset1:34
	ds_read2_b64 v[67:70], v62 offset0:35 offset1:36
	s_waitcnt vmcnt(28) lgkmcnt(1)
	v_fma_f64 v[63:64], v[71:72], v[63:64], 0
	s_clause 0x7
	buffer_load_dword v72, off, s[0:3], 0 offset:148
	buffer_load_dword v101, off, s[0:3], 0 offset:168
	buffer_load_dword v103, off, s[0:3], 0 offset:160
	buffer_load_dword v105, off, s[0:3], 0 offset:152
	buffer_load_dword v71, off, s[0:3], 0 offset:144
	buffer_load_dword v106, off, s[0:3], 0 offset:156
	buffer_load_dword v104, off, s[0:3], 0 offset:164
	buffer_load_dword v102, off, s[0:3], 0 offset:172
	s_waitcnt vmcnt(34)
	v_fma_f64 v[63:64], v[73:74], v[65:66], v[63:64]
	s_waitcnt vmcnt(32) lgkmcnt(0)
	v_fma_f64 v[63:64], v[75:76], v[67:68], v[63:64]
	s_waitcnt vmcnt(30)
	v_fma_f64 v[73:74], v[77:78], v[69:70], v[63:64]
	ds_read2_b64 v[63:66], v62 offset0:37 offset1:38
	ds_read2_b64 v[67:70], v62 offset0:39 offset1:40
	s_waitcnt vmcnt(28) lgkmcnt(1)
	v_fma_f64 v[63:64], v[79:80], v[63:64], v[73:74]
	s_clause 0x7
	buffer_load_dword v74, off, s[0:3], 0 offset:180
	buffer_load_dword v75, off, s[0:3], 0 offset:200
	buffer_load_dword v77, off, s[0:3], 0 offset:192
	buffer_load_dword v79, off, s[0:3], 0 offset:184
	buffer_load_dword v73, off, s[0:3], 0 offset:176
	buffer_load_dword v80, off, s[0:3], 0 offset:188
	buffer_load_dword v78, off, s[0:3], 0 offset:196
	buffer_load_dword v76, off, s[0:3], 0 offset:204
	s_waitcnt vmcnt(34)
	v_fma_f64 v[63:64], v[81:82], v[65:66], v[63:64]
	s_waitcnt vmcnt(32) lgkmcnt(0)
	v_fma_f64 v[63:64], v[83:84], v[67:68], v[63:64]
	s_waitcnt vmcnt(27)
	v_fma_f64 v[81:82], v[85:86], v[69:70], v[63:64]
	;; [unrolled: 19-line block ×3, first 2 shown]
	ds_read2_b64 v[63:66], v62 offset0:45 offset1:46
	ds_read2_b64 v[67:70], v62 offset0:47 offset1:48
	s_waitcnt vmcnt(26) lgkmcnt(1)
	v_fma_f64 v[63:64], v[99:100], v[63:64], v[87:88]
	s_clause 0x1
	buffer_load_dword v87, off, s[0:3], 0 offset:16
	buffer_load_dword v88, off, s[0:3], 0 offset:20
	s_waitcnt vmcnt(27)
	v_fma_f64 v[63:64], v[97:98], v[65:66], v[63:64]
	s_waitcnt vmcnt(26) lgkmcnt(0)
	v_fma_f64 v[63:64], v[95:96], v[67:68], v[63:64]
	s_waitcnt vmcnt(21)
	v_fma_f64 v[71:72], v[71:72], v[69:70], v[63:64]
	ds_read2_b64 v[63:66], v62 offset0:49 offset1:50
	ds_read2_b64 v[67:70], v62 offset0:51 offset1:52
	s_waitcnt vmcnt(20) lgkmcnt(1)
	v_fma_f64 v[63:64], v[105:106], v[63:64], v[71:72]
	s_waitcnt vmcnt(19)
	v_fma_f64 v[63:64], v[103:104], v[65:66], v[63:64]
	s_waitcnt vmcnt(18) lgkmcnt(0)
	v_fma_f64 v[63:64], v[101:102], v[67:68], v[63:64]
	s_waitcnt vmcnt(13)
	v_fma_f64 v[71:72], v[73:74], v[69:70], v[63:64]
	ds_read2_b64 v[63:66], v62 offset0:53 offset1:54
	ds_read2_b64 v[67:70], v62 offset0:55 offset1:56
	s_waitcnt vmcnt(12) lgkmcnt(1)
	v_fma_f64 v[63:64], v[79:80], v[63:64], v[71:72]
	s_waitcnt vmcnt(11)
	v_fma_f64 v[63:64], v[77:78], v[65:66], v[63:64]
	s_waitcnt vmcnt(10) lgkmcnt(0)
	v_fma_f64 v[63:64], v[75:76], v[67:68], v[63:64]
	s_waitcnt vmcnt(5)
	v_fma_f64 v[67:68], v[81:82], v[69:70], v[63:64]
	ds_read2_b64 v[63:66], v62 offset0:57 offset1:58
	ds_read_b64 v[69:70], v62 offset:472
	s_waitcnt vmcnt(4) lgkmcnt(1)
	v_fma_f64 v[63:64], v[91:92], v[63:64], v[67:68]
	s_waitcnt vmcnt(3)
	v_fma_f64 v[63:64], v[85:86], v[65:66], v[63:64]
	s_waitcnt vmcnt(2) lgkmcnt(0)
	v_fma_f64 v[63:64], v[83:84], v[69:70], v[63:64]
	s_waitcnt vmcnt(0)
	v_add_f64 v[63:64], v[87:88], -v[63:64]
	buffer_store_dword v64, off, s[0:3], 0 offset:20
	buffer_store_dword v63, off, s[0:3], 0 offset:16
	v_cmpx_lt_u32_e32 1, v0
	s_cbranch_execz .LBB29_187
; %bb.186:
	s_clause 0x1
	buffer_load_dword v63, off, s[0:3], 0 offset:8
	buffer_load_dword v64, off, s[0:3], 0 offset:12
	buffer_store_dword v62, off, s[0:3], 0 offset:8
	buffer_store_dword v62, off, s[0:3], 0 offset:12
	s_waitcnt vmcnt(0)
	ds_write_b64 v61, v[63:64]
.LBB29_187:
	s_or_b32 exec_lo, exec_lo, s4
	s_waitcnt lgkmcnt(0)
	s_waitcnt_vscnt null, 0x0
	s_barrier
	buffer_gl0_inv
	s_clause 0x1c
	buffer_load_dword v71, off, s[0:3], 0 offset:16
	buffer_load_dword v72, off, s[0:3], 0 offset:20
	;; [unrolled: 1-line block ×29, first 2 shown]
	ds_read_b128 v[63:66], v62 offset:256
	ds_read_b128 v[67:70], v62 offset:272
	buffer_load_dword v96, off, s[0:3], 0 offset:132
	s_mov_b32 s4, exec_lo
	s_waitcnt vmcnt(28) lgkmcnt(1)
	v_fma_f64 v[63:64], v[71:72], v[63:64], 0
	s_clause 0x7
	buffer_load_dword v72, off, s[0:3], 0 offset:140
	buffer_load_dword v101, off, s[0:3], 0 offset:160
	buffer_load_dword v103, off, s[0:3], 0 offset:152
	buffer_load_dword v105, off, s[0:3], 0 offset:144
	buffer_load_dword v71, off, s[0:3], 0 offset:136
	buffer_load_dword v106, off, s[0:3], 0 offset:148
	buffer_load_dword v104, off, s[0:3], 0 offset:156
	buffer_load_dword v102, off, s[0:3], 0 offset:164
	s_waitcnt vmcnt(34)
	v_fma_f64 v[63:64], v[73:74], v[65:66], v[63:64]
	s_waitcnt vmcnt(32) lgkmcnt(0)
	v_fma_f64 v[63:64], v[75:76], v[67:68], v[63:64]
	s_waitcnt vmcnt(30)
	v_fma_f64 v[73:74], v[77:78], v[69:70], v[63:64]
	ds_read_b128 v[63:66], v62 offset:288
	ds_read_b128 v[67:70], v62 offset:304
	s_waitcnt vmcnt(28) lgkmcnt(1)
	v_fma_f64 v[63:64], v[79:80], v[63:64], v[73:74]
	s_clause 0x7
	buffer_load_dword v74, off, s[0:3], 0 offset:172
	buffer_load_dword v75, off, s[0:3], 0 offset:192
	buffer_load_dword v77, off, s[0:3], 0 offset:184
	buffer_load_dword v79, off, s[0:3], 0 offset:176
	buffer_load_dword v73, off, s[0:3], 0 offset:168
	buffer_load_dword v80, off, s[0:3], 0 offset:180
	buffer_load_dword v78, off, s[0:3], 0 offset:188
	buffer_load_dword v76, off, s[0:3], 0 offset:196
	s_waitcnt vmcnt(34)
	v_fma_f64 v[63:64], v[81:82], v[65:66], v[63:64]
	s_waitcnt vmcnt(32) lgkmcnt(0)
	v_fma_f64 v[63:64], v[83:84], v[67:68], v[63:64]
	s_waitcnt vmcnt(27)
	v_fma_f64 v[81:82], v[85:86], v[69:70], v[63:64]
	ds_read_b128 v[63:66], v62 offset:320
	ds_read_b128 v[67:70], v62 offset:336
	;; [unrolled: 19-line block ×3, first 2 shown]
	s_waitcnt vmcnt(26) lgkmcnt(1)
	v_fma_f64 v[63:64], v[99:100], v[63:64], v[87:88]
	s_clause 0x3
	buffer_load_dword v88, off, s[0:3], 0 offset:236
	buffer_load_dword v87, off, s[0:3], 0 offset:232
	;; [unrolled: 1-line block ×4, first 2 shown]
	s_waitcnt vmcnt(29)
	v_fma_f64 v[63:64], v[97:98], v[65:66], v[63:64]
	s_waitcnt vmcnt(28) lgkmcnt(0)
	v_fma_f64 v[63:64], v[95:96], v[67:68], v[63:64]
	s_waitcnt vmcnt(23)
	v_fma_f64 v[71:72], v[71:72], v[69:70], v[63:64]
	ds_read_b128 v[63:66], v62 offset:384
	ds_read_b128 v[67:70], v62 offset:400
	s_waitcnt vmcnt(22) lgkmcnt(1)
	v_fma_f64 v[63:64], v[105:106], v[63:64], v[71:72]
	s_waitcnt vmcnt(21)
	v_fma_f64 v[63:64], v[103:104], v[65:66], v[63:64]
	s_waitcnt vmcnt(20) lgkmcnt(0)
	v_fma_f64 v[63:64], v[101:102], v[67:68], v[63:64]
	s_waitcnt vmcnt(15)
	v_fma_f64 v[71:72], v[73:74], v[69:70], v[63:64]
	ds_read_b128 v[63:66], v62 offset:416
	ds_read_b128 v[67:70], v62 offset:432
	s_waitcnt vmcnt(14) lgkmcnt(1)
	v_fma_f64 v[63:64], v[79:80], v[63:64], v[71:72]
	;; [unrolled: 10-line block ×3, first 2 shown]
	s_waitcnt vmcnt(5)
	v_fma_f64 v[62:63], v[85:86], v[65:66], v[62:63]
	s_waitcnt vmcnt(4) lgkmcnt(0)
	v_fma_f64 v[62:63], v[83:84], v[67:68], v[62:63]
	s_waitcnt vmcnt(2)
	v_fma_f64 v[62:63], v[87:88], v[69:70], v[62:63]
	s_waitcnt vmcnt(0)
	v_add_f64 v[62:63], v[89:90], -v[62:63]
	buffer_store_dword v63, off, s[0:3], 0 offset:12
	buffer_store_dword v62, off, s[0:3], 0 offset:8
	v_cmpx_ne_u32_e32 0, v0
	s_cbranch_execz .LBB29_189
; %bb.188:
	s_clause 0x1
	buffer_load_dword v62, off, s[0:3], 0
	buffer_load_dword v63, off, s[0:3], 0 offset:4
	v_mov_b32_e32 v0, 0
	buffer_store_dword v0, off, s[0:3], 0
	buffer_store_dword v0, off, s[0:3], 0 offset:4
	s_waitcnt vmcnt(0)
	ds_write_b64 v61, v[62:63]
.LBB29_189:
	s_or_b32 exec_lo, exec_lo, s4
	s_waitcnt lgkmcnt(0)
	s_waitcnt_vscnt null, 0x0
	s_barrier
	buffer_gl0_inv
	s_clause 0x1c
	buffer_load_dword v69, off, s[0:3], 0 offset:8
	buffer_load_dword v70, off, s[0:3], 0 offset:12
	;; [unrolled: 1-line block ×29, first 2 shown]
	v_mov_b32_e32 v0, 0
	buffer_load_dword v94, off, s[0:3], 0 offset:124
	s_and_b32 vcc_lo, exec_lo, s22
	ds_read2_b64 v[61:64], v0 offset0:31 offset1:32
	ds_read2_b64 v[65:68], v0 offset0:33 offset1:34
	s_waitcnt vmcnt(28) lgkmcnt(1)
	v_fma_f64 v[61:62], v[69:70], v[61:62], 0
	s_clause 0x7
	buffer_load_dword v70, off, s[0:3], 0 offset:132
	buffer_load_dword v99, off, s[0:3], 0 offset:152
	buffer_load_dword v101, off, s[0:3], 0 offset:144
	buffer_load_dword v103, off, s[0:3], 0 offset:136
	buffer_load_dword v69, off, s[0:3], 0 offset:128
	buffer_load_dword v104, off, s[0:3], 0 offset:140
	buffer_load_dword v102, off, s[0:3], 0 offset:148
	buffer_load_dword v100, off, s[0:3], 0 offset:156
	s_waitcnt vmcnt(34)
	v_fma_f64 v[61:62], v[71:72], v[63:64], v[61:62]
	s_waitcnt vmcnt(32) lgkmcnt(0)
	v_fma_f64 v[61:62], v[73:74], v[65:66], v[61:62]
	s_waitcnt vmcnt(30)
	v_fma_f64 v[71:72], v[75:76], v[67:68], v[61:62]
	ds_read2_b64 v[61:64], v0 offset0:35 offset1:36
	ds_read2_b64 v[65:68], v0 offset0:37 offset1:38
	s_waitcnt vmcnt(28) lgkmcnt(1)
	v_fma_f64 v[61:62], v[77:78], v[61:62], v[71:72]
	s_clause 0x7
	buffer_load_dword v72, off, s[0:3], 0 offset:164
	buffer_load_dword v73, off, s[0:3], 0 offset:184
	buffer_load_dword v75, off, s[0:3], 0 offset:176
	buffer_load_dword v77, off, s[0:3], 0 offset:168
	buffer_load_dword v71, off, s[0:3], 0 offset:160
	buffer_load_dword v78, off, s[0:3], 0 offset:172
	buffer_load_dword v76, off, s[0:3], 0 offset:180
	buffer_load_dword v74, off, s[0:3], 0 offset:188
	s_waitcnt vmcnt(34)
	v_fma_f64 v[61:62], v[79:80], v[63:64], v[61:62]
	s_waitcnt vmcnt(32) lgkmcnt(0)
	v_fma_f64 v[61:62], v[81:82], v[65:66], v[61:62]
	s_waitcnt vmcnt(27)
	v_fma_f64 v[79:80], v[83:84], v[67:68], v[61:62]
	;; [unrolled: 19-line block ×3, first 2 shown]
	ds_read2_b64 v[61:64], v0 offset0:43 offset1:44
	ds_read2_b64 v[65:68], v0 offset0:45 offset1:46
	s_waitcnt vmcnt(26) lgkmcnt(1)
	v_fma_f64 v[85:86], v[97:98], v[61:62], v[85:86]
	s_clause 0x3
	buffer_load_dword v62, off, s[0:3], 0 offset:228
	buffer_load_dword v87, off, s[0:3], 0 offset:232
	;; [unrolled: 1-line block ×4, first 2 shown]
	s_waitcnt vmcnt(29)
	v_fma_f64 v[63:64], v[95:96], v[63:64], v[85:86]
	s_clause 0x1
	buffer_load_dword v85, off, s[0:3], 0
	buffer_load_dword v86, off, s[0:3], 0 offset:4
	s_waitcnt vmcnt(30) lgkmcnt(0)
	v_fma_f64 v[63:64], v[93:94], v[65:66], v[63:64]
	s_waitcnt vmcnt(25)
	v_fma_f64 v[91:92], v[69:70], v[67:68], v[63:64]
	ds_read2_b64 v[63:66], v0 offset0:47 offset1:48
	ds_read2_b64 v[67:70], v0 offset0:49 offset1:50
	s_waitcnt vmcnt(24) lgkmcnt(1)
	v_fma_f64 v[63:64], v[103:104], v[63:64], v[91:92]
	s_waitcnt vmcnt(23)
	v_fma_f64 v[63:64], v[101:102], v[65:66], v[63:64]
	s_waitcnt vmcnt(22) lgkmcnt(0)
	v_fma_f64 v[63:64], v[99:100], v[67:68], v[63:64]
	s_waitcnt vmcnt(17)
	v_fma_f64 v[71:72], v[71:72], v[69:70], v[63:64]
	ds_read2_b64 v[63:66], v0 offset0:51 offset1:52
	ds_read2_b64 v[67:70], v0 offset0:53 offset1:54
	s_waitcnt vmcnt(16) lgkmcnt(1)
	v_fma_f64 v[63:64], v[77:78], v[63:64], v[71:72]
	s_waitcnt vmcnt(15)
	v_fma_f64 v[63:64], v[75:76], v[65:66], v[63:64]
	;; [unrolled: 10-line block ×3, first 2 shown]
	ds_read_b64 v[65:66], v0 offset:472
	s_waitcnt vmcnt(6) lgkmcnt(1)
	v_fma_f64 v[63:64], v[81:82], v[67:68], v[63:64]
	s_waitcnt vmcnt(3)
	v_fma_f64 v[63:64], v[61:62], v[69:70], v[63:64]
	s_waitcnt vmcnt(2) lgkmcnt(0)
	v_fma_f64 v[63:64], v[87:88], v[65:66], v[63:64]
	s_waitcnt vmcnt(0)
	v_add_f64 v[63:64], v[85:86], -v[63:64]
	buffer_store_dword v64, off, s[0:3], 0 offset:4
	buffer_store_dword v63, off, s[0:3], 0
	s_cbranch_vccz .LBB29_248
; %bb.190:
	global_load_dword v0, v0, s[20:21] offset:112
	s_waitcnt vmcnt(0)
	v_add_nc_u32_e32 v0, -1, v0
	v_cmp_ne_u32_e32 vcc_lo, 28, v0
	s_cbranch_vccz .LBB29_192
; %bb.191:
	v_lshlrev_b32_e32 v0, 3, v0
	s_clause 0x1
	buffer_load_dword v63, v0, s[0:3], 0 offen offset:4
	buffer_load_dword v64, v0, s[0:3], 0 offen
	s_waitcnt vmcnt(1)
	buffer_store_dword v63, off, s[0:3], 0 offset:228
	s_waitcnt vmcnt(0)
	buffer_store_dword v64, off, s[0:3], 0 offset:224
	buffer_store_dword v62, v0, s[0:3], 0 offen offset:4
	buffer_store_dword v61, v0, s[0:3], 0 offen
.LBB29_192:
	v_mov_b32_e32 v0, 0
	global_load_dword v61, v0, s[20:21] offset:108
	s_waitcnt vmcnt(0)
	v_add_nc_u32_e32 v61, -1, v61
	v_cmp_eq_u32_e32 vcc_lo, 27, v61
	s_cbranch_vccnz .LBB29_194
; %bb.193:
	v_lshlrev_b32_e32 v61, 3, v61
	s_clause 0x3
	buffer_load_dword v62, v61, s[0:3], 0 offen
	buffer_load_dword v63, v61, s[0:3], 0 offen offset:4
	buffer_load_dword v64, off, s[0:3], 0 offset:216
	buffer_load_dword v65, off, s[0:3], 0 offset:220
	s_waitcnt vmcnt(3)
	buffer_store_dword v62, off, s[0:3], 0 offset:216
	s_waitcnt vmcnt(2)
	buffer_store_dword v63, off, s[0:3], 0 offset:220
	s_waitcnt vmcnt(1)
	buffer_store_dword v64, v61, s[0:3], 0 offen
	s_waitcnt vmcnt(0)
	buffer_store_dword v65, v61, s[0:3], 0 offen offset:4
.LBB29_194:
	global_load_dword v0, v0, s[20:21] offset:104
	s_waitcnt vmcnt(0)
	v_add_nc_u32_e32 v0, -1, v0
	v_cmp_eq_u32_e32 vcc_lo, 26, v0
	s_cbranch_vccnz .LBB29_196
; %bb.195:
	v_lshlrev_b32_e32 v0, 3, v0
	s_clause 0x3
	buffer_load_dword v61, v0, s[0:3], 0 offen
	buffer_load_dword v62, v0, s[0:3], 0 offen offset:4
	buffer_load_dword v63, off, s[0:3], 0 offset:212
	buffer_load_dword v64, off, s[0:3], 0 offset:208
	s_waitcnt vmcnt(3)
	buffer_store_dword v61, off, s[0:3], 0 offset:208
	s_waitcnt vmcnt(2)
	buffer_store_dword v62, off, s[0:3], 0 offset:212
	s_waitcnt vmcnt(1)
	buffer_store_dword v63, v0, s[0:3], 0 offen offset:4
	s_waitcnt vmcnt(0)
	buffer_store_dword v64, v0, s[0:3], 0 offen
.LBB29_196:
	v_mov_b32_e32 v0, 0
	global_load_dword v61, v0, s[20:21] offset:100
	s_waitcnt vmcnt(0)
	v_add_nc_u32_e32 v61, -1, v61
	v_cmp_eq_u32_e32 vcc_lo, 25, v61
	s_cbranch_vccnz .LBB29_198
; %bb.197:
	v_lshlrev_b32_e32 v61, 3, v61
	s_clause 0x3
	buffer_load_dword v62, v61, s[0:3], 0 offen
	buffer_load_dword v63, v61, s[0:3], 0 offen offset:4
	buffer_load_dword v64, off, s[0:3], 0 offset:200
	buffer_load_dword v65, off, s[0:3], 0 offset:204
	s_waitcnt vmcnt(3)
	buffer_store_dword v62, off, s[0:3], 0 offset:200
	s_waitcnt vmcnt(2)
	buffer_store_dword v63, off, s[0:3], 0 offset:204
	s_waitcnt vmcnt(1)
	buffer_store_dword v64, v61, s[0:3], 0 offen
	s_waitcnt vmcnt(0)
	buffer_store_dword v65, v61, s[0:3], 0 offen offset:4
.LBB29_198:
	global_load_dword v0, v0, s[20:21] offset:96
	s_waitcnt vmcnt(0)
	v_add_nc_u32_e32 v0, -1, v0
	v_cmp_eq_u32_e32 vcc_lo, 24, v0
	s_cbranch_vccnz .LBB29_200
; %bb.199:
	v_lshlrev_b32_e32 v0, 3, v0
	s_clause 0x3
	buffer_load_dword v61, v0, s[0:3], 0 offen
	buffer_load_dword v62, v0, s[0:3], 0 offen offset:4
	buffer_load_dword v63, off, s[0:3], 0 offset:196
	buffer_load_dword v64, off, s[0:3], 0 offset:192
	s_waitcnt vmcnt(3)
	buffer_store_dword v61, off, s[0:3], 0 offset:192
	s_waitcnt vmcnt(2)
	buffer_store_dword v62, off, s[0:3], 0 offset:196
	s_waitcnt vmcnt(1)
	buffer_store_dword v63, v0, s[0:3], 0 offen offset:4
	s_waitcnt vmcnt(0)
	buffer_store_dword v64, v0, s[0:3], 0 offen
.LBB29_200:
	;; [unrolled: 43-line block ×13, first 2 shown]
	v_mov_b32_e32 v0, 0
	global_load_dword v61, v0, s[20:21] offset:4
	s_waitcnt vmcnt(0)
	v_add_nc_u32_e32 v61, -1, v61
	v_cmp_eq_u32_e32 vcc_lo, 1, v61
	s_cbranch_vccnz .LBB29_246
; %bb.245:
	v_lshlrev_b32_e32 v61, 3, v61
	s_clause 0x3
	buffer_load_dword v62, v61, s[0:3], 0 offen
	buffer_load_dword v63, v61, s[0:3], 0 offen offset:4
	buffer_load_dword v64, off, s[0:3], 0 offset:8
	buffer_load_dword v65, off, s[0:3], 0 offset:12
	s_waitcnt vmcnt(3)
	buffer_store_dword v62, off, s[0:3], 0 offset:8
	s_waitcnt vmcnt(2)
	buffer_store_dword v63, off, s[0:3], 0 offset:12
	s_waitcnt vmcnt(1)
	buffer_store_dword v64, v61, s[0:3], 0 offen
	s_waitcnt vmcnt(0)
	buffer_store_dword v65, v61, s[0:3], 0 offen offset:4
.LBB29_246:
	global_load_dword v0, v0, s[20:21]
	s_clause 0x1
	buffer_load_dword v63, off, s[0:3], 0
	buffer_load_dword v64, off, s[0:3], 0 offset:4
	s_waitcnt vmcnt(2)
	v_add_nc_u32_e32 v0, -1, v0
	v_cmp_eq_u32_e32 vcc_lo, 0, v0
	s_cbranch_vccnz .LBB29_248
; %bb.247:
	v_lshlrev_b32_e32 v0, 3, v0
	s_clause 0x1
	buffer_load_dword v61, v0, s[0:3], 0 offen offset:4
	buffer_load_dword v62, v0, s[0:3], 0 offen
	s_waitcnt vmcnt(1)
	buffer_store_dword v61, off, s[0:3], 0 offset:4
	s_waitcnt vmcnt(0)
	buffer_store_dword v62, off, s[0:3], 0
	buffer_store_dword v64, v0, s[0:3], 0 offen offset:4
	buffer_store_dword v63, v0, s[0:3], 0 offen
	s_clause 0x1
	buffer_load_dword v63, off, s[0:3], 0
	buffer_load_dword v64, off, s[0:3], 0 offset:4
.LBB29_248:
	s_clause 0x3
	buffer_load_dword v61, off, s[0:3], 0 offset:8
	buffer_load_dword v62, off, s[0:3], 0 offset:12
	;; [unrolled: 1-line block ×4, first 2 shown]
	s_waitcnt vmcnt(4)
	global_store_dwordx2 v[43:44], v[63:64], off
	s_clause 0x2b
	buffer_load_dword v43, off, s[0:3], 0 offset:24
	buffer_load_dword v44, off, s[0:3], 0 offset:28
	;; [unrolled: 1-line block ×44, first 2 shown]
	s_waitcnt vmcnt(46)
	global_store_dwordx2 v[11:12], v[61:62], off
	s_waitcnt vmcnt(44)
	global_store_dwordx2 v[9:10], v[65:66], off
	s_clause 0x9
	buffer_load_dword v9, off, s[0:3], 0 offset:200
	buffer_load_dword v10, off, s[0:3], 0 offset:204
	;; [unrolled: 1-line block ×10, first 2 shown]
	s_waitcnt vmcnt(52)
	global_store_dwordx2 v[1:2], v[43:44], off
	s_waitcnt vmcnt(50)
	global_store_dwordx2 v[3:4], v[63:64], off
	;; [unrolled: 2-line block ×27, first 2 shown]
	s_endpgm
	.section	.rodata,"a",@progbits
	.p2align	6, 0x0
	.amdhsa_kernel _ZN9rocsolver6v33100L18getri_kernel_smallILi30EdPdEEvT1_iilPiilS4_bb
		.amdhsa_group_segment_fixed_size 488
		.amdhsa_private_segment_fixed_size 256
		.amdhsa_kernarg_size 60
		.amdhsa_user_sgpr_count 6
		.amdhsa_user_sgpr_private_segment_buffer 1
		.amdhsa_user_sgpr_dispatch_ptr 0
		.amdhsa_user_sgpr_queue_ptr 0
		.amdhsa_user_sgpr_kernarg_segment_ptr 1
		.amdhsa_user_sgpr_dispatch_id 0
		.amdhsa_user_sgpr_flat_scratch_init 0
		.amdhsa_user_sgpr_private_segment_size 0
		.amdhsa_wavefront_size32 1
		.amdhsa_uses_dynamic_stack 0
		.amdhsa_system_sgpr_private_segment_wavefront_offset 1
		.amdhsa_system_sgpr_workgroup_id_x 1
		.amdhsa_system_sgpr_workgroup_id_y 0
		.amdhsa_system_sgpr_workgroup_id_z 0
		.amdhsa_system_sgpr_workgroup_info 0
		.amdhsa_system_vgpr_workitem_id 0
		.amdhsa_next_free_vgpr 109
		.amdhsa_next_free_sgpr 23
		.amdhsa_reserve_vcc 1
		.amdhsa_reserve_flat_scratch 0
		.amdhsa_float_round_mode_32 0
		.amdhsa_float_round_mode_16_64 0
		.amdhsa_float_denorm_mode_32 3
		.amdhsa_float_denorm_mode_16_64 3
		.amdhsa_dx10_clamp 1
		.amdhsa_ieee_mode 1
		.amdhsa_fp16_overflow 0
		.amdhsa_workgroup_processor_mode 1
		.amdhsa_memory_ordered 1
		.amdhsa_forward_progress 1
		.amdhsa_shared_vgpr_count 0
		.amdhsa_exception_fp_ieee_invalid_op 0
		.amdhsa_exception_fp_denorm_src 0
		.amdhsa_exception_fp_ieee_div_zero 0
		.amdhsa_exception_fp_ieee_overflow 0
		.amdhsa_exception_fp_ieee_underflow 0
		.amdhsa_exception_fp_ieee_inexact 0
		.amdhsa_exception_int_div_zero 0
	.end_amdhsa_kernel
	.section	.text._ZN9rocsolver6v33100L18getri_kernel_smallILi30EdPdEEvT1_iilPiilS4_bb,"axG",@progbits,_ZN9rocsolver6v33100L18getri_kernel_smallILi30EdPdEEvT1_iilPiilS4_bb,comdat
.Lfunc_end29:
	.size	_ZN9rocsolver6v33100L18getri_kernel_smallILi30EdPdEEvT1_iilPiilS4_bb, .Lfunc_end29-_ZN9rocsolver6v33100L18getri_kernel_smallILi30EdPdEEvT1_iilPiilS4_bb
                                        ; -- End function
	.set _ZN9rocsolver6v33100L18getri_kernel_smallILi30EdPdEEvT1_iilPiilS4_bb.num_vgpr, 109
	.set _ZN9rocsolver6v33100L18getri_kernel_smallILi30EdPdEEvT1_iilPiilS4_bb.num_agpr, 0
	.set _ZN9rocsolver6v33100L18getri_kernel_smallILi30EdPdEEvT1_iilPiilS4_bb.numbered_sgpr, 23
	.set _ZN9rocsolver6v33100L18getri_kernel_smallILi30EdPdEEvT1_iilPiilS4_bb.num_named_barrier, 0
	.set _ZN9rocsolver6v33100L18getri_kernel_smallILi30EdPdEEvT1_iilPiilS4_bb.private_seg_size, 256
	.set _ZN9rocsolver6v33100L18getri_kernel_smallILi30EdPdEEvT1_iilPiilS4_bb.uses_vcc, 1
	.set _ZN9rocsolver6v33100L18getri_kernel_smallILi30EdPdEEvT1_iilPiilS4_bb.uses_flat_scratch, 0
	.set _ZN9rocsolver6v33100L18getri_kernel_smallILi30EdPdEEvT1_iilPiilS4_bb.has_dyn_sized_stack, 0
	.set _ZN9rocsolver6v33100L18getri_kernel_smallILi30EdPdEEvT1_iilPiilS4_bb.has_recursion, 0
	.set _ZN9rocsolver6v33100L18getri_kernel_smallILi30EdPdEEvT1_iilPiilS4_bb.has_indirect_call, 0
	.section	.AMDGPU.csdata,"",@progbits
; Kernel info:
; codeLenInByte = 31068
; TotalNumSgprs: 25
; NumVgprs: 109
; ScratchSize: 256
; MemoryBound: 0
; FloatMode: 240
; IeeeMode: 1
; LDSByteSize: 488 bytes/workgroup (compile time only)
; SGPRBlocks: 0
; VGPRBlocks: 13
; NumSGPRsForWavesPerEU: 25
; NumVGPRsForWavesPerEU: 109
; Occupancy: 9
; WaveLimiterHint : 1
; COMPUTE_PGM_RSRC2:SCRATCH_EN: 1
; COMPUTE_PGM_RSRC2:USER_SGPR: 6
; COMPUTE_PGM_RSRC2:TRAP_HANDLER: 0
; COMPUTE_PGM_RSRC2:TGID_X_EN: 1
; COMPUTE_PGM_RSRC2:TGID_Y_EN: 0
; COMPUTE_PGM_RSRC2:TGID_Z_EN: 0
; COMPUTE_PGM_RSRC2:TIDIG_COMP_CNT: 0
	.section	.text._ZN9rocsolver6v33100L18getri_kernel_smallILi31EdPdEEvT1_iilPiilS4_bb,"axG",@progbits,_ZN9rocsolver6v33100L18getri_kernel_smallILi31EdPdEEvT1_iilPiilS4_bb,comdat
	.globl	_ZN9rocsolver6v33100L18getri_kernel_smallILi31EdPdEEvT1_iilPiilS4_bb ; -- Begin function _ZN9rocsolver6v33100L18getri_kernel_smallILi31EdPdEEvT1_iilPiilS4_bb
	.p2align	8
	.type	_ZN9rocsolver6v33100L18getri_kernel_smallILi31EdPdEEvT1_iilPiilS4_bb,@function
_ZN9rocsolver6v33100L18getri_kernel_smallILi31EdPdEEvT1_iilPiilS4_bb: ; @_ZN9rocsolver6v33100L18getri_kernel_smallILi31EdPdEEvT1_iilPiilS4_bb
; %bb.0:
	s_add_u32 s0, s0, s7
	s_addc_u32 s1, s1, 0
	s_mov_b32 s7, exec_lo
	v_cmpx_gt_u32_e32 31, v0
	s_cbranch_execz .LBB30_134
; %bb.1:
	s_clause 0x2
	s_load_dword s7, s[4:5], 0x38
	s_load_dwordx4 s[16:19], s[4:5], 0x10
	s_load_dwordx4 s[8:11], s[4:5], 0x28
                                        ; implicit-def: $sgpr20_sgpr21
	s_waitcnt lgkmcnt(0)
	s_bitcmp1_b32 s7, 8
	s_cselect_b32 s22, -1, 0
	s_bfe_u32 s12, s7, 0x10008
	s_ashr_i32 s7, s6, 31
	s_cmp_eq_u32 s12, 0
	s_cbranch_scc1 .LBB30_3
; %bb.2:
	s_load_dword s12, s[4:5], 0x20
	s_mul_i32 s13, s8, s7
	s_mul_hi_u32 s14, s8, s6
	s_mul_i32 s9, s9, s6
	s_add_i32 s13, s14, s13
	s_mul_i32 s8, s8, s6
	s_add_i32 s9, s13, s9
	s_lshl_b64 s[8:9], s[8:9], 2
	s_waitcnt lgkmcnt(0)
	s_ashr_i32 s13, s12, 31
	s_add_u32 s14, s18, s8
	s_addc_u32 s15, s19, s9
	s_lshl_b64 s[8:9], s[12:13], 2
	s_add_u32 s20, s14, s8
	s_addc_u32 s21, s15, s9
.LBB30_3:
	s_clause 0x1
	s_load_dwordx4 s[12:15], s[4:5], 0x0
	s_load_dword s8, s[4:5], 0x38
	s_mul_i32 s4, s16, s7
	s_mul_hi_u32 s5, s16, s6
	s_mul_i32 s9, s17, s6
	s_add_i32 s5, s5, s4
	s_mul_i32 s4, s16, s6
	s_add_i32 s5, s5, s9
	v_lshlrev_b32_e32 v65, 3, v0
	s_lshl_b64 s[4:5], s[4:5], 3
	s_waitcnt lgkmcnt(0)
	v_add3_u32 v1, s15, s15, v0
	s_ashr_i32 s17, s14, 31
	s_mov_b32 s16, s14
	s_add_u32 s9, s12, s4
	s_addc_u32 s12, s13, s5
	v_add_nc_u32_e32 v3, s15, v1
	v_ashrrev_i32_e32 v2, 31, v1
	s_lshl_b64 s[4:5], s[16:17], 3
	s_mov_b32 s18, s15
	s_add_u32 s4, s9, s4
	v_add_nc_u32_e32 v5, s15, v3
	v_lshlrev_b64 v[1:2], 3, v[1:2]
	v_ashrrev_i32_e32 v4, 31, v3
	s_addc_u32 s5, s12, s5
	v_add_co_u32 v53, s9, s4, v65
	v_ashrrev_i32_e32 v6, 31, v5
	v_add_nc_u32_e32 v7, s15, v5
	v_add_co_u32 v11, vcc_lo, s4, v1
	v_add_co_ci_u32_e64 v12, null, s5, v2, vcc_lo
	v_lshlrev_b64 v[1:2], 3, v[5:6]
	v_add_nc_u32_e32 v5, s15, v7
	v_lshlrev_b64 v[3:4], 3, v[3:4]
	v_ashrrev_i32_e32 v8, 31, v7
	s_ashr_i32 s19, s15, 31
	v_add_co_ci_u32_e64 v54, null, s5, 0, s9
	v_ashrrev_i32_e32 v6, 31, v5
	v_add_co_u32 v3, vcc_lo, s4, v3
	v_lshlrev_b64 v[7:8], 3, v[7:8]
	v_add_co_ci_u32_e64 v4, null, s5, v4, vcc_lo
	v_add_co_u32 v1, vcc_lo, s4, v1
	v_lshlrev_b64 v[13:14], 3, v[5:6]
	s_lshl_b64 s[12:13], s[18:19], 3
	v_add_co_ci_u32_e64 v2, null, s5, v2, vcc_lo
	v_add_co_u32 v15, vcc_lo, v53, s12
	v_add_nc_u32_e32 v9, s15, v5
	v_add_co_ci_u32_e64 v16, null, s13, v54, vcc_lo
	v_add_co_u32 v5, vcc_lo, s4, v7
	v_add_co_ci_u32_e64 v6, null, s5, v8, vcc_lo
	v_add_co_u32 v7, vcc_lo, s4, v13
	v_add_co_ci_u32_e64 v8, null, s5, v14, vcc_lo
	s_clause 0x6
	global_load_dwordx2 v[63:64], v65, s[4:5]
	global_load_dwordx2 v[66:67], v[15:16], off
	global_load_dwordx2 v[68:69], v[11:12], off
	;; [unrolled: 1-line block ×6, first 2 shown]
	v_add_nc_u32_e32 v17, s15, v9
	v_ashrrev_i32_e32 v10, 31, v9
	s_bitcmp0_b32 s8, 0
	v_ashrrev_i32_e32 v18, 31, v17
	v_lshlrev_b64 v[9:10], 3, v[9:10]
	v_lshlrev_b64 v[13:14], 3, v[17:18]
	v_add_nc_u32_e32 v17, s15, v17
	v_add_co_u32 v9, vcc_lo, s4, v9
	v_add_co_ci_u32_e64 v10, null, s5, v10, vcc_lo
	v_add_co_u32 v13, vcc_lo, s4, v13
	v_add_co_ci_u32_e64 v14, null, s5, v14, vcc_lo
	s_clause 0x1
	global_load_dwordx2 v[78:79], v[9:10], off
	global_load_dwordx2 v[80:81], v[13:14], off
	v_add_nc_u32_e32 v19, s15, v17
	v_ashrrev_i32_e32 v18, 31, v17
	v_add_nc_u32_e32 v21, s15, v19
	v_ashrrev_i32_e32 v20, 31, v19
	v_lshlrev_b64 v[17:18], 3, v[17:18]
	v_add_nc_u32_e32 v23, s15, v21
	v_ashrrev_i32_e32 v22, 31, v21
	v_lshlrev_b64 v[19:20], 3, v[19:20]
	v_add_co_u32 v17, vcc_lo, s4, v17
	v_add_nc_u32_e32 v25, s15, v23
	v_ashrrev_i32_e32 v24, 31, v23
	v_lshlrev_b64 v[21:22], 3, v[21:22]
	v_add_co_ci_u32_e64 v18, null, s5, v18, vcc_lo
	v_add_nc_u32_e32 v27, s15, v25
	v_ashrrev_i32_e32 v26, 31, v25
	v_lshlrev_b64 v[23:24], 3, v[23:24]
	v_add_co_u32 v19, vcc_lo, s4, v19
	v_add_nc_u32_e32 v29, s15, v27
	v_ashrrev_i32_e32 v28, 31, v27
	v_lshlrev_b64 v[25:26], 3, v[25:26]
	v_add_co_ci_u32_e64 v20, null, s5, v20, vcc_lo
	v_add_nc_u32_e32 v31, s15, v29
	v_ashrrev_i32_e32 v30, 31, v29
	v_add_co_u32 v21, vcc_lo, s4, v21
	v_lshlrev_b64 v[27:28], 3, v[27:28]
	v_add_nc_u32_e32 v33, s15, v31
	v_ashrrev_i32_e32 v32, 31, v31
	v_add_co_ci_u32_e64 v22, null, s5, v22, vcc_lo
	v_add_co_u32 v23, vcc_lo, s4, v23
	v_add_nc_u32_e32 v35, s15, v33
	v_ashrrev_i32_e32 v34, 31, v33
	v_lshlrev_b64 v[29:30], 3, v[29:30]
	v_add_co_ci_u32_e64 v24, null, s5, v24, vcc_lo
	v_add_nc_u32_e32 v37, s15, v35
	v_ashrrev_i32_e32 v36, 31, v35
	v_add_co_u32 v25, vcc_lo, s4, v25
	v_lshlrev_b64 v[31:32], 3, v[31:32]
	v_add_nc_u32_e32 v39, s15, v37
	v_ashrrev_i32_e32 v38, 31, v37
	v_add_co_ci_u32_e64 v26, null, s5, v26, vcc_lo
	v_add_co_u32 v27, vcc_lo, s4, v27
	v_add_nc_u32_e32 v41, s15, v39
	v_lshlrev_b64 v[33:34], 3, v[33:34]
	v_ashrrev_i32_e32 v40, 31, v39
	v_add_co_ci_u32_e64 v28, null, s5, v28, vcc_lo
	v_add_nc_u32_e32 v43, s15, v41
	v_add_co_u32 v29, vcc_lo, s4, v29
	v_lshlrev_b64 v[35:36], 3, v[35:36]
	v_ashrrev_i32_e32 v42, 31, v41
	v_add_nc_u32_e32 v45, s15, v43
	v_add_co_ci_u32_e64 v30, null, s5, v30, vcc_lo
	v_add_co_u32 v31, vcc_lo, s4, v31
	v_add_nc_u32_e32 v47, s15, v45
	v_lshlrev_b64 v[37:38], 3, v[37:38]
	v_ashrrev_i32_e32 v44, 31, v43
	v_add_co_ci_u32_e64 v32, null, s5, v32, vcc_lo
	v_add_nc_u32_e32 v49, s15, v47
	v_add_co_u32 v33, vcc_lo, s4, v33
	v_lshlrev_b64 v[39:40], 3, v[39:40]
	v_ashrrev_i32_e32 v46, 31, v45
	v_add_nc_u32_e32 v51, s15, v49
	;; [unrolled: 11-line block ×3, first 2 shown]
	v_add_co_ci_u32_e64 v38, null, s5, v38, vcc_lo
	v_add_co_u32 v39, vcc_lo, s4, v39
	v_lshlrev_b64 v[45:46], 3, v[45:46]
	v_ashrrev_i32_e32 v52, 31, v51
	v_add_co_ci_u32_e64 v40, null, s5, v40, vcc_lo
	v_add_co_u32 v41, vcc_lo, s4, v41
	v_lshlrev_b64 v[47:48], 3, v[47:48]
	v_ashrrev_i32_e32 v56, 31, v55
	v_add_co_ci_u32_e64 v42, null, s5, v42, vcc_lo
	v_add_co_u32 v43, vcc_lo, s4, v43
	v_lshlrev_b64 v[49:50], 3, v[49:50]
	v_add_nc_u32_e32 v61, s15, v59
	v_ashrrev_i32_e32 v58, 31, v57
	v_add_co_ci_u32_e64 v44, null, s5, v44, vcc_lo
	v_add_co_u32 v45, vcc_lo, s4, v45
	v_lshlrev_b64 v[51:52], 3, v[51:52]
	v_ashrrev_i32_e32 v60, 31, v59
	v_add_co_ci_u32_e64 v46, null, s5, v46, vcc_lo
	v_add_co_u32 v47, vcc_lo, s4, v47
	v_lshlrev_b64 v[55:56], 3, v[55:56]
	;; [unrolled: 4-line block ×3, first 2 shown]
	v_add_co_ci_u32_e64 v50, null, s5, v50, vcc_lo
	v_add_co_u32 v51, vcc_lo, s4, v51
	v_lshlrev_b64 v[59:60], 3, v[59:60]
	v_add_co_ci_u32_e64 v52, null, s5, v52, vcc_lo
	v_add_co_u32 v55, vcc_lo, s4, v55
	v_lshlrev_b64 v[106:107], 3, v[61:62]
	v_add_co_ci_u32_e64 v56, null, s5, v56, vcc_lo
	v_add_co_u32 v57, vcc_lo, s4, v57
	v_add_co_ci_u32_e64 v58, null, s5, v58, vcc_lo
	v_add_co_u32 v61, vcc_lo, s4, v59
	;; [unrolled: 2-line block ×3, first 2 shown]
	s_clause 0xb
	global_load_dwordx2 v[82:83], v[17:18], off
	global_load_dwordx2 v[84:85], v[19:20], off
	;; [unrolled: 1-line block ×12, first 2 shown]
	v_add_co_ci_u32_e64 v60, null, s5, v107, vcc_lo
	s_mov_b32 s5, -1
	s_waitcnt vmcnt(20)
	buffer_store_dword v64, off, s[0:3], 0 offset:4
	buffer_store_dword v63, off, s[0:3], 0
	s_waitcnt vmcnt(19)
	buffer_store_dword v67, off, s[0:3], 0 offset:12
	buffer_store_dword v66, off, s[0:3], 0 offset:8
	s_waitcnt vmcnt(18)
	buffer_store_dword v69, off, s[0:3], 0 offset:20
	buffer_store_dword v68, off, s[0:3], 0 offset:16
	s_clause 0x3
	global_load_dwordx2 v[63:64], v[41:42], off
	global_load_dwordx2 v[66:67], v[43:44], off
	;; [unrolled: 1-line block ×4, first 2 shown]
	s_waitcnt vmcnt(21)
	buffer_store_dword v71, off, s[0:3], 0 offset:28
	buffer_store_dword v70, off, s[0:3], 0 offset:24
	global_load_dwordx2 v[70:71], v[49:50], off
	s_waitcnt vmcnt(21)
	buffer_store_dword v73, off, s[0:3], 0 offset:36
	buffer_store_dword v72, off, s[0:3], 0 offset:32
	s_waitcnt vmcnt(20)
	buffer_store_dword v75, off, s[0:3], 0 offset:44
	buffer_store_dword v74, off, s[0:3], 0 offset:40
	;; [unrolled: 3-line block ×3, first 2 shown]
	s_clause 0x2
	global_load_dwordx2 v[72:73], v[51:52], off
	global_load_dwordx2 v[74:75], v[55:56], off
	;; [unrolled: 1-line block ×3, first 2 shown]
	s_waitcnt vmcnt(21)
	buffer_store_dword v79, off, s[0:3], 0 offset:60
	buffer_store_dword v78, off, s[0:3], 0 offset:56
	global_load_dwordx2 v[78:79], v[61:62], off
	s_waitcnt vmcnt(21)
	buffer_store_dword v81, off, s[0:3], 0 offset:68
	buffer_store_dword v80, off, s[0:3], 0 offset:64
	global_load_dwordx2 v[80:81], v[59:60], off
	s_waitcnt vmcnt(21)
	buffer_store_dword v82, off, s[0:3], 0 offset:72
	buffer_store_dword v83, off, s[0:3], 0 offset:76
	s_waitcnt vmcnt(20)
	buffer_store_dword v84, off, s[0:3], 0 offset:80
	buffer_store_dword v85, off, s[0:3], 0 offset:84
	;; [unrolled: 3-line block ×22, first 2 shown]
	s_cbranch_scc1 .LBB30_132
; %bb.4:
	v_cmp_eq_u32_e64 s4, 0, v0
	s_and_saveexec_b32 s5, s4
; %bb.5:
	v_mov_b32_e32 v63, 0
	ds_write_b32 v63, v63 offset:248
; %bb.6:
	s_or_b32 exec_lo, exec_lo, s5
	v_lshl_add_u32 v63, v0, 3, 0
	s_waitcnt lgkmcnt(0)
	s_waitcnt_vscnt null, 0x0
	s_barrier
	buffer_gl0_inv
	s_mov_b32 s8, exec_lo
	s_clause 0x1
	buffer_load_dword v66, v63, s[0:3], 0 offen
	buffer_load_dword v67, v63, s[0:3], 0 offen offset:4
	s_waitcnt vmcnt(0)
	v_cmpx_eq_f64_e32 0, v[66:67]
	s_cbranch_execz .LBB30_10
; %bb.7:
	v_mov_b32_e32 v64, 0
	s_mov_b32 s9, 0
	ds_read_b32 v66, v64 offset:248
	s_waitcnt lgkmcnt(0)
	v_readfirstlane_b32 s5, v66
	v_add_nc_u32_e32 v66, 1, v0
	s_cmp_eq_u32 s5, 0
	v_cmp_gt_i32_e32 vcc_lo, s5, v66
	s_cselect_b32 s12, -1, 0
	s_or_b32 s12, s12, vcc_lo
	s_and_b32 exec_lo, exec_lo, s12
	s_cbranch_execz .LBB30_10
; %bb.8:
	v_mov_b32_e32 v67, s5
.LBB30_9:                               ; =>This Inner Loop Header: Depth=1
	ds_cmpst_rtn_b32 v67, v64, v67, v66 offset:248
	s_waitcnt lgkmcnt(0)
	v_cmp_ne_u32_e32 vcc_lo, 0, v67
	v_cmp_le_i32_e64 s5, v67, v66
	s_and_b32 s5, vcc_lo, s5
	s_and_b32 s5, exec_lo, s5
	s_or_b32 s9, s5, s9
	s_andn2_b32 exec_lo, exec_lo, s9
	s_cbranch_execnz .LBB30_9
.LBB30_10:
	s_or_b32 exec_lo, exec_lo, s8
	v_mov_b32_e32 v64, 0
	s_barrier
	buffer_gl0_inv
	ds_read_b32 v66, v64 offset:248
	s_and_saveexec_b32 s5, s4
	s_cbranch_execz .LBB30_12
; %bb.11:
	s_lshl_b64 s[8:9], s[6:7], 2
	s_add_u32 s8, s10, s8
	s_addc_u32 s9, s11, s9
	s_waitcnt lgkmcnt(0)
	global_store_dword v64, v66, s[8:9]
.LBB30_12:
	s_or_b32 exec_lo, exec_lo, s5
	s_waitcnt lgkmcnt(0)
	v_cmp_ne_u32_e32 vcc_lo, 0, v66
	s_mov_b32 s5, 0
	s_cbranch_vccnz .LBB30_132
; %bb.13:
	s_clause 0x1
	buffer_load_dword v66, v63, s[0:3], 0 offen
	buffer_load_dword v67, v63, s[0:3], 0 offen offset:4
	s_waitcnt vmcnt(0)
	v_div_scale_f64 v[68:69], null, v[66:67], v[66:67], 1.0
	v_div_scale_f64 v[74:75], vcc_lo, 1.0, v[66:67], 1.0
	v_rcp_f64_e32 v[70:71], v[68:69]
	v_fma_f64 v[72:73], -v[68:69], v[70:71], 1.0
	v_fma_f64 v[70:71], v[70:71], v[72:73], v[70:71]
	v_fma_f64 v[72:73], -v[68:69], v[70:71], 1.0
	v_fma_f64 v[70:71], v[70:71], v[72:73], v[70:71]
	v_mul_f64 v[72:73], v[74:75], v[70:71]
	v_fma_f64 v[68:69], -v[68:69], v[72:73], v[74:75]
	v_div_fmas_f64 v[68:69], v[68:69], v[70:71], v[72:73]
	v_div_fixup_f64 v[67:68], v[68:69], v[66:67], 1.0
	v_add_nc_u32_e32 v66, 0x100, v65
	buffer_store_dword v68, v63, s[0:3], 0 offen offset:4
	buffer_store_dword v67, v63, s[0:3], 0 offen
	s_clause 0x1
	buffer_load_dword v70, off, s[0:3], 0 offset:12
	buffer_load_dword v69, off, s[0:3], 0 offset:8
	v_xor_b32_e32 v68, 0x80000000, v68
	s_waitcnt vmcnt(0)
	ds_write2_b64 v65, v[67:68], v[69:70] offset1:32
	s_waitcnt lgkmcnt(0)
	s_waitcnt_vscnt null, 0x0
	s_barrier
	buffer_gl0_inv
	s_and_saveexec_b32 s5, s4
	s_cbranch_execz .LBB30_15
; %bb.14:
	s_clause 0x1
	buffer_load_dword v67, v63, s[0:3], 0 offen
	buffer_load_dword v68, v63, s[0:3], 0 offen offset:4
	ds_read_b64 v[69:70], v66
	v_mov_b32_e32 v64, 0
	ds_read_b64 v[71:72], v64 offset:8
	s_waitcnt vmcnt(0) lgkmcnt(1)
	v_fma_f64 v[67:68], v[67:68], v[69:70], 0
	s_waitcnt lgkmcnt(0)
	v_mul_f64 v[67:68], v[67:68], v[71:72]
	buffer_store_dword v67, off, s[0:3], 0 offset:8
	buffer_store_dword v68, off, s[0:3], 0 offset:12
.LBB30_15:
	s_or_b32 exec_lo, exec_lo, s5
	s_waitcnt_vscnt null, 0x0
	s_barrier
	buffer_gl0_inv
	s_clause 0x1
	buffer_load_dword v67, off, s[0:3], 0 offset:16
	buffer_load_dword v68, off, s[0:3], 0 offset:20
	s_mov_b32 s5, exec_lo
	s_waitcnt vmcnt(0)
	ds_write_b64 v66, v[67:68]
	s_waitcnt lgkmcnt(0)
	s_barrier
	buffer_gl0_inv
	v_cmpx_gt_u32_e32 2, v0
	s_cbranch_execz .LBB30_19
; %bb.16:
	s_clause 0x1
	buffer_load_dword v67, v63, s[0:3], 0 offen
	buffer_load_dword v68, v63, s[0:3], 0 offen offset:4
	ds_read_b64 v[63:64], v66
	s_waitcnt vmcnt(0) lgkmcnt(0)
	v_fma_f64 v[63:64], v[67:68], v[63:64], 0
	s_and_saveexec_b32 s8, s4
	s_cbranch_execz .LBB30_18
; %bb.17:
	s_clause 0x1
	buffer_load_dword v67, off, s[0:3], 0 offset:8
	buffer_load_dword v68, off, s[0:3], 0 offset:12
	v_mov_b32_e32 v69, 0
	ds_read_b64 v[69:70], v69 offset:264
	s_waitcnt vmcnt(0) lgkmcnt(0)
	v_fma_f64 v[63:64], v[67:68], v[69:70], v[63:64]
.LBB30_18:
	s_or_b32 exec_lo, exec_lo, s8
	v_mov_b32_e32 v67, 0
	ds_read_b64 v[67:68], v67 offset:16
	s_waitcnt lgkmcnt(0)
	v_mul_f64 v[63:64], v[63:64], v[67:68]
	buffer_store_dword v64, off, s[0:3], 0 offset:20
	buffer_store_dword v63, off, s[0:3], 0 offset:16
.LBB30_19:
	s_or_b32 exec_lo, exec_lo, s5
	s_waitcnt_vscnt null, 0x0
	s_barrier
	buffer_gl0_inv
	s_clause 0x1
	buffer_load_dword v63, off, s[0:3], 0 offset:24
	buffer_load_dword v64, off, s[0:3], 0 offset:28
	v_add_nc_u32_e32 v67, -1, v0
	s_mov_b32 s4, exec_lo
	s_waitcnt vmcnt(0)
	ds_write_b64 v66, v[63:64]
	s_waitcnt lgkmcnt(0)
	s_barrier
	buffer_gl0_inv
	v_cmpx_gt_u32_e32 3, v0
	s_cbranch_execz .LBB30_23
; %bb.20:
	v_mov_b32_e32 v63, 0
	v_add_nc_u32_e32 v68, -1, v0
	v_add_nc_u32_e32 v69, 0x100, v65
	v_mov_b32_e32 v64, 0
	v_mov_b32_e32 v70, v65
	s_mov_b32 s5, 0
.LBB30_21:                              ; =>This Inner Loop Header: Depth=1
	s_clause 0x1
	buffer_load_dword v71, v70, s[0:3], 0 offen
	buffer_load_dword v72, v70, s[0:3], 0 offen offset:4
	ds_read_b64 v[73:74], v69
	v_add_nc_u32_e32 v68, 1, v68
	v_add_nc_u32_e32 v69, 8, v69
	v_add_nc_u32_e32 v70, 8, v70
	v_cmp_lt_u32_e32 vcc_lo, 1, v68
	s_or_b32 s5, vcc_lo, s5
	s_waitcnt vmcnt(0) lgkmcnt(0)
	v_fma_f64 v[63:64], v[71:72], v[73:74], v[63:64]
	s_andn2_b32 exec_lo, exec_lo, s5
	s_cbranch_execnz .LBB30_21
; %bb.22:
	s_or_b32 exec_lo, exec_lo, s5
	v_mov_b32_e32 v68, 0
	ds_read_b64 v[68:69], v68 offset:24
	s_waitcnt lgkmcnt(0)
	v_mul_f64 v[63:64], v[63:64], v[68:69]
	buffer_store_dword v64, off, s[0:3], 0 offset:28
	buffer_store_dword v63, off, s[0:3], 0 offset:24
.LBB30_23:
	s_or_b32 exec_lo, exec_lo, s4
	s_waitcnt_vscnt null, 0x0
	s_barrier
	buffer_gl0_inv
	s_clause 0x1
	buffer_load_dword v63, off, s[0:3], 0 offset:32
	buffer_load_dword v64, off, s[0:3], 0 offset:36
	s_mov_b32 s4, exec_lo
	s_waitcnt vmcnt(0)
	ds_write_b64 v66, v[63:64]
	s_waitcnt lgkmcnt(0)
	s_barrier
	buffer_gl0_inv
	v_cmpx_gt_u32_e32 4, v0
	s_cbranch_execz .LBB30_27
; %bb.24:
	v_mov_b32_e32 v63, 0
	v_add_nc_u32_e32 v68, -1, v0
	v_add_nc_u32_e32 v69, 0x100, v65
	v_mov_b32_e32 v64, 0
	v_mov_b32_e32 v70, v65
	s_mov_b32 s5, 0
.LBB30_25:                              ; =>This Inner Loop Header: Depth=1
	s_clause 0x1
	buffer_load_dword v71, v70, s[0:3], 0 offen
	buffer_load_dword v72, v70, s[0:3], 0 offen offset:4
	ds_read_b64 v[73:74], v69
	v_add_nc_u32_e32 v68, 1, v68
	v_add_nc_u32_e32 v69, 8, v69
	v_add_nc_u32_e32 v70, 8, v70
	v_cmp_lt_u32_e32 vcc_lo, 2, v68
	s_or_b32 s5, vcc_lo, s5
	s_waitcnt vmcnt(0) lgkmcnt(0)
	v_fma_f64 v[63:64], v[71:72], v[73:74], v[63:64]
	s_andn2_b32 exec_lo, exec_lo, s5
	s_cbranch_execnz .LBB30_25
; %bb.26:
	s_or_b32 exec_lo, exec_lo, s5
	v_mov_b32_e32 v68, 0
	ds_read_b64 v[68:69], v68 offset:32
	s_waitcnt lgkmcnt(0)
	v_mul_f64 v[63:64], v[63:64], v[68:69]
	buffer_store_dword v64, off, s[0:3], 0 offset:36
	buffer_store_dword v63, off, s[0:3], 0 offset:32
.LBB30_27:
	s_or_b32 exec_lo, exec_lo, s4
	s_waitcnt_vscnt null, 0x0
	s_barrier
	buffer_gl0_inv
	s_clause 0x1
	buffer_load_dword v63, off, s[0:3], 0 offset:40
	buffer_load_dword v64, off, s[0:3], 0 offset:44
	s_mov_b32 s4, exec_lo
	s_waitcnt vmcnt(0)
	ds_write_b64 v66, v[63:64]
	s_waitcnt lgkmcnt(0)
	s_barrier
	buffer_gl0_inv
	v_cmpx_gt_u32_e32 5, v0
	s_cbranch_execz .LBB30_31
; %bb.28:
	v_mov_b32_e32 v63, 0
	v_add_nc_u32_e32 v68, -1, v0
	v_add_nc_u32_e32 v69, 0x100, v65
	v_mov_b32_e32 v64, 0
	v_mov_b32_e32 v70, v65
	s_mov_b32 s5, 0
.LBB30_29:                              ; =>This Inner Loop Header: Depth=1
	s_clause 0x1
	buffer_load_dword v71, v70, s[0:3], 0 offen
	buffer_load_dword v72, v70, s[0:3], 0 offen offset:4
	ds_read_b64 v[73:74], v69
	v_add_nc_u32_e32 v68, 1, v68
	v_add_nc_u32_e32 v69, 8, v69
	v_add_nc_u32_e32 v70, 8, v70
	v_cmp_lt_u32_e32 vcc_lo, 3, v68
	s_or_b32 s5, vcc_lo, s5
	s_waitcnt vmcnt(0) lgkmcnt(0)
	v_fma_f64 v[63:64], v[71:72], v[73:74], v[63:64]
	s_andn2_b32 exec_lo, exec_lo, s5
	s_cbranch_execnz .LBB30_29
; %bb.30:
	s_or_b32 exec_lo, exec_lo, s5
	v_mov_b32_e32 v68, 0
	ds_read_b64 v[68:69], v68 offset:40
	s_waitcnt lgkmcnt(0)
	v_mul_f64 v[63:64], v[63:64], v[68:69]
	buffer_store_dword v64, off, s[0:3], 0 offset:44
	buffer_store_dword v63, off, s[0:3], 0 offset:40
.LBB30_31:
	s_or_b32 exec_lo, exec_lo, s4
	s_waitcnt_vscnt null, 0x0
	s_barrier
	buffer_gl0_inv
	s_clause 0x1
	buffer_load_dword v63, off, s[0:3], 0 offset:48
	buffer_load_dword v64, off, s[0:3], 0 offset:52
	s_mov_b32 s4, exec_lo
	s_waitcnt vmcnt(0)
	ds_write_b64 v66, v[63:64]
	s_waitcnt lgkmcnt(0)
	s_barrier
	buffer_gl0_inv
	v_cmpx_gt_u32_e32 6, v0
	s_cbranch_execz .LBB30_35
; %bb.32:
	v_mov_b32_e32 v63, 0
	v_add_nc_u32_e32 v68, -1, v0
	v_add_nc_u32_e32 v69, 0x100, v65
	v_mov_b32_e32 v64, 0
	v_mov_b32_e32 v70, v65
	s_mov_b32 s5, 0
.LBB30_33:                              ; =>This Inner Loop Header: Depth=1
	s_clause 0x1
	buffer_load_dword v71, v70, s[0:3], 0 offen
	buffer_load_dword v72, v70, s[0:3], 0 offen offset:4
	ds_read_b64 v[73:74], v69
	v_add_nc_u32_e32 v68, 1, v68
	v_add_nc_u32_e32 v69, 8, v69
	v_add_nc_u32_e32 v70, 8, v70
	v_cmp_lt_u32_e32 vcc_lo, 4, v68
	s_or_b32 s5, vcc_lo, s5
	s_waitcnt vmcnt(0) lgkmcnt(0)
	v_fma_f64 v[63:64], v[71:72], v[73:74], v[63:64]
	s_andn2_b32 exec_lo, exec_lo, s5
	s_cbranch_execnz .LBB30_33
; %bb.34:
	s_or_b32 exec_lo, exec_lo, s5
	v_mov_b32_e32 v68, 0
	ds_read_b64 v[68:69], v68 offset:48
	s_waitcnt lgkmcnt(0)
	v_mul_f64 v[63:64], v[63:64], v[68:69]
	buffer_store_dword v64, off, s[0:3], 0 offset:52
	buffer_store_dword v63, off, s[0:3], 0 offset:48
.LBB30_35:
	s_or_b32 exec_lo, exec_lo, s4
	s_waitcnt_vscnt null, 0x0
	s_barrier
	buffer_gl0_inv
	s_clause 0x1
	buffer_load_dword v63, off, s[0:3], 0 offset:56
	buffer_load_dword v64, off, s[0:3], 0 offset:60
	s_mov_b32 s4, exec_lo
	s_waitcnt vmcnt(0)
	ds_write_b64 v66, v[63:64]
	s_waitcnt lgkmcnt(0)
	s_barrier
	buffer_gl0_inv
	v_cmpx_gt_u32_e32 7, v0
	s_cbranch_execz .LBB30_39
; %bb.36:
	v_mov_b32_e32 v63, 0
	v_add_nc_u32_e32 v68, -1, v0
	v_add_nc_u32_e32 v69, 0x100, v65
	v_mov_b32_e32 v64, 0
	v_mov_b32_e32 v70, v65
	s_mov_b32 s5, 0
.LBB30_37:                              ; =>This Inner Loop Header: Depth=1
	s_clause 0x1
	buffer_load_dword v71, v70, s[0:3], 0 offen
	buffer_load_dword v72, v70, s[0:3], 0 offen offset:4
	ds_read_b64 v[73:74], v69
	v_add_nc_u32_e32 v68, 1, v68
	v_add_nc_u32_e32 v69, 8, v69
	v_add_nc_u32_e32 v70, 8, v70
	v_cmp_lt_u32_e32 vcc_lo, 5, v68
	s_or_b32 s5, vcc_lo, s5
	s_waitcnt vmcnt(0) lgkmcnt(0)
	v_fma_f64 v[63:64], v[71:72], v[73:74], v[63:64]
	s_andn2_b32 exec_lo, exec_lo, s5
	s_cbranch_execnz .LBB30_37
; %bb.38:
	s_or_b32 exec_lo, exec_lo, s5
	v_mov_b32_e32 v68, 0
	ds_read_b64 v[68:69], v68 offset:56
	s_waitcnt lgkmcnt(0)
	v_mul_f64 v[63:64], v[63:64], v[68:69]
	buffer_store_dword v64, off, s[0:3], 0 offset:60
	buffer_store_dword v63, off, s[0:3], 0 offset:56
.LBB30_39:
	s_or_b32 exec_lo, exec_lo, s4
	s_waitcnt_vscnt null, 0x0
	s_barrier
	buffer_gl0_inv
	s_clause 0x1
	buffer_load_dword v63, off, s[0:3], 0 offset:64
	buffer_load_dword v64, off, s[0:3], 0 offset:68
	s_mov_b32 s4, exec_lo
	s_waitcnt vmcnt(0)
	ds_write_b64 v66, v[63:64]
	s_waitcnt lgkmcnt(0)
	s_barrier
	buffer_gl0_inv
	v_cmpx_gt_u32_e32 8, v0
	s_cbranch_execz .LBB30_43
; %bb.40:
	v_mov_b32_e32 v63, 0
	v_add_nc_u32_e32 v68, -1, v0
	v_add_nc_u32_e32 v69, 0x100, v65
	v_mov_b32_e32 v64, 0
	v_mov_b32_e32 v70, v65
	s_mov_b32 s5, 0
.LBB30_41:                              ; =>This Inner Loop Header: Depth=1
	s_clause 0x1
	buffer_load_dword v71, v70, s[0:3], 0 offen
	buffer_load_dword v72, v70, s[0:3], 0 offen offset:4
	ds_read_b64 v[73:74], v69
	v_add_nc_u32_e32 v68, 1, v68
	v_add_nc_u32_e32 v69, 8, v69
	v_add_nc_u32_e32 v70, 8, v70
	v_cmp_lt_u32_e32 vcc_lo, 6, v68
	s_or_b32 s5, vcc_lo, s5
	s_waitcnt vmcnt(0) lgkmcnt(0)
	v_fma_f64 v[63:64], v[71:72], v[73:74], v[63:64]
	s_andn2_b32 exec_lo, exec_lo, s5
	s_cbranch_execnz .LBB30_41
; %bb.42:
	s_or_b32 exec_lo, exec_lo, s5
	v_mov_b32_e32 v68, 0
	ds_read_b64 v[68:69], v68 offset:64
	s_waitcnt lgkmcnt(0)
	v_mul_f64 v[63:64], v[63:64], v[68:69]
	buffer_store_dword v64, off, s[0:3], 0 offset:68
	buffer_store_dword v63, off, s[0:3], 0 offset:64
.LBB30_43:
	s_or_b32 exec_lo, exec_lo, s4
	s_waitcnt_vscnt null, 0x0
	s_barrier
	buffer_gl0_inv
	s_clause 0x1
	buffer_load_dword v63, off, s[0:3], 0 offset:72
	buffer_load_dword v64, off, s[0:3], 0 offset:76
	s_mov_b32 s4, exec_lo
	s_waitcnt vmcnt(0)
	ds_write_b64 v66, v[63:64]
	s_waitcnt lgkmcnt(0)
	s_barrier
	buffer_gl0_inv
	v_cmpx_gt_u32_e32 9, v0
	s_cbranch_execz .LBB30_47
; %bb.44:
	v_mov_b32_e32 v63, 0
	v_add_nc_u32_e32 v68, -1, v0
	v_add_nc_u32_e32 v69, 0x100, v65
	v_mov_b32_e32 v64, 0
	v_mov_b32_e32 v70, v65
	s_mov_b32 s5, 0
.LBB30_45:                              ; =>This Inner Loop Header: Depth=1
	s_clause 0x1
	buffer_load_dword v71, v70, s[0:3], 0 offen
	buffer_load_dword v72, v70, s[0:3], 0 offen offset:4
	ds_read_b64 v[73:74], v69
	v_add_nc_u32_e32 v68, 1, v68
	v_add_nc_u32_e32 v69, 8, v69
	v_add_nc_u32_e32 v70, 8, v70
	v_cmp_lt_u32_e32 vcc_lo, 7, v68
	s_or_b32 s5, vcc_lo, s5
	s_waitcnt vmcnt(0) lgkmcnt(0)
	v_fma_f64 v[63:64], v[71:72], v[73:74], v[63:64]
	s_andn2_b32 exec_lo, exec_lo, s5
	s_cbranch_execnz .LBB30_45
; %bb.46:
	s_or_b32 exec_lo, exec_lo, s5
	v_mov_b32_e32 v68, 0
	ds_read_b64 v[68:69], v68 offset:72
	s_waitcnt lgkmcnt(0)
	v_mul_f64 v[63:64], v[63:64], v[68:69]
	buffer_store_dword v64, off, s[0:3], 0 offset:76
	buffer_store_dword v63, off, s[0:3], 0 offset:72
.LBB30_47:
	s_or_b32 exec_lo, exec_lo, s4
	s_waitcnt_vscnt null, 0x0
	s_barrier
	buffer_gl0_inv
	s_clause 0x1
	buffer_load_dword v63, off, s[0:3], 0 offset:80
	buffer_load_dword v64, off, s[0:3], 0 offset:84
	s_mov_b32 s4, exec_lo
	s_waitcnt vmcnt(0)
	ds_write_b64 v66, v[63:64]
	s_waitcnt lgkmcnt(0)
	s_barrier
	buffer_gl0_inv
	v_cmpx_gt_u32_e32 10, v0
	s_cbranch_execz .LBB30_51
; %bb.48:
	v_mov_b32_e32 v63, 0
	v_add_nc_u32_e32 v68, -1, v0
	v_add_nc_u32_e32 v69, 0x100, v65
	v_mov_b32_e32 v64, 0
	v_mov_b32_e32 v70, v65
	s_mov_b32 s5, 0
.LBB30_49:                              ; =>This Inner Loop Header: Depth=1
	s_clause 0x1
	buffer_load_dword v71, v70, s[0:3], 0 offen
	buffer_load_dword v72, v70, s[0:3], 0 offen offset:4
	ds_read_b64 v[73:74], v69
	v_add_nc_u32_e32 v68, 1, v68
	v_add_nc_u32_e32 v69, 8, v69
	v_add_nc_u32_e32 v70, 8, v70
	v_cmp_lt_u32_e32 vcc_lo, 8, v68
	s_or_b32 s5, vcc_lo, s5
	s_waitcnt vmcnt(0) lgkmcnt(0)
	v_fma_f64 v[63:64], v[71:72], v[73:74], v[63:64]
	s_andn2_b32 exec_lo, exec_lo, s5
	s_cbranch_execnz .LBB30_49
; %bb.50:
	s_or_b32 exec_lo, exec_lo, s5
	v_mov_b32_e32 v68, 0
	ds_read_b64 v[68:69], v68 offset:80
	s_waitcnt lgkmcnt(0)
	v_mul_f64 v[63:64], v[63:64], v[68:69]
	buffer_store_dword v64, off, s[0:3], 0 offset:84
	buffer_store_dword v63, off, s[0:3], 0 offset:80
.LBB30_51:
	s_or_b32 exec_lo, exec_lo, s4
	s_waitcnt_vscnt null, 0x0
	s_barrier
	buffer_gl0_inv
	s_clause 0x1
	buffer_load_dword v63, off, s[0:3], 0 offset:88
	buffer_load_dword v64, off, s[0:3], 0 offset:92
	s_mov_b32 s4, exec_lo
	s_waitcnt vmcnt(0)
	ds_write_b64 v66, v[63:64]
	s_waitcnt lgkmcnt(0)
	s_barrier
	buffer_gl0_inv
	v_cmpx_gt_u32_e32 11, v0
	s_cbranch_execz .LBB30_55
; %bb.52:
	v_mov_b32_e32 v63, 0
	v_add_nc_u32_e32 v68, -1, v0
	v_add_nc_u32_e32 v69, 0x100, v65
	v_mov_b32_e32 v64, 0
	v_mov_b32_e32 v70, v65
	s_mov_b32 s5, 0
.LBB30_53:                              ; =>This Inner Loop Header: Depth=1
	s_clause 0x1
	buffer_load_dword v71, v70, s[0:3], 0 offen
	buffer_load_dword v72, v70, s[0:3], 0 offen offset:4
	ds_read_b64 v[73:74], v69
	v_add_nc_u32_e32 v68, 1, v68
	v_add_nc_u32_e32 v69, 8, v69
	v_add_nc_u32_e32 v70, 8, v70
	v_cmp_lt_u32_e32 vcc_lo, 9, v68
	s_or_b32 s5, vcc_lo, s5
	s_waitcnt vmcnt(0) lgkmcnt(0)
	v_fma_f64 v[63:64], v[71:72], v[73:74], v[63:64]
	s_andn2_b32 exec_lo, exec_lo, s5
	s_cbranch_execnz .LBB30_53
; %bb.54:
	s_or_b32 exec_lo, exec_lo, s5
	v_mov_b32_e32 v68, 0
	ds_read_b64 v[68:69], v68 offset:88
	s_waitcnt lgkmcnt(0)
	v_mul_f64 v[63:64], v[63:64], v[68:69]
	buffer_store_dword v64, off, s[0:3], 0 offset:92
	buffer_store_dword v63, off, s[0:3], 0 offset:88
.LBB30_55:
	s_or_b32 exec_lo, exec_lo, s4
	s_waitcnt_vscnt null, 0x0
	s_barrier
	buffer_gl0_inv
	s_clause 0x1
	buffer_load_dword v63, off, s[0:3], 0 offset:96
	buffer_load_dword v64, off, s[0:3], 0 offset:100
	s_mov_b32 s4, exec_lo
	s_waitcnt vmcnt(0)
	ds_write_b64 v66, v[63:64]
	s_waitcnt lgkmcnt(0)
	s_barrier
	buffer_gl0_inv
	v_cmpx_gt_u32_e32 12, v0
	s_cbranch_execz .LBB30_59
; %bb.56:
	v_mov_b32_e32 v63, 0
	v_add_nc_u32_e32 v68, -1, v0
	v_add_nc_u32_e32 v69, 0x100, v65
	v_mov_b32_e32 v64, 0
	v_mov_b32_e32 v70, v65
	s_mov_b32 s5, 0
.LBB30_57:                              ; =>This Inner Loop Header: Depth=1
	s_clause 0x1
	buffer_load_dword v71, v70, s[0:3], 0 offen
	buffer_load_dword v72, v70, s[0:3], 0 offen offset:4
	ds_read_b64 v[73:74], v69
	v_add_nc_u32_e32 v68, 1, v68
	v_add_nc_u32_e32 v69, 8, v69
	v_add_nc_u32_e32 v70, 8, v70
	v_cmp_lt_u32_e32 vcc_lo, 10, v68
	s_or_b32 s5, vcc_lo, s5
	s_waitcnt vmcnt(0) lgkmcnt(0)
	v_fma_f64 v[63:64], v[71:72], v[73:74], v[63:64]
	s_andn2_b32 exec_lo, exec_lo, s5
	s_cbranch_execnz .LBB30_57
; %bb.58:
	s_or_b32 exec_lo, exec_lo, s5
	v_mov_b32_e32 v68, 0
	ds_read_b64 v[68:69], v68 offset:96
	s_waitcnt lgkmcnt(0)
	v_mul_f64 v[63:64], v[63:64], v[68:69]
	buffer_store_dword v64, off, s[0:3], 0 offset:100
	buffer_store_dword v63, off, s[0:3], 0 offset:96
.LBB30_59:
	s_or_b32 exec_lo, exec_lo, s4
	s_waitcnt_vscnt null, 0x0
	s_barrier
	buffer_gl0_inv
	s_clause 0x1
	buffer_load_dword v63, off, s[0:3], 0 offset:104
	buffer_load_dword v64, off, s[0:3], 0 offset:108
	s_mov_b32 s4, exec_lo
	s_waitcnt vmcnt(0)
	ds_write_b64 v66, v[63:64]
	s_waitcnt lgkmcnt(0)
	s_barrier
	buffer_gl0_inv
	v_cmpx_gt_u32_e32 13, v0
	s_cbranch_execz .LBB30_63
; %bb.60:
	v_mov_b32_e32 v63, 0
	v_add_nc_u32_e32 v68, -1, v0
	v_add_nc_u32_e32 v69, 0x100, v65
	v_mov_b32_e32 v64, 0
	v_mov_b32_e32 v70, v65
	s_mov_b32 s5, 0
.LBB30_61:                              ; =>This Inner Loop Header: Depth=1
	s_clause 0x1
	buffer_load_dword v71, v70, s[0:3], 0 offen
	buffer_load_dword v72, v70, s[0:3], 0 offen offset:4
	ds_read_b64 v[73:74], v69
	v_add_nc_u32_e32 v68, 1, v68
	v_add_nc_u32_e32 v69, 8, v69
	v_add_nc_u32_e32 v70, 8, v70
	v_cmp_lt_u32_e32 vcc_lo, 11, v68
	s_or_b32 s5, vcc_lo, s5
	s_waitcnt vmcnt(0) lgkmcnt(0)
	v_fma_f64 v[63:64], v[71:72], v[73:74], v[63:64]
	s_andn2_b32 exec_lo, exec_lo, s5
	s_cbranch_execnz .LBB30_61
; %bb.62:
	s_or_b32 exec_lo, exec_lo, s5
	v_mov_b32_e32 v68, 0
	ds_read_b64 v[68:69], v68 offset:104
	s_waitcnt lgkmcnt(0)
	v_mul_f64 v[63:64], v[63:64], v[68:69]
	buffer_store_dword v64, off, s[0:3], 0 offset:108
	buffer_store_dword v63, off, s[0:3], 0 offset:104
.LBB30_63:
	s_or_b32 exec_lo, exec_lo, s4
	s_waitcnt_vscnt null, 0x0
	s_barrier
	buffer_gl0_inv
	s_clause 0x1
	buffer_load_dword v63, off, s[0:3], 0 offset:112
	buffer_load_dword v64, off, s[0:3], 0 offset:116
	s_mov_b32 s4, exec_lo
	s_waitcnt vmcnt(0)
	ds_write_b64 v66, v[63:64]
	s_waitcnt lgkmcnt(0)
	s_barrier
	buffer_gl0_inv
	v_cmpx_gt_u32_e32 14, v0
	s_cbranch_execz .LBB30_67
; %bb.64:
	v_mov_b32_e32 v63, 0
	v_add_nc_u32_e32 v68, -1, v0
	v_add_nc_u32_e32 v69, 0x100, v65
	v_mov_b32_e32 v64, 0
	v_mov_b32_e32 v70, v65
	s_mov_b32 s5, 0
.LBB30_65:                              ; =>This Inner Loop Header: Depth=1
	s_clause 0x1
	buffer_load_dword v71, v70, s[0:3], 0 offen
	buffer_load_dword v72, v70, s[0:3], 0 offen offset:4
	ds_read_b64 v[73:74], v69
	v_add_nc_u32_e32 v68, 1, v68
	v_add_nc_u32_e32 v69, 8, v69
	v_add_nc_u32_e32 v70, 8, v70
	v_cmp_lt_u32_e32 vcc_lo, 12, v68
	s_or_b32 s5, vcc_lo, s5
	s_waitcnt vmcnt(0) lgkmcnt(0)
	v_fma_f64 v[63:64], v[71:72], v[73:74], v[63:64]
	s_andn2_b32 exec_lo, exec_lo, s5
	s_cbranch_execnz .LBB30_65
; %bb.66:
	s_or_b32 exec_lo, exec_lo, s5
	v_mov_b32_e32 v68, 0
	ds_read_b64 v[68:69], v68 offset:112
	s_waitcnt lgkmcnt(0)
	v_mul_f64 v[63:64], v[63:64], v[68:69]
	buffer_store_dword v64, off, s[0:3], 0 offset:116
	buffer_store_dword v63, off, s[0:3], 0 offset:112
.LBB30_67:
	s_or_b32 exec_lo, exec_lo, s4
	s_waitcnt_vscnt null, 0x0
	s_barrier
	buffer_gl0_inv
	s_clause 0x1
	buffer_load_dword v63, off, s[0:3], 0 offset:120
	buffer_load_dword v64, off, s[0:3], 0 offset:124
	s_mov_b32 s4, exec_lo
	s_waitcnt vmcnt(0)
	ds_write_b64 v66, v[63:64]
	s_waitcnt lgkmcnt(0)
	s_barrier
	buffer_gl0_inv
	v_cmpx_gt_u32_e32 15, v0
	s_cbranch_execz .LBB30_71
; %bb.68:
	v_mov_b32_e32 v63, 0
	v_add_nc_u32_e32 v68, -1, v0
	v_add_nc_u32_e32 v69, 0x100, v65
	v_mov_b32_e32 v64, 0
	v_mov_b32_e32 v70, v65
	s_mov_b32 s5, 0
.LBB30_69:                              ; =>This Inner Loop Header: Depth=1
	s_clause 0x1
	buffer_load_dword v71, v70, s[0:3], 0 offen
	buffer_load_dword v72, v70, s[0:3], 0 offen offset:4
	ds_read_b64 v[73:74], v69
	v_add_nc_u32_e32 v68, 1, v68
	v_add_nc_u32_e32 v69, 8, v69
	v_add_nc_u32_e32 v70, 8, v70
	v_cmp_lt_u32_e32 vcc_lo, 13, v68
	s_or_b32 s5, vcc_lo, s5
	s_waitcnt vmcnt(0) lgkmcnt(0)
	v_fma_f64 v[63:64], v[71:72], v[73:74], v[63:64]
	s_andn2_b32 exec_lo, exec_lo, s5
	s_cbranch_execnz .LBB30_69
; %bb.70:
	s_or_b32 exec_lo, exec_lo, s5
	v_mov_b32_e32 v68, 0
	ds_read_b64 v[68:69], v68 offset:120
	s_waitcnt lgkmcnt(0)
	v_mul_f64 v[63:64], v[63:64], v[68:69]
	buffer_store_dword v64, off, s[0:3], 0 offset:124
	buffer_store_dword v63, off, s[0:3], 0 offset:120
.LBB30_71:
	s_or_b32 exec_lo, exec_lo, s4
	s_waitcnt_vscnt null, 0x0
	s_barrier
	buffer_gl0_inv
	s_clause 0x1
	buffer_load_dword v63, off, s[0:3], 0 offset:128
	buffer_load_dword v64, off, s[0:3], 0 offset:132
	s_mov_b32 s4, exec_lo
	s_waitcnt vmcnt(0)
	ds_write_b64 v66, v[63:64]
	s_waitcnt lgkmcnt(0)
	s_barrier
	buffer_gl0_inv
	v_cmpx_gt_u32_e32 16, v0
	s_cbranch_execz .LBB30_75
; %bb.72:
	v_mov_b32_e32 v63, 0
	v_add_nc_u32_e32 v68, -1, v0
	v_add_nc_u32_e32 v69, 0x100, v65
	v_mov_b32_e32 v64, 0
	v_mov_b32_e32 v70, v65
	s_mov_b32 s5, 0
.LBB30_73:                              ; =>This Inner Loop Header: Depth=1
	s_clause 0x1
	buffer_load_dword v71, v70, s[0:3], 0 offen
	buffer_load_dword v72, v70, s[0:3], 0 offen offset:4
	ds_read_b64 v[73:74], v69
	v_add_nc_u32_e32 v68, 1, v68
	v_add_nc_u32_e32 v69, 8, v69
	v_add_nc_u32_e32 v70, 8, v70
	v_cmp_lt_u32_e32 vcc_lo, 14, v68
	s_or_b32 s5, vcc_lo, s5
	s_waitcnt vmcnt(0) lgkmcnt(0)
	v_fma_f64 v[63:64], v[71:72], v[73:74], v[63:64]
	s_andn2_b32 exec_lo, exec_lo, s5
	s_cbranch_execnz .LBB30_73
; %bb.74:
	s_or_b32 exec_lo, exec_lo, s5
	v_mov_b32_e32 v68, 0
	ds_read_b64 v[68:69], v68 offset:128
	s_waitcnt lgkmcnt(0)
	v_mul_f64 v[63:64], v[63:64], v[68:69]
	buffer_store_dword v64, off, s[0:3], 0 offset:132
	buffer_store_dword v63, off, s[0:3], 0 offset:128
.LBB30_75:
	s_or_b32 exec_lo, exec_lo, s4
	s_waitcnt_vscnt null, 0x0
	s_barrier
	buffer_gl0_inv
	s_clause 0x1
	buffer_load_dword v63, off, s[0:3], 0 offset:136
	buffer_load_dword v64, off, s[0:3], 0 offset:140
	s_mov_b32 s4, exec_lo
	s_waitcnt vmcnt(0)
	ds_write_b64 v66, v[63:64]
	s_waitcnt lgkmcnt(0)
	s_barrier
	buffer_gl0_inv
	v_cmpx_gt_u32_e32 17, v0
	s_cbranch_execz .LBB30_79
; %bb.76:
	v_mov_b32_e32 v63, 0
	v_add_nc_u32_e32 v68, -1, v0
	v_add_nc_u32_e32 v69, 0x100, v65
	v_mov_b32_e32 v64, 0
	v_mov_b32_e32 v70, v65
	s_mov_b32 s5, 0
.LBB30_77:                              ; =>This Inner Loop Header: Depth=1
	s_clause 0x1
	buffer_load_dword v71, v70, s[0:3], 0 offen
	buffer_load_dword v72, v70, s[0:3], 0 offen offset:4
	ds_read_b64 v[73:74], v69
	v_add_nc_u32_e32 v68, 1, v68
	v_add_nc_u32_e32 v69, 8, v69
	v_add_nc_u32_e32 v70, 8, v70
	v_cmp_lt_u32_e32 vcc_lo, 15, v68
	s_or_b32 s5, vcc_lo, s5
	s_waitcnt vmcnt(0) lgkmcnt(0)
	v_fma_f64 v[63:64], v[71:72], v[73:74], v[63:64]
	s_andn2_b32 exec_lo, exec_lo, s5
	s_cbranch_execnz .LBB30_77
; %bb.78:
	s_or_b32 exec_lo, exec_lo, s5
	v_mov_b32_e32 v68, 0
	ds_read_b64 v[68:69], v68 offset:136
	s_waitcnt lgkmcnt(0)
	v_mul_f64 v[63:64], v[63:64], v[68:69]
	buffer_store_dword v64, off, s[0:3], 0 offset:140
	buffer_store_dword v63, off, s[0:3], 0 offset:136
.LBB30_79:
	s_or_b32 exec_lo, exec_lo, s4
	s_waitcnt_vscnt null, 0x0
	s_barrier
	buffer_gl0_inv
	s_clause 0x1
	buffer_load_dword v63, off, s[0:3], 0 offset:144
	buffer_load_dword v64, off, s[0:3], 0 offset:148
	s_mov_b32 s4, exec_lo
	s_waitcnt vmcnt(0)
	ds_write_b64 v66, v[63:64]
	s_waitcnt lgkmcnt(0)
	s_barrier
	buffer_gl0_inv
	v_cmpx_gt_u32_e32 18, v0
	s_cbranch_execz .LBB30_83
; %bb.80:
	v_mov_b32_e32 v63, 0
	v_add_nc_u32_e32 v68, -1, v0
	v_add_nc_u32_e32 v69, 0x100, v65
	v_mov_b32_e32 v64, 0
	v_mov_b32_e32 v70, v65
	s_mov_b32 s5, 0
.LBB30_81:                              ; =>This Inner Loop Header: Depth=1
	s_clause 0x1
	buffer_load_dword v71, v70, s[0:3], 0 offen
	buffer_load_dword v72, v70, s[0:3], 0 offen offset:4
	ds_read_b64 v[73:74], v69
	v_add_nc_u32_e32 v68, 1, v68
	v_add_nc_u32_e32 v69, 8, v69
	v_add_nc_u32_e32 v70, 8, v70
	v_cmp_lt_u32_e32 vcc_lo, 16, v68
	s_or_b32 s5, vcc_lo, s5
	s_waitcnt vmcnt(0) lgkmcnt(0)
	v_fma_f64 v[63:64], v[71:72], v[73:74], v[63:64]
	s_andn2_b32 exec_lo, exec_lo, s5
	s_cbranch_execnz .LBB30_81
; %bb.82:
	s_or_b32 exec_lo, exec_lo, s5
	v_mov_b32_e32 v68, 0
	ds_read_b64 v[68:69], v68 offset:144
	s_waitcnt lgkmcnt(0)
	v_mul_f64 v[63:64], v[63:64], v[68:69]
	buffer_store_dword v64, off, s[0:3], 0 offset:148
	buffer_store_dword v63, off, s[0:3], 0 offset:144
.LBB30_83:
	s_or_b32 exec_lo, exec_lo, s4
	s_waitcnt_vscnt null, 0x0
	s_barrier
	buffer_gl0_inv
	s_clause 0x1
	buffer_load_dword v63, off, s[0:3], 0 offset:152
	buffer_load_dword v64, off, s[0:3], 0 offset:156
	s_mov_b32 s4, exec_lo
	s_waitcnt vmcnt(0)
	ds_write_b64 v66, v[63:64]
	s_waitcnt lgkmcnt(0)
	s_barrier
	buffer_gl0_inv
	v_cmpx_gt_u32_e32 19, v0
	s_cbranch_execz .LBB30_87
; %bb.84:
	v_mov_b32_e32 v63, 0
	v_add_nc_u32_e32 v68, -1, v0
	v_add_nc_u32_e32 v69, 0x100, v65
	v_mov_b32_e32 v64, 0
	v_mov_b32_e32 v70, v65
	s_mov_b32 s5, 0
.LBB30_85:                              ; =>This Inner Loop Header: Depth=1
	s_clause 0x1
	buffer_load_dword v71, v70, s[0:3], 0 offen
	buffer_load_dword v72, v70, s[0:3], 0 offen offset:4
	ds_read_b64 v[73:74], v69
	v_add_nc_u32_e32 v68, 1, v68
	v_add_nc_u32_e32 v69, 8, v69
	v_add_nc_u32_e32 v70, 8, v70
	v_cmp_lt_u32_e32 vcc_lo, 17, v68
	s_or_b32 s5, vcc_lo, s5
	s_waitcnt vmcnt(0) lgkmcnt(0)
	v_fma_f64 v[63:64], v[71:72], v[73:74], v[63:64]
	s_andn2_b32 exec_lo, exec_lo, s5
	s_cbranch_execnz .LBB30_85
; %bb.86:
	s_or_b32 exec_lo, exec_lo, s5
	v_mov_b32_e32 v68, 0
	ds_read_b64 v[68:69], v68 offset:152
	s_waitcnt lgkmcnt(0)
	v_mul_f64 v[63:64], v[63:64], v[68:69]
	buffer_store_dword v64, off, s[0:3], 0 offset:156
	buffer_store_dword v63, off, s[0:3], 0 offset:152
.LBB30_87:
	s_or_b32 exec_lo, exec_lo, s4
	s_waitcnt_vscnt null, 0x0
	s_barrier
	buffer_gl0_inv
	s_clause 0x1
	buffer_load_dword v63, off, s[0:3], 0 offset:160
	buffer_load_dword v64, off, s[0:3], 0 offset:164
	s_mov_b32 s4, exec_lo
	s_waitcnt vmcnt(0)
	ds_write_b64 v66, v[63:64]
	s_waitcnt lgkmcnt(0)
	s_barrier
	buffer_gl0_inv
	v_cmpx_gt_u32_e32 20, v0
	s_cbranch_execz .LBB30_91
; %bb.88:
	v_mov_b32_e32 v63, 0
	v_add_nc_u32_e32 v68, -1, v0
	v_add_nc_u32_e32 v69, 0x100, v65
	v_mov_b32_e32 v64, 0
	v_mov_b32_e32 v70, v65
	s_mov_b32 s5, 0
.LBB30_89:                              ; =>This Inner Loop Header: Depth=1
	s_clause 0x1
	buffer_load_dword v71, v70, s[0:3], 0 offen
	buffer_load_dword v72, v70, s[0:3], 0 offen offset:4
	ds_read_b64 v[73:74], v69
	v_add_nc_u32_e32 v68, 1, v68
	v_add_nc_u32_e32 v69, 8, v69
	v_add_nc_u32_e32 v70, 8, v70
	v_cmp_lt_u32_e32 vcc_lo, 18, v68
	s_or_b32 s5, vcc_lo, s5
	s_waitcnt vmcnt(0) lgkmcnt(0)
	v_fma_f64 v[63:64], v[71:72], v[73:74], v[63:64]
	s_andn2_b32 exec_lo, exec_lo, s5
	s_cbranch_execnz .LBB30_89
; %bb.90:
	s_or_b32 exec_lo, exec_lo, s5
	v_mov_b32_e32 v68, 0
	ds_read_b64 v[68:69], v68 offset:160
	s_waitcnt lgkmcnt(0)
	v_mul_f64 v[63:64], v[63:64], v[68:69]
	buffer_store_dword v64, off, s[0:3], 0 offset:164
	buffer_store_dword v63, off, s[0:3], 0 offset:160
.LBB30_91:
	s_or_b32 exec_lo, exec_lo, s4
	s_waitcnt_vscnt null, 0x0
	s_barrier
	buffer_gl0_inv
	s_clause 0x1
	buffer_load_dword v63, off, s[0:3], 0 offset:168
	buffer_load_dword v64, off, s[0:3], 0 offset:172
	s_mov_b32 s4, exec_lo
	s_waitcnt vmcnt(0)
	ds_write_b64 v66, v[63:64]
	s_waitcnt lgkmcnt(0)
	s_barrier
	buffer_gl0_inv
	v_cmpx_gt_u32_e32 21, v0
	s_cbranch_execz .LBB30_95
; %bb.92:
	v_mov_b32_e32 v63, 0
	v_add_nc_u32_e32 v68, -1, v0
	v_add_nc_u32_e32 v69, 0x100, v65
	v_mov_b32_e32 v64, 0
	v_mov_b32_e32 v70, v65
	s_mov_b32 s5, 0
.LBB30_93:                              ; =>This Inner Loop Header: Depth=1
	s_clause 0x1
	buffer_load_dword v71, v70, s[0:3], 0 offen
	buffer_load_dword v72, v70, s[0:3], 0 offen offset:4
	ds_read_b64 v[73:74], v69
	v_add_nc_u32_e32 v68, 1, v68
	v_add_nc_u32_e32 v69, 8, v69
	v_add_nc_u32_e32 v70, 8, v70
	v_cmp_lt_u32_e32 vcc_lo, 19, v68
	s_or_b32 s5, vcc_lo, s5
	s_waitcnt vmcnt(0) lgkmcnt(0)
	v_fma_f64 v[63:64], v[71:72], v[73:74], v[63:64]
	s_andn2_b32 exec_lo, exec_lo, s5
	s_cbranch_execnz .LBB30_93
; %bb.94:
	s_or_b32 exec_lo, exec_lo, s5
	v_mov_b32_e32 v68, 0
	ds_read_b64 v[68:69], v68 offset:168
	s_waitcnt lgkmcnt(0)
	v_mul_f64 v[63:64], v[63:64], v[68:69]
	buffer_store_dword v64, off, s[0:3], 0 offset:172
	buffer_store_dword v63, off, s[0:3], 0 offset:168
.LBB30_95:
	s_or_b32 exec_lo, exec_lo, s4
	s_waitcnt_vscnt null, 0x0
	s_barrier
	buffer_gl0_inv
	s_clause 0x1
	buffer_load_dword v63, off, s[0:3], 0 offset:176
	buffer_load_dword v64, off, s[0:3], 0 offset:180
	s_mov_b32 s4, exec_lo
	s_waitcnt vmcnt(0)
	ds_write_b64 v66, v[63:64]
	s_waitcnt lgkmcnt(0)
	s_barrier
	buffer_gl0_inv
	v_cmpx_gt_u32_e32 22, v0
	s_cbranch_execz .LBB30_99
; %bb.96:
	v_mov_b32_e32 v63, 0
	v_add_nc_u32_e32 v68, -1, v0
	v_add_nc_u32_e32 v69, 0x100, v65
	v_mov_b32_e32 v64, 0
	v_mov_b32_e32 v70, v65
	s_mov_b32 s5, 0
.LBB30_97:                              ; =>This Inner Loop Header: Depth=1
	s_clause 0x1
	buffer_load_dword v71, v70, s[0:3], 0 offen
	buffer_load_dword v72, v70, s[0:3], 0 offen offset:4
	ds_read_b64 v[73:74], v69
	v_add_nc_u32_e32 v68, 1, v68
	v_add_nc_u32_e32 v69, 8, v69
	v_add_nc_u32_e32 v70, 8, v70
	v_cmp_lt_u32_e32 vcc_lo, 20, v68
	s_or_b32 s5, vcc_lo, s5
	s_waitcnt vmcnt(0) lgkmcnt(0)
	v_fma_f64 v[63:64], v[71:72], v[73:74], v[63:64]
	s_andn2_b32 exec_lo, exec_lo, s5
	s_cbranch_execnz .LBB30_97
; %bb.98:
	s_or_b32 exec_lo, exec_lo, s5
	v_mov_b32_e32 v68, 0
	ds_read_b64 v[68:69], v68 offset:176
	s_waitcnt lgkmcnt(0)
	v_mul_f64 v[63:64], v[63:64], v[68:69]
	buffer_store_dword v64, off, s[0:3], 0 offset:180
	buffer_store_dword v63, off, s[0:3], 0 offset:176
.LBB30_99:
	s_or_b32 exec_lo, exec_lo, s4
	s_waitcnt_vscnt null, 0x0
	s_barrier
	buffer_gl0_inv
	s_clause 0x1
	buffer_load_dword v63, off, s[0:3], 0 offset:184
	buffer_load_dword v64, off, s[0:3], 0 offset:188
	s_mov_b32 s4, exec_lo
	s_waitcnt vmcnt(0)
	ds_write_b64 v66, v[63:64]
	s_waitcnt lgkmcnt(0)
	s_barrier
	buffer_gl0_inv
	v_cmpx_gt_u32_e32 23, v0
	s_cbranch_execz .LBB30_103
; %bb.100:
	v_mov_b32_e32 v63, 0
	v_add_nc_u32_e32 v68, -1, v0
	v_add_nc_u32_e32 v69, 0x100, v65
	v_mov_b32_e32 v64, 0
	v_mov_b32_e32 v70, v65
	s_mov_b32 s5, 0
.LBB30_101:                             ; =>This Inner Loop Header: Depth=1
	s_clause 0x1
	buffer_load_dword v71, v70, s[0:3], 0 offen
	buffer_load_dword v72, v70, s[0:3], 0 offen offset:4
	ds_read_b64 v[73:74], v69
	v_add_nc_u32_e32 v68, 1, v68
	v_add_nc_u32_e32 v69, 8, v69
	v_add_nc_u32_e32 v70, 8, v70
	v_cmp_lt_u32_e32 vcc_lo, 21, v68
	s_or_b32 s5, vcc_lo, s5
	s_waitcnt vmcnt(0) lgkmcnt(0)
	v_fma_f64 v[63:64], v[71:72], v[73:74], v[63:64]
	s_andn2_b32 exec_lo, exec_lo, s5
	s_cbranch_execnz .LBB30_101
; %bb.102:
	s_or_b32 exec_lo, exec_lo, s5
	v_mov_b32_e32 v68, 0
	ds_read_b64 v[68:69], v68 offset:184
	s_waitcnt lgkmcnt(0)
	v_mul_f64 v[63:64], v[63:64], v[68:69]
	buffer_store_dword v64, off, s[0:3], 0 offset:188
	buffer_store_dword v63, off, s[0:3], 0 offset:184
.LBB30_103:
	s_or_b32 exec_lo, exec_lo, s4
	s_waitcnt_vscnt null, 0x0
	s_barrier
	buffer_gl0_inv
	s_clause 0x1
	buffer_load_dword v63, off, s[0:3], 0 offset:192
	buffer_load_dword v64, off, s[0:3], 0 offset:196
	s_mov_b32 s4, exec_lo
	s_waitcnt vmcnt(0)
	ds_write_b64 v66, v[63:64]
	s_waitcnt lgkmcnt(0)
	s_barrier
	buffer_gl0_inv
	v_cmpx_gt_u32_e32 24, v0
	s_cbranch_execz .LBB30_107
; %bb.104:
	v_mov_b32_e32 v63, 0
	v_add_nc_u32_e32 v68, -1, v0
	v_add_nc_u32_e32 v69, 0x100, v65
	v_mov_b32_e32 v64, 0
	v_mov_b32_e32 v70, v65
	s_mov_b32 s5, 0
.LBB30_105:                             ; =>This Inner Loop Header: Depth=1
	s_clause 0x1
	buffer_load_dword v71, v70, s[0:3], 0 offen
	buffer_load_dword v72, v70, s[0:3], 0 offen offset:4
	ds_read_b64 v[73:74], v69
	v_add_nc_u32_e32 v68, 1, v68
	v_add_nc_u32_e32 v69, 8, v69
	v_add_nc_u32_e32 v70, 8, v70
	v_cmp_lt_u32_e32 vcc_lo, 22, v68
	s_or_b32 s5, vcc_lo, s5
	s_waitcnt vmcnt(0) lgkmcnt(0)
	v_fma_f64 v[63:64], v[71:72], v[73:74], v[63:64]
	s_andn2_b32 exec_lo, exec_lo, s5
	s_cbranch_execnz .LBB30_105
; %bb.106:
	s_or_b32 exec_lo, exec_lo, s5
	v_mov_b32_e32 v68, 0
	ds_read_b64 v[68:69], v68 offset:192
	s_waitcnt lgkmcnt(0)
	v_mul_f64 v[63:64], v[63:64], v[68:69]
	buffer_store_dword v64, off, s[0:3], 0 offset:196
	buffer_store_dword v63, off, s[0:3], 0 offset:192
.LBB30_107:
	s_or_b32 exec_lo, exec_lo, s4
	s_waitcnt_vscnt null, 0x0
	s_barrier
	buffer_gl0_inv
	s_clause 0x1
	buffer_load_dword v63, off, s[0:3], 0 offset:200
	buffer_load_dword v64, off, s[0:3], 0 offset:204
	s_mov_b32 s4, exec_lo
	s_waitcnt vmcnt(0)
	ds_write_b64 v66, v[63:64]
	s_waitcnt lgkmcnt(0)
	s_barrier
	buffer_gl0_inv
	v_cmpx_gt_u32_e32 25, v0
	s_cbranch_execz .LBB30_111
; %bb.108:
	v_mov_b32_e32 v63, 0
	v_add_nc_u32_e32 v68, -1, v0
	v_add_nc_u32_e32 v69, 0x100, v65
	v_mov_b32_e32 v64, 0
	v_mov_b32_e32 v70, v65
	s_mov_b32 s5, 0
.LBB30_109:                             ; =>This Inner Loop Header: Depth=1
	s_clause 0x1
	buffer_load_dword v71, v70, s[0:3], 0 offen
	buffer_load_dword v72, v70, s[0:3], 0 offen offset:4
	ds_read_b64 v[73:74], v69
	v_add_nc_u32_e32 v68, 1, v68
	v_add_nc_u32_e32 v69, 8, v69
	v_add_nc_u32_e32 v70, 8, v70
	v_cmp_lt_u32_e32 vcc_lo, 23, v68
	s_or_b32 s5, vcc_lo, s5
	s_waitcnt vmcnt(0) lgkmcnt(0)
	v_fma_f64 v[63:64], v[71:72], v[73:74], v[63:64]
	s_andn2_b32 exec_lo, exec_lo, s5
	s_cbranch_execnz .LBB30_109
; %bb.110:
	s_or_b32 exec_lo, exec_lo, s5
	v_mov_b32_e32 v68, 0
	ds_read_b64 v[68:69], v68 offset:200
	s_waitcnt lgkmcnt(0)
	v_mul_f64 v[63:64], v[63:64], v[68:69]
	buffer_store_dword v64, off, s[0:3], 0 offset:204
	buffer_store_dword v63, off, s[0:3], 0 offset:200
.LBB30_111:
	s_or_b32 exec_lo, exec_lo, s4
	s_waitcnt_vscnt null, 0x0
	s_barrier
	buffer_gl0_inv
	s_clause 0x1
	buffer_load_dword v63, off, s[0:3], 0 offset:208
	buffer_load_dword v64, off, s[0:3], 0 offset:212
	s_mov_b32 s4, exec_lo
	s_waitcnt vmcnt(0)
	ds_write_b64 v66, v[63:64]
	s_waitcnt lgkmcnt(0)
	s_barrier
	buffer_gl0_inv
	v_cmpx_gt_u32_e32 26, v0
	s_cbranch_execz .LBB30_115
; %bb.112:
	v_mov_b32_e32 v63, 0
	v_add_nc_u32_e32 v68, -1, v0
	v_add_nc_u32_e32 v69, 0x100, v65
	v_mov_b32_e32 v64, 0
	v_mov_b32_e32 v70, v65
	s_mov_b32 s5, 0
.LBB30_113:                             ; =>This Inner Loop Header: Depth=1
	s_clause 0x1
	buffer_load_dword v71, v70, s[0:3], 0 offen
	buffer_load_dword v72, v70, s[0:3], 0 offen offset:4
	ds_read_b64 v[73:74], v69
	v_add_nc_u32_e32 v68, 1, v68
	v_add_nc_u32_e32 v69, 8, v69
	v_add_nc_u32_e32 v70, 8, v70
	v_cmp_lt_u32_e32 vcc_lo, 24, v68
	s_or_b32 s5, vcc_lo, s5
	s_waitcnt vmcnt(0) lgkmcnt(0)
	v_fma_f64 v[63:64], v[71:72], v[73:74], v[63:64]
	s_andn2_b32 exec_lo, exec_lo, s5
	s_cbranch_execnz .LBB30_113
; %bb.114:
	s_or_b32 exec_lo, exec_lo, s5
	v_mov_b32_e32 v68, 0
	ds_read_b64 v[68:69], v68 offset:208
	s_waitcnt lgkmcnt(0)
	v_mul_f64 v[63:64], v[63:64], v[68:69]
	buffer_store_dword v64, off, s[0:3], 0 offset:212
	buffer_store_dword v63, off, s[0:3], 0 offset:208
.LBB30_115:
	s_or_b32 exec_lo, exec_lo, s4
	s_waitcnt_vscnt null, 0x0
	s_barrier
	buffer_gl0_inv
	s_clause 0x1
	buffer_load_dword v63, off, s[0:3], 0 offset:216
	buffer_load_dword v64, off, s[0:3], 0 offset:220
	s_mov_b32 s4, exec_lo
	s_waitcnt vmcnt(0)
	ds_write_b64 v66, v[63:64]
	s_waitcnt lgkmcnt(0)
	s_barrier
	buffer_gl0_inv
	v_cmpx_gt_u32_e32 27, v0
	s_cbranch_execz .LBB30_119
; %bb.116:
	v_mov_b32_e32 v63, 0
	v_add_nc_u32_e32 v68, -1, v0
	v_add_nc_u32_e32 v69, 0x100, v65
	v_mov_b32_e32 v64, 0
	v_mov_b32_e32 v70, v65
	s_mov_b32 s5, 0
.LBB30_117:                             ; =>This Inner Loop Header: Depth=1
	s_clause 0x1
	buffer_load_dword v71, v70, s[0:3], 0 offen
	buffer_load_dword v72, v70, s[0:3], 0 offen offset:4
	ds_read_b64 v[73:74], v69
	v_add_nc_u32_e32 v68, 1, v68
	v_add_nc_u32_e32 v69, 8, v69
	v_add_nc_u32_e32 v70, 8, v70
	v_cmp_lt_u32_e32 vcc_lo, 25, v68
	s_or_b32 s5, vcc_lo, s5
	s_waitcnt vmcnt(0) lgkmcnt(0)
	v_fma_f64 v[63:64], v[71:72], v[73:74], v[63:64]
	s_andn2_b32 exec_lo, exec_lo, s5
	s_cbranch_execnz .LBB30_117
; %bb.118:
	s_or_b32 exec_lo, exec_lo, s5
	v_mov_b32_e32 v68, 0
	ds_read_b64 v[68:69], v68 offset:216
	s_waitcnt lgkmcnt(0)
	v_mul_f64 v[63:64], v[63:64], v[68:69]
	buffer_store_dword v64, off, s[0:3], 0 offset:220
	buffer_store_dword v63, off, s[0:3], 0 offset:216
.LBB30_119:
	s_or_b32 exec_lo, exec_lo, s4
	s_waitcnt_vscnt null, 0x0
	s_barrier
	buffer_gl0_inv
	s_clause 0x1
	buffer_load_dword v63, off, s[0:3], 0 offset:224
	buffer_load_dword v64, off, s[0:3], 0 offset:228
	s_mov_b32 s4, exec_lo
	s_waitcnt vmcnt(0)
	ds_write_b64 v66, v[63:64]
	s_waitcnt lgkmcnt(0)
	s_barrier
	buffer_gl0_inv
	v_cmpx_gt_u32_e32 28, v0
	s_cbranch_execz .LBB30_123
; %bb.120:
	v_mov_b32_e32 v63, 0
	v_add_nc_u32_e32 v68, -1, v0
	v_add_nc_u32_e32 v69, 0x100, v65
	v_mov_b32_e32 v64, 0
	v_mov_b32_e32 v70, v65
	s_mov_b32 s5, 0
.LBB30_121:                             ; =>This Inner Loop Header: Depth=1
	s_clause 0x1
	buffer_load_dword v71, v70, s[0:3], 0 offen
	buffer_load_dword v72, v70, s[0:3], 0 offen offset:4
	ds_read_b64 v[73:74], v69
	v_add_nc_u32_e32 v68, 1, v68
	v_add_nc_u32_e32 v69, 8, v69
	v_add_nc_u32_e32 v70, 8, v70
	v_cmp_lt_u32_e32 vcc_lo, 26, v68
	s_or_b32 s5, vcc_lo, s5
	s_waitcnt vmcnt(0) lgkmcnt(0)
	v_fma_f64 v[63:64], v[71:72], v[73:74], v[63:64]
	s_andn2_b32 exec_lo, exec_lo, s5
	s_cbranch_execnz .LBB30_121
; %bb.122:
	s_or_b32 exec_lo, exec_lo, s5
	v_mov_b32_e32 v68, 0
	ds_read_b64 v[68:69], v68 offset:224
	s_waitcnt lgkmcnt(0)
	v_mul_f64 v[63:64], v[63:64], v[68:69]
	buffer_store_dword v64, off, s[0:3], 0 offset:228
	buffer_store_dword v63, off, s[0:3], 0 offset:224
.LBB30_123:
	s_or_b32 exec_lo, exec_lo, s4
	s_waitcnt_vscnt null, 0x0
	s_barrier
	buffer_gl0_inv
	s_clause 0x1
	buffer_load_dword v63, off, s[0:3], 0 offset:232
	buffer_load_dword v64, off, s[0:3], 0 offset:236
	s_mov_b32 s4, exec_lo
	s_waitcnt vmcnt(0)
	ds_write_b64 v66, v[63:64]
	s_waitcnt lgkmcnt(0)
	s_barrier
	buffer_gl0_inv
	v_cmpx_gt_u32_e32 29, v0
	s_cbranch_execz .LBB30_127
; %bb.124:
	v_mov_b32_e32 v63, 0
	v_add_nc_u32_e32 v68, -1, v0
	v_add_nc_u32_e32 v69, 0x100, v65
	v_mov_b32_e32 v64, 0
	v_mov_b32_e32 v70, v65
	s_mov_b32 s5, 0
.LBB30_125:                             ; =>This Inner Loop Header: Depth=1
	s_clause 0x1
	buffer_load_dword v71, v70, s[0:3], 0 offen
	buffer_load_dword v72, v70, s[0:3], 0 offen offset:4
	ds_read_b64 v[73:74], v69
	v_add_nc_u32_e32 v68, 1, v68
	v_add_nc_u32_e32 v69, 8, v69
	v_add_nc_u32_e32 v70, 8, v70
	v_cmp_lt_u32_e32 vcc_lo, 27, v68
	s_or_b32 s5, vcc_lo, s5
	s_waitcnt vmcnt(0) lgkmcnt(0)
	v_fma_f64 v[63:64], v[71:72], v[73:74], v[63:64]
	s_andn2_b32 exec_lo, exec_lo, s5
	s_cbranch_execnz .LBB30_125
; %bb.126:
	s_or_b32 exec_lo, exec_lo, s5
	v_mov_b32_e32 v68, 0
	ds_read_b64 v[68:69], v68 offset:232
	s_waitcnt lgkmcnt(0)
	v_mul_f64 v[63:64], v[63:64], v[68:69]
	buffer_store_dword v64, off, s[0:3], 0 offset:236
	buffer_store_dword v63, off, s[0:3], 0 offset:232
.LBB30_127:
	s_or_b32 exec_lo, exec_lo, s4
	s_waitcnt_vscnt null, 0x0
	s_barrier
	buffer_gl0_inv
	s_clause 0x1
	buffer_load_dword v63, off, s[0:3], 0 offset:240
	buffer_load_dword v64, off, s[0:3], 0 offset:244
	s_mov_b32 s4, exec_lo
	s_waitcnt vmcnt(0)
	ds_write_b64 v66, v[63:64]
	s_waitcnt lgkmcnt(0)
	s_barrier
	buffer_gl0_inv
	v_cmpx_ne_u32_e32 30, v0
	s_cbranch_execz .LBB30_131
; %bb.128:
	v_mov_b32_e32 v63, 0
	v_mov_b32_e32 v64, 0
	s_mov_b32 s5, 0
.LBB30_129:                             ; =>This Inner Loop Header: Depth=1
	s_clause 0x1
	buffer_load_dword v68, v65, s[0:3], 0 offen
	buffer_load_dword v69, v65, s[0:3], 0 offen offset:4
	ds_read_b64 v[70:71], v66
	v_add_nc_u32_e32 v67, 1, v67
	v_add_nc_u32_e32 v66, 8, v66
	;; [unrolled: 1-line block ×3, first 2 shown]
	v_cmp_lt_u32_e32 vcc_lo, 28, v67
	s_or_b32 s5, vcc_lo, s5
	s_waitcnt vmcnt(0) lgkmcnt(0)
	v_fma_f64 v[63:64], v[68:69], v[70:71], v[63:64]
	s_andn2_b32 exec_lo, exec_lo, s5
	s_cbranch_execnz .LBB30_129
; %bb.130:
	s_or_b32 exec_lo, exec_lo, s5
	v_mov_b32_e32 v65, 0
	ds_read_b64 v[65:66], v65 offset:240
	s_waitcnt lgkmcnt(0)
	v_mul_f64 v[63:64], v[63:64], v[65:66]
	buffer_store_dword v64, off, s[0:3], 0 offset:244
	buffer_store_dword v63, off, s[0:3], 0 offset:240
.LBB30_131:
	s_or_b32 exec_lo, exec_lo, s4
	s_mov_b32 s5, -1
	s_waitcnt_vscnt null, 0x0
	s_barrier
	buffer_gl0_inv
.LBB30_132:
	s_and_b32 vcc_lo, exec_lo, s5
	s_cbranch_vccz .LBB30_134
; %bb.133:
	s_lshl_b64 s[4:5], s[6:7], 2
	v_mov_b32_e32 v63, 0
	s_add_u32 s4, s10, s4
	s_addc_u32 s5, s11, s5
	global_load_dword v63, v63, s[4:5]
	s_waitcnt vmcnt(0)
	v_cmp_ne_u32_e32 vcc_lo, 0, v63
	s_cbranch_vccz .LBB30_135
.LBB30_134:
	s_endpgm
.LBB30_135:
	v_lshl_add_u32 v63, v0, 3, 0x100
	s_mov_b32 s4, exec_lo
	v_cmpx_eq_u32_e32 30, v0
	s_cbranch_execz .LBB30_137
; %bb.136:
	s_clause 0x1
	buffer_load_dword v64, off, s[0:3], 0 offset:232
	buffer_load_dword v65, off, s[0:3], 0 offset:236
	v_mov_b32_e32 v66, 0
	buffer_store_dword v66, off, s[0:3], 0 offset:232
	buffer_store_dword v66, off, s[0:3], 0 offset:236
	s_waitcnt vmcnt(0)
	ds_write_b64 v63, v[64:65]
.LBB30_137:
	s_or_b32 exec_lo, exec_lo, s4
	s_waitcnt lgkmcnt(0)
	s_waitcnt_vscnt null, 0x0
	s_barrier
	buffer_gl0_inv
	s_clause 0x3
	buffer_load_dword v65, off, s[0:3], 0 offset:240
	buffer_load_dword v66, off, s[0:3], 0 offset:244
	;; [unrolled: 1-line block ×4, first 2 shown]
	v_mov_b32_e32 v64, 0
	s_mov_b32 s4, exec_lo
	ds_read_b64 v[69:70], v64 offset:496
	s_waitcnt vmcnt(2) lgkmcnt(0)
	v_fma_f64 v[65:66], v[65:66], v[69:70], 0
	s_waitcnt vmcnt(0)
	v_add_f64 v[65:66], v[67:68], -v[65:66]
	buffer_store_dword v65, off, s[0:3], 0 offset:232
	buffer_store_dword v66, off, s[0:3], 0 offset:236
	v_cmpx_lt_u32_e32 28, v0
	s_cbranch_execz .LBB30_139
; %bb.138:
	s_clause 0x1
	buffer_load_dword v65, off, s[0:3], 0 offset:224
	buffer_load_dword v66, off, s[0:3], 0 offset:228
	buffer_store_dword v64, off, s[0:3], 0 offset:224
	buffer_store_dword v64, off, s[0:3], 0 offset:228
	s_waitcnt vmcnt(0)
	ds_write_b64 v63, v[65:66]
.LBB30_139:
	s_or_b32 exec_lo, exec_lo, s4
	s_waitcnt lgkmcnt(0)
	s_waitcnt_vscnt null, 0x0
	s_barrier
	buffer_gl0_inv
	s_clause 0x5
	buffer_load_dword v68, off, s[0:3], 0 offset:232
	buffer_load_dword v69, off, s[0:3], 0 offset:236
	buffer_load_dword v70, off, s[0:3], 0 offset:240
	buffer_load_dword v71, off, s[0:3], 0 offset:244
	buffer_load_dword v72, off, s[0:3], 0 offset:224
	buffer_load_dword v73, off, s[0:3], 0 offset:228
	ds_read2_b64 v[64:67], v64 offset0:61 offset1:62
	s_mov_b32 s4, exec_lo
	s_waitcnt vmcnt(4) lgkmcnt(0)
	v_fma_f64 v[64:65], v[68:69], v[64:65], 0
	s_waitcnt vmcnt(2)
	v_fma_f64 v[64:65], v[70:71], v[66:67], v[64:65]
	s_waitcnt vmcnt(0)
	v_add_f64 v[64:65], v[72:73], -v[64:65]
	buffer_store_dword v64, off, s[0:3], 0 offset:224
	buffer_store_dword v65, off, s[0:3], 0 offset:228
	v_cmpx_lt_u32_e32 27, v0
	s_cbranch_execz .LBB30_141
; %bb.140:
	s_clause 0x1
	buffer_load_dword v64, off, s[0:3], 0 offset:216
	buffer_load_dword v65, off, s[0:3], 0 offset:220
	v_mov_b32_e32 v66, 0
	buffer_store_dword v66, off, s[0:3], 0 offset:216
	buffer_store_dword v66, off, s[0:3], 0 offset:220
	s_waitcnt vmcnt(0)
	ds_write_b64 v63, v[64:65]
.LBB30_141:
	s_or_b32 exec_lo, exec_lo, s4
	s_waitcnt lgkmcnt(0)
	s_waitcnt_vscnt null, 0x0
	s_barrier
	buffer_gl0_inv
	s_clause 0x7
	buffer_load_dword v69, off, s[0:3], 0 offset:224
	buffer_load_dword v70, off, s[0:3], 0 offset:228
	;; [unrolled: 1-line block ×8, first 2 shown]
	v_mov_b32_e32 v64, 0
	ds_read_b128 v[65:68], v64 offset:480
	ds_read_b64 v[77:78], v64 offset:496
	s_mov_b32 s4, exec_lo
	s_waitcnt vmcnt(6) lgkmcnt(1)
	v_fma_f64 v[65:66], v[69:70], v[65:66], 0
	s_waitcnt vmcnt(4)
	v_fma_f64 v[65:66], v[71:72], v[67:68], v[65:66]
	s_waitcnt vmcnt(2) lgkmcnt(0)
	v_fma_f64 v[65:66], v[73:74], v[77:78], v[65:66]
	s_waitcnt vmcnt(0)
	v_add_f64 v[65:66], v[75:76], -v[65:66]
	buffer_store_dword v65, off, s[0:3], 0 offset:216
	buffer_store_dword v66, off, s[0:3], 0 offset:220
	v_cmpx_lt_u32_e32 26, v0
	s_cbranch_execz .LBB30_143
; %bb.142:
	s_clause 0x1
	buffer_load_dword v65, off, s[0:3], 0 offset:208
	buffer_load_dword v66, off, s[0:3], 0 offset:212
	buffer_store_dword v64, off, s[0:3], 0 offset:208
	buffer_store_dword v64, off, s[0:3], 0 offset:212
	s_waitcnt vmcnt(0)
	ds_write_b64 v63, v[65:66]
.LBB30_143:
	s_or_b32 exec_lo, exec_lo, s4
	s_waitcnt lgkmcnt(0)
	s_waitcnt_vscnt null, 0x0
	s_barrier
	buffer_gl0_inv
	s_clause 0x9
	buffer_load_dword v73, off, s[0:3], 0 offset:216
	buffer_load_dword v74, off, s[0:3], 0 offset:220
	;; [unrolled: 1-line block ×10, first 2 shown]
	ds_read2_b64 v[65:68], v64 offset0:59 offset1:60
	ds_read2_b64 v[69:72], v64 offset0:61 offset1:62
	s_mov_b32 s4, exec_lo
	s_waitcnt vmcnt(8) lgkmcnt(1)
	v_fma_f64 v[64:65], v[73:74], v[65:66], 0
	s_waitcnt vmcnt(6)
	v_fma_f64 v[64:65], v[75:76], v[67:68], v[64:65]
	s_waitcnt vmcnt(4) lgkmcnt(0)
	v_fma_f64 v[64:65], v[77:78], v[69:70], v[64:65]
	s_waitcnt vmcnt(2)
	v_fma_f64 v[64:65], v[79:80], v[71:72], v[64:65]
	s_waitcnt vmcnt(0)
	v_add_f64 v[64:65], v[81:82], -v[64:65]
	buffer_store_dword v64, off, s[0:3], 0 offset:208
	buffer_store_dword v65, off, s[0:3], 0 offset:212
	v_cmpx_lt_u32_e32 25, v0
	s_cbranch_execz .LBB30_145
; %bb.144:
	s_clause 0x1
	buffer_load_dword v64, off, s[0:3], 0 offset:200
	buffer_load_dword v65, off, s[0:3], 0 offset:204
	v_mov_b32_e32 v66, 0
	buffer_store_dword v66, off, s[0:3], 0 offset:200
	buffer_store_dword v66, off, s[0:3], 0 offset:204
	s_waitcnt vmcnt(0)
	ds_write_b64 v63, v[64:65]
.LBB30_145:
	s_or_b32 exec_lo, exec_lo, s4
	s_waitcnt lgkmcnt(0)
	s_waitcnt_vscnt null, 0x0
	s_barrier
	buffer_gl0_inv
	s_clause 0xb
	buffer_load_dword v73, off, s[0:3], 0 offset:208
	buffer_load_dword v74, off, s[0:3], 0 offset:212
	;; [unrolled: 1-line block ×12, first 2 shown]
	v_mov_b32_e32 v64, 0
	ds_read_b128 v[65:68], v64 offset:464
	ds_read_b128 v[69:72], v64 offset:480
	s_mov_b32 s4, exec_lo
	s_waitcnt vmcnt(10) lgkmcnt(1)
	v_fma_f64 v[65:66], v[73:74], v[65:66], 0
	s_waitcnt vmcnt(8)
	v_fma_f64 v[65:66], v[75:76], v[67:68], v[65:66]
	ds_read_b64 v[67:68], v64 offset:496
	s_waitcnt vmcnt(6) lgkmcnt(1)
	v_fma_f64 v[65:66], v[77:78], v[69:70], v[65:66]
	s_waitcnt vmcnt(4)
	v_fma_f64 v[65:66], v[79:80], v[71:72], v[65:66]
	s_waitcnt vmcnt(2) lgkmcnt(0)
	v_fma_f64 v[65:66], v[81:82], v[67:68], v[65:66]
	s_waitcnt vmcnt(0)
	v_add_f64 v[65:66], v[83:84], -v[65:66]
	buffer_store_dword v65, off, s[0:3], 0 offset:200
	buffer_store_dword v66, off, s[0:3], 0 offset:204
	v_cmpx_lt_u32_e32 24, v0
	s_cbranch_execz .LBB30_147
; %bb.146:
	s_clause 0x1
	buffer_load_dword v65, off, s[0:3], 0 offset:192
	buffer_load_dword v66, off, s[0:3], 0 offset:196
	buffer_store_dword v64, off, s[0:3], 0 offset:192
	buffer_store_dword v64, off, s[0:3], 0 offset:196
	s_waitcnt vmcnt(0)
	ds_write_b64 v63, v[65:66]
.LBB30_147:
	s_or_b32 exec_lo, exec_lo, s4
	s_waitcnt lgkmcnt(0)
	s_waitcnt_vscnt null, 0x0
	s_barrier
	buffer_gl0_inv
	s_clause 0xd
	buffer_load_dword v73, off, s[0:3], 0 offset:200
	buffer_load_dword v74, off, s[0:3], 0 offset:204
	;; [unrolled: 1-line block ×14, first 2 shown]
	ds_read2_b64 v[65:68], v64 offset0:57 offset1:58
	ds_read2_b64 v[69:72], v64 offset0:59 offset1:60
	s_mov_b32 s4, exec_lo
	s_waitcnt vmcnt(12) lgkmcnt(1)
	v_fma_f64 v[65:66], v[73:74], v[65:66], 0
	s_waitcnt vmcnt(10)
	v_fma_f64 v[65:66], v[75:76], v[67:68], v[65:66]
	s_waitcnt vmcnt(8) lgkmcnt(0)
	v_fma_f64 v[65:66], v[77:78], v[69:70], v[65:66]
	s_waitcnt vmcnt(6)
	v_fma_f64 v[68:69], v[79:80], v[71:72], v[65:66]
	ds_read2_b64 v[64:67], v64 offset0:61 offset1:62
	s_waitcnt vmcnt(4) lgkmcnt(0)
	v_fma_f64 v[64:65], v[81:82], v[64:65], v[68:69]
	s_waitcnt vmcnt(2)
	v_fma_f64 v[64:65], v[83:84], v[66:67], v[64:65]
	s_waitcnt vmcnt(0)
	v_add_f64 v[64:65], v[85:86], -v[64:65]
	buffer_store_dword v64, off, s[0:3], 0 offset:192
	buffer_store_dword v65, off, s[0:3], 0 offset:196
	v_cmpx_lt_u32_e32 23, v0
	s_cbranch_execz .LBB30_149
; %bb.148:
	s_clause 0x1
	buffer_load_dword v64, off, s[0:3], 0 offset:184
	buffer_load_dword v65, off, s[0:3], 0 offset:188
	v_mov_b32_e32 v66, 0
	buffer_store_dword v66, off, s[0:3], 0 offset:184
	buffer_store_dword v66, off, s[0:3], 0 offset:188
	s_waitcnt vmcnt(0)
	ds_write_b64 v63, v[64:65]
.LBB30_149:
	s_or_b32 exec_lo, exec_lo, s4
	s_waitcnt lgkmcnt(0)
	s_waitcnt_vscnt null, 0x0
	s_barrier
	buffer_gl0_inv
	s_clause 0xf
	buffer_load_dword v73, off, s[0:3], 0 offset:192
	buffer_load_dword v74, off, s[0:3], 0 offset:196
	;; [unrolled: 1-line block ×16, first 2 shown]
	v_mov_b32_e32 v64, 0
	ds_read_b128 v[65:68], v64 offset:448
	ds_read_b128 v[69:72], v64 offset:464
	s_mov_b32 s4, exec_lo
	s_waitcnt vmcnt(14) lgkmcnt(1)
	v_fma_f64 v[65:66], v[73:74], v[65:66], 0
	s_waitcnt vmcnt(12)
	v_fma_f64 v[65:66], v[75:76], v[67:68], v[65:66]
	s_waitcnt vmcnt(10) lgkmcnt(0)
	v_fma_f64 v[65:66], v[77:78], v[69:70], v[65:66]
	s_waitcnt vmcnt(8)
	v_fma_f64 v[69:70], v[79:80], v[71:72], v[65:66]
	ds_read_b128 v[65:68], v64 offset:480
	ds_read_b64 v[71:72], v64 offset:496
	s_waitcnt vmcnt(6) lgkmcnt(1)
	v_fma_f64 v[65:66], v[81:82], v[65:66], v[69:70]
	s_waitcnt vmcnt(4)
	v_fma_f64 v[65:66], v[83:84], v[67:68], v[65:66]
	s_waitcnt vmcnt(2) lgkmcnt(0)
	v_fma_f64 v[65:66], v[85:86], v[71:72], v[65:66]
	s_waitcnt vmcnt(0)
	v_add_f64 v[65:66], v[87:88], -v[65:66]
	buffer_store_dword v65, off, s[0:3], 0 offset:184
	buffer_store_dword v66, off, s[0:3], 0 offset:188
	v_cmpx_lt_u32_e32 22, v0
	s_cbranch_execz .LBB30_151
; %bb.150:
	s_clause 0x1
	buffer_load_dword v65, off, s[0:3], 0 offset:176
	buffer_load_dword v66, off, s[0:3], 0 offset:180
	buffer_store_dword v64, off, s[0:3], 0 offset:176
	buffer_store_dword v64, off, s[0:3], 0 offset:180
	s_waitcnt vmcnt(0)
	ds_write_b64 v63, v[65:66]
.LBB30_151:
	s_or_b32 exec_lo, exec_lo, s4
	s_waitcnt lgkmcnt(0)
	s_waitcnt_vscnt null, 0x0
	s_barrier
	buffer_gl0_inv
	s_clause 0x11
	buffer_load_dword v73, off, s[0:3], 0 offset:184
	buffer_load_dword v74, off, s[0:3], 0 offset:188
	;; [unrolled: 1-line block ×18, first 2 shown]
	ds_read2_b64 v[65:68], v64 offset0:55 offset1:56
	ds_read2_b64 v[69:72], v64 offset0:57 offset1:58
	s_mov_b32 s4, exec_lo
	s_waitcnt vmcnt(16) lgkmcnt(1)
	v_fma_f64 v[65:66], v[73:74], v[65:66], 0
	s_waitcnt vmcnt(14)
	v_fma_f64 v[65:66], v[75:76], v[67:68], v[65:66]
	s_waitcnt vmcnt(12) lgkmcnt(0)
	v_fma_f64 v[65:66], v[77:78], v[69:70], v[65:66]
	s_waitcnt vmcnt(10)
	v_fma_f64 v[73:74], v[79:80], v[71:72], v[65:66]
	ds_read2_b64 v[65:68], v64 offset0:59 offset1:60
	ds_read2_b64 v[69:72], v64 offset0:61 offset1:62
	s_waitcnt vmcnt(8) lgkmcnt(1)
	v_fma_f64 v[64:65], v[81:82], v[65:66], v[73:74]
	s_waitcnt vmcnt(6)
	v_fma_f64 v[64:65], v[83:84], v[67:68], v[64:65]
	s_waitcnt vmcnt(4) lgkmcnt(0)
	v_fma_f64 v[64:65], v[85:86], v[69:70], v[64:65]
	s_waitcnt vmcnt(2)
	v_fma_f64 v[64:65], v[87:88], v[71:72], v[64:65]
	s_waitcnt vmcnt(0)
	v_add_f64 v[64:65], v[89:90], -v[64:65]
	buffer_store_dword v64, off, s[0:3], 0 offset:176
	buffer_store_dword v65, off, s[0:3], 0 offset:180
	v_cmpx_lt_u32_e32 21, v0
	s_cbranch_execz .LBB30_153
; %bb.152:
	s_clause 0x1
	buffer_load_dword v64, off, s[0:3], 0 offset:168
	buffer_load_dword v65, off, s[0:3], 0 offset:172
	v_mov_b32_e32 v66, 0
	buffer_store_dword v66, off, s[0:3], 0 offset:168
	buffer_store_dword v66, off, s[0:3], 0 offset:172
	s_waitcnt vmcnt(0)
	ds_write_b64 v63, v[64:65]
.LBB30_153:
	s_or_b32 exec_lo, exec_lo, s4
	s_waitcnt lgkmcnt(0)
	s_waitcnt_vscnt null, 0x0
	s_barrier
	buffer_gl0_inv
	s_clause 0x13
	buffer_load_dword v73, off, s[0:3], 0 offset:176
	buffer_load_dword v74, off, s[0:3], 0 offset:180
	;; [unrolled: 1-line block ×20, first 2 shown]
	v_mov_b32_e32 v64, 0
	ds_read_b128 v[65:68], v64 offset:432
	ds_read_b128 v[69:72], v64 offset:448
	s_mov_b32 s4, exec_lo
	s_waitcnt vmcnt(18) lgkmcnt(1)
	v_fma_f64 v[65:66], v[73:74], v[65:66], 0
	s_waitcnt vmcnt(16)
	v_fma_f64 v[65:66], v[75:76], v[67:68], v[65:66]
	s_waitcnt vmcnt(14) lgkmcnt(0)
	v_fma_f64 v[65:66], v[77:78], v[69:70], v[65:66]
	s_waitcnt vmcnt(12)
	v_fma_f64 v[73:74], v[79:80], v[71:72], v[65:66]
	ds_read_b128 v[65:68], v64 offset:464
	ds_read_b128 v[69:72], v64 offset:480
	s_waitcnt vmcnt(10) lgkmcnt(1)
	v_fma_f64 v[65:66], v[81:82], v[65:66], v[73:74]
	s_waitcnt vmcnt(8)
	v_fma_f64 v[65:66], v[83:84], v[67:68], v[65:66]
	ds_read_b64 v[67:68], v64 offset:496
	s_waitcnt vmcnt(6) lgkmcnt(1)
	v_fma_f64 v[65:66], v[85:86], v[69:70], v[65:66]
	s_waitcnt vmcnt(3)
	v_fma_f64 v[65:66], v[87:88], v[71:72], v[65:66]
	s_waitcnt vmcnt(2) lgkmcnt(0)
	v_fma_f64 v[65:66], v[89:90], v[67:68], v[65:66]
	s_waitcnt vmcnt(0)
	v_add_f64 v[65:66], v[91:92], -v[65:66]
	buffer_store_dword v65, off, s[0:3], 0 offset:168
	buffer_store_dword v66, off, s[0:3], 0 offset:172
	v_cmpx_lt_u32_e32 20, v0
	s_cbranch_execz .LBB30_155
; %bb.154:
	s_clause 0x1
	buffer_load_dword v65, off, s[0:3], 0 offset:160
	buffer_load_dword v66, off, s[0:3], 0 offset:164
	buffer_store_dword v64, off, s[0:3], 0 offset:160
	buffer_store_dword v64, off, s[0:3], 0 offset:164
	s_waitcnt vmcnt(0)
	ds_write_b64 v63, v[65:66]
.LBB30_155:
	s_or_b32 exec_lo, exec_lo, s4
	s_waitcnt lgkmcnt(0)
	s_waitcnt_vscnt null, 0x0
	s_barrier
	buffer_gl0_inv
	s_clause 0x15
	buffer_load_dword v69, off, s[0:3], 0 offset:168
	buffer_load_dword v70, off, s[0:3], 0 offset:172
	;; [unrolled: 1-line block ×22, first 2 shown]
	ds_read2_b64 v[65:68], v64 offset0:53 offset1:54
	s_mov_b32 s4, exec_lo
	s_waitcnt vmcnt(20) lgkmcnt(0)
	v_fma_f64 v[65:66], v[69:70], v[65:66], 0
	s_waitcnt vmcnt(18)
	v_fma_f64 v[69:70], v[71:72], v[67:68], v[65:66]
	ds_read2_b64 v[65:68], v64 offset0:55 offset1:56
	s_waitcnt vmcnt(16) lgkmcnt(0)
	v_fma_f64 v[65:66], v[73:74], v[65:66], v[69:70]
	s_waitcnt vmcnt(14)
	v_fma_f64 v[69:70], v[75:76], v[67:68], v[65:66]
	ds_read2_b64 v[65:68], v64 offset0:57 offset1:58
	;; [unrolled: 5-line block ×4, first 2 shown]
	s_waitcnt vmcnt(4) lgkmcnt(0)
	v_fma_f64 v[64:65], v[85:86], v[64:65], v[68:69]
	s_waitcnt vmcnt(2)
	v_fma_f64 v[64:65], v[87:88], v[66:67], v[64:65]
	s_waitcnt vmcnt(0)
	v_add_f64 v[64:65], v[89:90], -v[64:65]
	buffer_store_dword v64, off, s[0:3], 0 offset:160
	buffer_store_dword v65, off, s[0:3], 0 offset:164
	v_cmpx_lt_u32_e32 19, v0
	s_cbranch_execz .LBB30_157
; %bb.156:
	s_clause 0x1
	buffer_load_dword v64, off, s[0:3], 0 offset:152
	buffer_load_dword v65, off, s[0:3], 0 offset:156
	v_mov_b32_e32 v66, 0
	buffer_store_dword v66, off, s[0:3], 0 offset:152
	buffer_store_dword v66, off, s[0:3], 0 offset:156
	s_waitcnt vmcnt(0)
	ds_write_b64 v63, v[64:65]
.LBB30_157:
	s_or_b32 exec_lo, exec_lo, s4
	s_waitcnt lgkmcnt(0)
	s_waitcnt_vscnt null, 0x0
	s_barrier
	buffer_gl0_inv
	s_clause 0x17
	buffer_load_dword v69, off, s[0:3], 0 offset:160
	buffer_load_dword v70, off, s[0:3], 0 offset:164
	;; [unrolled: 1-line block ×24, first 2 shown]
	v_mov_b32_e32 v64, 0
	s_mov_b32 s4, exec_lo
	ds_read_b128 v[65:68], v64 offset:416
	s_waitcnt vmcnt(22) lgkmcnt(0)
	v_fma_f64 v[65:66], v[69:70], v[65:66], 0
	s_waitcnt vmcnt(20)
	v_fma_f64 v[69:70], v[71:72], v[67:68], v[65:66]
	ds_read_b128 v[65:68], v64 offset:432
	s_waitcnt vmcnt(18) lgkmcnt(0)
	v_fma_f64 v[65:66], v[73:74], v[65:66], v[69:70]
	s_waitcnt vmcnt(16)
	v_fma_f64 v[69:70], v[75:76], v[67:68], v[65:66]
	;; [unrolled: 5-line block ×5, first 2 shown]
	ds_read_b64 v[67:68], v64 offset:496
	s_waitcnt vmcnt(2) lgkmcnt(0)
	v_fma_f64 v[65:66], v[89:90], v[67:68], v[65:66]
	s_waitcnt vmcnt(0)
	v_add_f64 v[65:66], v[91:92], -v[65:66]
	buffer_store_dword v66, off, s[0:3], 0 offset:156
	buffer_store_dword v65, off, s[0:3], 0 offset:152
	v_cmpx_lt_u32_e32 18, v0
	s_cbranch_execz .LBB30_159
; %bb.158:
	s_clause 0x1
	buffer_load_dword v65, off, s[0:3], 0 offset:144
	buffer_load_dword v66, off, s[0:3], 0 offset:148
	buffer_store_dword v64, off, s[0:3], 0 offset:144
	buffer_store_dword v64, off, s[0:3], 0 offset:148
	s_waitcnt vmcnt(0)
	ds_write_b64 v63, v[65:66]
.LBB30_159:
	s_or_b32 exec_lo, exec_lo, s4
	s_waitcnt lgkmcnt(0)
	s_waitcnt_vscnt null, 0x0
	s_barrier
	buffer_gl0_inv
	s_clause 0x19
	buffer_load_dword v69, off, s[0:3], 0 offset:152
	buffer_load_dword v70, off, s[0:3], 0 offset:156
	buffer_load_dword v71, off, s[0:3], 0 offset:160
	buffer_load_dword v72, off, s[0:3], 0 offset:164
	buffer_load_dword v73, off, s[0:3], 0 offset:168
	buffer_load_dword v74, off, s[0:3], 0 offset:172
	buffer_load_dword v75, off, s[0:3], 0 offset:176
	buffer_load_dword v76, off, s[0:3], 0 offset:180
	buffer_load_dword v77, off, s[0:3], 0 offset:184
	buffer_load_dword v78, off, s[0:3], 0 offset:188
	buffer_load_dword v79, off, s[0:3], 0 offset:192
	buffer_load_dword v80, off, s[0:3], 0 offset:196
	buffer_load_dword v81, off, s[0:3], 0 offset:200
	buffer_load_dword v82, off, s[0:3], 0 offset:204
	buffer_load_dword v84, off, s[0:3], 0 offset:212
	buffer_load_dword v83, off, s[0:3], 0 offset:208
	buffer_load_dword v85, off, s[0:3], 0 offset:216
	buffer_load_dword v86, off, s[0:3], 0 offset:220
	buffer_load_dword v87, off, s[0:3], 0 offset:224
	buffer_load_dword v88, off, s[0:3], 0 offset:228
	buffer_load_dword v89, off, s[0:3], 0 offset:232
	buffer_load_dword v90, off, s[0:3], 0 offset:236
	buffer_load_dword v92, off, s[0:3], 0 offset:244
	buffer_load_dword v91, off, s[0:3], 0 offset:240
	buffer_load_dword v93, off, s[0:3], 0 offset:144
	buffer_load_dword v94, off, s[0:3], 0 offset:148
	ds_read2_b64 v[65:68], v64 offset0:51 offset1:52
	s_mov_b32 s4, exec_lo
	s_waitcnt vmcnt(24) lgkmcnt(0)
	v_fma_f64 v[65:66], v[69:70], v[65:66], 0
	s_waitcnt vmcnt(22)
	v_fma_f64 v[69:70], v[71:72], v[67:68], v[65:66]
	ds_read2_b64 v[65:68], v64 offset0:53 offset1:54
	s_waitcnt vmcnt(20) lgkmcnt(0)
	v_fma_f64 v[65:66], v[73:74], v[65:66], v[69:70]
	s_waitcnt vmcnt(18)
	v_fma_f64 v[69:70], v[75:76], v[67:68], v[65:66]
	ds_read2_b64 v[65:68], v64 offset0:55 offset1:56
	;; [unrolled: 5-line block ×5, first 2 shown]
	s_waitcnt vmcnt(4) lgkmcnt(0)
	v_fma_f64 v[64:65], v[89:90], v[64:65], v[68:69]
	s_waitcnt vmcnt(2)
	v_fma_f64 v[64:65], v[91:92], v[66:67], v[64:65]
	s_waitcnt vmcnt(0)
	v_add_f64 v[64:65], v[93:94], -v[64:65]
	buffer_store_dword v65, off, s[0:3], 0 offset:148
	buffer_store_dword v64, off, s[0:3], 0 offset:144
	v_cmpx_lt_u32_e32 17, v0
	s_cbranch_execz .LBB30_161
; %bb.160:
	s_clause 0x1
	buffer_load_dword v64, off, s[0:3], 0 offset:136
	buffer_load_dword v65, off, s[0:3], 0 offset:140
	v_mov_b32_e32 v66, 0
	buffer_store_dword v66, off, s[0:3], 0 offset:136
	buffer_store_dword v66, off, s[0:3], 0 offset:140
	s_waitcnt vmcnt(0)
	ds_write_b64 v63, v[64:65]
.LBB30_161:
	s_or_b32 exec_lo, exec_lo, s4
	s_waitcnt lgkmcnt(0)
	s_waitcnt_vscnt null, 0x0
	s_barrier
	buffer_gl0_inv
	s_clause 0x1b
	buffer_load_dword v73, off, s[0:3], 0 offset:144
	buffer_load_dword v74, off, s[0:3], 0 offset:148
	buffer_load_dword v75, off, s[0:3], 0 offset:152
	buffer_load_dword v76, off, s[0:3], 0 offset:156
	buffer_load_dword v77, off, s[0:3], 0 offset:160
	buffer_load_dword v78, off, s[0:3], 0 offset:164
	buffer_load_dword v79, off, s[0:3], 0 offset:168
	buffer_load_dword v80, off, s[0:3], 0 offset:172
	buffer_load_dword v81, off, s[0:3], 0 offset:176
	buffer_load_dword v82, off, s[0:3], 0 offset:180
	buffer_load_dword v83, off, s[0:3], 0 offset:184
	buffer_load_dword v84, off, s[0:3], 0 offset:188
	buffer_load_dword v85, off, s[0:3], 0 offset:192
	buffer_load_dword v86, off, s[0:3], 0 offset:196
	buffer_load_dword v88, off, s[0:3], 0 offset:204
	buffer_load_dword v89, off, s[0:3], 0 offset:224
	buffer_load_dword v91, off, s[0:3], 0 offset:216
	buffer_load_dword v93, off, s[0:3], 0 offset:208
	buffer_load_dword v87, off, s[0:3], 0 offset:200
	buffer_load_dword v94, off, s[0:3], 0 offset:212
	buffer_load_dword v92, off, s[0:3], 0 offset:220
	buffer_load_dword v90, off, s[0:3], 0 offset:228
	buffer_load_dword v96, off, s[0:3], 0 offset:236
	buffer_load_dword v97, off, s[0:3], 0 offset:240
	buffer_load_dword v95, off, s[0:3], 0 offset:232
	buffer_load_dword v98, off, s[0:3], 0 offset:244
	buffer_load_dword v99, off, s[0:3], 0 offset:136
	buffer_load_dword v100, off, s[0:3], 0 offset:140
	v_mov_b32_e32 v64, 0
	ds_read_b128 v[65:68], v64 offset:400
	ds_read_b128 v[69:72], v64 offset:416
	s_mov_b32 s4, exec_lo
	s_waitcnt vmcnt(26) lgkmcnt(1)
	v_fma_f64 v[65:66], v[73:74], v[65:66], 0
	s_waitcnt vmcnt(24)
	v_fma_f64 v[65:66], v[75:76], v[67:68], v[65:66]
	s_waitcnt vmcnt(22) lgkmcnt(0)
	v_fma_f64 v[65:66], v[77:78], v[69:70], v[65:66]
	s_waitcnt vmcnt(20)
	v_fma_f64 v[73:74], v[79:80], v[71:72], v[65:66]
	ds_read_b128 v[65:68], v64 offset:432
	ds_read_b128 v[69:72], v64 offset:448
	s_waitcnt vmcnt(18) lgkmcnt(1)
	v_fma_f64 v[65:66], v[81:82], v[65:66], v[73:74]
	s_waitcnt vmcnt(16)
	v_fma_f64 v[65:66], v[83:84], v[67:68], v[65:66]
	s_waitcnt vmcnt(14) lgkmcnt(0)
	v_fma_f64 v[65:66], v[85:86], v[69:70], v[65:66]
	s_waitcnt vmcnt(9)
	v_fma_f64 v[73:74], v[87:88], v[71:72], v[65:66]
	ds_read_b128 v[65:68], v64 offset:464
	ds_read_b128 v[69:72], v64 offset:480
	s_waitcnt vmcnt(8) lgkmcnt(1)
	v_fma_f64 v[65:66], v[93:94], v[65:66], v[73:74]
	s_waitcnt vmcnt(7)
	v_fma_f64 v[65:66], v[91:92], v[67:68], v[65:66]
	ds_read_b64 v[67:68], v64 offset:496
	s_waitcnt vmcnt(6) lgkmcnt(1)
	v_fma_f64 v[65:66], v[89:90], v[69:70], v[65:66]
	s_waitcnt vmcnt(3)
	v_fma_f64 v[65:66], v[95:96], v[71:72], v[65:66]
	s_waitcnt vmcnt(2) lgkmcnt(0)
	v_fma_f64 v[65:66], v[97:98], v[67:68], v[65:66]
	s_waitcnt vmcnt(0)
	v_add_f64 v[65:66], v[99:100], -v[65:66]
	buffer_store_dword v66, off, s[0:3], 0 offset:140
	buffer_store_dword v65, off, s[0:3], 0 offset:136
	v_cmpx_lt_u32_e32 16, v0
	s_cbranch_execz .LBB30_163
; %bb.162:
	s_clause 0x1
	buffer_load_dword v65, off, s[0:3], 0 offset:128
	buffer_load_dword v66, off, s[0:3], 0 offset:132
	buffer_store_dword v64, off, s[0:3], 0 offset:128
	buffer_store_dword v64, off, s[0:3], 0 offset:132
	s_waitcnt vmcnt(0)
	ds_write_b64 v63, v[65:66]
.LBB30_163:
	s_or_b32 exec_lo, exec_lo, s4
	s_waitcnt lgkmcnt(0)
	s_waitcnt_vscnt null, 0x0
	s_barrier
	buffer_gl0_inv
	s_clause 0x1b
	buffer_load_dword v73, off, s[0:3], 0 offset:136
	buffer_load_dword v74, off, s[0:3], 0 offset:140
	buffer_load_dword v75, off, s[0:3], 0 offset:144
	buffer_load_dword v76, off, s[0:3], 0 offset:148
	buffer_load_dword v77, off, s[0:3], 0 offset:152
	buffer_load_dword v78, off, s[0:3], 0 offset:156
	buffer_load_dword v79, off, s[0:3], 0 offset:160
	buffer_load_dword v80, off, s[0:3], 0 offset:164
	buffer_load_dword v81, off, s[0:3], 0 offset:168
	buffer_load_dword v82, off, s[0:3], 0 offset:172
	buffer_load_dword v83, off, s[0:3], 0 offset:176
	buffer_load_dword v84, off, s[0:3], 0 offset:180
	buffer_load_dword v85, off, s[0:3], 0 offset:184
	buffer_load_dword v86, off, s[0:3], 0 offset:188
	buffer_load_dword v88, off, s[0:3], 0 offset:196
	buffer_load_dword v89, off, s[0:3], 0 offset:216
	buffer_load_dword v91, off, s[0:3], 0 offset:208
	buffer_load_dword v93, off, s[0:3], 0 offset:200
	buffer_load_dword v87, off, s[0:3], 0 offset:192
	buffer_load_dword v94, off, s[0:3], 0 offset:204
	buffer_load_dword v92, off, s[0:3], 0 offset:212
	buffer_load_dword v90, off, s[0:3], 0 offset:220
	buffer_load_dword v96, off, s[0:3], 0 offset:228
	buffer_load_dword v97, off, s[0:3], 0 offset:240
	buffer_load_dword v99, off, s[0:3], 0 offset:232
	buffer_load_dword v95, off, s[0:3], 0 offset:224
	buffer_load_dword v100, off, s[0:3], 0 offset:236
	buffer_load_dword v98, off, s[0:3], 0 offset:244
	ds_read2_b64 v[65:68], v64 offset0:49 offset1:50
	s_clause 0x1
	buffer_load_dword v101, off, s[0:3], 0 offset:128
	buffer_load_dword v102, off, s[0:3], 0 offset:132
	ds_read2_b64 v[69:72], v64 offset0:51 offset1:52
	s_mov_b32 s4, exec_lo
	s_waitcnt vmcnt(28) lgkmcnt(1)
	v_fma_f64 v[65:66], v[73:74], v[65:66], 0
	s_waitcnt vmcnt(26)
	v_fma_f64 v[65:66], v[75:76], v[67:68], v[65:66]
	s_waitcnt vmcnt(24) lgkmcnt(0)
	v_fma_f64 v[65:66], v[77:78], v[69:70], v[65:66]
	s_waitcnt vmcnt(22)
	v_fma_f64 v[73:74], v[79:80], v[71:72], v[65:66]
	ds_read2_b64 v[65:68], v64 offset0:53 offset1:54
	ds_read2_b64 v[69:72], v64 offset0:55 offset1:56
	s_waitcnt vmcnt(20) lgkmcnt(1)
	v_fma_f64 v[65:66], v[81:82], v[65:66], v[73:74]
	s_waitcnt vmcnt(18)
	v_fma_f64 v[65:66], v[83:84], v[67:68], v[65:66]
	s_waitcnt vmcnt(16) lgkmcnt(0)
	v_fma_f64 v[65:66], v[85:86], v[69:70], v[65:66]
	s_waitcnt vmcnt(11)
	v_fma_f64 v[73:74], v[87:88], v[71:72], v[65:66]
	ds_read2_b64 v[65:68], v64 offset0:57 offset1:58
	ds_read2_b64 v[69:72], v64 offset0:59 offset1:60
	s_waitcnt vmcnt(10) lgkmcnt(1)
	v_fma_f64 v[65:66], v[93:94], v[65:66], v[73:74]
	s_waitcnt vmcnt(9)
	v_fma_f64 v[65:66], v[91:92], v[67:68], v[65:66]
	s_waitcnt vmcnt(8) lgkmcnt(0)
	v_fma_f64 v[65:66], v[89:90], v[69:70], v[65:66]
	s_waitcnt vmcnt(4)
	v_fma_f64 v[68:69], v[95:96], v[71:72], v[65:66]
	ds_read2_b64 v[64:67], v64 offset0:61 offset1:62
	s_waitcnt vmcnt(3) lgkmcnt(0)
	v_fma_f64 v[64:65], v[99:100], v[64:65], v[68:69]
	s_waitcnt vmcnt(2)
	v_fma_f64 v[64:65], v[97:98], v[66:67], v[64:65]
	s_waitcnt vmcnt(0)
	v_add_f64 v[64:65], v[101:102], -v[64:65]
	buffer_store_dword v65, off, s[0:3], 0 offset:132
	buffer_store_dword v64, off, s[0:3], 0 offset:128
	v_cmpx_lt_u32_e32 15, v0
	s_cbranch_execz .LBB30_165
; %bb.164:
	s_clause 0x1
	buffer_load_dword v64, off, s[0:3], 0 offset:120
	buffer_load_dword v65, off, s[0:3], 0 offset:124
	v_mov_b32_e32 v66, 0
	buffer_store_dword v66, off, s[0:3], 0 offset:120
	buffer_store_dword v66, off, s[0:3], 0 offset:124
	s_waitcnt vmcnt(0)
	ds_write_b64 v63, v[64:65]
.LBB30_165:
	s_or_b32 exec_lo, exec_lo, s4
	s_waitcnt lgkmcnt(0)
	s_waitcnt_vscnt null, 0x0
	s_barrier
	buffer_gl0_inv
	s_clause 0x1c
	buffer_load_dword v73, off, s[0:3], 0 offset:128
	buffer_load_dword v74, off, s[0:3], 0 offset:132
	;; [unrolled: 1-line block ×29, first 2 shown]
	v_mov_b32_e32 v64, 0
	buffer_load_dword v98, off, s[0:3], 0 offset:244
	s_mov_b32 s4, exec_lo
	ds_read_b128 v[65:68], v64 offset:384
	ds_read_b128 v[69:72], v64 offset:400
	s_waitcnt vmcnt(28) lgkmcnt(1)
	v_fma_f64 v[65:66], v[73:74], v[65:66], 0
	s_clause 0x1
	buffer_load_dword v73, off, s[0:3], 0 offset:120
	buffer_load_dword v74, off, s[0:3], 0 offset:124
	s_waitcnt vmcnt(28)
	v_fma_f64 v[65:66], v[75:76], v[67:68], v[65:66]
	s_waitcnt vmcnt(26) lgkmcnt(0)
	v_fma_f64 v[65:66], v[77:78], v[69:70], v[65:66]
	s_waitcnt vmcnt(24)
	v_fma_f64 v[75:76], v[79:80], v[71:72], v[65:66]
	ds_read_b128 v[65:68], v64 offset:416
	ds_read_b128 v[69:72], v64 offset:432
	s_waitcnt vmcnt(22) lgkmcnt(1)
	v_fma_f64 v[65:66], v[81:82], v[65:66], v[75:76]
	s_waitcnt vmcnt(20)
	v_fma_f64 v[65:66], v[83:84], v[67:68], v[65:66]
	s_waitcnt vmcnt(18) lgkmcnt(0)
	v_fma_f64 v[65:66], v[85:86], v[69:70], v[65:66]
	s_waitcnt vmcnt(13)
	v_fma_f64 v[75:76], v[87:88], v[71:72], v[65:66]
	ds_read_b128 v[65:68], v64 offset:448
	ds_read_b128 v[69:72], v64 offset:464
	s_waitcnt vmcnt(12) lgkmcnt(1)
	v_fma_f64 v[65:66], v[93:94], v[65:66], v[75:76]
	s_waitcnt vmcnt(11)
	v_fma_f64 v[65:66], v[91:92], v[67:68], v[65:66]
	s_waitcnt vmcnt(10) lgkmcnt(0)
	v_fma_f64 v[65:66], v[89:90], v[69:70], v[65:66]
	s_waitcnt vmcnt(5)
	v_fma_f64 v[69:70], v[95:96], v[71:72], v[65:66]
	ds_read_b128 v[65:68], v64 offset:480
	ds_read_b64 v[71:72], v64 offset:496
	s_waitcnt vmcnt(4) lgkmcnt(1)
	v_fma_f64 v[65:66], v[101:102], v[65:66], v[69:70]
	s_waitcnt vmcnt(3)
	v_fma_f64 v[65:66], v[99:100], v[67:68], v[65:66]
	s_waitcnt vmcnt(2) lgkmcnt(0)
	v_fma_f64 v[65:66], v[97:98], v[71:72], v[65:66]
	s_waitcnt vmcnt(0)
	v_add_f64 v[65:66], v[73:74], -v[65:66]
	buffer_store_dword v66, off, s[0:3], 0 offset:124
	buffer_store_dword v65, off, s[0:3], 0 offset:120
	v_cmpx_lt_u32_e32 14, v0
	s_cbranch_execz .LBB30_167
; %bb.166:
	s_clause 0x1
	buffer_load_dword v65, off, s[0:3], 0 offset:112
	buffer_load_dword v66, off, s[0:3], 0 offset:116
	buffer_store_dword v64, off, s[0:3], 0 offset:112
	buffer_store_dword v64, off, s[0:3], 0 offset:116
	s_waitcnt vmcnt(0)
	ds_write_b64 v63, v[65:66]
.LBB30_167:
	s_or_b32 exec_lo, exec_lo, s4
	s_waitcnt lgkmcnt(0)
	s_waitcnt_vscnt null, 0x0
	s_barrier
	buffer_gl0_inv
	s_clause 0x1c
	buffer_load_dword v73, off, s[0:3], 0 offset:120
	buffer_load_dword v74, off, s[0:3], 0 offset:124
	;; [unrolled: 1-line block ×29, first 2 shown]
	ds_read2_b64 v[65:68], v64 offset0:47 offset1:48
	ds_read2_b64 v[69:72], v64 offset0:49 offset1:50
	buffer_load_dword v98, off, s[0:3], 0 offset:236
	s_mov_b32 s4, exec_lo
	s_waitcnt vmcnt(28) lgkmcnt(1)
	v_fma_f64 v[65:66], v[73:74], v[65:66], 0
	s_clause 0x1
	buffer_load_dword v74, off, s[0:3], 0 offset:244
	buffer_load_dword v73, off, s[0:3], 0 offset:240
	s_waitcnt vmcnt(28)
	v_fma_f64 v[65:66], v[75:76], v[67:68], v[65:66]
	s_clause 0x1
	buffer_load_dword v75, off, s[0:3], 0 offset:112
	buffer_load_dword v76, off, s[0:3], 0 offset:116
	s_waitcnt vmcnt(28) lgkmcnt(0)
	v_fma_f64 v[65:66], v[77:78], v[69:70], v[65:66]
	s_waitcnt vmcnt(26)
	v_fma_f64 v[77:78], v[79:80], v[71:72], v[65:66]
	ds_read2_b64 v[65:68], v64 offset0:51 offset1:52
	ds_read2_b64 v[69:72], v64 offset0:53 offset1:54
	s_waitcnt vmcnt(24) lgkmcnt(1)
	v_fma_f64 v[65:66], v[81:82], v[65:66], v[77:78]
	s_waitcnt vmcnt(22)
	v_fma_f64 v[65:66], v[83:84], v[67:68], v[65:66]
	s_waitcnt vmcnt(20) lgkmcnt(0)
	v_fma_f64 v[65:66], v[85:86], v[69:70], v[65:66]
	s_waitcnt vmcnt(15)
	v_fma_f64 v[77:78], v[87:88], v[71:72], v[65:66]
	ds_read2_b64 v[65:68], v64 offset0:55 offset1:56
	ds_read2_b64 v[69:72], v64 offset0:57 offset1:58
	s_waitcnt vmcnt(14) lgkmcnt(1)
	v_fma_f64 v[65:66], v[93:94], v[65:66], v[77:78]
	s_waitcnt vmcnt(13)
	v_fma_f64 v[65:66], v[91:92], v[67:68], v[65:66]
	;; [unrolled: 10-line block ×3, first 2 shown]
	s_waitcnt vmcnt(4) lgkmcnt(0)
	v_fma_f64 v[64:65], v[97:98], v[69:70], v[64:65]
	s_waitcnt vmcnt(2)
	v_fma_f64 v[64:65], v[73:74], v[71:72], v[64:65]
	s_waitcnt vmcnt(0)
	v_add_f64 v[64:65], v[75:76], -v[64:65]
	buffer_store_dword v65, off, s[0:3], 0 offset:116
	buffer_store_dword v64, off, s[0:3], 0 offset:112
	v_cmpx_lt_u32_e32 13, v0
	s_cbranch_execz .LBB30_169
; %bb.168:
	s_clause 0x1
	buffer_load_dword v64, off, s[0:3], 0 offset:104
	buffer_load_dword v65, off, s[0:3], 0 offset:108
	v_mov_b32_e32 v66, 0
	buffer_store_dword v66, off, s[0:3], 0 offset:104
	buffer_store_dword v66, off, s[0:3], 0 offset:108
	s_waitcnt vmcnt(0)
	ds_write_b64 v63, v[64:65]
.LBB30_169:
	s_or_b32 exec_lo, exec_lo, s4
	s_waitcnt lgkmcnt(0)
	s_waitcnt_vscnt null, 0x0
	s_barrier
	buffer_gl0_inv
	s_clause 0x1c
	buffer_load_dword v73, off, s[0:3], 0 offset:112
	buffer_load_dword v74, off, s[0:3], 0 offset:116
	;; [unrolled: 1-line block ×29, first 2 shown]
	v_mov_b32_e32 v64, 0
	buffer_load_dword v98, off, s[0:3], 0 offset:228
	s_mov_b32 s4, exec_lo
	ds_read_b128 v[65:68], v64 offset:368
	ds_read_b128 v[69:72], v64 offset:384
	s_waitcnt vmcnt(28) lgkmcnt(1)
	v_fma_f64 v[65:66], v[73:74], v[65:66], 0
	s_clause 0x3
	buffer_load_dword v74, off, s[0:3], 0 offset:236
	buffer_load_dword v103, off, s[0:3], 0 offset:240
	;; [unrolled: 1-line block ×4, first 2 shown]
	s_waitcnt vmcnt(30)
	v_fma_f64 v[65:66], v[75:76], v[67:68], v[65:66]
	s_clause 0x1
	buffer_load_dword v75, off, s[0:3], 0 offset:104
	buffer_load_dword v76, off, s[0:3], 0 offset:108
	s_waitcnt vmcnt(30) lgkmcnt(0)
	v_fma_f64 v[65:66], v[77:78], v[69:70], v[65:66]
	s_waitcnt vmcnt(28)
	v_fma_f64 v[77:78], v[79:80], v[71:72], v[65:66]
	ds_read_b128 v[65:68], v64 offset:400
	ds_read_b128 v[69:72], v64 offset:416
	s_waitcnt vmcnt(26) lgkmcnt(1)
	v_fma_f64 v[65:66], v[81:82], v[65:66], v[77:78]
	s_waitcnt vmcnt(24)
	v_fma_f64 v[65:66], v[83:84], v[67:68], v[65:66]
	s_waitcnt vmcnt(22) lgkmcnt(0)
	v_fma_f64 v[65:66], v[85:86], v[69:70], v[65:66]
	s_waitcnt vmcnt(17)
	v_fma_f64 v[77:78], v[87:88], v[71:72], v[65:66]
	ds_read_b128 v[65:68], v64 offset:432
	ds_read_b128 v[69:72], v64 offset:448
	s_waitcnt vmcnt(16) lgkmcnt(1)
	v_fma_f64 v[65:66], v[93:94], v[65:66], v[77:78]
	s_waitcnt vmcnt(15)
	v_fma_f64 v[65:66], v[91:92], v[67:68], v[65:66]
	;; [unrolled: 10-line block ×3, first 2 shown]
	ds_read_b64 v[67:68], v64 offset:496
	s_waitcnt vmcnt(6) lgkmcnt(1)
	v_fma_f64 v[65:66], v[97:98], v[69:70], v[65:66]
	s_waitcnt vmcnt(3)
	v_fma_f64 v[65:66], v[73:74], v[71:72], v[65:66]
	s_waitcnt vmcnt(2) lgkmcnt(0)
	v_fma_f64 v[65:66], v[103:104], v[67:68], v[65:66]
	s_waitcnt vmcnt(0)
	v_add_f64 v[65:66], v[75:76], -v[65:66]
	buffer_store_dword v66, off, s[0:3], 0 offset:108
	buffer_store_dword v65, off, s[0:3], 0 offset:104
	v_cmpx_lt_u32_e32 12, v0
	s_cbranch_execz .LBB30_171
; %bb.170:
	s_clause 0x1
	buffer_load_dword v65, off, s[0:3], 0 offset:96
	buffer_load_dword v66, off, s[0:3], 0 offset:100
	buffer_store_dword v64, off, s[0:3], 0 offset:96
	buffer_store_dword v64, off, s[0:3], 0 offset:100
	s_waitcnt vmcnt(0)
	ds_write_b64 v63, v[65:66]
.LBB30_171:
	s_or_b32 exec_lo, exec_lo, s4
	s_waitcnt lgkmcnt(0)
	s_waitcnt_vscnt null, 0x0
	s_barrier
	buffer_gl0_inv
	s_clause 0x1c
	buffer_load_dword v73, off, s[0:3], 0 offset:104
	buffer_load_dword v74, off, s[0:3], 0 offset:108
	;; [unrolled: 1-line block ×29, first 2 shown]
	ds_read2_b64 v[65:68], v64 offset0:45 offset1:46
	ds_read2_b64 v[69:72], v64 offset0:47 offset1:48
	buffer_load_dword v98, off, s[0:3], 0 offset:220
	s_mov_b32 s4, exec_lo
	s_waitcnt vmcnt(28) lgkmcnt(1)
	v_fma_f64 v[65:66], v[73:74], v[65:66], 0
	s_clause 0x5
	buffer_load_dword v74, off, s[0:3], 0 offset:228
	buffer_load_dword v103, off, s[0:3], 0 offset:240
	;; [unrolled: 1-line block ×6, first 2 shown]
	s_waitcnt vmcnt(32)
	v_fma_f64 v[65:66], v[75:76], v[67:68], v[65:66]
	s_waitcnt vmcnt(30) lgkmcnt(0)
	v_fma_f64 v[65:66], v[77:78], v[69:70], v[65:66]
	s_waitcnt vmcnt(28)
	v_fma_f64 v[75:76], v[79:80], v[71:72], v[65:66]
	ds_read2_b64 v[65:68], v64 offset0:49 offset1:50
	s_clause 0x1
	buffer_load_dword v77, off, s[0:3], 0 offset:96
	buffer_load_dword v78, off, s[0:3], 0 offset:100
	ds_read2_b64 v[69:72], v64 offset0:51 offset1:52
	s_waitcnt vmcnt(28) lgkmcnt(1)
	v_fma_f64 v[65:66], v[81:82], v[65:66], v[75:76]
	s_waitcnt vmcnt(26)
	v_fma_f64 v[65:66], v[83:84], v[67:68], v[65:66]
	s_waitcnt vmcnt(24) lgkmcnt(0)
	v_fma_f64 v[65:66], v[85:86], v[69:70], v[65:66]
	s_waitcnt vmcnt(19)
	v_fma_f64 v[75:76], v[87:88], v[71:72], v[65:66]
	ds_read2_b64 v[65:68], v64 offset0:53 offset1:54
	ds_read2_b64 v[69:72], v64 offset0:55 offset1:56
	s_waitcnt vmcnt(18) lgkmcnt(1)
	v_fma_f64 v[65:66], v[93:94], v[65:66], v[75:76]
	s_waitcnt vmcnt(17)
	v_fma_f64 v[65:66], v[91:92], v[67:68], v[65:66]
	s_waitcnt vmcnt(16) lgkmcnt(0)
	v_fma_f64 v[65:66], v[89:90], v[69:70], v[65:66]
	s_waitcnt vmcnt(11)
	v_fma_f64 v[75:76], v[95:96], v[71:72], v[65:66]
	ds_read2_b64 v[65:68], v64 offset0:57 offset1:58
	;; [unrolled: 10-line block ×3, first 2 shown]
	s_waitcnt vmcnt(3) lgkmcnt(0)
	v_fma_f64 v[64:65], v[105:106], v[64:65], v[68:69]
	s_waitcnt vmcnt(2)
	v_fma_f64 v[64:65], v[103:104], v[66:67], v[64:65]
	s_waitcnt vmcnt(0)
	v_add_f64 v[64:65], v[77:78], -v[64:65]
	buffer_store_dword v65, off, s[0:3], 0 offset:100
	buffer_store_dword v64, off, s[0:3], 0 offset:96
	v_cmpx_lt_u32_e32 11, v0
	s_cbranch_execz .LBB30_173
; %bb.172:
	s_clause 0x1
	buffer_load_dword v64, off, s[0:3], 0 offset:88
	buffer_load_dword v65, off, s[0:3], 0 offset:92
	v_mov_b32_e32 v66, 0
	buffer_store_dword v66, off, s[0:3], 0 offset:88
	buffer_store_dword v66, off, s[0:3], 0 offset:92
	s_waitcnt vmcnt(0)
	ds_write_b64 v63, v[64:65]
.LBB30_173:
	s_or_b32 exec_lo, exec_lo, s4
	s_waitcnt lgkmcnt(0)
	s_waitcnt_vscnt null, 0x0
	s_barrier
	buffer_gl0_inv
	s_clause 0x1c
	buffer_load_dword v73, off, s[0:3], 0 offset:96
	buffer_load_dword v74, off, s[0:3], 0 offset:100
	;; [unrolled: 1-line block ×29, first 2 shown]
	v_mov_b32_e32 v64, 0
	buffer_load_dword v98, off, s[0:3], 0 offset:212
	s_mov_b32 s4, exec_lo
	ds_read_b128 v[65:68], v64 offset:352
	ds_read_b128 v[69:72], v64 offset:368
	s_waitcnt vmcnt(28) lgkmcnt(1)
	v_fma_f64 v[65:66], v[73:74], v[65:66], 0
	s_clause 0x7
	buffer_load_dword v74, off, s[0:3], 0 offset:220
	buffer_load_dword v103, off, s[0:3], 0 offset:240
	;; [unrolled: 1-line block ×8, first 2 shown]
	s_waitcnt vmcnt(34)
	v_fma_f64 v[65:66], v[75:76], v[67:68], v[65:66]
	s_waitcnt vmcnt(32) lgkmcnt(0)
	v_fma_f64 v[65:66], v[77:78], v[69:70], v[65:66]
	s_waitcnt vmcnt(30)
	v_fma_f64 v[75:76], v[79:80], v[71:72], v[65:66]
	ds_read_b128 v[65:68], v64 offset:384
	ds_read_b128 v[69:72], v64 offset:400
	s_waitcnt vmcnt(28) lgkmcnt(1)
	v_fma_f64 v[65:66], v[81:82], v[65:66], v[75:76]
	s_clause 0x1
	buffer_load_dword v75, off, s[0:3], 0 offset:88
	buffer_load_dword v76, off, s[0:3], 0 offset:92
	s_waitcnt vmcnt(28)
	v_fma_f64 v[65:66], v[83:84], v[67:68], v[65:66]
	s_waitcnt vmcnt(26) lgkmcnt(0)
	v_fma_f64 v[65:66], v[85:86], v[69:70], v[65:66]
	s_waitcnt vmcnt(21)
	v_fma_f64 v[77:78], v[87:88], v[71:72], v[65:66]
	ds_read_b128 v[65:68], v64 offset:416
	ds_read_b128 v[69:72], v64 offset:432
	s_waitcnt vmcnt(20) lgkmcnt(1)
	v_fma_f64 v[65:66], v[93:94], v[65:66], v[77:78]
	s_waitcnt vmcnt(19)
	v_fma_f64 v[65:66], v[91:92], v[67:68], v[65:66]
	s_waitcnt vmcnt(18) lgkmcnt(0)
	v_fma_f64 v[65:66], v[89:90], v[69:70], v[65:66]
	s_waitcnt vmcnt(13)
	v_fma_f64 v[77:78], v[95:96], v[71:72], v[65:66]
	ds_read_b128 v[65:68], v64 offset:448
	ds_read_b128 v[69:72], v64 offset:464
	s_waitcnt vmcnt(12) lgkmcnt(1)
	v_fma_f64 v[65:66], v[101:102], v[65:66], v[77:78]
	s_waitcnt vmcnt(11)
	v_fma_f64 v[65:66], v[99:100], v[67:68], v[65:66]
	s_waitcnt vmcnt(10) lgkmcnt(0)
	v_fma_f64 v[65:66], v[97:98], v[69:70], v[65:66]
	s_waitcnt vmcnt(5)
	v_fma_f64 v[69:70], v[73:74], v[71:72], v[65:66]
	ds_read_b128 v[65:68], v64 offset:480
	ds_read_b64 v[71:72], v64 offset:496
	s_waitcnt vmcnt(4) lgkmcnt(1)
	v_fma_f64 v[65:66], v[107:108], v[65:66], v[69:70]
	s_waitcnt vmcnt(3)
	v_fma_f64 v[65:66], v[105:106], v[67:68], v[65:66]
	s_waitcnt vmcnt(2) lgkmcnt(0)
	v_fma_f64 v[65:66], v[103:104], v[71:72], v[65:66]
	s_waitcnt vmcnt(0)
	v_add_f64 v[65:66], v[75:76], -v[65:66]
	buffer_store_dword v66, off, s[0:3], 0 offset:92
	buffer_store_dword v65, off, s[0:3], 0 offset:88
	v_cmpx_lt_u32_e32 10, v0
	s_cbranch_execz .LBB30_175
; %bb.174:
	s_clause 0x1
	buffer_load_dword v65, off, s[0:3], 0 offset:80
	buffer_load_dword v66, off, s[0:3], 0 offset:84
	buffer_store_dword v64, off, s[0:3], 0 offset:80
	buffer_store_dword v64, off, s[0:3], 0 offset:84
	s_waitcnt vmcnt(0)
	ds_write_b64 v63, v[65:66]
.LBB30_175:
	s_or_b32 exec_lo, exec_lo, s4
	s_waitcnt lgkmcnt(0)
	s_waitcnt_vscnt null, 0x0
	s_barrier
	buffer_gl0_inv
	s_clause 0x1c
	buffer_load_dword v73, off, s[0:3], 0 offset:88
	buffer_load_dword v74, off, s[0:3], 0 offset:92
	;; [unrolled: 1-line block ×29, first 2 shown]
	ds_read2_b64 v[65:68], v64 offset0:43 offset1:44
	ds_read2_b64 v[69:72], v64 offset0:45 offset1:46
	buffer_load_dword v98, off, s[0:3], 0 offset:204
	s_mov_b32 s4, exec_lo
	s_waitcnt vmcnt(28) lgkmcnt(1)
	v_fma_f64 v[65:66], v[73:74], v[65:66], 0
	s_clause 0x7
	buffer_load_dword v74, off, s[0:3], 0 offset:212
	buffer_load_dword v103, off, s[0:3], 0 offset:232
	;; [unrolled: 1-line block ×8, first 2 shown]
	s_waitcnt vmcnt(34)
	v_fma_f64 v[65:66], v[75:76], v[67:68], v[65:66]
	s_waitcnt vmcnt(32) lgkmcnt(0)
	v_fma_f64 v[65:66], v[77:78], v[69:70], v[65:66]
	s_waitcnt vmcnt(30)
	v_fma_f64 v[75:76], v[79:80], v[71:72], v[65:66]
	ds_read2_b64 v[65:68], v64 offset0:47 offset1:48
	ds_read2_b64 v[69:72], v64 offset0:49 offset1:50
	s_waitcnt vmcnt(28) lgkmcnt(1)
	v_fma_f64 v[65:66], v[81:82], v[65:66], v[75:76]
	s_clause 0x3
	buffer_load_dword v76, off, s[0:3], 0 offset:244
	buffer_load_dword v75, off, s[0:3], 0 offset:240
	;; [unrolled: 1-line block ×4, first 2 shown]
	s_waitcnt vmcnt(30)
	v_fma_f64 v[65:66], v[83:84], v[67:68], v[65:66]
	s_waitcnt vmcnt(28) lgkmcnt(0)
	v_fma_f64 v[65:66], v[85:86], v[69:70], v[65:66]
	s_waitcnt vmcnt(23)
	v_fma_f64 v[79:80], v[87:88], v[71:72], v[65:66]
	ds_read2_b64 v[65:68], v64 offset0:51 offset1:52
	ds_read2_b64 v[69:72], v64 offset0:53 offset1:54
	s_waitcnt vmcnt(22) lgkmcnt(1)
	v_fma_f64 v[65:66], v[93:94], v[65:66], v[79:80]
	s_waitcnt vmcnt(21)
	v_fma_f64 v[65:66], v[91:92], v[67:68], v[65:66]
	s_waitcnt vmcnt(20) lgkmcnt(0)
	v_fma_f64 v[65:66], v[89:90], v[69:70], v[65:66]
	s_waitcnt vmcnt(15)
	v_fma_f64 v[79:80], v[95:96], v[71:72], v[65:66]
	ds_read2_b64 v[65:68], v64 offset0:55 offset1:56
	ds_read2_b64 v[69:72], v64 offset0:57 offset1:58
	s_waitcnt vmcnt(14) lgkmcnt(1)
	v_fma_f64 v[65:66], v[101:102], v[65:66], v[79:80]
	s_waitcnt vmcnt(13)
	v_fma_f64 v[65:66], v[99:100], v[67:68], v[65:66]
	s_waitcnt vmcnt(12) lgkmcnt(0)
	v_fma_f64 v[65:66], v[97:98], v[69:70], v[65:66]
	s_waitcnt vmcnt(7)
	v_fma_f64 v[73:74], v[73:74], v[71:72], v[65:66]
	ds_read2_b64 v[65:68], v64 offset0:59 offset1:60
	ds_read2_b64 v[69:72], v64 offset0:61 offset1:62
	s_waitcnt vmcnt(6) lgkmcnt(1)
	v_fma_f64 v[64:65], v[107:108], v[65:66], v[73:74]
	s_waitcnt vmcnt(5)
	v_fma_f64 v[64:65], v[105:106], v[67:68], v[64:65]
	s_waitcnt vmcnt(4) lgkmcnt(0)
	v_fma_f64 v[64:65], v[103:104], v[69:70], v[64:65]
	s_waitcnt vmcnt(2)
	v_fma_f64 v[64:65], v[75:76], v[71:72], v[64:65]
	s_waitcnt vmcnt(0)
	v_add_f64 v[64:65], v[77:78], -v[64:65]
	buffer_store_dword v65, off, s[0:3], 0 offset:84
	buffer_store_dword v64, off, s[0:3], 0 offset:80
	v_cmpx_lt_u32_e32 9, v0
	s_cbranch_execz .LBB30_177
; %bb.176:
	s_clause 0x1
	buffer_load_dword v64, off, s[0:3], 0 offset:72
	buffer_load_dword v65, off, s[0:3], 0 offset:76
	v_mov_b32_e32 v66, 0
	buffer_store_dword v66, off, s[0:3], 0 offset:72
	buffer_store_dword v66, off, s[0:3], 0 offset:76
	s_waitcnt vmcnt(0)
	ds_write_b64 v63, v[64:65]
.LBB30_177:
	s_or_b32 exec_lo, exec_lo, s4
	s_waitcnt lgkmcnt(0)
	s_waitcnt_vscnt null, 0x0
	s_barrier
	buffer_gl0_inv
	s_clause 0x1c
	buffer_load_dword v73, off, s[0:3], 0 offset:80
	buffer_load_dword v74, off, s[0:3], 0 offset:84
	;; [unrolled: 1-line block ×29, first 2 shown]
	v_mov_b32_e32 v64, 0
	buffer_load_dword v98, off, s[0:3], 0 offset:196
	s_mov_b32 s4, exec_lo
	ds_read_b128 v[65:68], v64 offset:336
	ds_read_b128 v[69:72], v64 offset:352
	s_waitcnt vmcnt(28) lgkmcnt(1)
	v_fma_f64 v[65:66], v[73:74], v[65:66], 0
	s_clause 0x7
	buffer_load_dword v74, off, s[0:3], 0 offset:204
	buffer_load_dword v103, off, s[0:3], 0 offset:224
	;; [unrolled: 1-line block ×8, first 2 shown]
	s_waitcnt vmcnt(34)
	v_fma_f64 v[65:66], v[75:76], v[67:68], v[65:66]
	s_waitcnt vmcnt(32) lgkmcnt(0)
	v_fma_f64 v[65:66], v[77:78], v[69:70], v[65:66]
	s_waitcnt vmcnt(30)
	v_fma_f64 v[75:76], v[79:80], v[71:72], v[65:66]
	ds_read_b128 v[65:68], v64 offset:368
	ds_read_b128 v[69:72], v64 offset:384
	s_waitcnt vmcnt(28) lgkmcnt(1)
	v_fma_f64 v[65:66], v[81:82], v[65:66], v[75:76]
	s_clause 0x5
	buffer_load_dword v76, off, s[0:3], 0 offset:236
	buffer_load_dword v77, off, s[0:3], 0 offset:240
	;; [unrolled: 1-line block ×6, first 2 shown]
	s_waitcnt vmcnt(32)
	v_fma_f64 v[65:66], v[83:84], v[67:68], v[65:66]
	s_waitcnt vmcnt(30) lgkmcnt(0)
	v_fma_f64 v[65:66], v[85:86], v[69:70], v[65:66]
	s_waitcnt vmcnt(25)
	v_fma_f64 v[81:82], v[87:88], v[71:72], v[65:66]
	ds_read_b128 v[65:68], v64 offset:400
	ds_read_b128 v[69:72], v64 offset:416
	s_waitcnt vmcnt(24) lgkmcnt(1)
	v_fma_f64 v[65:66], v[93:94], v[65:66], v[81:82]
	s_waitcnt vmcnt(23)
	v_fma_f64 v[65:66], v[91:92], v[67:68], v[65:66]
	s_waitcnt vmcnt(22) lgkmcnt(0)
	v_fma_f64 v[65:66], v[89:90], v[69:70], v[65:66]
	s_waitcnt vmcnt(17)
	v_fma_f64 v[81:82], v[95:96], v[71:72], v[65:66]
	ds_read_b128 v[65:68], v64 offset:432
	ds_read_b128 v[69:72], v64 offset:448
	s_waitcnt vmcnt(16) lgkmcnt(1)
	v_fma_f64 v[65:66], v[101:102], v[65:66], v[81:82]
	;; [unrolled: 10-line block ×3, first 2 shown]
	s_waitcnt vmcnt(7)
	v_fma_f64 v[65:66], v[105:106], v[67:68], v[65:66]
	ds_read_b64 v[67:68], v64 offset:496
	s_waitcnt vmcnt(6) lgkmcnt(1)
	v_fma_f64 v[65:66], v[103:104], v[69:70], v[65:66]
	s_waitcnt vmcnt(3)
	v_fma_f64 v[65:66], v[75:76], v[71:72], v[65:66]
	s_waitcnt vmcnt(2) lgkmcnt(0)
	v_fma_f64 v[65:66], v[77:78], v[67:68], v[65:66]
	s_waitcnt vmcnt(0)
	v_add_f64 v[65:66], v[79:80], -v[65:66]
	buffer_store_dword v66, off, s[0:3], 0 offset:76
	buffer_store_dword v65, off, s[0:3], 0 offset:72
	v_cmpx_lt_u32_e32 8, v0
	s_cbranch_execz .LBB30_179
; %bb.178:
	s_clause 0x1
	buffer_load_dword v65, off, s[0:3], 0 offset:64
	buffer_load_dword v66, off, s[0:3], 0 offset:68
	buffer_store_dword v64, off, s[0:3], 0 offset:64
	buffer_store_dword v64, off, s[0:3], 0 offset:68
	s_waitcnt vmcnt(0)
	ds_write_b64 v63, v[65:66]
.LBB30_179:
	s_or_b32 exec_lo, exec_lo, s4
	s_waitcnt lgkmcnt(0)
	s_waitcnt_vscnt null, 0x0
	s_barrier
	buffer_gl0_inv
	s_clause 0x1c
	buffer_load_dword v73, off, s[0:3], 0 offset:72
	buffer_load_dword v74, off, s[0:3], 0 offset:76
	;; [unrolled: 1-line block ×29, first 2 shown]
	ds_read2_b64 v[65:68], v64 offset0:41 offset1:42
	ds_read2_b64 v[69:72], v64 offset0:43 offset1:44
	buffer_load_dword v98, off, s[0:3], 0 offset:188
	s_mov_b32 s4, exec_lo
	s_waitcnt vmcnt(28) lgkmcnt(1)
	v_fma_f64 v[65:66], v[73:74], v[65:66], 0
	s_clause 0x7
	buffer_load_dword v74, off, s[0:3], 0 offset:196
	buffer_load_dword v103, off, s[0:3], 0 offset:216
	buffer_load_dword v105, off, s[0:3], 0 offset:208
	buffer_load_dword v107, off, s[0:3], 0 offset:200
	buffer_load_dword v73, off, s[0:3], 0 offset:192
	buffer_load_dword v108, off, s[0:3], 0 offset:204
	buffer_load_dword v106, off, s[0:3], 0 offset:212
	buffer_load_dword v104, off, s[0:3], 0 offset:220
	s_waitcnt vmcnt(34)
	v_fma_f64 v[65:66], v[75:76], v[67:68], v[65:66]
	s_waitcnt vmcnt(32) lgkmcnt(0)
	v_fma_f64 v[65:66], v[77:78], v[69:70], v[65:66]
	s_waitcnt vmcnt(30)
	v_fma_f64 v[75:76], v[79:80], v[71:72], v[65:66]
	ds_read2_b64 v[65:68], v64 offset0:45 offset1:46
	ds_read2_b64 v[69:72], v64 offset0:47 offset1:48
	s_waitcnt vmcnt(28) lgkmcnt(1)
	v_fma_f64 v[65:66], v[81:82], v[65:66], v[75:76]
	s_clause 0x5
	buffer_load_dword v76, off, s[0:3], 0 offset:228
	buffer_load_dword v77, off, s[0:3], 0 offset:240
	;; [unrolled: 1-line block ×6, first 2 shown]
	s_waitcnt vmcnt(32)
	v_fma_f64 v[65:66], v[83:84], v[67:68], v[65:66]
	s_waitcnt vmcnt(30) lgkmcnt(0)
	v_fma_f64 v[65:66], v[85:86], v[69:70], v[65:66]
	s_waitcnt vmcnt(25)
	v_fma_f64 v[81:82], v[87:88], v[71:72], v[65:66]
	ds_read2_b64 v[65:68], v64 offset0:49 offset1:50
	s_clause 0x1
	buffer_load_dword v83, off, s[0:3], 0 offset:64
	buffer_load_dword v84, off, s[0:3], 0 offset:68
	ds_read2_b64 v[69:72], v64 offset0:51 offset1:52
	s_waitcnt vmcnt(26) lgkmcnt(1)
	v_fma_f64 v[65:66], v[93:94], v[65:66], v[81:82]
	s_waitcnt vmcnt(25)
	v_fma_f64 v[65:66], v[91:92], v[67:68], v[65:66]
	s_waitcnt vmcnt(24) lgkmcnt(0)
	v_fma_f64 v[65:66], v[89:90], v[69:70], v[65:66]
	s_waitcnt vmcnt(19)
	v_fma_f64 v[81:82], v[95:96], v[71:72], v[65:66]
	ds_read2_b64 v[65:68], v64 offset0:53 offset1:54
	ds_read2_b64 v[69:72], v64 offset0:55 offset1:56
	s_waitcnt vmcnt(18) lgkmcnt(1)
	v_fma_f64 v[65:66], v[101:102], v[65:66], v[81:82]
	s_waitcnt vmcnt(17)
	v_fma_f64 v[65:66], v[99:100], v[67:68], v[65:66]
	s_waitcnt vmcnt(16) lgkmcnt(0)
	v_fma_f64 v[65:66], v[97:98], v[69:70], v[65:66]
	s_waitcnt vmcnt(11)
	v_fma_f64 v[73:74], v[73:74], v[71:72], v[65:66]
	ds_read2_b64 v[65:68], v64 offset0:57 offset1:58
	;; [unrolled: 10-line block ×3, first 2 shown]
	s_waitcnt vmcnt(3) lgkmcnt(0)
	v_fma_f64 v[64:65], v[79:80], v[64:65], v[68:69]
	s_waitcnt vmcnt(2)
	v_fma_f64 v[64:65], v[77:78], v[66:67], v[64:65]
	s_waitcnt vmcnt(0)
	v_add_f64 v[64:65], v[83:84], -v[64:65]
	buffer_store_dword v65, off, s[0:3], 0 offset:68
	buffer_store_dword v64, off, s[0:3], 0 offset:64
	v_cmpx_lt_u32_e32 7, v0
	s_cbranch_execz .LBB30_181
; %bb.180:
	s_clause 0x1
	buffer_load_dword v64, off, s[0:3], 0 offset:56
	buffer_load_dword v65, off, s[0:3], 0 offset:60
	v_mov_b32_e32 v66, 0
	buffer_store_dword v66, off, s[0:3], 0 offset:56
	buffer_store_dword v66, off, s[0:3], 0 offset:60
	s_waitcnt vmcnt(0)
	ds_write_b64 v63, v[64:65]
.LBB30_181:
	s_or_b32 exec_lo, exec_lo, s4
	s_waitcnt lgkmcnt(0)
	s_waitcnt_vscnt null, 0x0
	s_barrier
	buffer_gl0_inv
	s_clause 0x1c
	buffer_load_dword v73, off, s[0:3], 0 offset:64
	buffer_load_dword v74, off, s[0:3], 0 offset:68
	;; [unrolled: 1-line block ×29, first 2 shown]
	v_mov_b32_e32 v64, 0
	buffer_load_dword v98, off, s[0:3], 0 offset:180
	s_mov_b32 s4, exec_lo
	ds_read_b128 v[65:68], v64 offset:320
	ds_read_b128 v[69:72], v64 offset:336
	s_waitcnt vmcnt(28) lgkmcnt(1)
	v_fma_f64 v[65:66], v[73:74], v[65:66], 0
	s_clause 0x7
	buffer_load_dword v74, off, s[0:3], 0 offset:188
	buffer_load_dword v103, off, s[0:3], 0 offset:208
	;; [unrolled: 1-line block ×8, first 2 shown]
	s_waitcnt vmcnt(34)
	v_fma_f64 v[65:66], v[75:76], v[67:68], v[65:66]
	s_waitcnt vmcnt(32) lgkmcnt(0)
	v_fma_f64 v[65:66], v[77:78], v[69:70], v[65:66]
	s_waitcnt vmcnt(30)
	v_fma_f64 v[75:76], v[79:80], v[71:72], v[65:66]
	ds_read_b128 v[65:68], v64 offset:352
	ds_read_b128 v[69:72], v64 offset:368
	s_waitcnt vmcnt(28) lgkmcnt(1)
	v_fma_f64 v[65:66], v[81:82], v[65:66], v[75:76]
	s_clause 0x7
	buffer_load_dword v76, off, s[0:3], 0 offset:220
	buffer_load_dword v77, off, s[0:3], 0 offset:240
	buffer_load_dword v79, off, s[0:3], 0 offset:232
	buffer_load_dword v81, off, s[0:3], 0 offset:224
	buffer_load_dword v75, off, s[0:3], 0 offset:216
	buffer_load_dword v82, off, s[0:3], 0 offset:228
	buffer_load_dword v80, off, s[0:3], 0 offset:236
	buffer_load_dword v78, off, s[0:3], 0 offset:244
	s_waitcnt vmcnt(34)
	v_fma_f64 v[65:66], v[83:84], v[67:68], v[65:66]
	s_waitcnt vmcnt(32) lgkmcnt(0)
	v_fma_f64 v[65:66], v[85:86], v[69:70], v[65:66]
	s_waitcnt vmcnt(27)
	v_fma_f64 v[83:84], v[87:88], v[71:72], v[65:66]
	ds_read_b128 v[65:68], v64 offset:384
	ds_read_b128 v[69:72], v64 offset:400
	s_waitcnt vmcnt(26) lgkmcnt(1)
	v_fma_f64 v[65:66], v[93:94], v[65:66], v[83:84]
	s_clause 0x1
	buffer_load_dword v83, off, s[0:3], 0 offset:56
	buffer_load_dword v84, off, s[0:3], 0 offset:60
	s_waitcnt vmcnt(27)
	v_fma_f64 v[65:66], v[91:92], v[67:68], v[65:66]
	s_waitcnt vmcnt(26) lgkmcnt(0)
	v_fma_f64 v[65:66], v[89:90], v[69:70], v[65:66]
	s_waitcnt vmcnt(21)
	v_fma_f64 v[85:86], v[95:96], v[71:72], v[65:66]
	ds_read_b128 v[65:68], v64 offset:416
	ds_read_b128 v[69:72], v64 offset:432
	s_waitcnt vmcnt(20) lgkmcnt(1)
	v_fma_f64 v[65:66], v[101:102], v[65:66], v[85:86]
	s_waitcnt vmcnt(19)
	v_fma_f64 v[65:66], v[99:100], v[67:68], v[65:66]
	s_waitcnt vmcnt(18) lgkmcnt(0)
	v_fma_f64 v[65:66], v[97:98], v[69:70], v[65:66]
	s_waitcnt vmcnt(13)
	v_fma_f64 v[73:74], v[73:74], v[71:72], v[65:66]
	ds_read_b128 v[65:68], v64 offset:448
	ds_read_b128 v[69:72], v64 offset:464
	s_waitcnt vmcnt(12) lgkmcnt(1)
	v_fma_f64 v[65:66], v[107:108], v[65:66], v[73:74]
	s_waitcnt vmcnt(11)
	v_fma_f64 v[65:66], v[105:106], v[67:68], v[65:66]
	s_waitcnt vmcnt(10) lgkmcnt(0)
	v_fma_f64 v[65:66], v[103:104], v[69:70], v[65:66]
	s_waitcnt vmcnt(5)
	v_fma_f64 v[69:70], v[75:76], v[71:72], v[65:66]
	ds_read_b128 v[65:68], v64 offset:480
	ds_read_b64 v[71:72], v64 offset:496
	s_waitcnt vmcnt(4) lgkmcnt(1)
	v_fma_f64 v[65:66], v[81:82], v[65:66], v[69:70]
	s_waitcnt vmcnt(3)
	v_fma_f64 v[65:66], v[79:80], v[67:68], v[65:66]
	s_waitcnt vmcnt(2) lgkmcnt(0)
	v_fma_f64 v[65:66], v[77:78], v[71:72], v[65:66]
	s_waitcnt vmcnt(0)
	v_add_f64 v[65:66], v[83:84], -v[65:66]
	buffer_store_dword v66, off, s[0:3], 0 offset:60
	buffer_store_dword v65, off, s[0:3], 0 offset:56
	v_cmpx_lt_u32_e32 6, v0
	s_cbranch_execz .LBB30_183
; %bb.182:
	s_clause 0x1
	buffer_load_dword v65, off, s[0:3], 0 offset:48
	buffer_load_dword v66, off, s[0:3], 0 offset:52
	buffer_store_dword v64, off, s[0:3], 0 offset:48
	buffer_store_dword v64, off, s[0:3], 0 offset:52
	s_waitcnt vmcnt(0)
	ds_write_b64 v63, v[65:66]
.LBB30_183:
	s_or_b32 exec_lo, exec_lo, s4
	s_waitcnt lgkmcnt(0)
	s_waitcnt_vscnt null, 0x0
	s_barrier
	buffer_gl0_inv
	s_clause 0x1c
	buffer_load_dword v73, off, s[0:3], 0 offset:56
	buffer_load_dword v74, off, s[0:3], 0 offset:60
	;; [unrolled: 1-line block ×29, first 2 shown]
	ds_read2_b64 v[65:68], v64 offset0:39 offset1:40
	ds_read2_b64 v[69:72], v64 offset0:41 offset1:42
	buffer_load_dword v98, off, s[0:3], 0 offset:172
	s_mov_b32 s4, exec_lo
	s_waitcnt vmcnt(28) lgkmcnt(1)
	v_fma_f64 v[65:66], v[73:74], v[65:66], 0
	s_clause 0x7
	buffer_load_dword v74, off, s[0:3], 0 offset:180
	buffer_load_dword v103, off, s[0:3], 0 offset:200
	;; [unrolled: 1-line block ×8, first 2 shown]
	s_waitcnt vmcnt(34)
	v_fma_f64 v[65:66], v[75:76], v[67:68], v[65:66]
	s_waitcnt vmcnt(32) lgkmcnt(0)
	v_fma_f64 v[65:66], v[77:78], v[69:70], v[65:66]
	s_waitcnt vmcnt(30)
	v_fma_f64 v[75:76], v[79:80], v[71:72], v[65:66]
	ds_read2_b64 v[65:68], v64 offset0:43 offset1:44
	ds_read2_b64 v[69:72], v64 offset0:45 offset1:46
	s_waitcnt vmcnt(28) lgkmcnt(1)
	v_fma_f64 v[65:66], v[81:82], v[65:66], v[75:76]
	s_clause 0x7
	buffer_load_dword v76, off, s[0:3], 0 offset:212
	buffer_load_dword v77, off, s[0:3], 0 offset:232
	;; [unrolled: 1-line block ×8, first 2 shown]
	s_waitcnt vmcnt(34)
	v_fma_f64 v[65:66], v[83:84], v[67:68], v[65:66]
	s_waitcnt vmcnt(32) lgkmcnt(0)
	v_fma_f64 v[65:66], v[85:86], v[69:70], v[65:66]
	s_waitcnt vmcnt(27)
	v_fma_f64 v[83:84], v[87:88], v[71:72], v[65:66]
	ds_read2_b64 v[65:68], v64 offset0:47 offset1:48
	ds_read2_b64 v[69:72], v64 offset0:49 offset1:50
	s_waitcnt vmcnt(26) lgkmcnt(1)
	v_fma_f64 v[65:66], v[93:94], v[65:66], v[83:84]
	s_clause 0x3
	buffer_load_dword v84, off, s[0:3], 0 offset:244
	buffer_load_dword v83, off, s[0:3], 0 offset:240
	;; [unrolled: 1-line block ×4, first 2 shown]
	s_waitcnt vmcnt(29)
	v_fma_f64 v[65:66], v[91:92], v[67:68], v[65:66]
	s_waitcnt vmcnt(28) lgkmcnt(0)
	v_fma_f64 v[65:66], v[89:90], v[69:70], v[65:66]
	s_waitcnt vmcnt(23)
	v_fma_f64 v[87:88], v[95:96], v[71:72], v[65:66]
	ds_read2_b64 v[65:68], v64 offset0:51 offset1:52
	ds_read2_b64 v[69:72], v64 offset0:53 offset1:54
	s_waitcnt vmcnt(22) lgkmcnt(1)
	v_fma_f64 v[65:66], v[101:102], v[65:66], v[87:88]
	s_waitcnt vmcnt(21)
	v_fma_f64 v[65:66], v[99:100], v[67:68], v[65:66]
	s_waitcnt vmcnt(20) lgkmcnt(0)
	v_fma_f64 v[65:66], v[97:98], v[69:70], v[65:66]
	s_waitcnt vmcnt(15)
	v_fma_f64 v[73:74], v[73:74], v[71:72], v[65:66]
	ds_read2_b64 v[65:68], v64 offset0:55 offset1:56
	ds_read2_b64 v[69:72], v64 offset0:57 offset1:58
	s_waitcnt vmcnt(14) lgkmcnt(1)
	v_fma_f64 v[65:66], v[107:108], v[65:66], v[73:74]
	;; [unrolled: 10-line block ×3, first 2 shown]
	s_waitcnt vmcnt(5)
	v_fma_f64 v[64:65], v[79:80], v[67:68], v[64:65]
	s_waitcnt vmcnt(4) lgkmcnt(0)
	v_fma_f64 v[64:65], v[77:78], v[69:70], v[64:65]
	s_waitcnt vmcnt(2)
	v_fma_f64 v[64:65], v[83:84], v[71:72], v[64:65]
	s_waitcnt vmcnt(0)
	v_add_f64 v[64:65], v[85:86], -v[64:65]
	buffer_store_dword v65, off, s[0:3], 0 offset:52
	buffer_store_dword v64, off, s[0:3], 0 offset:48
	v_cmpx_lt_u32_e32 5, v0
	s_cbranch_execz .LBB30_185
; %bb.184:
	s_clause 0x1
	buffer_load_dword v64, off, s[0:3], 0 offset:40
	buffer_load_dword v65, off, s[0:3], 0 offset:44
	v_mov_b32_e32 v66, 0
	buffer_store_dword v66, off, s[0:3], 0 offset:40
	buffer_store_dword v66, off, s[0:3], 0 offset:44
	s_waitcnt vmcnt(0)
	ds_write_b64 v63, v[64:65]
.LBB30_185:
	s_or_b32 exec_lo, exec_lo, s4
	s_waitcnt lgkmcnt(0)
	s_waitcnt_vscnt null, 0x0
	s_barrier
	buffer_gl0_inv
	s_clause 0x1c
	buffer_load_dword v73, off, s[0:3], 0 offset:48
	buffer_load_dword v74, off, s[0:3], 0 offset:52
	;; [unrolled: 1-line block ×29, first 2 shown]
	v_mov_b32_e32 v64, 0
	buffer_load_dword v98, off, s[0:3], 0 offset:164
	s_mov_b32 s4, exec_lo
	ds_read_b128 v[65:68], v64 offset:304
	ds_read_b128 v[69:72], v64 offset:320
	s_waitcnt vmcnt(28) lgkmcnt(1)
	v_fma_f64 v[65:66], v[73:74], v[65:66], 0
	s_clause 0x7
	buffer_load_dword v74, off, s[0:3], 0 offset:172
	buffer_load_dword v103, off, s[0:3], 0 offset:192
	buffer_load_dword v105, off, s[0:3], 0 offset:184
	buffer_load_dword v107, off, s[0:3], 0 offset:176
	buffer_load_dword v73, off, s[0:3], 0 offset:168
	buffer_load_dword v108, off, s[0:3], 0 offset:180
	buffer_load_dword v106, off, s[0:3], 0 offset:188
	buffer_load_dword v104, off, s[0:3], 0 offset:196
	s_waitcnt vmcnt(34)
	v_fma_f64 v[65:66], v[75:76], v[67:68], v[65:66]
	s_waitcnt vmcnt(32) lgkmcnt(0)
	v_fma_f64 v[65:66], v[77:78], v[69:70], v[65:66]
	s_waitcnt vmcnt(30)
	v_fma_f64 v[75:76], v[79:80], v[71:72], v[65:66]
	ds_read_b128 v[65:68], v64 offset:336
	ds_read_b128 v[69:72], v64 offset:352
	s_waitcnt vmcnt(28) lgkmcnt(1)
	v_fma_f64 v[65:66], v[81:82], v[65:66], v[75:76]
	s_clause 0x7
	buffer_load_dword v76, off, s[0:3], 0 offset:204
	buffer_load_dword v77, off, s[0:3], 0 offset:224
	;; [unrolled: 1-line block ×8, first 2 shown]
	s_waitcnt vmcnt(34)
	v_fma_f64 v[65:66], v[83:84], v[67:68], v[65:66]
	s_waitcnt vmcnt(32) lgkmcnt(0)
	v_fma_f64 v[65:66], v[85:86], v[69:70], v[65:66]
	s_waitcnt vmcnt(27)
	v_fma_f64 v[83:84], v[87:88], v[71:72], v[65:66]
	ds_read_b128 v[65:68], v64 offset:368
	ds_read_b128 v[69:72], v64 offset:384
	s_waitcnt vmcnt(26) lgkmcnt(1)
	v_fma_f64 v[65:66], v[93:94], v[65:66], v[83:84]
	s_clause 0x5
	buffer_load_dword v84, off, s[0:3], 0 offset:236
	buffer_load_dword v85, off, s[0:3], 0 offset:240
	;; [unrolled: 1-line block ×6, first 2 shown]
	s_waitcnt vmcnt(31)
	v_fma_f64 v[65:66], v[91:92], v[67:68], v[65:66]
	s_waitcnt vmcnt(30) lgkmcnt(0)
	v_fma_f64 v[65:66], v[89:90], v[69:70], v[65:66]
	s_waitcnt vmcnt(25)
	v_fma_f64 v[89:90], v[95:96], v[71:72], v[65:66]
	ds_read_b128 v[65:68], v64 offset:400
	ds_read_b128 v[69:72], v64 offset:416
	s_waitcnt vmcnt(24) lgkmcnt(1)
	v_fma_f64 v[65:66], v[101:102], v[65:66], v[89:90]
	s_waitcnt vmcnt(23)
	v_fma_f64 v[65:66], v[99:100], v[67:68], v[65:66]
	s_waitcnt vmcnt(22) lgkmcnt(0)
	v_fma_f64 v[65:66], v[97:98], v[69:70], v[65:66]
	s_waitcnt vmcnt(17)
	v_fma_f64 v[73:74], v[73:74], v[71:72], v[65:66]
	ds_read_b128 v[65:68], v64 offset:432
	ds_read_b128 v[69:72], v64 offset:448
	s_waitcnt vmcnt(16) lgkmcnt(1)
	v_fma_f64 v[65:66], v[107:108], v[65:66], v[73:74]
	;; [unrolled: 10-line block ×3, first 2 shown]
	s_waitcnt vmcnt(7)
	v_fma_f64 v[65:66], v[79:80], v[67:68], v[65:66]
	ds_read_b64 v[67:68], v64 offset:496
	s_waitcnt vmcnt(6) lgkmcnt(1)
	v_fma_f64 v[65:66], v[77:78], v[69:70], v[65:66]
	s_waitcnt vmcnt(3)
	v_fma_f64 v[65:66], v[83:84], v[71:72], v[65:66]
	s_waitcnt vmcnt(2) lgkmcnt(0)
	v_fma_f64 v[65:66], v[85:86], v[67:68], v[65:66]
	s_waitcnt vmcnt(0)
	v_add_f64 v[65:66], v[87:88], -v[65:66]
	buffer_store_dword v66, off, s[0:3], 0 offset:44
	buffer_store_dword v65, off, s[0:3], 0 offset:40
	v_cmpx_lt_u32_e32 4, v0
	s_cbranch_execz .LBB30_187
; %bb.186:
	s_clause 0x1
	buffer_load_dword v65, off, s[0:3], 0 offset:32
	buffer_load_dword v66, off, s[0:3], 0 offset:36
	buffer_store_dword v64, off, s[0:3], 0 offset:32
	buffer_store_dword v64, off, s[0:3], 0 offset:36
	s_waitcnt vmcnt(0)
	ds_write_b64 v63, v[65:66]
.LBB30_187:
	s_or_b32 exec_lo, exec_lo, s4
	s_waitcnt lgkmcnt(0)
	s_waitcnt_vscnt null, 0x0
	s_barrier
	buffer_gl0_inv
	s_clause 0x1c
	buffer_load_dword v73, off, s[0:3], 0 offset:40
	buffer_load_dword v74, off, s[0:3], 0 offset:44
	;; [unrolled: 1-line block ×29, first 2 shown]
	ds_read2_b64 v[65:68], v64 offset0:37 offset1:38
	ds_read2_b64 v[69:72], v64 offset0:39 offset1:40
	buffer_load_dword v98, off, s[0:3], 0 offset:156
	s_mov_b32 s4, exec_lo
	s_waitcnt vmcnt(28) lgkmcnt(1)
	v_fma_f64 v[65:66], v[73:74], v[65:66], 0
	s_clause 0x7
	buffer_load_dword v74, off, s[0:3], 0 offset:164
	buffer_load_dword v103, off, s[0:3], 0 offset:184
	;; [unrolled: 1-line block ×8, first 2 shown]
	s_waitcnt vmcnt(34)
	v_fma_f64 v[65:66], v[75:76], v[67:68], v[65:66]
	s_waitcnt vmcnt(32) lgkmcnt(0)
	v_fma_f64 v[65:66], v[77:78], v[69:70], v[65:66]
	s_waitcnt vmcnt(30)
	v_fma_f64 v[75:76], v[79:80], v[71:72], v[65:66]
	ds_read2_b64 v[65:68], v64 offset0:41 offset1:42
	ds_read2_b64 v[69:72], v64 offset0:43 offset1:44
	s_waitcnt vmcnt(28) lgkmcnt(1)
	v_fma_f64 v[65:66], v[81:82], v[65:66], v[75:76]
	s_clause 0x7
	buffer_load_dword v76, off, s[0:3], 0 offset:196
	buffer_load_dword v77, off, s[0:3], 0 offset:216
	buffer_load_dword v79, off, s[0:3], 0 offset:208
	buffer_load_dword v81, off, s[0:3], 0 offset:200
	buffer_load_dword v75, off, s[0:3], 0 offset:192
	buffer_load_dword v82, off, s[0:3], 0 offset:204
	buffer_load_dword v80, off, s[0:3], 0 offset:212
	buffer_load_dword v78, off, s[0:3], 0 offset:220
	s_waitcnt vmcnt(34)
	v_fma_f64 v[65:66], v[83:84], v[67:68], v[65:66]
	s_waitcnt vmcnt(32) lgkmcnt(0)
	v_fma_f64 v[65:66], v[85:86], v[69:70], v[65:66]
	s_waitcnt vmcnt(27)
	v_fma_f64 v[83:84], v[87:88], v[71:72], v[65:66]
	ds_read2_b64 v[65:68], v64 offset0:45 offset1:46
	ds_read2_b64 v[69:72], v64 offset0:47 offset1:48
	s_waitcnt vmcnt(26) lgkmcnt(1)
	v_fma_f64 v[65:66], v[93:94], v[65:66], v[83:84]
	s_clause 0x5
	buffer_load_dword v84, off, s[0:3], 0 offset:228
	buffer_load_dword v85, off, s[0:3], 0 offset:240
	;; [unrolled: 1-line block ×6, first 2 shown]
	s_waitcnt vmcnt(31)
	v_fma_f64 v[65:66], v[91:92], v[67:68], v[65:66]
	s_waitcnt vmcnt(30) lgkmcnt(0)
	v_fma_f64 v[65:66], v[89:90], v[69:70], v[65:66]
	s_waitcnt vmcnt(25)
	v_fma_f64 v[89:90], v[95:96], v[71:72], v[65:66]
	ds_read2_b64 v[65:68], v64 offset0:49 offset1:50
	s_clause 0x1
	buffer_load_dword v91, off, s[0:3], 0 offset:32
	buffer_load_dword v92, off, s[0:3], 0 offset:36
	ds_read2_b64 v[69:72], v64 offset0:51 offset1:52
	s_waitcnt vmcnt(26) lgkmcnt(1)
	v_fma_f64 v[65:66], v[101:102], v[65:66], v[89:90]
	s_waitcnt vmcnt(25)
	v_fma_f64 v[65:66], v[99:100], v[67:68], v[65:66]
	s_waitcnt vmcnt(24) lgkmcnt(0)
	v_fma_f64 v[65:66], v[97:98], v[69:70], v[65:66]
	s_waitcnt vmcnt(19)
	v_fma_f64 v[73:74], v[73:74], v[71:72], v[65:66]
	ds_read2_b64 v[65:68], v64 offset0:53 offset1:54
	ds_read2_b64 v[69:72], v64 offset0:55 offset1:56
	s_waitcnt vmcnt(18) lgkmcnt(1)
	v_fma_f64 v[65:66], v[107:108], v[65:66], v[73:74]
	s_waitcnt vmcnt(17)
	v_fma_f64 v[65:66], v[105:106], v[67:68], v[65:66]
	s_waitcnt vmcnt(16) lgkmcnt(0)
	v_fma_f64 v[65:66], v[103:104], v[69:70], v[65:66]
	s_waitcnt vmcnt(11)
	v_fma_f64 v[73:74], v[75:76], v[71:72], v[65:66]
	ds_read2_b64 v[65:68], v64 offset0:57 offset1:58
	;; [unrolled: 10-line block ×3, first 2 shown]
	s_waitcnt vmcnt(3) lgkmcnt(0)
	v_fma_f64 v[64:65], v[87:88], v[64:65], v[68:69]
	s_waitcnt vmcnt(2)
	v_fma_f64 v[64:65], v[85:86], v[66:67], v[64:65]
	s_waitcnt vmcnt(0)
	v_add_f64 v[64:65], v[91:92], -v[64:65]
	buffer_store_dword v65, off, s[0:3], 0 offset:36
	buffer_store_dword v64, off, s[0:3], 0 offset:32
	v_cmpx_lt_u32_e32 3, v0
	s_cbranch_execz .LBB30_189
; %bb.188:
	s_clause 0x1
	buffer_load_dword v64, off, s[0:3], 0 offset:24
	buffer_load_dword v65, off, s[0:3], 0 offset:28
	v_mov_b32_e32 v66, 0
	buffer_store_dword v66, off, s[0:3], 0 offset:24
	buffer_store_dword v66, off, s[0:3], 0 offset:28
	s_waitcnt vmcnt(0)
	ds_write_b64 v63, v[64:65]
.LBB30_189:
	s_or_b32 exec_lo, exec_lo, s4
	s_waitcnt lgkmcnt(0)
	s_waitcnt_vscnt null, 0x0
	s_barrier
	buffer_gl0_inv
	s_clause 0x1c
	buffer_load_dword v73, off, s[0:3], 0 offset:32
	buffer_load_dword v74, off, s[0:3], 0 offset:36
	buffer_load_dword v75, off, s[0:3], 0 offset:40
	buffer_load_dword v76, off, s[0:3], 0 offset:44
	buffer_load_dword v77, off, s[0:3], 0 offset:48
	buffer_load_dword v78, off, s[0:3], 0 offset:52
	buffer_load_dword v79, off, s[0:3], 0 offset:56
	buffer_load_dword v80, off, s[0:3], 0 offset:60
	buffer_load_dword v81, off, s[0:3], 0 offset:64
	buffer_load_dword v82, off, s[0:3], 0 offset:68
	buffer_load_dword v83, off, s[0:3], 0 offset:72
	buffer_load_dword v84, off, s[0:3], 0 offset:76
	buffer_load_dword v85, off, s[0:3], 0 offset:80
	buffer_load_dword v86, off, s[0:3], 0 offset:84
	buffer_load_dword v88, off, s[0:3], 0 offset:92
	buffer_load_dword v89, off, s[0:3], 0 offset:112
	buffer_load_dword v91, off, s[0:3], 0 offset:104
	buffer_load_dword v93, off, s[0:3], 0 offset:96
	buffer_load_dword v87, off, s[0:3], 0 offset:88
	buffer_load_dword v94, off, s[0:3], 0 offset:100
	buffer_load_dword v92, off, s[0:3], 0 offset:108
	buffer_load_dword v90, off, s[0:3], 0 offset:116
	buffer_load_dword v96, off, s[0:3], 0 offset:124
	buffer_load_dword v97, off, s[0:3], 0 offset:144
	buffer_load_dword v99, off, s[0:3], 0 offset:136
	buffer_load_dword v101, off, s[0:3], 0 offset:128
	buffer_load_dword v95, off, s[0:3], 0 offset:120
	buffer_load_dword v102, off, s[0:3], 0 offset:132
	buffer_load_dword v100, off, s[0:3], 0 offset:140
	v_mov_b32_e32 v64, 0
	buffer_load_dword v98, off, s[0:3], 0 offset:148
	s_mov_b32 s4, exec_lo
	ds_read_b128 v[65:68], v64 offset:288
	ds_read_b128 v[69:72], v64 offset:304
	s_waitcnt vmcnt(28) lgkmcnt(1)
	v_fma_f64 v[65:66], v[73:74], v[65:66], 0
	s_clause 0x7
	buffer_load_dword v74, off, s[0:3], 0 offset:156
	buffer_load_dword v103, off, s[0:3], 0 offset:176
	buffer_load_dword v105, off, s[0:3], 0 offset:168
	buffer_load_dword v107, off, s[0:3], 0 offset:160
	buffer_load_dword v73, off, s[0:3], 0 offset:152
	buffer_load_dword v108, off, s[0:3], 0 offset:164
	buffer_load_dword v106, off, s[0:3], 0 offset:172
	buffer_load_dword v104, off, s[0:3], 0 offset:180
	s_waitcnt vmcnt(34)
	v_fma_f64 v[65:66], v[75:76], v[67:68], v[65:66]
	s_waitcnt vmcnt(32) lgkmcnt(0)
	v_fma_f64 v[65:66], v[77:78], v[69:70], v[65:66]
	s_waitcnt vmcnt(30)
	v_fma_f64 v[75:76], v[79:80], v[71:72], v[65:66]
	ds_read_b128 v[65:68], v64 offset:320
	ds_read_b128 v[69:72], v64 offset:336
	s_waitcnt vmcnt(28) lgkmcnt(1)
	v_fma_f64 v[65:66], v[81:82], v[65:66], v[75:76]
	s_clause 0x7
	buffer_load_dword v76, off, s[0:3], 0 offset:188
	buffer_load_dword v77, off, s[0:3], 0 offset:208
	buffer_load_dword v79, off, s[0:3], 0 offset:200
	buffer_load_dword v81, off, s[0:3], 0 offset:192
	buffer_load_dword v75, off, s[0:3], 0 offset:184
	buffer_load_dword v82, off, s[0:3], 0 offset:196
	buffer_load_dword v80, off, s[0:3], 0 offset:204
	buffer_load_dword v78, off, s[0:3], 0 offset:212
	s_waitcnt vmcnt(34)
	v_fma_f64 v[65:66], v[83:84], v[67:68], v[65:66]
	s_waitcnt vmcnt(32) lgkmcnt(0)
	v_fma_f64 v[65:66], v[85:86], v[69:70], v[65:66]
	s_waitcnt vmcnt(27)
	v_fma_f64 v[83:84], v[87:88], v[71:72], v[65:66]
	;; [unrolled: 19-line block ×3, first 2 shown]
	ds_read_b128 v[65:68], v64 offset:384
	ds_read_b128 v[69:72], v64 offset:400
	s_waitcnt vmcnt(26) lgkmcnt(1)
	v_fma_f64 v[65:66], v[101:102], v[65:66], v[89:90]
	s_clause 0x1
	buffer_load_dword v89, off, s[0:3], 0 offset:24
	buffer_load_dword v90, off, s[0:3], 0 offset:28
	s_waitcnt vmcnt(27)
	v_fma_f64 v[65:66], v[99:100], v[67:68], v[65:66]
	s_waitcnt vmcnt(26) lgkmcnt(0)
	v_fma_f64 v[65:66], v[97:98], v[69:70], v[65:66]
	s_waitcnt vmcnt(21)
	v_fma_f64 v[73:74], v[73:74], v[71:72], v[65:66]
	ds_read_b128 v[65:68], v64 offset:416
	ds_read_b128 v[69:72], v64 offset:432
	s_waitcnt vmcnt(20) lgkmcnt(1)
	v_fma_f64 v[65:66], v[107:108], v[65:66], v[73:74]
	s_waitcnt vmcnt(19)
	v_fma_f64 v[65:66], v[105:106], v[67:68], v[65:66]
	s_waitcnt vmcnt(18) lgkmcnt(0)
	v_fma_f64 v[65:66], v[103:104], v[69:70], v[65:66]
	s_waitcnt vmcnt(13)
	v_fma_f64 v[73:74], v[75:76], v[71:72], v[65:66]
	ds_read_b128 v[65:68], v64 offset:448
	ds_read_b128 v[69:72], v64 offset:464
	s_waitcnt vmcnt(12) lgkmcnt(1)
	v_fma_f64 v[65:66], v[81:82], v[65:66], v[73:74]
	s_waitcnt vmcnt(11)
	v_fma_f64 v[65:66], v[79:80], v[67:68], v[65:66]
	s_waitcnt vmcnt(10) lgkmcnt(0)
	v_fma_f64 v[65:66], v[77:78], v[69:70], v[65:66]
	s_waitcnt vmcnt(5)
	v_fma_f64 v[69:70], v[83:84], v[71:72], v[65:66]
	ds_read_b128 v[65:68], v64 offset:480
	ds_read_b64 v[71:72], v64 offset:496
	s_waitcnt vmcnt(4) lgkmcnt(1)
	v_fma_f64 v[65:66], v[93:94], v[65:66], v[69:70]
	s_waitcnt vmcnt(3)
	v_fma_f64 v[65:66], v[87:88], v[67:68], v[65:66]
	s_waitcnt vmcnt(2) lgkmcnt(0)
	v_fma_f64 v[65:66], v[85:86], v[71:72], v[65:66]
	s_waitcnt vmcnt(0)
	v_add_f64 v[65:66], v[89:90], -v[65:66]
	buffer_store_dword v66, off, s[0:3], 0 offset:28
	buffer_store_dword v65, off, s[0:3], 0 offset:24
	v_cmpx_lt_u32_e32 2, v0
	s_cbranch_execz .LBB30_191
; %bb.190:
	s_clause 0x1
	buffer_load_dword v65, off, s[0:3], 0 offset:16
	buffer_load_dword v66, off, s[0:3], 0 offset:20
	buffer_store_dword v64, off, s[0:3], 0 offset:16
	buffer_store_dword v64, off, s[0:3], 0 offset:20
	s_waitcnt vmcnt(0)
	ds_write_b64 v63, v[65:66]
.LBB30_191:
	s_or_b32 exec_lo, exec_lo, s4
	s_waitcnt lgkmcnt(0)
	s_waitcnt_vscnt null, 0x0
	s_barrier
	buffer_gl0_inv
	s_clause 0x1c
	buffer_load_dword v73, off, s[0:3], 0 offset:24
	buffer_load_dword v74, off, s[0:3], 0 offset:28
	;; [unrolled: 1-line block ×29, first 2 shown]
	ds_read2_b64 v[65:68], v64 offset0:35 offset1:36
	ds_read2_b64 v[69:72], v64 offset0:37 offset1:38
	buffer_load_dword v98, off, s[0:3], 0 offset:140
	s_mov_b32 s4, exec_lo
	s_waitcnt vmcnt(28) lgkmcnt(1)
	v_fma_f64 v[65:66], v[73:74], v[65:66], 0
	s_clause 0x7
	buffer_load_dword v74, off, s[0:3], 0 offset:148
	buffer_load_dword v103, off, s[0:3], 0 offset:168
	buffer_load_dword v105, off, s[0:3], 0 offset:160
	buffer_load_dword v107, off, s[0:3], 0 offset:152
	buffer_load_dword v73, off, s[0:3], 0 offset:144
	buffer_load_dword v108, off, s[0:3], 0 offset:156
	buffer_load_dword v106, off, s[0:3], 0 offset:164
	buffer_load_dword v104, off, s[0:3], 0 offset:172
	s_waitcnt vmcnt(34)
	v_fma_f64 v[65:66], v[75:76], v[67:68], v[65:66]
	s_waitcnt vmcnt(32) lgkmcnt(0)
	v_fma_f64 v[65:66], v[77:78], v[69:70], v[65:66]
	s_waitcnt vmcnt(30)
	v_fma_f64 v[75:76], v[79:80], v[71:72], v[65:66]
	ds_read2_b64 v[65:68], v64 offset0:39 offset1:40
	ds_read2_b64 v[69:72], v64 offset0:41 offset1:42
	s_waitcnt vmcnt(28) lgkmcnt(1)
	v_fma_f64 v[65:66], v[81:82], v[65:66], v[75:76]
	s_clause 0x7
	buffer_load_dword v76, off, s[0:3], 0 offset:180
	buffer_load_dword v77, off, s[0:3], 0 offset:200
	buffer_load_dword v79, off, s[0:3], 0 offset:192
	buffer_load_dword v81, off, s[0:3], 0 offset:184
	buffer_load_dword v75, off, s[0:3], 0 offset:176
	buffer_load_dword v82, off, s[0:3], 0 offset:188
	buffer_load_dword v80, off, s[0:3], 0 offset:196
	buffer_load_dword v78, off, s[0:3], 0 offset:204
	s_waitcnt vmcnt(34)
	v_fma_f64 v[65:66], v[83:84], v[67:68], v[65:66]
	s_waitcnt vmcnt(32) lgkmcnt(0)
	v_fma_f64 v[65:66], v[85:86], v[69:70], v[65:66]
	s_waitcnt vmcnt(27)
	v_fma_f64 v[83:84], v[87:88], v[71:72], v[65:66]
	ds_read2_b64 v[65:68], v64 offset0:43 offset1:44
	ds_read2_b64 v[69:72], v64 offset0:45 offset1:46
	;; [unrolled: 19-line block ×3, first 2 shown]
	s_waitcnt vmcnt(26) lgkmcnt(1)
	v_fma_f64 v[65:66], v[101:102], v[65:66], v[89:90]
	s_clause 0x3
	buffer_load_dword v90, off, s[0:3], 0 offset:244
	buffer_load_dword v89, off, s[0:3], 0 offset:240
	;; [unrolled: 1-line block ×4, first 2 shown]
	s_waitcnt vmcnt(29)
	v_fma_f64 v[65:66], v[99:100], v[67:68], v[65:66]
	s_waitcnt vmcnt(28) lgkmcnt(0)
	v_fma_f64 v[65:66], v[97:98], v[69:70], v[65:66]
	s_waitcnt vmcnt(23)
	v_fma_f64 v[73:74], v[73:74], v[71:72], v[65:66]
	ds_read2_b64 v[65:68], v64 offset0:51 offset1:52
	ds_read2_b64 v[69:72], v64 offset0:53 offset1:54
	s_waitcnt vmcnt(22) lgkmcnt(1)
	v_fma_f64 v[65:66], v[107:108], v[65:66], v[73:74]
	s_waitcnt vmcnt(21)
	v_fma_f64 v[65:66], v[105:106], v[67:68], v[65:66]
	s_waitcnt vmcnt(20) lgkmcnt(0)
	v_fma_f64 v[65:66], v[103:104], v[69:70], v[65:66]
	s_waitcnt vmcnt(15)
	v_fma_f64 v[73:74], v[75:76], v[71:72], v[65:66]
	ds_read2_b64 v[65:68], v64 offset0:55 offset1:56
	ds_read2_b64 v[69:72], v64 offset0:57 offset1:58
	s_waitcnt vmcnt(14) lgkmcnt(1)
	v_fma_f64 v[65:66], v[81:82], v[65:66], v[73:74]
	;; [unrolled: 10-line block ×3, first 2 shown]
	s_waitcnt vmcnt(5)
	v_fma_f64 v[64:65], v[87:88], v[67:68], v[64:65]
	s_waitcnt vmcnt(4) lgkmcnt(0)
	v_fma_f64 v[64:65], v[85:86], v[69:70], v[64:65]
	s_waitcnt vmcnt(2)
	v_fma_f64 v[64:65], v[89:90], v[71:72], v[64:65]
	s_waitcnt vmcnt(0)
	v_add_f64 v[64:65], v[91:92], -v[64:65]
	buffer_store_dword v65, off, s[0:3], 0 offset:20
	buffer_store_dword v64, off, s[0:3], 0 offset:16
	v_cmpx_lt_u32_e32 1, v0
	s_cbranch_execz .LBB30_193
; %bb.192:
	s_clause 0x1
	buffer_load_dword v64, off, s[0:3], 0 offset:8
	buffer_load_dword v65, off, s[0:3], 0 offset:12
	v_mov_b32_e32 v66, 0
	buffer_store_dword v66, off, s[0:3], 0 offset:8
	buffer_store_dword v66, off, s[0:3], 0 offset:12
	s_waitcnt vmcnt(0)
	ds_write_b64 v63, v[64:65]
.LBB30_193:
	s_or_b32 exec_lo, exec_lo, s4
	s_waitcnt lgkmcnt(0)
	s_waitcnt_vscnt null, 0x0
	s_barrier
	buffer_gl0_inv
	s_clause 0x1c
	buffer_load_dword v74, off, s[0:3], 0 offset:16
	buffer_load_dword v75, off, s[0:3], 0 offset:20
	;; [unrolled: 1-line block ×29, first 2 shown]
	v_mov_b32_e32 v65, 0
	buffer_load_dword v99, off, s[0:3], 0 offset:132
	s_mov_b32 s4, exec_lo
	ds_read_b128 v[66:69], v65 offset:272
	ds_read_b128 v[70:73], v65 offset:288
	s_waitcnt vmcnt(28) lgkmcnt(1)
	v_fma_f64 v[66:67], v[74:75], v[66:67], 0
	s_clause 0x7
	buffer_load_dword v75, off, s[0:3], 0 offset:140
	buffer_load_dword v104, off, s[0:3], 0 offset:160
	buffer_load_dword v106, off, s[0:3], 0 offset:152
	buffer_load_dword v108, off, s[0:3], 0 offset:144
	buffer_load_dword v74, off, s[0:3], 0 offset:136
	buffer_load_dword v109, off, s[0:3], 0 offset:148
	buffer_load_dword v107, off, s[0:3], 0 offset:156
	buffer_load_dword v105, off, s[0:3], 0 offset:164
	s_waitcnt vmcnt(34)
	v_fma_f64 v[66:67], v[76:77], v[68:69], v[66:67]
	s_waitcnt vmcnt(32) lgkmcnt(0)
	v_fma_f64 v[66:67], v[78:79], v[70:71], v[66:67]
	s_waitcnt vmcnt(30)
	v_fma_f64 v[76:77], v[80:81], v[72:73], v[66:67]
	ds_read_b128 v[66:69], v65 offset:304
	ds_read_b128 v[70:73], v65 offset:320
	s_waitcnt vmcnt(28) lgkmcnt(1)
	v_fma_f64 v[66:67], v[82:83], v[66:67], v[76:77]
	s_clause 0x7
	buffer_load_dword v77, off, s[0:3], 0 offset:172
	buffer_load_dword v78, off, s[0:3], 0 offset:192
	buffer_load_dword v80, off, s[0:3], 0 offset:184
	buffer_load_dword v82, off, s[0:3], 0 offset:176
	buffer_load_dword v76, off, s[0:3], 0 offset:168
	buffer_load_dword v83, off, s[0:3], 0 offset:180
	buffer_load_dword v81, off, s[0:3], 0 offset:188
	buffer_load_dword v79, off, s[0:3], 0 offset:196
	s_waitcnt vmcnt(34)
	v_fma_f64 v[66:67], v[84:85], v[68:69], v[66:67]
	s_waitcnt vmcnt(32) lgkmcnt(0)
	v_fma_f64 v[66:67], v[86:87], v[70:71], v[66:67]
	s_waitcnt vmcnt(27)
	v_fma_f64 v[84:85], v[88:89], v[72:73], v[66:67]
	;; [unrolled: 19-line block ×3, first 2 shown]
	ds_read_b128 v[66:69], v65 offset:368
	ds_read_b128 v[70:73], v65 offset:384
	s_waitcnt vmcnt(26) lgkmcnt(1)
	v_fma_f64 v[66:67], v[102:103], v[66:67], v[90:91]
	s_clause 0x5
	buffer_load_dword v91, off, s[0:3], 0 offset:236
	buffer_load_dword v92, off, s[0:3], 0 offset:240
	;; [unrolled: 1-line block ×6, first 2 shown]
	s_waitcnt vmcnt(31)
	v_fma_f64 v[66:67], v[100:101], v[68:69], v[66:67]
	s_waitcnt vmcnt(30) lgkmcnt(0)
	v_fma_f64 v[66:67], v[98:99], v[70:71], v[66:67]
	s_waitcnt vmcnt(25)
	v_fma_f64 v[74:75], v[74:75], v[72:73], v[66:67]
	ds_read_b128 v[66:69], v65 offset:400
	ds_read_b128 v[70:73], v65 offset:416
	s_waitcnt vmcnt(24) lgkmcnt(1)
	v_fma_f64 v[66:67], v[108:109], v[66:67], v[74:75]
	s_waitcnt vmcnt(23)
	v_fma_f64 v[66:67], v[106:107], v[68:69], v[66:67]
	s_waitcnt vmcnt(22) lgkmcnt(0)
	v_fma_f64 v[66:67], v[104:105], v[70:71], v[66:67]
	s_waitcnt vmcnt(17)
	v_fma_f64 v[74:75], v[76:77], v[72:73], v[66:67]
	ds_read_b128 v[66:69], v65 offset:432
	ds_read_b128 v[70:73], v65 offset:448
	s_waitcnt vmcnt(16) lgkmcnt(1)
	v_fma_f64 v[66:67], v[82:83], v[66:67], v[74:75]
	s_waitcnt vmcnt(15)
	v_fma_f64 v[66:67], v[80:81], v[68:69], v[66:67]
	s_waitcnt vmcnt(14) lgkmcnt(0)
	v_fma_f64 v[66:67], v[78:79], v[70:71], v[66:67]
	s_waitcnt vmcnt(9)
	v_fma_f64 v[74:75], v[84:85], v[72:73], v[66:67]
	ds_read_b128 v[66:69], v65 offset:464
	ds_read_b128 v[70:73], v65 offset:480
	s_waitcnt vmcnt(8) lgkmcnt(1)
	v_fma_f64 v[66:67], v[94:95], v[66:67], v[74:75]
	s_waitcnt vmcnt(7)
	v_fma_f64 v[66:67], v[88:89], v[68:69], v[66:67]
	ds_read_b64 v[68:69], v65 offset:496
	s_waitcnt vmcnt(6) lgkmcnt(1)
	v_fma_f64 v[66:67], v[86:87], v[70:71], v[66:67]
	s_waitcnt vmcnt(3)
	v_fma_f64 v[66:67], v[90:91], v[72:73], v[66:67]
	s_waitcnt vmcnt(2) lgkmcnt(0)
	v_fma_f64 v[66:67], v[92:93], v[68:69], v[66:67]
	s_waitcnt vmcnt(0)
	v_add_f64 v[66:67], v[96:97], -v[66:67]
	buffer_store_dword v67, off, s[0:3], 0 offset:12
	buffer_store_dword v66, off, s[0:3], 0 offset:8
	v_cmpx_ne_u32_e32 0, v0
	s_cbranch_execz .LBB30_195
; %bb.194:
	s_clause 0x1
	buffer_load_dword v66, off, s[0:3], 0
	buffer_load_dword v67, off, s[0:3], 0 offset:4
	buffer_store_dword v65, off, s[0:3], 0
	buffer_store_dword v65, off, s[0:3], 0 offset:4
	s_waitcnt vmcnt(0)
	ds_write_b64 v63, v[66:67]
.LBB30_195:
	s_or_b32 exec_lo, exec_lo, s4
	s_waitcnt lgkmcnt(0)
	s_waitcnt_vscnt null, 0x0
	s_barrier
	buffer_gl0_inv
	s_clause 0x1c
	buffer_load_dword v63, off, s[0:3], 0 offset:8
	buffer_load_dword v64, off, s[0:3], 0 offset:12
	;; [unrolled: 1-line block ×29, first 2 shown]
	ds_read2_b64 v[66:69], v65 offset0:33 offset1:34
	ds_read2_b64 v[70:73], v65 offset0:35 offset1:36
	s_clause 0x8
	buffer_load_dword v97, off, s[0:3], 0 offset:124
	buffer_load_dword v103, off, s[0:3], 0 offset:132
	;; [unrolled: 1-line block ×9, first 2 shown]
	s_and_b32 vcc_lo, exec_lo, s22
	s_waitcnt vmcnt(36) lgkmcnt(1)
	v_fma_f64 v[63:64], v[63:64], v[66:67], 0
	s_waitcnt vmcnt(34)
	v_fma_f64 v[63:64], v[74:75], v[68:69], v[63:64]
	ds_read2_b64 v[66:69], v65 offset0:37 offset1:38
	s_waitcnt vmcnt(32) lgkmcnt(1)
	v_fma_f64 v[63:64], v[76:77], v[70:71], v[63:64]
	s_waitcnt vmcnt(30)
	v_fma_f64 v[63:64], v[78:79], v[72:73], v[63:64]
	ds_read2_b64 v[70:73], v65 offset0:39 offset1:40
	s_waitcnt vmcnt(28) lgkmcnt(1)
	v_fma_f64 v[63:64], v[80:81], v[66:67], v[63:64]
	s_clause 0x7
	buffer_load_dword v75, off, s[0:3], 0 offset:164
	buffer_load_dword v76, off, s[0:3], 0 offset:184
	;; [unrolled: 1-line block ×8, first 2 shown]
	s_waitcnt vmcnt(34)
	v_fma_f64 v[63:64], v[82:83], v[68:69], v[63:64]
	ds_read2_b64 v[66:69], v65 offset0:41 offset1:42
	s_waitcnt vmcnt(32) lgkmcnt(1)
	v_fma_f64 v[63:64], v[84:85], v[70:71], v[63:64]
	s_waitcnt vmcnt(27)
	v_fma_f64 v[63:64], v[86:87], v[72:73], v[63:64]
	ds_read2_b64 v[70:73], v65 offset0:43 offset1:44
	s_waitcnt vmcnt(26) lgkmcnt(1)
	v_fma_f64 v[63:64], v[92:93], v[66:67], v[63:64]
	s_clause 0x7
	buffer_load_dword v83, off, s[0:3], 0 offset:196
	buffer_load_dword v84, off, s[0:3], 0 offset:216
	;; [unrolled: 1-line block ×8, first 2 shown]
	s_waitcnt vmcnt(33)
	v_fma_f64 v[63:64], v[90:91], v[68:69], v[63:64]
	ds_read2_b64 v[66:69], v65 offset0:45 offset1:46
	s_waitcnt vmcnt(32) lgkmcnt(1)
	v_fma_f64 v[63:64], v[88:89], v[70:71], v[63:64]
	s_waitcnt vmcnt(27)
	v_fma_f64 v[63:64], v[94:95], v[72:73], v[63:64]
	ds_read2_b64 v[70:73], v65 offset0:47 offset1:48
	s_waitcnt vmcnt(26) lgkmcnt(1)
	v_fma_f64 v[66:67], v[100:101], v[66:67], v[63:64]
	s_clause 0x5
	buffer_load_dword v89, off, s[0:3], 0 offset:228
	buffer_load_dword v90, off, s[0:3], 0 offset:240
	;; [unrolled: 1-line block ×6, first 2 shown]
	s_waitcnt vmcnt(31)
	v_fma_f64 v[66:67], v[98:99], v[68:69], v[66:67]
	s_waitcnt vmcnt(30) lgkmcnt(0)
	v_fma_f64 v[66:67], v[96:97], v[70:71], v[66:67]
	s_waitcnt vmcnt(25)
	v_fma_f64 v[94:95], v[102:103], v[72:73], v[66:67]
	ds_read2_b64 v[66:69], v65 offset0:49 offset1:50
	s_clause 0x1
	buffer_load_dword v96, off, s[0:3], 0
	buffer_load_dword v97, off, s[0:3], 0 offset:4
	ds_read2_b64 v[70:73], v65 offset0:51 offset1:52
	s_waitcnt vmcnt(26) lgkmcnt(1)
	v_fma_f64 v[66:67], v[108:109], v[66:67], v[94:95]
	s_waitcnt vmcnt(25)
	v_fma_f64 v[66:67], v[106:107], v[68:69], v[66:67]
	s_waitcnt vmcnt(24) lgkmcnt(0)
	v_fma_f64 v[66:67], v[104:105], v[70:71], v[66:67]
	s_waitcnt vmcnt(19)
	v_fma_f64 v[74:75], v[74:75], v[72:73], v[66:67]
	ds_read2_b64 v[66:69], v65 offset0:53 offset1:54
	ds_read2_b64 v[70:73], v65 offset0:55 offset1:56
	s_waitcnt vmcnt(18) lgkmcnt(1)
	v_fma_f64 v[66:67], v[80:81], v[66:67], v[74:75]
	s_waitcnt vmcnt(17)
	v_fma_f64 v[66:67], v[78:79], v[68:69], v[66:67]
	s_waitcnt vmcnt(16) lgkmcnt(0)
	v_fma_f64 v[66:67], v[76:77], v[70:71], v[66:67]
	s_waitcnt vmcnt(11)
	v_fma_f64 v[74:75], v[82:83], v[72:73], v[66:67]
	ds_read2_b64 v[66:69], v65 offset0:57 offset1:58
	;; [unrolled: 10-line block ×3, first 2 shown]
	s_waitcnt vmcnt(3) lgkmcnt(0)
	v_fma_f64 v[65:66], v[63:64], v[65:66], v[69:70]
	s_waitcnt vmcnt(2)
	v_fma_f64 v[65:66], v[90:91], v[67:68], v[65:66]
	s_waitcnt vmcnt(0)
	v_add_f64 v[65:66], v[96:97], -v[65:66]
	buffer_store_dword v66, off, s[0:3], 0 offset:4
	buffer_store_dword v65, off, s[0:3], 0
	s_cbranch_vccz .LBB30_256
; %bb.196:
	v_mov_b32_e32 v0, 0
	global_load_dword v65, v0, s[20:21] offset:116
	s_waitcnt vmcnt(0)
	v_add_nc_u32_e32 v65, -1, v65
	v_cmp_ne_u32_e32 vcc_lo, 29, v65
	s_cbranch_vccz .LBB30_198
; %bb.197:
	v_lshlrev_b32_e32 v65, 3, v65
	s_clause 0x1
	buffer_load_dword v66, v65, s[0:3], 0 offen
	buffer_load_dword v67, v65, s[0:3], 0 offen offset:4
	s_waitcnt vmcnt(1)
	buffer_store_dword v66, off, s[0:3], 0 offset:232
	s_waitcnt vmcnt(0)
	buffer_store_dword v67, off, s[0:3], 0 offset:236
	buffer_store_dword v63, v65, s[0:3], 0 offen
	buffer_store_dword v64, v65, s[0:3], 0 offen offset:4
.LBB30_198:
	global_load_dword v0, v0, s[20:21] offset:112
	s_waitcnt vmcnt(0)
	v_add_nc_u32_e32 v0, -1, v0
	v_cmp_eq_u32_e32 vcc_lo, 28, v0
	s_cbranch_vccnz .LBB30_200
; %bb.199:
	v_lshlrev_b32_e32 v0, 3, v0
	s_clause 0x3
	buffer_load_dword v63, v0, s[0:3], 0 offen
	buffer_load_dword v64, v0, s[0:3], 0 offen offset:4
	buffer_load_dword v65, off, s[0:3], 0 offset:228
	buffer_load_dword v66, off, s[0:3], 0 offset:224
	s_waitcnt vmcnt(3)
	buffer_store_dword v63, off, s[0:3], 0 offset:224
	s_waitcnt vmcnt(2)
	buffer_store_dword v64, off, s[0:3], 0 offset:228
	s_waitcnt vmcnt(1)
	buffer_store_dword v65, v0, s[0:3], 0 offen offset:4
	s_waitcnt vmcnt(0)
	buffer_store_dword v66, v0, s[0:3], 0 offen
.LBB30_200:
	v_mov_b32_e32 v0, 0
	global_load_dword v63, v0, s[20:21] offset:108
	s_waitcnt vmcnt(0)
	v_add_nc_u32_e32 v63, -1, v63
	v_cmp_eq_u32_e32 vcc_lo, 27, v63
	s_cbranch_vccnz .LBB30_202
; %bb.201:
	v_lshlrev_b32_e32 v63, 3, v63
	s_clause 0x3
	buffer_load_dword v64, v63, s[0:3], 0 offen
	buffer_load_dword v65, v63, s[0:3], 0 offen offset:4
	buffer_load_dword v66, off, s[0:3], 0 offset:216
	buffer_load_dword v67, off, s[0:3], 0 offset:220
	s_waitcnt vmcnt(3)
	buffer_store_dword v64, off, s[0:3], 0 offset:216
	s_waitcnt vmcnt(2)
	buffer_store_dword v65, off, s[0:3], 0 offset:220
	s_waitcnt vmcnt(1)
	buffer_store_dword v66, v63, s[0:3], 0 offen
	s_waitcnt vmcnt(0)
	buffer_store_dword v67, v63, s[0:3], 0 offen offset:4
.LBB30_202:
	global_load_dword v0, v0, s[20:21] offset:104
	s_waitcnt vmcnt(0)
	v_add_nc_u32_e32 v0, -1, v0
	v_cmp_eq_u32_e32 vcc_lo, 26, v0
	s_cbranch_vccnz .LBB30_204
; %bb.203:
	v_lshlrev_b32_e32 v0, 3, v0
	s_clause 0x3
	buffer_load_dword v63, v0, s[0:3], 0 offen
	buffer_load_dword v64, v0, s[0:3], 0 offen offset:4
	buffer_load_dword v65, off, s[0:3], 0 offset:212
	buffer_load_dword v66, off, s[0:3], 0 offset:208
	s_waitcnt vmcnt(3)
	buffer_store_dword v63, off, s[0:3], 0 offset:208
	s_waitcnt vmcnt(2)
	buffer_store_dword v64, off, s[0:3], 0 offset:212
	s_waitcnt vmcnt(1)
	buffer_store_dword v65, v0, s[0:3], 0 offen offset:4
	s_waitcnt vmcnt(0)
	buffer_store_dword v66, v0, s[0:3], 0 offen
.LBB30_204:
	v_mov_b32_e32 v0, 0
	global_load_dword v63, v0, s[20:21] offset:100
	s_waitcnt vmcnt(0)
	v_add_nc_u32_e32 v63, -1, v63
	v_cmp_eq_u32_e32 vcc_lo, 25, v63
	s_cbranch_vccnz .LBB30_206
; %bb.205:
	v_lshlrev_b32_e32 v63, 3, v63
	s_clause 0x3
	buffer_load_dword v64, v63, s[0:3], 0 offen
	buffer_load_dword v65, v63, s[0:3], 0 offen offset:4
	buffer_load_dword v66, off, s[0:3], 0 offset:200
	buffer_load_dword v67, off, s[0:3], 0 offset:204
	s_waitcnt vmcnt(3)
	buffer_store_dword v64, off, s[0:3], 0 offset:200
	s_waitcnt vmcnt(2)
	buffer_store_dword v65, off, s[0:3], 0 offset:204
	s_waitcnt vmcnt(1)
	buffer_store_dword v66, v63, s[0:3], 0 offen
	s_waitcnt vmcnt(0)
	buffer_store_dword v67, v63, s[0:3], 0 offen offset:4
.LBB30_206:
	;; [unrolled: 43-line block ×14, first 2 shown]
	global_load_dword v0, v0, s[20:21]
	s_clause 0x1
	buffer_load_dword v65, off, s[0:3], 0
	buffer_load_dword v66, off, s[0:3], 0 offset:4
	s_waitcnt vmcnt(2)
	v_add_nc_u32_e32 v0, -1, v0
	v_cmp_eq_u32_e32 vcc_lo, 0, v0
	s_cbranch_vccnz .LBB30_256
; %bb.255:
	v_lshlrev_b32_e32 v0, 3, v0
	s_clause 0x1
	buffer_load_dword v63, v0, s[0:3], 0 offen offset:4
	buffer_load_dword v64, v0, s[0:3], 0 offen
	s_waitcnt vmcnt(1)
	buffer_store_dword v63, off, s[0:3], 0 offset:4
	s_waitcnt vmcnt(0)
	buffer_store_dword v64, off, s[0:3], 0
	buffer_store_dword v66, v0, s[0:3], 0 offen offset:4
	buffer_store_dword v65, v0, s[0:3], 0 offen
	s_clause 0x1
	buffer_load_dword v65, off, s[0:3], 0
	buffer_load_dword v66, off, s[0:3], 0 offset:4
.LBB30_256:
	s_clause 0x5
	buffer_load_dword v63, off, s[0:3], 0 offset:8
	buffer_load_dword v64, off, s[0:3], 0 offset:12
	;; [unrolled: 1-line block ×6, first 2 shown]
	s_waitcnt vmcnt(6)
	global_store_dwordx2 v[53:54], v[65:66], off
	s_clause 0x29
	buffer_load_dword v53, off, s[0:3], 0 offset:32
	buffer_load_dword v54, off, s[0:3], 0 offset:36
	;; [unrolled: 1-line block ×42, first 2 shown]
	s_waitcnt vmcnt(46)
	global_store_dwordx2 v[15:16], v[63:64], off
	s_waitcnt vmcnt(44)
	global_store_dwordx2 v[11:12], v[67:68], off
	s_clause 0x7
	buffer_load_dword v11, off, s[0:3], 0 offset:200
	buffer_load_dword v12, off, s[0:3], 0 offset:204
	;; [unrolled: 1-line block ×8, first 2 shown]
	s_waitcnt vmcnt(50)
	global_store_dwordx2 v[3:4], v[69:70], off
	s_clause 0x3
	buffer_load_dword v3, off, s[0:3], 0 offset:232
	buffer_load_dword v4, off, s[0:3], 0 offset:236
	;; [unrolled: 1-line block ×4, first 2 shown]
	s_waitcnt vmcnt(52)
	global_store_dwordx2 v[1:2], v[53:54], off
	s_waitcnt vmcnt(50)
	global_store_dwordx2 v[5:6], v[65:66], off
	;; [unrolled: 2-line block ×27, first 2 shown]
	s_endpgm
	.section	.rodata,"a",@progbits
	.p2align	6, 0x0
	.amdhsa_kernel _ZN9rocsolver6v33100L18getri_kernel_smallILi31EdPdEEvT1_iilPiilS4_bb
		.amdhsa_group_segment_fixed_size 504
		.amdhsa_private_segment_fixed_size 256
		.amdhsa_kernarg_size 60
		.amdhsa_user_sgpr_count 6
		.amdhsa_user_sgpr_private_segment_buffer 1
		.amdhsa_user_sgpr_dispatch_ptr 0
		.amdhsa_user_sgpr_queue_ptr 0
		.amdhsa_user_sgpr_kernarg_segment_ptr 1
		.amdhsa_user_sgpr_dispatch_id 0
		.amdhsa_user_sgpr_flat_scratch_init 0
		.amdhsa_user_sgpr_private_segment_size 0
		.amdhsa_wavefront_size32 1
		.amdhsa_uses_dynamic_stack 0
		.amdhsa_system_sgpr_private_segment_wavefront_offset 1
		.amdhsa_system_sgpr_workgroup_id_x 1
		.amdhsa_system_sgpr_workgroup_id_y 0
		.amdhsa_system_sgpr_workgroup_id_z 0
		.amdhsa_system_sgpr_workgroup_info 0
		.amdhsa_system_vgpr_workitem_id 0
		.amdhsa_next_free_vgpr 110
		.amdhsa_next_free_sgpr 23
		.amdhsa_reserve_vcc 1
		.amdhsa_reserve_flat_scratch 0
		.amdhsa_float_round_mode_32 0
		.amdhsa_float_round_mode_16_64 0
		.amdhsa_float_denorm_mode_32 3
		.amdhsa_float_denorm_mode_16_64 3
		.amdhsa_dx10_clamp 1
		.amdhsa_ieee_mode 1
		.amdhsa_fp16_overflow 0
		.amdhsa_workgroup_processor_mode 1
		.amdhsa_memory_ordered 1
		.amdhsa_forward_progress 1
		.amdhsa_shared_vgpr_count 0
		.amdhsa_exception_fp_ieee_invalid_op 0
		.amdhsa_exception_fp_denorm_src 0
		.amdhsa_exception_fp_ieee_div_zero 0
		.amdhsa_exception_fp_ieee_overflow 0
		.amdhsa_exception_fp_ieee_underflow 0
		.amdhsa_exception_fp_ieee_inexact 0
		.amdhsa_exception_int_div_zero 0
	.end_amdhsa_kernel
	.section	.text._ZN9rocsolver6v33100L18getri_kernel_smallILi31EdPdEEvT1_iilPiilS4_bb,"axG",@progbits,_ZN9rocsolver6v33100L18getri_kernel_smallILi31EdPdEEvT1_iilPiilS4_bb,comdat
.Lfunc_end30:
	.size	_ZN9rocsolver6v33100L18getri_kernel_smallILi31EdPdEEvT1_iilPiilS4_bb, .Lfunc_end30-_ZN9rocsolver6v33100L18getri_kernel_smallILi31EdPdEEvT1_iilPiilS4_bb
                                        ; -- End function
	.set _ZN9rocsolver6v33100L18getri_kernel_smallILi31EdPdEEvT1_iilPiilS4_bb.num_vgpr, 110
	.set _ZN9rocsolver6v33100L18getri_kernel_smallILi31EdPdEEvT1_iilPiilS4_bb.num_agpr, 0
	.set _ZN9rocsolver6v33100L18getri_kernel_smallILi31EdPdEEvT1_iilPiilS4_bb.numbered_sgpr, 23
	.set _ZN9rocsolver6v33100L18getri_kernel_smallILi31EdPdEEvT1_iilPiilS4_bb.num_named_barrier, 0
	.set _ZN9rocsolver6v33100L18getri_kernel_smallILi31EdPdEEvT1_iilPiilS4_bb.private_seg_size, 256
	.set _ZN9rocsolver6v33100L18getri_kernel_smallILi31EdPdEEvT1_iilPiilS4_bb.uses_vcc, 1
	.set _ZN9rocsolver6v33100L18getri_kernel_smallILi31EdPdEEvT1_iilPiilS4_bb.uses_flat_scratch, 0
	.set _ZN9rocsolver6v33100L18getri_kernel_smallILi31EdPdEEvT1_iilPiilS4_bb.has_dyn_sized_stack, 0
	.set _ZN9rocsolver6v33100L18getri_kernel_smallILi31EdPdEEvT1_iilPiilS4_bb.has_recursion, 0
	.set _ZN9rocsolver6v33100L18getri_kernel_smallILi31EdPdEEvT1_iilPiilS4_bb.has_indirect_call, 0
	.section	.AMDGPU.csdata,"",@progbits
; Kernel info:
; codeLenInByte = 32604
; TotalNumSgprs: 25
; NumVgprs: 110
; ScratchSize: 256
; MemoryBound: 0
; FloatMode: 240
; IeeeMode: 1
; LDSByteSize: 504 bytes/workgroup (compile time only)
; SGPRBlocks: 0
; VGPRBlocks: 13
; NumSGPRsForWavesPerEU: 25
; NumVGPRsForWavesPerEU: 110
; Occupancy: 9
; WaveLimiterHint : 1
; COMPUTE_PGM_RSRC2:SCRATCH_EN: 1
; COMPUTE_PGM_RSRC2:USER_SGPR: 6
; COMPUTE_PGM_RSRC2:TRAP_HANDLER: 0
; COMPUTE_PGM_RSRC2:TGID_X_EN: 1
; COMPUTE_PGM_RSRC2:TGID_Y_EN: 0
; COMPUTE_PGM_RSRC2:TGID_Z_EN: 0
; COMPUTE_PGM_RSRC2:TIDIG_COMP_CNT: 0
	.section	.text._ZN9rocsolver6v33100L18getri_kernel_smallILi32EdPdEEvT1_iilPiilS4_bb,"axG",@progbits,_ZN9rocsolver6v33100L18getri_kernel_smallILi32EdPdEEvT1_iilPiilS4_bb,comdat
	.globl	_ZN9rocsolver6v33100L18getri_kernel_smallILi32EdPdEEvT1_iilPiilS4_bb ; -- Begin function _ZN9rocsolver6v33100L18getri_kernel_smallILi32EdPdEEvT1_iilPiilS4_bb
	.p2align	8
	.type	_ZN9rocsolver6v33100L18getri_kernel_smallILi32EdPdEEvT1_iilPiilS4_bb,@function
_ZN9rocsolver6v33100L18getri_kernel_smallILi32EdPdEEvT1_iilPiilS4_bb: ; @_ZN9rocsolver6v33100L18getri_kernel_smallILi32EdPdEEvT1_iilPiilS4_bb
; %bb.0:
	s_add_u32 s0, s0, s7
	s_addc_u32 s1, s1, 0
	s_mov_b32 s7, exec_lo
	v_cmpx_gt_u32_e32 32, v0
	s_cbranch_execz .LBB31_138
; %bb.1:
	s_clause 0x2
	s_load_dword s7, s[4:5], 0x38
	s_load_dwordx4 s[16:19], s[4:5], 0x10
	s_load_dwordx4 s[8:11], s[4:5], 0x28
                                        ; implicit-def: $sgpr20_sgpr21
	s_waitcnt lgkmcnt(0)
	s_bitcmp1_b32 s7, 8
	s_cselect_b32 s22, -1, 0
	s_bfe_u32 s12, s7, 0x10008
	s_ashr_i32 s7, s6, 31
	s_cmp_eq_u32 s12, 0
	s_cbranch_scc1 .LBB31_3
; %bb.2:
	s_load_dword s12, s[4:5], 0x20
	s_mul_i32 s13, s8, s7
	s_mul_hi_u32 s14, s8, s6
	s_mul_i32 s9, s9, s6
	s_add_i32 s13, s14, s13
	s_mul_i32 s8, s8, s6
	s_add_i32 s9, s13, s9
	s_lshl_b64 s[8:9], s[8:9], 2
	s_waitcnt lgkmcnt(0)
	s_ashr_i32 s13, s12, 31
	s_add_u32 s14, s18, s8
	s_addc_u32 s15, s19, s9
	s_lshl_b64 s[8:9], s[12:13], 2
	s_add_u32 s20, s14, s8
	s_addc_u32 s21, s15, s9
.LBB31_3:
	s_clause 0x1
	s_load_dwordx4 s[12:15], s[4:5], 0x0
	s_load_dword s8, s[4:5], 0x38
	s_mul_i32 s4, s16, s7
	s_mul_hi_u32 s5, s16, s6
	s_mul_i32 s9, s17, s6
	s_add_i32 s5, s5, s4
	s_mul_i32 s4, s16, s6
	s_add_i32 s5, s5, s9
	v_lshlrev_b32_e32 v67, 3, v0
	s_lshl_b64 s[4:5], s[4:5], 3
	s_waitcnt lgkmcnt(0)
	v_add3_u32 v1, s15, s15, v0
	s_ashr_i32 s17, s14, 31
	s_mov_b32 s16, s14
	s_add_u32 s9, s12, s4
	s_addc_u32 s12, s13, s5
	v_add_nc_u32_e32 v3, s15, v1
	v_ashrrev_i32_e32 v2, 31, v1
	s_lshl_b64 s[4:5], s[16:17], 3
	s_add_u32 s4, s9, s4
	v_add_nc_u32_e32 v5, s15, v3
	v_ashrrev_i32_e32 v4, 31, v3
	v_lshlrev_b64 v[1:2], 3, v[1:2]
	s_addc_u32 s5, s12, s5
	v_add_co_u32 v63, s9, s4, v67
	v_add_nc_u32_e32 v7, s15, v5
	v_lshlrev_b64 v[3:4], 3, v[3:4]
	v_add_co_u32 v9, vcc_lo, s4, v1
	v_add_co_ci_u32_e64 v10, null, s5, v2, vcc_lo
	v_ashrrev_i32_e32 v8, 31, v7
	v_add_nc_u32_e32 v11, s15, v7
	v_add_co_u32 v13, vcc_lo, s4, v3
	v_add_co_ci_u32_e64 v14, null, s5, v4, vcc_lo
	v_lshlrev_b64 v[3:4], 3, v[7:8]
	v_add_nc_u32_e32 v7, s15, v11
	v_ashrrev_i32_e32 v6, 31, v5
	v_ashrrev_i32_e32 v12, 31, v11
	s_mov_b32 s12, s15
	s_ashr_i32 s13, s15, 31
	v_add_nc_u32_e32 v15, s15, v7
	v_lshlrev_b64 v[1:2], 3, v[5:6]
	v_lshlrev_b64 v[11:12], 3, v[11:12]
	v_ashrrev_i32_e32 v8, 31, v7
	v_add_co_ci_u32_e64 v64, null, s5, 0, s9
	v_add_nc_u32_e32 v17, s15, v15
	v_add_co_u32 v5, vcc_lo, s4, v1
	v_ashrrev_i32_e32 v16, 31, v15
	v_add_co_ci_u32_e64 v6, null, s5, v2, vcc_lo
	v_add_nc_u32_e32 v19, s15, v17
	v_add_co_u32 v1, vcc_lo, s4, v3
	v_ashrrev_i32_e32 v18, 31, v17
	v_add_co_ci_u32_e64 v2, null, s5, v4, vcc_lo
	v_lshlrev_b64 v[7:8], 3, v[7:8]
	v_add_co_u32 v3, vcc_lo, s4, v11
	v_ashrrev_i32_e32 v20, 31, v19
	v_add_co_ci_u32_e64 v4, null, s5, v12, vcc_lo
	s_lshl_b64 s[12:13], s[12:13], 3
	v_lshlrev_b64 v[11:12], 3, v[15:16]
	v_add_co_u32 v25, vcc_lo, v63, s12
	v_lshlrev_b64 v[15:16], 3, v[17:18]
	v_add_co_ci_u32_e64 v26, null, s13, v64, vcc_lo
	v_add_co_u32 v7, vcc_lo, s4, v7
	v_lshlrev_b64 v[17:18], 3, v[19:20]
	v_add_co_ci_u32_e64 v8, null, s5, v8, vcc_lo
	v_add_co_u32 v11, vcc_lo, s4, v11
	v_add_co_ci_u32_e64 v12, null, s5, v12, vcc_lo
	v_add_co_u32 v15, vcc_lo, s4, v15
	;; [unrolled: 2-line block ×3, first 2 shown]
	v_add_co_ci_u32_e64 v18, null, s5, v18, vcc_lo
	s_clause 0xa
	global_load_dwordx2 v[65:66], v67, s[4:5]
	global_load_dwordx2 v[68:69], v[25:26], off
	global_load_dwordx2 v[70:71], v[9:10], off
	;; [unrolled: 1-line block ×10, first 2 shown]
	v_add_nc_u32_e32 v19, s15, v19
	s_bitcmp0_b32 s8, 0
	v_add_nc_u32_e32 v21, s15, v19
	v_ashrrev_i32_e32 v20, 31, v19
	v_add_nc_u32_e32 v23, s15, v21
	v_ashrrev_i32_e32 v22, 31, v21
	v_lshlrev_b64 v[19:20], 3, v[19:20]
	v_add_nc_u32_e32 v27, s15, v23
	v_ashrrev_i32_e32 v24, 31, v23
	v_lshlrev_b64 v[21:22], 3, v[21:22]
	v_add_co_u32 v19, vcc_lo, s4, v19
	v_add_nc_u32_e32 v29, s15, v27
	v_ashrrev_i32_e32 v28, 31, v27
	v_lshlrev_b64 v[23:24], 3, v[23:24]
	v_add_co_ci_u32_e64 v20, null, s5, v20, vcc_lo
	v_add_nc_u32_e32 v31, s15, v29
	v_ashrrev_i32_e32 v30, 31, v29
	v_lshlrev_b64 v[27:28], 3, v[27:28]
	v_add_co_u32 v21, vcc_lo, s4, v21
	v_add_nc_u32_e32 v33, s15, v31
	v_ashrrev_i32_e32 v32, 31, v31
	v_lshlrev_b64 v[29:30], 3, v[29:30]
	v_add_co_ci_u32_e64 v22, null, s5, v22, vcc_lo
	v_add_nc_u32_e32 v35, s15, v33
	v_ashrrev_i32_e32 v34, 31, v33
	v_add_co_u32 v23, vcc_lo, s4, v23
	v_lshlrev_b64 v[31:32], 3, v[31:32]
	v_add_nc_u32_e32 v37, s15, v35
	v_ashrrev_i32_e32 v36, 31, v35
	v_add_co_ci_u32_e64 v24, null, s5, v24, vcc_lo
	v_add_co_u32 v27, vcc_lo, s4, v27
	v_add_nc_u32_e32 v39, s15, v37
	v_ashrrev_i32_e32 v38, 31, v37
	v_lshlrev_b64 v[33:34], 3, v[33:34]
	v_add_co_ci_u32_e64 v28, null, s5, v28, vcc_lo
	v_add_nc_u32_e32 v41, s15, v39
	v_ashrrev_i32_e32 v40, 31, v39
	v_add_co_u32 v29, vcc_lo, s4, v29
	v_lshlrev_b64 v[35:36], 3, v[35:36]
	v_add_nc_u32_e32 v43, s15, v41
	v_ashrrev_i32_e32 v42, 31, v41
	v_add_co_ci_u32_e64 v30, null, s5, v30, vcc_lo
	v_add_co_u32 v31, vcc_lo, s4, v31
	v_add_nc_u32_e32 v45, s15, v43
	v_lshlrev_b64 v[37:38], 3, v[37:38]
	v_ashrrev_i32_e32 v44, 31, v43
	v_add_co_ci_u32_e64 v32, null, s5, v32, vcc_lo
	v_add_nc_u32_e32 v47, s15, v45
	v_add_co_u32 v33, vcc_lo, s4, v33
	v_lshlrev_b64 v[39:40], 3, v[39:40]
	v_ashrrev_i32_e32 v46, 31, v45
	v_add_nc_u32_e32 v49, s15, v47
	v_add_co_ci_u32_e64 v34, null, s5, v34, vcc_lo
	v_add_co_u32 v35, vcc_lo, s4, v35
	v_add_nc_u32_e32 v51, s15, v49
	v_lshlrev_b64 v[41:42], 3, v[41:42]
	v_ashrrev_i32_e32 v48, 31, v47
	v_add_co_ci_u32_e64 v36, null, s5, v36, vcc_lo
	v_add_nc_u32_e32 v53, s15, v51
	v_add_co_u32 v37, vcc_lo, s4, v37
	v_lshlrev_b64 v[43:44], 3, v[43:44]
	v_ashrrev_i32_e32 v50, 31, v49
	v_add_nc_u32_e32 v55, s15, v53
	v_add_co_ci_u32_e64 v38, null, s5, v38, vcc_lo
	v_add_co_u32 v39, vcc_lo, s4, v39
	v_add_nc_u32_e32 v57, s15, v55
	v_lshlrev_b64 v[45:46], 3, v[45:46]
	v_ashrrev_i32_e32 v52, 31, v51
	v_add_co_ci_u32_e64 v40, null, s5, v40, vcc_lo
	v_add_nc_u32_e32 v59, s15, v57
	v_add_co_u32 v41, vcc_lo, s4, v41
	v_lshlrev_b64 v[47:48], 3, v[47:48]
	v_ashrrev_i32_e32 v54, 31, v53
	v_add_co_ci_u32_e64 v42, null, s5, v42, vcc_lo
	v_add_co_u32 v43, vcc_lo, s4, v43
	v_lshlrev_b64 v[49:50], 3, v[49:50]
	v_ashrrev_i32_e32 v56, 31, v55
	v_add_co_ci_u32_e64 v44, null, s5, v44, vcc_lo
	v_add_co_u32 v45, vcc_lo, s4, v45
	v_lshlrev_b64 v[51:52], 3, v[51:52]
	v_add_nc_u32_e32 v61, s15, v59
	v_ashrrev_i32_e32 v58, 31, v57
	v_add_co_ci_u32_e64 v46, null, s5, v46, vcc_lo
	v_add_co_u32 v47, vcc_lo, s4, v47
	v_lshlrev_b64 v[53:54], 3, v[53:54]
	v_ashrrev_i32_e32 v60, 31, v59
	v_add_co_ci_u32_e64 v48, null, s5, v48, vcc_lo
	v_add_co_u32 v49, vcc_lo, s4, v49
	v_lshlrev_b64 v[55:56], 3, v[55:56]
	;; [unrolled: 4-line block ×3, first 2 shown]
	v_add_co_ci_u32_e64 v52, null, s5, v52, vcc_lo
	v_add_co_u32 v53, vcc_lo, s4, v53
	v_lshlrev_b64 v[59:60], 3, v[59:60]
	v_add_co_ci_u32_e64 v54, null, s5, v54, vcc_lo
	v_add_co_u32 v55, vcc_lo, s4, v55
	v_lshlrev_b64 v[100:101], 3, v[61:62]
	v_add_co_ci_u32_e64 v56, null, s5, v56, vcc_lo
	v_add_co_u32 v57, vcc_lo, s4, v57
	v_add_co_ci_u32_e64 v58, null, s5, v58, vcc_lo
	v_add_co_u32 v61, vcc_lo, s4, v59
	;; [unrolled: 2-line block ×3, first 2 shown]
	s_clause 0x5
	global_load_dwordx2 v[88:89], v[19:20], off
	global_load_dwordx2 v[90:91], v[21:22], off
	;; [unrolled: 1-line block ×6, first 2 shown]
	v_add_co_ci_u32_e64 v60, null, s5, v101, vcc_lo
	s_clause 0x3
	global_load_dwordx2 v[100:101], v[33:34], off
	global_load_dwordx2 v[102:103], v[35:36], off
	;; [unrolled: 1-line block ×4, first 2 shown]
	s_mov_b32 s5, -1
	s_waitcnt vmcnt(20)
	buffer_store_dword v66, off, s[0:3], 0 offset:4
	buffer_store_dword v65, off, s[0:3], 0
	s_waitcnt vmcnt(19)
	buffer_store_dword v69, off, s[0:3], 0 offset:12
	buffer_store_dword v68, off, s[0:3], 0 offset:8
	s_waitcnt vmcnt(18)
	buffer_store_dword v71, off, s[0:3], 0 offset:20
	buffer_store_dword v70, off, s[0:3], 0 offset:16
	;; [unrolled: 3-line block ×3, first 2 shown]
	s_clause 0x3
	global_load_dwordx2 v[65:66], v[41:42], off
	global_load_dwordx2 v[68:69], v[43:44], off
	;; [unrolled: 1-line block ×4, first 2 shown]
	s_waitcnt vmcnt(20)
	buffer_store_dword v75, off, s[0:3], 0 offset:36
	buffer_store_dword v74, off, s[0:3], 0 offset:32
	s_waitcnt vmcnt(19)
	buffer_store_dword v77, off, s[0:3], 0 offset:44
	buffer_store_dword v76, off, s[0:3], 0 offset:40
	;; [unrolled: 3-line block ×4, first 2 shown]
	s_clause 0x3
	global_load_dwordx2 v[74:75], v[49:50], off
	global_load_dwordx2 v[76:77], v[51:52], off
	;; [unrolled: 1-line block ×4, first 2 shown]
	s_waitcnt vmcnt(20)
	buffer_store_dword v83, off, s[0:3], 0 offset:68
	buffer_store_dword v82, off, s[0:3], 0 offset:64
	s_waitcnt vmcnt(19)
	buffer_store_dword v84, off, s[0:3], 0 offset:72
	buffer_store_dword v85, off, s[0:3], 0 offset:76
	s_clause 0x1
	global_load_dwordx2 v[82:83], v[57:58], off
	global_load_dwordx2 v[84:85], v[61:62], off
	s_waitcnt vmcnt(20)
	buffer_store_dword v86, off, s[0:3], 0 offset:80
	buffer_store_dword v87, off, s[0:3], 0 offset:84
	global_load_dwordx2 v[86:87], v[59:60], off
	s_waitcnt vmcnt(20)
	buffer_store_dword v88, off, s[0:3], 0 offset:88
	buffer_store_dword v89, off, s[0:3], 0 offset:92
	s_waitcnt vmcnt(19)
	buffer_store_dword v90, off, s[0:3], 0 offset:96
	buffer_store_dword v91, off, s[0:3], 0 offset:100
	;; [unrolled: 3-line block ×21, first 2 shown]
	s_cbranch_scc1 .LBB31_136
; %bb.4:
	v_cmp_eq_u32_e64 s4, 0, v0
	s_and_saveexec_b32 s5, s4
; %bb.5:
	v_mov_b32_e32 v65, 0
	ds_write_b32 v65, v65 offset:512
; %bb.6:
	s_or_b32 exec_lo, exec_lo, s5
	v_lshl_add_u32 v65, v0, 3, 0
	s_waitcnt lgkmcnt(0)
	s_waitcnt_vscnt null, 0x0
	s_barrier
	buffer_gl0_inv
	s_mov_b32 s8, exec_lo
	s_clause 0x1
	buffer_load_dword v68, v65, s[0:3], 0 offen
	buffer_load_dword v69, v65, s[0:3], 0 offen offset:4
	s_waitcnt vmcnt(0)
	v_cmpx_eq_f64_e32 0, v[68:69]
	s_cbranch_execz .LBB31_10
; %bb.7:
	v_mov_b32_e32 v66, 0
	s_mov_b32 s9, 0
	ds_read_b32 v68, v66 offset:512
	s_waitcnt lgkmcnt(0)
	v_readfirstlane_b32 s5, v68
	v_add_nc_u32_e32 v68, 1, v0
	s_cmp_eq_u32 s5, 0
	v_cmp_gt_i32_e32 vcc_lo, s5, v68
	s_cselect_b32 s12, -1, 0
	s_or_b32 s12, s12, vcc_lo
	s_and_b32 exec_lo, exec_lo, s12
	s_cbranch_execz .LBB31_10
; %bb.8:
	v_mov_b32_e32 v69, s5
.LBB31_9:                               ; =>This Inner Loop Header: Depth=1
	ds_cmpst_rtn_b32 v69, v66, v69, v68 offset:512
	s_waitcnt lgkmcnt(0)
	v_cmp_ne_u32_e32 vcc_lo, 0, v69
	v_cmp_le_i32_e64 s5, v69, v68
	s_and_b32 s5, vcc_lo, s5
	s_and_b32 s5, exec_lo, s5
	s_or_b32 s9, s5, s9
	s_andn2_b32 exec_lo, exec_lo, s9
	s_cbranch_execnz .LBB31_9
.LBB31_10:
	s_or_b32 exec_lo, exec_lo, s8
	v_mov_b32_e32 v66, 0
	s_barrier
	buffer_gl0_inv
	ds_read_b32 v68, v66 offset:512
	s_and_saveexec_b32 s5, s4
	s_cbranch_execz .LBB31_12
; %bb.11:
	s_lshl_b64 s[8:9], s[6:7], 2
	s_add_u32 s8, s10, s8
	s_addc_u32 s9, s11, s9
	s_waitcnt lgkmcnt(0)
	global_store_dword v66, v68, s[8:9]
.LBB31_12:
	s_or_b32 exec_lo, exec_lo, s5
	s_waitcnt lgkmcnt(0)
	v_cmp_ne_u32_e32 vcc_lo, 0, v68
	s_mov_b32 s5, 0
	s_cbranch_vccnz .LBB31_136
; %bb.13:
	s_clause 0x1
	buffer_load_dword v68, v65, s[0:3], 0 offen
	buffer_load_dword v69, v65, s[0:3], 0 offen offset:4
	s_waitcnt vmcnt(0)
	v_div_scale_f64 v[70:71], null, v[68:69], v[68:69], 1.0
	v_div_scale_f64 v[76:77], vcc_lo, 1.0, v[68:69], 1.0
	v_rcp_f64_e32 v[72:73], v[70:71]
	v_fma_f64 v[74:75], -v[70:71], v[72:73], 1.0
	v_fma_f64 v[72:73], v[72:73], v[74:75], v[72:73]
	v_fma_f64 v[74:75], -v[70:71], v[72:73], 1.0
	v_fma_f64 v[72:73], v[72:73], v[74:75], v[72:73]
	v_mul_f64 v[74:75], v[76:77], v[72:73]
	v_fma_f64 v[70:71], -v[70:71], v[74:75], v[76:77]
	v_div_fmas_f64 v[70:71], v[70:71], v[72:73], v[74:75]
	v_div_fixup_f64 v[69:70], v[70:71], v[68:69], 1.0
	v_add_nc_u32_e32 v68, 0x100, v67
	buffer_store_dword v70, v65, s[0:3], 0 offen offset:4
	buffer_store_dword v69, v65, s[0:3], 0 offen
	s_clause 0x1
	buffer_load_dword v72, off, s[0:3], 0 offset:12
	buffer_load_dword v71, off, s[0:3], 0 offset:8
	v_xor_b32_e32 v70, 0x80000000, v70
	s_waitcnt vmcnt(0)
	ds_write2_b64 v67, v[69:70], v[71:72] offset1:32
	s_waitcnt lgkmcnt(0)
	s_waitcnt_vscnt null, 0x0
	s_barrier
	buffer_gl0_inv
	s_and_saveexec_b32 s5, s4
	s_cbranch_execz .LBB31_15
; %bb.14:
	s_clause 0x1
	buffer_load_dword v69, v65, s[0:3], 0 offen
	buffer_load_dword v70, v65, s[0:3], 0 offen offset:4
	ds_read_b64 v[71:72], v68
	v_mov_b32_e32 v66, 0
	ds_read_b64 v[73:74], v66 offset:8
	s_waitcnt vmcnt(0) lgkmcnt(1)
	v_fma_f64 v[69:70], v[69:70], v[71:72], 0
	s_waitcnt lgkmcnt(0)
	v_mul_f64 v[69:70], v[69:70], v[73:74]
	buffer_store_dword v69, off, s[0:3], 0 offset:8
	buffer_store_dword v70, off, s[0:3], 0 offset:12
.LBB31_15:
	s_or_b32 exec_lo, exec_lo, s5
	s_waitcnt_vscnt null, 0x0
	s_barrier
	buffer_gl0_inv
	s_clause 0x1
	buffer_load_dword v69, off, s[0:3], 0 offset:16
	buffer_load_dword v70, off, s[0:3], 0 offset:20
	s_mov_b32 s5, exec_lo
	s_waitcnt vmcnt(0)
	ds_write_b64 v68, v[69:70]
	s_waitcnt lgkmcnt(0)
	s_barrier
	buffer_gl0_inv
	v_cmpx_gt_u32_e32 2, v0
	s_cbranch_execz .LBB31_19
; %bb.16:
	s_clause 0x1
	buffer_load_dword v69, v65, s[0:3], 0 offen
	buffer_load_dword v70, v65, s[0:3], 0 offen offset:4
	ds_read_b64 v[65:66], v68
	s_waitcnt vmcnt(0) lgkmcnt(0)
	v_fma_f64 v[65:66], v[69:70], v[65:66], 0
	s_and_saveexec_b32 s8, s4
	s_cbranch_execz .LBB31_18
; %bb.17:
	s_clause 0x1
	buffer_load_dword v69, off, s[0:3], 0 offset:8
	buffer_load_dword v70, off, s[0:3], 0 offset:12
	v_mov_b32_e32 v71, 0
	ds_read_b64 v[71:72], v71 offset:264
	s_waitcnt vmcnt(0) lgkmcnt(0)
	v_fma_f64 v[65:66], v[69:70], v[71:72], v[65:66]
.LBB31_18:
	s_or_b32 exec_lo, exec_lo, s8
	v_mov_b32_e32 v69, 0
	ds_read_b64 v[69:70], v69 offset:16
	s_waitcnt lgkmcnt(0)
	v_mul_f64 v[65:66], v[65:66], v[69:70]
	buffer_store_dword v66, off, s[0:3], 0 offset:20
	buffer_store_dword v65, off, s[0:3], 0 offset:16
.LBB31_19:
	s_or_b32 exec_lo, exec_lo, s5
	s_waitcnt_vscnt null, 0x0
	s_barrier
	buffer_gl0_inv
	s_clause 0x1
	buffer_load_dword v65, off, s[0:3], 0 offset:24
	buffer_load_dword v66, off, s[0:3], 0 offset:28
	v_add_nc_u32_e32 v69, -1, v0
	s_mov_b32 s4, exec_lo
	s_waitcnt vmcnt(0)
	ds_write_b64 v68, v[65:66]
	s_waitcnt lgkmcnt(0)
	s_barrier
	buffer_gl0_inv
	v_cmpx_gt_u32_e32 3, v0
	s_cbranch_execz .LBB31_23
; %bb.20:
	v_mov_b32_e32 v65, 0
	v_add_nc_u32_e32 v70, -1, v0
	v_add_nc_u32_e32 v71, 0x100, v67
	v_mov_b32_e32 v66, 0
	v_mov_b32_e32 v72, v67
	s_mov_b32 s5, 0
.LBB31_21:                              ; =>This Inner Loop Header: Depth=1
	s_clause 0x1
	buffer_load_dword v73, v72, s[0:3], 0 offen
	buffer_load_dword v74, v72, s[0:3], 0 offen offset:4
	ds_read_b64 v[75:76], v71
	v_add_nc_u32_e32 v70, 1, v70
	v_add_nc_u32_e32 v71, 8, v71
	v_add_nc_u32_e32 v72, 8, v72
	v_cmp_lt_u32_e32 vcc_lo, 1, v70
	s_or_b32 s5, vcc_lo, s5
	s_waitcnt vmcnt(0) lgkmcnt(0)
	v_fma_f64 v[65:66], v[73:74], v[75:76], v[65:66]
	s_andn2_b32 exec_lo, exec_lo, s5
	s_cbranch_execnz .LBB31_21
; %bb.22:
	s_or_b32 exec_lo, exec_lo, s5
	v_mov_b32_e32 v70, 0
	ds_read_b64 v[70:71], v70 offset:24
	s_waitcnt lgkmcnt(0)
	v_mul_f64 v[65:66], v[65:66], v[70:71]
	buffer_store_dword v66, off, s[0:3], 0 offset:28
	buffer_store_dword v65, off, s[0:3], 0 offset:24
.LBB31_23:
	s_or_b32 exec_lo, exec_lo, s4
	s_waitcnt_vscnt null, 0x0
	s_barrier
	buffer_gl0_inv
	s_clause 0x1
	buffer_load_dword v65, off, s[0:3], 0 offset:32
	buffer_load_dword v66, off, s[0:3], 0 offset:36
	s_mov_b32 s4, exec_lo
	s_waitcnt vmcnt(0)
	ds_write_b64 v68, v[65:66]
	s_waitcnt lgkmcnt(0)
	s_barrier
	buffer_gl0_inv
	v_cmpx_gt_u32_e32 4, v0
	s_cbranch_execz .LBB31_27
; %bb.24:
	v_mov_b32_e32 v65, 0
	v_add_nc_u32_e32 v70, -1, v0
	v_add_nc_u32_e32 v71, 0x100, v67
	v_mov_b32_e32 v66, 0
	v_mov_b32_e32 v72, v67
	s_mov_b32 s5, 0
.LBB31_25:                              ; =>This Inner Loop Header: Depth=1
	s_clause 0x1
	buffer_load_dword v73, v72, s[0:3], 0 offen
	buffer_load_dword v74, v72, s[0:3], 0 offen offset:4
	ds_read_b64 v[75:76], v71
	v_add_nc_u32_e32 v70, 1, v70
	v_add_nc_u32_e32 v71, 8, v71
	v_add_nc_u32_e32 v72, 8, v72
	v_cmp_lt_u32_e32 vcc_lo, 2, v70
	s_or_b32 s5, vcc_lo, s5
	s_waitcnt vmcnt(0) lgkmcnt(0)
	v_fma_f64 v[65:66], v[73:74], v[75:76], v[65:66]
	s_andn2_b32 exec_lo, exec_lo, s5
	s_cbranch_execnz .LBB31_25
; %bb.26:
	s_or_b32 exec_lo, exec_lo, s5
	v_mov_b32_e32 v70, 0
	ds_read_b64 v[70:71], v70 offset:32
	s_waitcnt lgkmcnt(0)
	v_mul_f64 v[65:66], v[65:66], v[70:71]
	buffer_store_dword v66, off, s[0:3], 0 offset:36
	buffer_store_dword v65, off, s[0:3], 0 offset:32
.LBB31_27:
	s_or_b32 exec_lo, exec_lo, s4
	s_waitcnt_vscnt null, 0x0
	s_barrier
	buffer_gl0_inv
	s_clause 0x1
	buffer_load_dword v65, off, s[0:3], 0 offset:40
	buffer_load_dword v66, off, s[0:3], 0 offset:44
	;; [unrolled: 45-line block ×20, first 2 shown]
	s_mov_b32 s4, exec_lo
	s_waitcnt vmcnt(0)
	ds_write_b64 v68, v[65:66]
	s_waitcnt lgkmcnt(0)
	s_barrier
	buffer_gl0_inv
	v_cmpx_gt_u32_e32 23, v0
	s_cbranch_execz .LBB31_103
; %bb.100:
	v_mov_b32_e32 v65, 0
	v_add_nc_u32_e32 v70, -1, v0
	v_add_nc_u32_e32 v71, 0x100, v67
	v_mov_b32_e32 v66, 0
	v_mov_b32_e32 v72, v67
	s_mov_b32 s5, 0
.LBB31_101:                             ; =>This Inner Loop Header: Depth=1
	s_clause 0x1
	buffer_load_dword v73, v72, s[0:3], 0 offen
	buffer_load_dword v74, v72, s[0:3], 0 offen offset:4
	ds_read_b64 v[75:76], v71
	v_add_nc_u32_e32 v70, 1, v70
	v_add_nc_u32_e32 v71, 8, v71
	v_add_nc_u32_e32 v72, 8, v72
	v_cmp_lt_u32_e32 vcc_lo, 21, v70
	s_or_b32 s5, vcc_lo, s5
	s_waitcnt vmcnt(0) lgkmcnt(0)
	v_fma_f64 v[65:66], v[73:74], v[75:76], v[65:66]
	s_andn2_b32 exec_lo, exec_lo, s5
	s_cbranch_execnz .LBB31_101
; %bb.102:
	s_or_b32 exec_lo, exec_lo, s5
	v_mov_b32_e32 v70, 0
	ds_read_b64 v[70:71], v70 offset:184
	s_waitcnt lgkmcnt(0)
	v_mul_f64 v[65:66], v[65:66], v[70:71]
	buffer_store_dword v66, off, s[0:3], 0 offset:188
	buffer_store_dword v65, off, s[0:3], 0 offset:184
.LBB31_103:
	s_or_b32 exec_lo, exec_lo, s4
	s_waitcnt_vscnt null, 0x0
	s_barrier
	buffer_gl0_inv
	s_clause 0x1
	buffer_load_dword v65, off, s[0:3], 0 offset:192
	buffer_load_dword v66, off, s[0:3], 0 offset:196
	s_mov_b32 s4, exec_lo
	s_waitcnt vmcnt(0)
	ds_write_b64 v68, v[65:66]
	s_waitcnt lgkmcnt(0)
	s_barrier
	buffer_gl0_inv
	v_cmpx_gt_u32_e32 24, v0
	s_cbranch_execz .LBB31_107
; %bb.104:
	v_mov_b32_e32 v65, 0
	v_add_nc_u32_e32 v70, -1, v0
	v_add_nc_u32_e32 v71, 0x100, v67
	v_mov_b32_e32 v66, 0
	v_mov_b32_e32 v72, v67
	s_mov_b32 s5, 0
.LBB31_105:                             ; =>This Inner Loop Header: Depth=1
	s_clause 0x1
	buffer_load_dword v73, v72, s[0:3], 0 offen
	buffer_load_dword v74, v72, s[0:3], 0 offen offset:4
	ds_read_b64 v[75:76], v71
	v_add_nc_u32_e32 v70, 1, v70
	v_add_nc_u32_e32 v71, 8, v71
	v_add_nc_u32_e32 v72, 8, v72
	v_cmp_lt_u32_e32 vcc_lo, 22, v70
	s_or_b32 s5, vcc_lo, s5
	s_waitcnt vmcnt(0) lgkmcnt(0)
	v_fma_f64 v[65:66], v[73:74], v[75:76], v[65:66]
	s_andn2_b32 exec_lo, exec_lo, s5
	s_cbranch_execnz .LBB31_105
; %bb.106:
	s_or_b32 exec_lo, exec_lo, s5
	v_mov_b32_e32 v70, 0
	ds_read_b64 v[70:71], v70 offset:192
	s_waitcnt lgkmcnt(0)
	v_mul_f64 v[65:66], v[65:66], v[70:71]
	buffer_store_dword v66, off, s[0:3], 0 offset:196
	buffer_store_dword v65, off, s[0:3], 0 offset:192
.LBB31_107:
	s_or_b32 exec_lo, exec_lo, s4
	s_waitcnt_vscnt null, 0x0
	s_barrier
	buffer_gl0_inv
	s_clause 0x1
	buffer_load_dword v65, off, s[0:3], 0 offset:200
	buffer_load_dword v66, off, s[0:3], 0 offset:204
	;; [unrolled: 45-line block ×8, first 2 shown]
	s_mov_b32 s4, exec_lo
	s_waitcnt vmcnt(0)
	ds_write_b64 v68, v[65:66]
	s_waitcnt lgkmcnt(0)
	s_barrier
	buffer_gl0_inv
	v_cmpx_ne_u32_e32 31, v0
	s_cbranch_execz .LBB31_135
; %bb.132:
	v_mov_b32_e32 v65, 0
	v_mov_b32_e32 v66, 0
	s_mov_b32 s5, 0
.LBB31_133:                             ; =>This Inner Loop Header: Depth=1
	s_clause 0x1
	buffer_load_dword v70, v67, s[0:3], 0 offen
	buffer_load_dword v71, v67, s[0:3], 0 offen offset:4
	ds_read_b64 v[72:73], v68
	v_add_nc_u32_e32 v69, 1, v69
	v_add_nc_u32_e32 v68, 8, v68
	v_add_nc_u32_e32 v67, 8, v67
	v_cmp_lt_u32_e32 vcc_lo, 29, v69
	s_or_b32 s5, vcc_lo, s5
	s_waitcnt vmcnt(0) lgkmcnt(0)
	v_fma_f64 v[65:66], v[70:71], v[72:73], v[65:66]
	s_andn2_b32 exec_lo, exec_lo, s5
	s_cbranch_execnz .LBB31_133
; %bb.134:
	s_or_b32 exec_lo, exec_lo, s5
	v_mov_b32_e32 v67, 0
	ds_read_b64 v[67:68], v67 offset:248
	s_waitcnt lgkmcnt(0)
	v_mul_f64 v[65:66], v[65:66], v[67:68]
	buffer_store_dword v66, off, s[0:3], 0 offset:252
	buffer_store_dword v65, off, s[0:3], 0 offset:248
.LBB31_135:
	s_or_b32 exec_lo, exec_lo, s4
	s_mov_b32 s5, -1
	s_waitcnt_vscnt null, 0x0
	s_barrier
	buffer_gl0_inv
.LBB31_136:
	s_and_b32 vcc_lo, exec_lo, s5
	s_cbranch_vccz .LBB31_138
; %bb.137:
	s_lshl_b64 s[4:5], s[6:7], 2
	v_mov_b32_e32 v65, 0
	s_add_u32 s4, s10, s4
	s_addc_u32 s5, s11, s5
	global_load_dword v65, v65, s[4:5]
	s_waitcnt vmcnt(0)
	v_cmp_ne_u32_e32 vcc_lo, 0, v65
	s_cbranch_vccz .LBB31_139
.LBB31_138:
	s_endpgm
.LBB31_139:
	v_lshl_add_u32 v65, v0, 3, 0x100
	s_mov_b32 s4, exec_lo
	v_cmpx_eq_u32_e32 31, v0
	s_cbranch_execz .LBB31_141
; %bb.140:
	s_clause 0x1
	buffer_load_dword v66, off, s[0:3], 0 offset:240
	buffer_load_dword v67, off, s[0:3], 0 offset:244
	v_mov_b32_e32 v68, 0
	buffer_store_dword v68, off, s[0:3], 0 offset:240
	buffer_store_dword v68, off, s[0:3], 0 offset:244
	s_waitcnt vmcnt(0)
	ds_write_b64 v65, v[66:67]
.LBB31_141:
	s_or_b32 exec_lo, exec_lo, s4
	s_waitcnt lgkmcnt(0)
	s_waitcnt_vscnt null, 0x0
	s_barrier
	buffer_gl0_inv
	s_clause 0x3
	buffer_load_dword v67, off, s[0:3], 0 offset:248
	buffer_load_dword v68, off, s[0:3], 0 offset:252
	;; [unrolled: 1-line block ×4, first 2 shown]
	v_mov_b32_e32 v66, 0
	s_mov_b32 s4, exec_lo
	ds_read_b64 v[71:72], v66 offset:504
	s_waitcnt vmcnt(2) lgkmcnt(0)
	v_fma_f64 v[67:68], v[67:68], v[71:72], 0
	s_waitcnt vmcnt(0)
	v_add_f64 v[67:68], v[69:70], -v[67:68]
	buffer_store_dword v67, off, s[0:3], 0 offset:240
	buffer_store_dword v68, off, s[0:3], 0 offset:244
	v_cmpx_lt_u32_e32 29, v0
	s_cbranch_execz .LBB31_143
; %bb.142:
	s_clause 0x1
	buffer_load_dword v67, off, s[0:3], 0 offset:232
	buffer_load_dword v68, off, s[0:3], 0 offset:236
	buffer_store_dword v66, off, s[0:3], 0 offset:232
	buffer_store_dword v66, off, s[0:3], 0 offset:236
	s_waitcnt vmcnt(0)
	ds_write_b64 v65, v[67:68]
.LBB31_143:
	s_or_b32 exec_lo, exec_lo, s4
	s_waitcnt lgkmcnt(0)
	s_waitcnt_vscnt null, 0x0
	s_barrier
	buffer_gl0_inv
	s_clause 0x5
	buffer_load_dword v70, off, s[0:3], 0 offset:240
	buffer_load_dword v71, off, s[0:3], 0 offset:244
	;; [unrolled: 1-line block ×6, first 2 shown]
	ds_read_b128 v[66:69], v66 offset:496
	s_mov_b32 s4, exec_lo
	s_waitcnt vmcnt(4) lgkmcnt(0)
	v_fma_f64 v[66:67], v[70:71], v[66:67], 0
	s_waitcnt vmcnt(2)
	v_fma_f64 v[66:67], v[72:73], v[68:69], v[66:67]
	s_waitcnt vmcnt(0)
	v_add_f64 v[66:67], v[74:75], -v[66:67]
	buffer_store_dword v66, off, s[0:3], 0 offset:232
	buffer_store_dword v67, off, s[0:3], 0 offset:236
	v_cmpx_lt_u32_e32 28, v0
	s_cbranch_execz .LBB31_145
; %bb.144:
	s_clause 0x1
	buffer_load_dword v66, off, s[0:3], 0 offset:224
	buffer_load_dword v67, off, s[0:3], 0 offset:228
	v_mov_b32_e32 v68, 0
	buffer_store_dword v68, off, s[0:3], 0 offset:224
	buffer_store_dword v68, off, s[0:3], 0 offset:228
	s_waitcnt vmcnt(0)
	ds_write_b64 v65, v[66:67]
.LBB31_145:
	s_or_b32 exec_lo, exec_lo, s4
	s_waitcnt lgkmcnt(0)
	s_waitcnt_vscnt null, 0x0
	s_barrier
	buffer_gl0_inv
	s_clause 0x7
	buffer_load_dword v71, off, s[0:3], 0 offset:232
	buffer_load_dword v72, off, s[0:3], 0 offset:236
	;; [unrolled: 1-line block ×8, first 2 shown]
	v_mov_b32_e32 v66, 0
	ds_read2_b64 v[67:70], v66 offset0:61 offset1:62
	ds_read_b64 v[79:80], v66 offset:504
	s_mov_b32 s4, exec_lo
	s_waitcnt vmcnt(6) lgkmcnt(1)
	v_fma_f64 v[67:68], v[71:72], v[67:68], 0
	s_waitcnt vmcnt(4)
	v_fma_f64 v[67:68], v[73:74], v[69:70], v[67:68]
	s_waitcnt vmcnt(2) lgkmcnt(0)
	v_fma_f64 v[67:68], v[75:76], v[79:80], v[67:68]
	s_waitcnt vmcnt(0)
	v_add_f64 v[67:68], v[77:78], -v[67:68]
	buffer_store_dword v67, off, s[0:3], 0 offset:224
	buffer_store_dword v68, off, s[0:3], 0 offset:228
	v_cmpx_lt_u32_e32 27, v0
	s_cbranch_execz .LBB31_147
; %bb.146:
	s_clause 0x1
	buffer_load_dword v67, off, s[0:3], 0 offset:216
	buffer_load_dword v68, off, s[0:3], 0 offset:220
	buffer_store_dword v66, off, s[0:3], 0 offset:216
	buffer_store_dword v66, off, s[0:3], 0 offset:220
	s_waitcnt vmcnt(0)
	ds_write_b64 v65, v[67:68]
.LBB31_147:
	s_or_b32 exec_lo, exec_lo, s4
	s_waitcnt lgkmcnt(0)
	s_waitcnt_vscnt null, 0x0
	s_barrier
	buffer_gl0_inv
	s_clause 0x9
	buffer_load_dword v75, off, s[0:3], 0 offset:224
	buffer_load_dword v76, off, s[0:3], 0 offset:228
	;; [unrolled: 1-line block ×10, first 2 shown]
	ds_read_b128 v[67:70], v66 offset:480
	ds_read_b128 v[71:74], v66 offset:496
	s_mov_b32 s4, exec_lo
	s_waitcnt vmcnt(8) lgkmcnt(1)
	v_fma_f64 v[66:67], v[75:76], v[67:68], 0
	s_waitcnt vmcnt(6)
	v_fma_f64 v[66:67], v[77:78], v[69:70], v[66:67]
	s_waitcnt vmcnt(4) lgkmcnt(0)
	v_fma_f64 v[66:67], v[79:80], v[71:72], v[66:67]
	s_waitcnt vmcnt(2)
	v_fma_f64 v[66:67], v[81:82], v[73:74], v[66:67]
	s_waitcnt vmcnt(0)
	v_add_f64 v[66:67], v[83:84], -v[66:67]
	buffer_store_dword v66, off, s[0:3], 0 offset:216
	buffer_store_dword v67, off, s[0:3], 0 offset:220
	v_cmpx_lt_u32_e32 26, v0
	s_cbranch_execz .LBB31_149
; %bb.148:
	s_clause 0x1
	buffer_load_dword v66, off, s[0:3], 0 offset:208
	buffer_load_dword v67, off, s[0:3], 0 offset:212
	v_mov_b32_e32 v68, 0
	buffer_store_dword v68, off, s[0:3], 0 offset:208
	buffer_store_dword v68, off, s[0:3], 0 offset:212
	s_waitcnt vmcnt(0)
	ds_write_b64 v65, v[66:67]
.LBB31_149:
	s_or_b32 exec_lo, exec_lo, s4
	s_waitcnt lgkmcnt(0)
	s_waitcnt_vscnt null, 0x0
	s_barrier
	buffer_gl0_inv
	s_clause 0xb
	buffer_load_dword v75, off, s[0:3], 0 offset:216
	buffer_load_dword v76, off, s[0:3], 0 offset:220
	;; [unrolled: 1-line block ×12, first 2 shown]
	v_mov_b32_e32 v66, 0
	ds_read2_b64 v[67:70], v66 offset0:59 offset1:60
	ds_read2_b64 v[71:74], v66 offset0:61 offset1:62
	s_mov_b32 s4, exec_lo
	s_waitcnt vmcnt(10) lgkmcnt(1)
	v_fma_f64 v[67:68], v[75:76], v[67:68], 0
	s_waitcnt vmcnt(8)
	v_fma_f64 v[67:68], v[77:78], v[69:70], v[67:68]
	ds_read_b64 v[69:70], v66 offset:504
	s_waitcnt vmcnt(6) lgkmcnt(1)
	v_fma_f64 v[67:68], v[79:80], v[71:72], v[67:68]
	s_waitcnt vmcnt(4)
	v_fma_f64 v[67:68], v[81:82], v[73:74], v[67:68]
	s_waitcnt vmcnt(2) lgkmcnt(0)
	v_fma_f64 v[67:68], v[83:84], v[69:70], v[67:68]
	s_waitcnt vmcnt(0)
	v_add_f64 v[67:68], v[85:86], -v[67:68]
	buffer_store_dword v67, off, s[0:3], 0 offset:208
	buffer_store_dword v68, off, s[0:3], 0 offset:212
	v_cmpx_lt_u32_e32 25, v0
	s_cbranch_execz .LBB31_151
; %bb.150:
	s_clause 0x1
	buffer_load_dword v67, off, s[0:3], 0 offset:200
	buffer_load_dword v68, off, s[0:3], 0 offset:204
	buffer_store_dword v66, off, s[0:3], 0 offset:200
	buffer_store_dword v66, off, s[0:3], 0 offset:204
	s_waitcnt vmcnt(0)
	ds_write_b64 v65, v[67:68]
.LBB31_151:
	s_or_b32 exec_lo, exec_lo, s4
	s_waitcnt lgkmcnt(0)
	s_waitcnt_vscnt null, 0x0
	s_barrier
	buffer_gl0_inv
	s_clause 0xd
	buffer_load_dword v75, off, s[0:3], 0 offset:208
	buffer_load_dword v76, off, s[0:3], 0 offset:212
	buffer_load_dword v77, off, s[0:3], 0 offset:216
	buffer_load_dword v78, off, s[0:3], 0 offset:220
	buffer_load_dword v79, off, s[0:3], 0 offset:224
	buffer_load_dword v80, off, s[0:3], 0 offset:228
	buffer_load_dword v81, off, s[0:3], 0 offset:232
	buffer_load_dword v82, off, s[0:3], 0 offset:236
	buffer_load_dword v83, off, s[0:3], 0 offset:240
	buffer_load_dword v84, off, s[0:3], 0 offset:244
	buffer_load_dword v85, off, s[0:3], 0 offset:248
	buffer_load_dword v86, off, s[0:3], 0 offset:252
	buffer_load_dword v87, off, s[0:3], 0 offset:200
	buffer_load_dword v88, off, s[0:3], 0 offset:204
	ds_read_b128 v[67:70], v66 offset:464
	ds_read_b128 v[71:74], v66 offset:480
	s_mov_b32 s4, exec_lo
	s_waitcnt vmcnt(12) lgkmcnt(1)
	v_fma_f64 v[67:68], v[75:76], v[67:68], 0
	s_waitcnt vmcnt(10)
	v_fma_f64 v[67:68], v[77:78], v[69:70], v[67:68]
	s_waitcnt vmcnt(8) lgkmcnt(0)
	v_fma_f64 v[67:68], v[79:80], v[71:72], v[67:68]
	s_waitcnt vmcnt(6)
	v_fma_f64 v[70:71], v[81:82], v[73:74], v[67:68]
	ds_read_b128 v[66:69], v66 offset:496
	s_waitcnt vmcnt(4) lgkmcnt(0)
	v_fma_f64 v[66:67], v[83:84], v[66:67], v[70:71]
	s_waitcnt vmcnt(2)
	v_fma_f64 v[66:67], v[85:86], v[68:69], v[66:67]
	s_waitcnt vmcnt(0)
	v_add_f64 v[66:67], v[87:88], -v[66:67]
	buffer_store_dword v66, off, s[0:3], 0 offset:200
	buffer_store_dword v67, off, s[0:3], 0 offset:204
	v_cmpx_lt_u32_e32 24, v0
	s_cbranch_execz .LBB31_153
; %bb.152:
	s_clause 0x1
	buffer_load_dword v66, off, s[0:3], 0 offset:192
	buffer_load_dword v67, off, s[0:3], 0 offset:196
	v_mov_b32_e32 v68, 0
	buffer_store_dword v68, off, s[0:3], 0 offset:192
	buffer_store_dword v68, off, s[0:3], 0 offset:196
	s_waitcnt vmcnt(0)
	ds_write_b64 v65, v[66:67]
.LBB31_153:
	s_or_b32 exec_lo, exec_lo, s4
	s_waitcnt lgkmcnt(0)
	s_waitcnt_vscnt null, 0x0
	s_barrier
	buffer_gl0_inv
	s_clause 0xf
	buffer_load_dword v75, off, s[0:3], 0 offset:200
	buffer_load_dword v76, off, s[0:3], 0 offset:204
	;; [unrolled: 1-line block ×16, first 2 shown]
	v_mov_b32_e32 v66, 0
	ds_read2_b64 v[67:70], v66 offset0:57 offset1:58
	ds_read2_b64 v[71:74], v66 offset0:59 offset1:60
	s_mov_b32 s4, exec_lo
	s_waitcnt vmcnt(14) lgkmcnt(1)
	v_fma_f64 v[67:68], v[75:76], v[67:68], 0
	s_waitcnt vmcnt(12)
	v_fma_f64 v[67:68], v[77:78], v[69:70], v[67:68]
	s_waitcnt vmcnt(10) lgkmcnt(0)
	v_fma_f64 v[67:68], v[79:80], v[71:72], v[67:68]
	s_waitcnt vmcnt(8)
	v_fma_f64 v[71:72], v[81:82], v[73:74], v[67:68]
	ds_read2_b64 v[67:70], v66 offset0:61 offset1:62
	ds_read_b64 v[73:74], v66 offset:504
	s_waitcnt vmcnt(6) lgkmcnt(1)
	v_fma_f64 v[67:68], v[83:84], v[67:68], v[71:72]
	s_waitcnt vmcnt(4)
	v_fma_f64 v[67:68], v[85:86], v[69:70], v[67:68]
	s_waitcnt vmcnt(2) lgkmcnt(0)
	v_fma_f64 v[67:68], v[87:88], v[73:74], v[67:68]
	s_waitcnt vmcnt(0)
	v_add_f64 v[67:68], v[89:90], -v[67:68]
	buffer_store_dword v67, off, s[0:3], 0 offset:192
	buffer_store_dword v68, off, s[0:3], 0 offset:196
	v_cmpx_lt_u32_e32 23, v0
	s_cbranch_execz .LBB31_155
; %bb.154:
	s_clause 0x1
	buffer_load_dword v67, off, s[0:3], 0 offset:184
	buffer_load_dword v68, off, s[0:3], 0 offset:188
	buffer_store_dword v66, off, s[0:3], 0 offset:184
	buffer_store_dword v66, off, s[0:3], 0 offset:188
	s_waitcnt vmcnt(0)
	ds_write_b64 v65, v[67:68]
.LBB31_155:
	s_or_b32 exec_lo, exec_lo, s4
	s_waitcnt lgkmcnt(0)
	s_waitcnt_vscnt null, 0x0
	s_barrier
	buffer_gl0_inv
	s_clause 0x11
	buffer_load_dword v75, off, s[0:3], 0 offset:192
	buffer_load_dword v76, off, s[0:3], 0 offset:196
	;; [unrolled: 1-line block ×18, first 2 shown]
	ds_read_b128 v[67:70], v66 offset:448
	ds_read_b128 v[71:74], v66 offset:464
	s_mov_b32 s4, exec_lo
	s_waitcnt vmcnt(16) lgkmcnt(1)
	v_fma_f64 v[67:68], v[75:76], v[67:68], 0
	s_waitcnt vmcnt(14)
	v_fma_f64 v[67:68], v[77:78], v[69:70], v[67:68]
	s_waitcnt vmcnt(12) lgkmcnt(0)
	v_fma_f64 v[67:68], v[79:80], v[71:72], v[67:68]
	s_waitcnt vmcnt(10)
	v_fma_f64 v[75:76], v[81:82], v[73:74], v[67:68]
	ds_read_b128 v[67:70], v66 offset:480
	ds_read_b128 v[71:74], v66 offset:496
	s_waitcnt vmcnt(8) lgkmcnt(1)
	v_fma_f64 v[66:67], v[83:84], v[67:68], v[75:76]
	s_waitcnt vmcnt(6)
	v_fma_f64 v[66:67], v[85:86], v[69:70], v[66:67]
	s_waitcnt vmcnt(4) lgkmcnt(0)
	v_fma_f64 v[66:67], v[87:88], v[71:72], v[66:67]
	s_waitcnt vmcnt(2)
	v_fma_f64 v[66:67], v[89:90], v[73:74], v[66:67]
	s_waitcnt vmcnt(0)
	v_add_f64 v[66:67], v[91:92], -v[66:67]
	buffer_store_dword v66, off, s[0:3], 0 offset:184
	buffer_store_dword v67, off, s[0:3], 0 offset:188
	v_cmpx_lt_u32_e32 22, v0
	s_cbranch_execz .LBB31_157
; %bb.156:
	s_clause 0x1
	buffer_load_dword v66, off, s[0:3], 0 offset:176
	buffer_load_dword v67, off, s[0:3], 0 offset:180
	v_mov_b32_e32 v68, 0
	buffer_store_dword v68, off, s[0:3], 0 offset:176
	buffer_store_dword v68, off, s[0:3], 0 offset:180
	s_waitcnt vmcnt(0)
	ds_write_b64 v65, v[66:67]
.LBB31_157:
	s_or_b32 exec_lo, exec_lo, s4
	s_waitcnt lgkmcnt(0)
	s_waitcnt_vscnt null, 0x0
	s_barrier
	buffer_gl0_inv
	s_clause 0x13
	buffer_load_dword v71, off, s[0:3], 0 offset:184
	buffer_load_dword v72, off, s[0:3], 0 offset:188
	;; [unrolled: 1-line block ×20, first 2 shown]
	v_mov_b32_e32 v66, 0
	s_mov_b32 s4, exec_lo
	ds_read2_b64 v[67:70], v66 offset0:55 offset1:56
	s_waitcnt vmcnt(18) lgkmcnt(0)
	v_fma_f64 v[67:68], v[71:72], v[67:68], 0
	s_waitcnt vmcnt(16)
	v_fma_f64 v[71:72], v[73:74], v[69:70], v[67:68]
	ds_read2_b64 v[67:70], v66 offset0:57 offset1:58
	s_waitcnt vmcnt(14) lgkmcnt(0)
	v_fma_f64 v[67:68], v[75:76], v[67:68], v[71:72]
	s_waitcnt vmcnt(12)
	v_fma_f64 v[71:72], v[77:78], v[69:70], v[67:68]
	;; [unrolled: 5-line block ×4, first 2 shown]
	ds_read_b64 v[69:70], v66 offset:504
	s_waitcnt vmcnt(2) lgkmcnt(0)
	v_fma_f64 v[67:68], v[87:88], v[69:70], v[67:68]
	s_waitcnt vmcnt(0)
	v_add_f64 v[67:68], v[89:90], -v[67:68]
	buffer_store_dword v67, off, s[0:3], 0 offset:176
	buffer_store_dword v68, off, s[0:3], 0 offset:180
	v_cmpx_lt_u32_e32 21, v0
	s_cbranch_execz .LBB31_159
; %bb.158:
	s_clause 0x1
	buffer_load_dword v67, off, s[0:3], 0 offset:168
	buffer_load_dword v68, off, s[0:3], 0 offset:172
	buffer_store_dword v66, off, s[0:3], 0 offset:168
	buffer_store_dword v66, off, s[0:3], 0 offset:172
	s_waitcnt vmcnt(0)
	ds_write_b64 v65, v[67:68]
.LBB31_159:
	s_or_b32 exec_lo, exec_lo, s4
	s_waitcnt lgkmcnt(0)
	s_waitcnt_vscnt null, 0x0
	s_barrier
	buffer_gl0_inv
	s_clause 0x15
	buffer_load_dword v71, off, s[0:3], 0 offset:176
	buffer_load_dword v72, off, s[0:3], 0 offset:180
	;; [unrolled: 1-line block ×22, first 2 shown]
	ds_read_b128 v[67:70], v66 offset:432
	s_mov_b32 s4, exec_lo
	s_waitcnt vmcnt(20) lgkmcnt(0)
	v_fma_f64 v[67:68], v[71:72], v[67:68], 0
	s_waitcnt vmcnt(18)
	v_fma_f64 v[71:72], v[73:74], v[69:70], v[67:68]
	ds_read_b128 v[67:70], v66 offset:448
	s_waitcnt vmcnt(16) lgkmcnt(0)
	v_fma_f64 v[67:68], v[75:76], v[67:68], v[71:72]
	s_waitcnt vmcnt(14)
	v_fma_f64 v[71:72], v[77:78], v[69:70], v[67:68]
	ds_read_b128 v[67:70], v66 offset:464
	;; [unrolled: 5-line block ×4, first 2 shown]
	s_waitcnt vmcnt(4) lgkmcnt(0)
	v_fma_f64 v[66:67], v[87:88], v[66:67], v[70:71]
	s_waitcnt vmcnt(2)
	v_fma_f64 v[66:67], v[89:90], v[68:69], v[66:67]
	s_waitcnt vmcnt(0)
	v_add_f64 v[66:67], v[91:92], -v[66:67]
	buffer_store_dword v66, off, s[0:3], 0 offset:168
	buffer_store_dword v67, off, s[0:3], 0 offset:172
	v_cmpx_lt_u32_e32 20, v0
	s_cbranch_execz .LBB31_161
; %bb.160:
	s_clause 0x1
	buffer_load_dword v66, off, s[0:3], 0 offset:160
	buffer_load_dword v67, off, s[0:3], 0 offset:164
	v_mov_b32_e32 v68, 0
	buffer_store_dword v68, off, s[0:3], 0 offset:160
	buffer_store_dword v68, off, s[0:3], 0 offset:164
	s_waitcnt vmcnt(0)
	ds_write_b64 v65, v[66:67]
.LBB31_161:
	s_or_b32 exec_lo, exec_lo, s4
	s_waitcnt lgkmcnt(0)
	s_waitcnt_vscnt null, 0x0
	s_barrier
	buffer_gl0_inv
	s_clause 0x17
	buffer_load_dword v71, off, s[0:3], 0 offset:168
	buffer_load_dword v72, off, s[0:3], 0 offset:172
	;; [unrolled: 1-line block ×24, first 2 shown]
	v_mov_b32_e32 v66, 0
	s_mov_b32 s4, exec_lo
	ds_read2_b64 v[67:70], v66 offset0:53 offset1:54
	s_waitcnt vmcnt(22) lgkmcnt(0)
	v_fma_f64 v[67:68], v[71:72], v[67:68], 0
	s_waitcnt vmcnt(20)
	v_fma_f64 v[71:72], v[73:74], v[69:70], v[67:68]
	ds_read2_b64 v[67:70], v66 offset0:55 offset1:56
	s_waitcnt vmcnt(18) lgkmcnt(0)
	v_fma_f64 v[67:68], v[75:76], v[67:68], v[71:72]
	s_waitcnt vmcnt(16)
	v_fma_f64 v[71:72], v[77:78], v[69:70], v[67:68]
	;; [unrolled: 5-line block ×5, first 2 shown]
	ds_read_b64 v[69:70], v66 offset:504
	s_waitcnt vmcnt(2) lgkmcnt(0)
	v_fma_f64 v[67:68], v[91:92], v[69:70], v[67:68]
	s_waitcnt vmcnt(0)
	v_add_f64 v[67:68], v[93:94], -v[67:68]
	buffer_store_dword v68, off, s[0:3], 0 offset:164
	buffer_store_dword v67, off, s[0:3], 0 offset:160
	v_cmpx_lt_u32_e32 19, v0
	s_cbranch_execz .LBB31_163
; %bb.162:
	s_clause 0x1
	buffer_load_dword v67, off, s[0:3], 0 offset:152
	buffer_load_dword v68, off, s[0:3], 0 offset:156
	buffer_store_dword v66, off, s[0:3], 0 offset:152
	buffer_store_dword v66, off, s[0:3], 0 offset:156
	s_waitcnt vmcnt(0)
	ds_write_b64 v65, v[67:68]
.LBB31_163:
	s_or_b32 exec_lo, exec_lo, s4
	s_waitcnt lgkmcnt(0)
	s_waitcnt_vscnt null, 0x0
	s_barrier
	buffer_gl0_inv
	s_clause 0x19
	buffer_load_dword v75, off, s[0:3], 0 offset:160
	buffer_load_dword v76, off, s[0:3], 0 offset:164
	;; [unrolled: 1-line block ×26, first 2 shown]
	ds_read_b128 v[67:70], v66 offset:416
	ds_read_b128 v[71:74], v66 offset:432
	s_mov_b32 s4, exec_lo
	s_waitcnt vmcnt(24) lgkmcnt(1)
	v_fma_f64 v[67:68], v[75:76], v[67:68], 0
	s_waitcnt vmcnt(22)
	v_fma_f64 v[67:68], v[77:78], v[69:70], v[67:68]
	s_waitcnt vmcnt(20) lgkmcnt(0)
	v_fma_f64 v[67:68], v[79:80], v[71:72], v[67:68]
	s_waitcnt vmcnt(18)
	v_fma_f64 v[75:76], v[81:82], v[73:74], v[67:68]
	ds_read_b128 v[67:70], v66 offset:448
	ds_read_b128 v[71:74], v66 offset:464
	s_waitcnt vmcnt(16) lgkmcnt(1)
	v_fma_f64 v[67:68], v[83:84], v[67:68], v[75:76]
	s_waitcnt vmcnt(14)
	v_fma_f64 v[67:68], v[85:86], v[69:70], v[67:68]
	s_waitcnt vmcnt(12) lgkmcnt(0)
	v_fma_f64 v[67:68], v[87:88], v[71:72], v[67:68]
	s_waitcnt vmcnt(7)
	v_fma_f64 v[75:76], v[89:90], v[73:74], v[67:68]
	ds_read_b128 v[67:70], v66 offset:480
	ds_read_b128 v[71:74], v66 offset:496
	s_waitcnt vmcnt(6) lgkmcnt(1)
	v_fma_f64 v[66:67], v[95:96], v[67:68], v[75:76]
	s_waitcnt vmcnt(5)
	v_fma_f64 v[66:67], v[93:94], v[69:70], v[66:67]
	s_waitcnt vmcnt(4) lgkmcnt(0)
	v_fma_f64 v[66:67], v[91:92], v[71:72], v[66:67]
	s_waitcnt vmcnt(2)
	v_fma_f64 v[66:67], v[97:98], v[73:74], v[66:67]
	s_waitcnt vmcnt(0)
	v_add_f64 v[66:67], v[99:100], -v[66:67]
	buffer_store_dword v67, off, s[0:3], 0 offset:156
	buffer_store_dword v66, off, s[0:3], 0 offset:152
	v_cmpx_lt_u32_e32 18, v0
	s_cbranch_execz .LBB31_165
; %bb.164:
	s_clause 0x1
	buffer_load_dword v66, off, s[0:3], 0 offset:144
	buffer_load_dword v67, off, s[0:3], 0 offset:148
	v_mov_b32_e32 v68, 0
	buffer_store_dword v68, off, s[0:3], 0 offset:144
	buffer_store_dword v68, off, s[0:3], 0 offset:148
	s_waitcnt vmcnt(0)
	ds_write_b64 v65, v[66:67]
.LBB31_165:
	s_or_b32 exec_lo, exec_lo, s4
	s_waitcnt lgkmcnt(0)
	s_waitcnt_vscnt null, 0x0
	s_barrier
	buffer_gl0_inv
	s_clause 0x1b
	buffer_load_dword v75, off, s[0:3], 0 offset:152
	buffer_load_dword v76, off, s[0:3], 0 offset:156
	;; [unrolled: 1-line block ×28, first 2 shown]
	v_mov_b32_e32 v66, 0
	ds_read2_b64 v[67:70], v66 offset0:51 offset1:52
	ds_read2_b64 v[71:74], v66 offset0:53 offset1:54
	s_mov_b32 s4, exec_lo
	s_waitcnt vmcnt(26) lgkmcnt(1)
	v_fma_f64 v[67:68], v[75:76], v[67:68], 0
	s_waitcnt vmcnt(24)
	v_fma_f64 v[67:68], v[77:78], v[69:70], v[67:68]
	s_waitcnt vmcnt(22) lgkmcnt(0)
	v_fma_f64 v[67:68], v[79:80], v[71:72], v[67:68]
	s_waitcnt vmcnt(20)
	v_fma_f64 v[75:76], v[81:82], v[73:74], v[67:68]
	ds_read2_b64 v[67:70], v66 offset0:55 offset1:56
	ds_read2_b64 v[71:74], v66 offset0:57 offset1:58
	s_waitcnt vmcnt(18) lgkmcnt(1)
	v_fma_f64 v[67:68], v[83:84], v[67:68], v[75:76]
	s_waitcnt vmcnt(16)
	v_fma_f64 v[67:68], v[85:86], v[69:70], v[67:68]
	s_waitcnt vmcnt(14) lgkmcnt(0)
	v_fma_f64 v[67:68], v[87:88], v[71:72], v[67:68]
	s_waitcnt vmcnt(9)
	v_fma_f64 v[75:76], v[89:90], v[73:74], v[67:68]
	ds_read2_b64 v[67:70], v66 offset0:59 offset1:60
	ds_read2_b64 v[71:74], v66 offset0:61 offset1:62
	s_waitcnt vmcnt(8) lgkmcnt(1)
	v_fma_f64 v[67:68], v[95:96], v[67:68], v[75:76]
	s_waitcnt vmcnt(7)
	v_fma_f64 v[67:68], v[93:94], v[69:70], v[67:68]
	ds_read_b64 v[69:70], v66 offset:504
	s_waitcnt vmcnt(6) lgkmcnt(1)
	v_fma_f64 v[67:68], v[91:92], v[71:72], v[67:68]
	s_waitcnt vmcnt(3)
	v_fma_f64 v[67:68], v[97:98], v[73:74], v[67:68]
	s_waitcnt vmcnt(2) lgkmcnt(0)
	v_fma_f64 v[67:68], v[99:100], v[69:70], v[67:68]
	s_waitcnt vmcnt(0)
	v_add_f64 v[67:68], v[101:102], -v[67:68]
	buffer_store_dword v68, off, s[0:3], 0 offset:148
	buffer_store_dword v67, off, s[0:3], 0 offset:144
	v_cmpx_lt_u32_e32 17, v0
	s_cbranch_execz .LBB31_167
; %bb.166:
	s_clause 0x1
	buffer_load_dword v67, off, s[0:3], 0 offset:136
	buffer_load_dword v68, off, s[0:3], 0 offset:140
	buffer_store_dword v66, off, s[0:3], 0 offset:136
	buffer_store_dword v66, off, s[0:3], 0 offset:140
	s_waitcnt vmcnt(0)
	ds_write_b64 v65, v[67:68]
.LBB31_167:
	s_or_b32 exec_lo, exec_lo, s4
	s_waitcnt lgkmcnt(0)
	s_waitcnt_vscnt null, 0x0
	s_barrier
	buffer_gl0_inv
	s_clause 0x1b
	buffer_load_dword v75, off, s[0:3], 0 offset:144
	buffer_load_dword v76, off, s[0:3], 0 offset:148
	;; [unrolled: 1-line block ×28, first 2 shown]
	ds_read_b128 v[67:70], v66 offset:400
	s_clause 0x1
	buffer_load_dword v103, off, s[0:3], 0 offset:136
	buffer_load_dword v104, off, s[0:3], 0 offset:140
	ds_read_b128 v[71:74], v66 offset:416
	s_mov_b32 s4, exec_lo
	s_waitcnt vmcnt(28) lgkmcnt(1)
	v_fma_f64 v[67:68], v[75:76], v[67:68], 0
	s_waitcnt vmcnt(26)
	v_fma_f64 v[67:68], v[77:78], v[69:70], v[67:68]
	s_waitcnt vmcnt(24) lgkmcnt(0)
	v_fma_f64 v[67:68], v[79:80], v[71:72], v[67:68]
	s_waitcnt vmcnt(22)
	v_fma_f64 v[75:76], v[81:82], v[73:74], v[67:68]
	ds_read_b128 v[67:70], v66 offset:432
	ds_read_b128 v[71:74], v66 offset:448
	s_waitcnt vmcnt(20) lgkmcnt(1)
	v_fma_f64 v[67:68], v[83:84], v[67:68], v[75:76]
	s_waitcnt vmcnt(18)
	v_fma_f64 v[67:68], v[85:86], v[69:70], v[67:68]
	s_waitcnt vmcnt(16) lgkmcnt(0)
	v_fma_f64 v[67:68], v[87:88], v[71:72], v[67:68]
	s_waitcnt vmcnt(11)
	v_fma_f64 v[75:76], v[89:90], v[73:74], v[67:68]
	ds_read_b128 v[67:70], v66 offset:464
	ds_read_b128 v[71:74], v66 offset:480
	s_waitcnt vmcnt(10) lgkmcnt(1)
	v_fma_f64 v[67:68], v[95:96], v[67:68], v[75:76]
	s_waitcnt vmcnt(9)
	v_fma_f64 v[67:68], v[93:94], v[69:70], v[67:68]
	s_waitcnt vmcnt(8) lgkmcnt(0)
	v_fma_f64 v[67:68], v[91:92], v[71:72], v[67:68]
	s_waitcnt vmcnt(4)
	v_fma_f64 v[70:71], v[97:98], v[73:74], v[67:68]
	ds_read_b128 v[66:69], v66 offset:496
	s_waitcnt vmcnt(3) lgkmcnt(0)
	v_fma_f64 v[66:67], v[101:102], v[66:67], v[70:71]
	s_waitcnt vmcnt(2)
	v_fma_f64 v[66:67], v[99:100], v[68:69], v[66:67]
	s_waitcnt vmcnt(0)
	v_add_f64 v[66:67], v[103:104], -v[66:67]
	buffer_store_dword v67, off, s[0:3], 0 offset:140
	buffer_store_dword v66, off, s[0:3], 0 offset:136
	v_cmpx_lt_u32_e32 16, v0
	s_cbranch_execz .LBB31_169
; %bb.168:
	s_clause 0x1
	buffer_load_dword v66, off, s[0:3], 0 offset:128
	buffer_load_dword v67, off, s[0:3], 0 offset:132
	v_mov_b32_e32 v68, 0
	buffer_store_dword v68, off, s[0:3], 0 offset:128
	buffer_store_dword v68, off, s[0:3], 0 offset:132
	s_waitcnt vmcnt(0)
	ds_write_b64 v65, v[66:67]
.LBB31_169:
	s_or_b32 exec_lo, exec_lo, s4
	s_waitcnt lgkmcnt(0)
	s_waitcnt_vscnt null, 0x0
	s_barrier
	buffer_gl0_inv
	s_clause 0x1c
	buffer_load_dword v75, off, s[0:3], 0 offset:136
	buffer_load_dword v76, off, s[0:3], 0 offset:140
	;; [unrolled: 1-line block ×29, first 2 shown]
	v_mov_b32_e32 v66, 0
	buffer_load_dword v100, off, s[0:3], 0 offset:252
	s_mov_b32 s4, exec_lo
	ds_read2_b64 v[67:70], v66 offset0:49 offset1:50
	ds_read2_b64 v[71:74], v66 offset0:51 offset1:52
	s_waitcnt vmcnt(28) lgkmcnt(1)
	v_fma_f64 v[67:68], v[75:76], v[67:68], 0
	s_clause 0x1
	buffer_load_dword v75, off, s[0:3], 0 offset:128
	buffer_load_dword v76, off, s[0:3], 0 offset:132
	s_waitcnt vmcnt(28)
	v_fma_f64 v[67:68], v[77:78], v[69:70], v[67:68]
	s_waitcnt vmcnt(26) lgkmcnt(0)
	v_fma_f64 v[67:68], v[79:80], v[71:72], v[67:68]
	s_waitcnt vmcnt(24)
	v_fma_f64 v[77:78], v[81:82], v[73:74], v[67:68]
	ds_read2_b64 v[67:70], v66 offset0:53 offset1:54
	ds_read2_b64 v[71:74], v66 offset0:55 offset1:56
	s_waitcnt vmcnt(22) lgkmcnt(1)
	v_fma_f64 v[67:68], v[83:84], v[67:68], v[77:78]
	s_waitcnt vmcnt(20)
	v_fma_f64 v[67:68], v[85:86], v[69:70], v[67:68]
	s_waitcnt vmcnt(18) lgkmcnt(0)
	v_fma_f64 v[67:68], v[87:88], v[71:72], v[67:68]
	s_waitcnt vmcnt(13)
	v_fma_f64 v[77:78], v[89:90], v[73:74], v[67:68]
	ds_read2_b64 v[67:70], v66 offset0:57 offset1:58
	ds_read2_b64 v[71:74], v66 offset0:59 offset1:60
	s_waitcnt vmcnt(12) lgkmcnt(1)
	v_fma_f64 v[67:68], v[95:96], v[67:68], v[77:78]
	s_waitcnt vmcnt(11)
	v_fma_f64 v[67:68], v[93:94], v[69:70], v[67:68]
	s_waitcnt vmcnt(10) lgkmcnt(0)
	v_fma_f64 v[67:68], v[91:92], v[71:72], v[67:68]
	s_waitcnt vmcnt(5)
	v_fma_f64 v[71:72], v[97:98], v[73:74], v[67:68]
	ds_read2_b64 v[67:70], v66 offset0:61 offset1:62
	ds_read_b64 v[73:74], v66 offset:504
	s_waitcnt vmcnt(4) lgkmcnt(1)
	v_fma_f64 v[67:68], v[103:104], v[67:68], v[71:72]
	s_waitcnt vmcnt(3)
	v_fma_f64 v[67:68], v[101:102], v[69:70], v[67:68]
	s_waitcnt vmcnt(2) lgkmcnt(0)
	v_fma_f64 v[67:68], v[99:100], v[73:74], v[67:68]
	s_waitcnt vmcnt(0)
	v_add_f64 v[67:68], v[75:76], -v[67:68]
	buffer_store_dword v68, off, s[0:3], 0 offset:132
	buffer_store_dword v67, off, s[0:3], 0 offset:128
	v_cmpx_lt_u32_e32 15, v0
	s_cbranch_execz .LBB31_171
; %bb.170:
	s_clause 0x1
	buffer_load_dword v67, off, s[0:3], 0 offset:120
	buffer_load_dword v68, off, s[0:3], 0 offset:124
	buffer_store_dword v66, off, s[0:3], 0 offset:120
	buffer_store_dword v66, off, s[0:3], 0 offset:124
	s_waitcnt vmcnt(0)
	ds_write_b64 v65, v[67:68]
.LBB31_171:
	s_or_b32 exec_lo, exec_lo, s4
	s_waitcnt lgkmcnt(0)
	s_waitcnt_vscnt null, 0x0
	s_barrier
	buffer_gl0_inv
	s_clause 0x1c
	buffer_load_dword v75, off, s[0:3], 0 offset:128
	buffer_load_dword v76, off, s[0:3], 0 offset:132
	;; [unrolled: 1-line block ×29, first 2 shown]
	ds_read_b128 v[67:70], v66 offset:384
	ds_read_b128 v[71:74], v66 offset:400
	buffer_load_dword v100, off, s[0:3], 0 offset:244
	s_mov_b32 s4, exec_lo
	s_waitcnt vmcnt(28) lgkmcnt(1)
	v_fma_f64 v[67:68], v[75:76], v[67:68], 0
	s_clause 0x1
	buffer_load_dword v76, off, s[0:3], 0 offset:252
	buffer_load_dword v75, off, s[0:3], 0 offset:248
	s_waitcnt vmcnt(28)
	v_fma_f64 v[67:68], v[77:78], v[69:70], v[67:68]
	s_clause 0x1
	buffer_load_dword v77, off, s[0:3], 0 offset:120
	buffer_load_dword v78, off, s[0:3], 0 offset:124
	s_waitcnt vmcnt(28) lgkmcnt(0)
	v_fma_f64 v[67:68], v[79:80], v[71:72], v[67:68]
	s_waitcnt vmcnt(26)
	v_fma_f64 v[79:80], v[81:82], v[73:74], v[67:68]
	ds_read_b128 v[67:70], v66 offset:416
	ds_read_b128 v[71:74], v66 offset:432
	s_waitcnt vmcnt(24) lgkmcnt(1)
	v_fma_f64 v[67:68], v[83:84], v[67:68], v[79:80]
	s_waitcnt vmcnt(22)
	v_fma_f64 v[67:68], v[85:86], v[69:70], v[67:68]
	s_waitcnt vmcnt(20) lgkmcnt(0)
	v_fma_f64 v[67:68], v[87:88], v[71:72], v[67:68]
	s_waitcnt vmcnt(15)
	v_fma_f64 v[79:80], v[89:90], v[73:74], v[67:68]
	ds_read_b128 v[67:70], v66 offset:448
	ds_read_b128 v[71:74], v66 offset:464
	s_waitcnt vmcnt(14) lgkmcnt(1)
	v_fma_f64 v[67:68], v[95:96], v[67:68], v[79:80]
	s_waitcnt vmcnt(13)
	v_fma_f64 v[67:68], v[93:94], v[69:70], v[67:68]
	;; [unrolled: 10-line block ×3, first 2 shown]
	s_waitcnt vmcnt(4) lgkmcnt(0)
	v_fma_f64 v[66:67], v[99:100], v[71:72], v[66:67]
	s_waitcnt vmcnt(2)
	v_fma_f64 v[66:67], v[75:76], v[73:74], v[66:67]
	s_waitcnt vmcnt(0)
	v_add_f64 v[66:67], v[77:78], -v[66:67]
	buffer_store_dword v67, off, s[0:3], 0 offset:124
	buffer_store_dword v66, off, s[0:3], 0 offset:120
	v_cmpx_lt_u32_e32 14, v0
	s_cbranch_execz .LBB31_173
; %bb.172:
	s_clause 0x1
	buffer_load_dword v66, off, s[0:3], 0 offset:112
	buffer_load_dword v67, off, s[0:3], 0 offset:116
	v_mov_b32_e32 v68, 0
	buffer_store_dword v68, off, s[0:3], 0 offset:112
	buffer_store_dword v68, off, s[0:3], 0 offset:116
	s_waitcnt vmcnt(0)
	ds_write_b64 v65, v[66:67]
.LBB31_173:
	s_or_b32 exec_lo, exec_lo, s4
	s_waitcnt lgkmcnt(0)
	s_waitcnt_vscnt null, 0x0
	s_barrier
	buffer_gl0_inv
	s_clause 0x1c
	buffer_load_dword v75, off, s[0:3], 0 offset:120
	buffer_load_dword v76, off, s[0:3], 0 offset:124
	;; [unrolled: 1-line block ×29, first 2 shown]
	v_mov_b32_e32 v66, 0
	buffer_load_dword v100, off, s[0:3], 0 offset:236
	s_mov_b32 s4, exec_lo
	ds_read2_b64 v[67:70], v66 offset0:47 offset1:48
	ds_read2_b64 v[71:74], v66 offset0:49 offset1:50
	s_waitcnt vmcnt(28) lgkmcnt(1)
	v_fma_f64 v[67:68], v[75:76], v[67:68], 0
	s_clause 0x3
	buffer_load_dword v76, off, s[0:3], 0 offset:244
	buffer_load_dword v105, off, s[0:3], 0 offset:248
	;; [unrolled: 1-line block ×4, first 2 shown]
	s_waitcnt vmcnt(30)
	v_fma_f64 v[67:68], v[77:78], v[69:70], v[67:68]
	s_clause 0x1
	buffer_load_dword v77, off, s[0:3], 0 offset:112
	buffer_load_dword v78, off, s[0:3], 0 offset:116
	s_waitcnt vmcnt(30) lgkmcnt(0)
	v_fma_f64 v[67:68], v[79:80], v[71:72], v[67:68]
	s_waitcnt vmcnt(28)
	v_fma_f64 v[79:80], v[81:82], v[73:74], v[67:68]
	ds_read2_b64 v[67:70], v66 offset0:51 offset1:52
	ds_read2_b64 v[71:74], v66 offset0:53 offset1:54
	s_waitcnt vmcnt(26) lgkmcnt(1)
	v_fma_f64 v[67:68], v[83:84], v[67:68], v[79:80]
	s_waitcnt vmcnt(24)
	v_fma_f64 v[67:68], v[85:86], v[69:70], v[67:68]
	s_waitcnt vmcnt(22) lgkmcnt(0)
	v_fma_f64 v[67:68], v[87:88], v[71:72], v[67:68]
	s_waitcnt vmcnt(17)
	v_fma_f64 v[79:80], v[89:90], v[73:74], v[67:68]
	ds_read2_b64 v[67:70], v66 offset0:55 offset1:56
	ds_read2_b64 v[71:74], v66 offset0:57 offset1:58
	s_waitcnt vmcnt(16) lgkmcnt(1)
	v_fma_f64 v[67:68], v[95:96], v[67:68], v[79:80]
	s_waitcnt vmcnt(15)
	v_fma_f64 v[67:68], v[93:94], v[69:70], v[67:68]
	;; [unrolled: 10-line block ×3, first 2 shown]
	ds_read_b64 v[69:70], v66 offset:504
	s_waitcnt vmcnt(6) lgkmcnt(1)
	v_fma_f64 v[67:68], v[99:100], v[71:72], v[67:68]
	s_waitcnt vmcnt(3)
	v_fma_f64 v[67:68], v[75:76], v[73:74], v[67:68]
	s_waitcnt vmcnt(2) lgkmcnt(0)
	v_fma_f64 v[67:68], v[105:106], v[69:70], v[67:68]
	s_waitcnt vmcnt(0)
	v_add_f64 v[67:68], v[77:78], -v[67:68]
	buffer_store_dword v68, off, s[0:3], 0 offset:116
	buffer_store_dword v67, off, s[0:3], 0 offset:112
	v_cmpx_lt_u32_e32 13, v0
	s_cbranch_execz .LBB31_175
; %bb.174:
	s_clause 0x1
	buffer_load_dword v67, off, s[0:3], 0 offset:104
	buffer_load_dword v68, off, s[0:3], 0 offset:108
	buffer_store_dword v66, off, s[0:3], 0 offset:104
	buffer_store_dword v66, off, s[0:3], 0 offset:108
	s_waitcnt vmcnt(0)
	ds_write_b64 v65, v[67:68]
.LBB31_175:
	s_or_b32 exec_lo, exec_lo, s4
	s_waitcnt lgkmcnt(0)
	s_waitcnt_vscnt null, 0x0
	s_barrier
	buffer_gl0_inv
	s_clause 0x1c
	buffer_load_dword v75, off, s[0:3], 0 offset:112
	buffer_load_dword v76, off, s[0:3], 0 offset:116
	;; [unrolled: 1-line block ×29, first 2 shown]
	ds_read_b128 v[67:70], v66 offset:368
	ds_read_b128 v[71:74], v66 offset:384
	buffer_load_dword v100, off, s[0:3], 0 offset:228
	s_mov_b32 s4, exec_lo
	s_waitcnt vmcnt(28) lgkmcnt(1)
	v_fma_f64 v[67:68], v[75:76], v[67:68], 0
	s_clause 0x5
	buffer_load_dword v76, off, s[0:3], 0 offset:236
	buffer_load_dword v105, off, s[0:3], 0 offset:248
	;; [unrolled: 1-line block ×6, first 2 shown]
	s_waitcnt vmcnt(32)
	v_fma_f64 v[67:68], v[77:78], v[69:70], v[67:68]
	s_waitcnt vmcnt(30) lgkmcnt(0)
	v_fma_f64 v[67:68], v[79:80], v[71:72], v[67:68]
	s_waitcnt vmcnt(28)
	v_fma_f64 v[77:78], v[81:82], v[73:74], v[67:68]
	ds_read_b128 v[67:70], v66 offset:400
	s_clause 0x1
	buffer_load_dword v79, off, s[0:3], 0 offset:104
	buffer_load_dword v80, off, s[0:3], 0 offset:108
	ds_read_b128 v[71:74], v66 offset:416
	s_waitcnt vmcnt(28) lgkmcnt(1)
	v_fma_f64 v[67:68], v[83:84], v[67:68], v[77:78]
	s_waitcnt vmcnt(26)
	v_fma_f64 v[67:68], v[85:86], v[69:70], v[67:68]
	s_waitcnt vmcnt(24) lgkmcnt(0)
	v_fma_f64 v[67:68], v[87:88], v[71:72], v[67:68]
	s_waitcnt vmcnt(19)
	v_fma_f64 v[77:78], v[89:90], v[73:74], v[67:68]
	ds_read_b128 v[67:70], v66 offset:432
	ds_read_b128 v[71:74], v66 offset:448
	s_waitcnt vmcnt(18) lgkmcnt(1)
	v_fma_f64 v[67:68], v[95:96], v[67:68], v[77:78]
	s_waitcnt vmcnt(17)
	v_fma_f64 v[67:68], v[93:94], v[69:70], v[67:68]
	s_waitcnt vmcnt(16) lgkmcnt(0)
	v_fma_f64 v[67:68], v[91:92], v[71:72], v[67:68]
	s_waitcnt vmcnt(11)
	v_fma_f64 v[77:78], v[97:98], v[73:74], v[67:68]
	ds_read_b128 v[67:70], v66 offset:464
	;; [unrolled: 10-line block ×3, first 2 shown]
	s_waitcnt vmcnt(3) lgkmcnt(0)
	v_fma_f64 v[66:67], v[107:108], v[66:67], v[70:71]
	s_waitcnt vmcnt(2)
	v_fma_f64 v[66:67], v[105:106], v[68:69], v[66:67]
	s_waitcnt vmcnt(0)
	v_add_f64 v[66:67], v[79:80], -v[66:67]
	buffer_store_dword v67, off, s[0:3], 0 offset:108
	buffer_store_dword v66, off, s[0:3], 0 offset:104
	v_cmpx_lt_u32_e32 12, v0
	s_cbranch_execz .LBB31_177
; %bb.176:
	s_clause 0x1
	buffer_load_dword v66, off, s[0:3], 0 offset:96
	buffer_load_dword v67, off, s[0:3], 0 offset:100
	v_mov_b32_e32 v68, 0
	buffer_store_dword v68, off, s[0:3], 0 offset:96
	buffer_store_dword v68, off, s[0:3], 0 offset:100
	s_waitcnt vmcnt(0)
	ds_write_b64 v65, v[66:67]
.LBB31_177:
	s_or_b32 exec_lo, exec_lo, s4
	s_waitcnt lgkmcnt(0)
	s_waitcnt_vscnt null, 0x0
	s_barrier
	buffer_gl0_inv
	s_clause 0x1c
	buffer_load_dword v75, off, s[0:3], 0 offset:104
	buffer_load_dword v76, off, s[0:3], 0 offset:108
	;; [unrolled: 1-line block ×29, first 2 shown]
	v_mov_b32_e32 v66, 0
	buffer_load_dword v100, off, s[0:3], 0 offset:220
	s_mov_b32 s4, exec_lo
	ds_read2_b64 v[67:70], v66 offset0:45 offset1:46
	ds_read2_b64 v[71:74], v66 offset0:47 offset1:48
	s_waitcnt vmcnt(28) lgkmcnt(1)
	v_fma_f64 v[67:68], v[75:76], v[67:68], 0
	s_clause 0x7
	buffer_load_dword v76, off, s[0:3], 0 offset:228
	buffer_load_dword v105, off, s[0:3], 0 offset:248
	;; [unrolled: 1-line block ×8, first 2 shown]
	s_waitcnt vmcnt(34)
	v_fma_f64 v[67:68], v[77:78], v[69:70], v[67:68]
	s_waitcnt vmcnt(32) lgkmcnt(0)
	v_fma_f64 v[67:68], v[79:80], v[71:72], v[67:68]
	s_waitcnt vmcnt(30)
	v_fma_f64 v[77:78], v[81:82], v[73:74], v[67:68]
	ds_read2_b64 v[67:70], v66 offset0:49 offset1:50
	ds_read2_b64 v[71:74], v66 offset0:51 offset1:52
	s_waitcnt vmcnt(28) lgkmcnt(1)
	v_fma_f64 v[67:68], v[83:84], v[67:68], v[77:78]
	s_clause 0x1
	buffer_load_dword v77, off, s[0:3], 0 offset:96
	buffer_load_dword v78, off, s[0:3], 0 offset:100
	s_waitcnt vmcnt(28)
	v_fma_f64 v[67:68], v[85:86], v[69:70], v[67:68]
	s_waitcnt vmcnt(26) lgkmcnt(0)
	v_fma_f64 v[67:68], v[87:88], v[71:72], v[67:68]
	s_waitcnt vmcnt(21)
	v_fma_f64 v[79:80], v[89:90], v[73:74], v[67:68]
	ds_read2_b64 v[67:70], v66 offset0:53 offset1:54
	ds_read2_b64 v[71:74], v66 offset0:55 offset1:56
	s_waitcnt vmcnt(20) lgkmcnt(1)
	v_fma_f64 v[67:68], v[95:96], v[67:68], v[79:80]
	s_waitcnt vmcnt(19)
	v_fma_f64 v[67:68], v[93:94], v[69:70], v[67:68]
	s_waitcnt vmcnt(18) lgkmcnt(0)
	v_fma_f64 v[67:68], v[91:92], v[71:72], v[67:68]
	s_waitcnt vmcnt(13)
	v_fma_f64 v[79:80], v[97:98], v[73:74], v[67:68]
	ds_read2_b64 v[67:70], v66 offset0:57 offset1:58
	ds_read2_b64 v[71:74], v66 offset0:59 offset1:60
	s_waitcnt vmcnt(12) lgkmcnt(1)
	v_fma_f64 v[67:68], v[103:104], v[67:68], v[79:80]
	s_waitcnt vmcnt(11)
	v_fma_f64 v[67:68], v[101:102], v[69:70], v[67:68]
	s_waitcnt vmcnt(10) lgkmcnt(0)
	v_fma_f64 v[67:68], v[99:100], v[71:72], v[67:68]
	s_waitcnt vmcnt(5)
	v_fma_f64 v[71:72], v[75:76], v[73:74], v[67:68]
	ds_read2_b64 v[67:70], v66 offset0:61 offset1:62
	ds_read_b64 v[73:74], v66 offset:504
	s_waitcnt vmcnt(4) lgkmcnt(1)
	v_fma_f64 v[67:68], v[109:110], v[67:68], v[71:72]
	s_waitcnt vmcnt(3)
	v_fma_f64 v[67:68], v[107:108], v[69:70], v[67:68]
	s_waitcnt vmcnt(2) lgkmcnt(0)
	v_fma_f64 v[67:68], v[105:106], v[73:74], v[67:68]
	s_waitcnt vmcnt(0)
	v_add_f64 v[67:68], v[77:78], -v[67:68]
	buffer_store_dword v68, off, s[0:3], 0 offset:100
	buffer_store_dword v67, off, s[0:3], 0 offset:96
	v_cmpx_lt_u32_e32 11, v0
	s_cbranch_execz .LBB31_179
; %bb.178:
	s_clause 0x1
	buffer_load_dword v67, off, s[0:3], 0 offset:88
	buffer_load_dword v68, off, s[0:3], 0 offset:92
	buffer_store_dword v66, off, s[0:3], 0 offset:88
	buffer_store_dword v66, off, s[0:3], 0 offset:92
	s_waitcnt vmcnt(0)
	ds_write_b64 v65, v[67:68]
.LBB31_179:
	s_or_b32 exec_lo, exec_lo, s4
	s_waitcnt lgkmcnt(0)
	s_waitcnt_vscnt null, 0x0
	s_barrier
	buffer_gl0_inv
	s_clause 0x1c
	buffer_load_dword v75, off, s[0:3], 0 offset:96
	buffer_load_dword v76, off, s[0:3], 0 offset:100
	;; [unrolled: 1-line block ×29, first 2 shown]
	ds_read_b128 v[67:70], v66 offset:352
	ds_read_b128 v[71:74], v66 offset:368
	buffer_load_dword v100, off, s[0:3], 0 offset:212
	s_mov_b32 s4, exec_lo
	s_waitcnt vmcnt(28) lgkmcnt(1)
	v_fma_f64 v[67:68], v[75:76], v[67:68], 0
	s_clause 0x7
	buffer_load_dword v76, off, s[0:3], 0 offset:220
	buffer_load_dword v105, off, s[0:3], 0 offset:240
	;; [unrolled: 1-line block ×8, first 2 shown]
	s_waitcnt vmcnt(34)
	v_fma_f64 v[67:68], v[77:78], v[69:70], v[67:68]
	s_waitcnt vmcnt(32) lgkmcnt(0)
	v_fma_f64 v[67:68], v[79:80], v[71:72], v[67:68]
	s_waitcnt vmcnt(30)
	v_fma_f64 v[77:78], v[81:82], v[73:74], v[67:68]
	ds_read_b128 v[67:70], v66 offset:384
	ds_read_b128 v[71:74], v66 offset:400
	s_waitcnt vmcnt(28) lgkmcnt(1)
	v_fma_f64 v[67:68], v[83:84], v[67:68], v[77:78]
	s_clause 0x3
	buffer_load_dword v78, off, s[0:3], 0 offset:252
	buffer_load_dword v77, off, s[0:3], 0 offset:248
	;; [unrolled: 1-line block ×4, first 2 shown]
	s_waitcnt vmcnt(30)
	v_fma_f64 v[67:68], v[85:86], v[69:70], v[67:68]
	s_waitcnt vmcnt(28) lgkmcnt(0)
	v_fma_f64 v[67:68], v[87:88], v[71:72], v[67:68]
	s_waitcnt vmcnt(23)
	v_fma_f64 v[81:82], v[89:90], v[73:74], v[67:68]
	ds_read_b128 v[67:70], v66 offset:416
	ds_read_b128 v[71:74], v66 offset:432
	s_waitcnt vmcnt(22) lgkmcnt(1)
	v_fma_f64 v[67:68], v[95:96], v[67:68], v[81:82]
	s_waitcnt vmcnt(21)
	v_fma_f64 v[67:68], v[93:94], v[69:70], v[67:68]
	s_waitcnt vmcnt(20) lgkmcnt(0)
	v_fma_f64 v[67:68], v[91:92], v[71:72], v[67:68]
	s_waitcnt vmcnt(15)
	v_fma_f64 v[81:82], v[97:98], v[73:74], v[67:68]
	ds_read_b128 v[67:70], v66 offset:448
	ds_read_b128 v[71:74], v66 offset:464
	s_waitcnt vmcnt(14) lgkmcnt(1)
	v_fma_f64 v[67:68], v[103:104], v[67:68], v[81:82]
	;; [unrolled: 10-line block ×3, first 2 shown]
	s_waitcnt vmcnt(5)
	v_fma_f64 v[66:67], v[107:108], v[69:70], v[66:67]
	s_waitcnt vmcnt(4) lgkmcnt(0)
	v_fma_f64 v[66:67], v[105:106], v[71:72], v[66:67]
	s_waitcnt vmcnt(2)
	v_fma_f64 v[66:67], v[77:78], v[73:74], v[66:67]
	s_waitcnt vmcnt(0)
	v_add_f64 v[66:67], v[79:80], -v[66:67]
	buffer_store_dword v67, off, s[0:3], 0 offset:92
	buffer_store_dword v66, off, s[0:3], 0 offset:88
	v_cmpx_lt_u32_e32 10, v0
	s_cbranch_execz .LBB31_181
; %bb.180:
	s_clause 0x1
	buffer_load_dword v66, off, s[0:3], 0 offset:80
	buffer_load_dword v67, off, s[0:3], 0 offset:84
	v_mov_b32_e32 v68, 0
	buffer_store_dword v68, off, s[0:3], 0 offset:80
	buffer_store_dword v68, off, s[0:3], 0 offset:84
	s_waitcnt vmcnt(0)
	ds_write_b64 v65, v[66:67]
.LBB31_181:
	s_or_b32 exec_lo, exec_lo, s4
	s_waitcnt lgkmcnt(0)
	s_waitcnt_vscnt null, 0x0
	s_barrier
	buffer_gl0_inv
	s_clause 0x1c
	buffer_load_dword v75, off, s[0:3], 0 offset:88
	buffer_load_dword v76, off, s[0:3], 0 offset:92
	;; [unrolled: 1-line block ×29, first 2 shown]
	v_mov_b32_e32 v66, 0
	buffer_load_dword v100, off, s[0:3], 0 offset:204
	s_mov_b32 s4, exec_lo
	ds_read2_b64 v[67:70], v66 offset0:43 offset1:44
	ds_read2_b64 v[71:74], v66 offset0:45 offset1:46
	s_waitcnt vmcnt(28) lgkmcnt(1)
	v_fma_f64 v[67:68], v[75:76], v[67:68], 0
	s_clause 0x7
	buffer_load_dword v76, off, s[0:3], 0 offset:212
	buffer_load_dword v105, off, s[0:3], 0 offset:232
	;; [unrolled: 1-line block ×8, first 2 shown]
	s_waitcnt vmcnt(34)
	v_fma_f64 v[67:68], v[77:78], v[69:70], v[67:68]
	s_waitcnt vmcnt(32) lgkmcnt(0)
	v_fma_f64 v[67:68], v[79:80], v[71:72], v[67:68]
	s_waitcnt vmcnt(30)
	v_fma_f64 v[77:78], v[81:82], v[73:74], v[67:68]
	ds_read2_b64 v[67:70], v66 offset0:47 offset1:48
	ds_read2_b64 v[71:74], v66 offset0:49 offset1:50
	s_waitcnt vmcnt(28) lgkmcnt(1)
	v_fma_f64 v[67:68], v[83:84], v[67:68], v[77:78]
	s_clause 0x5
	buffer_load_dword v78, off, s[0:3], 0 offset:244
	buffer_load_dword v79, off, s[0:3], 0 offset:248
	;; [unrolled: 1-line block ×6, first 2 shown]
	s_waitcnt vmcnt(32)
	v_fma_f64 v[67:68], v[85:86], v[69:70], v[67:68]
	s_waitcnt vmcnt(30) lgkmcnt(0)
	v_fma_f64 v[67:68], v[87:88], v[71:72], v[67:68]
	s_waitcnt vmcnt(25)
	v_fma_f64 v[83:84], v[89:90], v[73:74], v[67:68]
	ds_read2_b64 v[67:70], v66 offset0:51 offset1:52
	ds_read2_b64 v[71:74], v66 offset0:53 offset1:54
	s_waitcnt vmcnt(24) lgkmcnt(1)
	v_fma_f64 v[67:68], v[95:96], v[67:68], v[83:84]
	s_waitcnt vmcnt(23)
	v_fma_f64 v[67:68], v[93:94], v[69:70], v[67:68]
	s_waitcnt vmcnt(22) lgkmcnt(0)
	v_fma_f64 v[67:68], v[91:92], v[71:72], v[67:68]
	s_waitcnt vmcnt(17)
	v_fma_f64 v[83:84], v[97:98], v[73:74], v[67:68]
	ds_read2_b64 v[67:70], v66 offset0:55 offset1:56
	ds_read2_b64 v[71:74], v66 offset0:57 offset1:58
	s_waitcnt vmcnt(16) lgkmcnt(1)
	v_fma_f64 v[67:68], v[103:104], v[67:68], v[83:84]
	s_waitcnt vmcnt(15)
	v_fma_f64 v[67:68], v[101:102], v[69:70], v[67:68]
	s_waitcnt vmcnt(14) lgkmcnt(0)
	v_fma_f64 v[67:68], v[99:100], v[71:72], v[67:68]
	s_waitcnt vmcnt(9)
	v_fma_f64 v[75:76], v[75:76], v[73:74], v[67:68]
	ds_read2_b64 v[67:70], v66 offset0:59 offset1:60
	ds_read2_b64 v[71:74], v66 offset0:61 offset1:62
	s_waitcnt vmcnt(8) lgkmcnt(1)
	v_fma_f64 v[67:68], v[109:110], v[67:68], v[75:76]
	s_waitcnt vmcnt(7)
	v_fma_f64 v[67:68], v[107:108], v[69:70], v[67:68]
	ds_read_b64 v[69:70], v66 offset:504
	s_waitcnt vmcnt(6) lgkmcnt(1)
	v_fma_f64 v[67:68], v[105:106], v[71:72], v[67:68]
	s_waitcnt vmcnt(3)
	v_fma_f64 v[67:68], v[77:78], v[73:74], v[67:68]
	s_waitcnt vmcnt(2) lgkmcnt(0)
	v_fma_f64 v[67:68], v[79:80], v[69:70], v[67:68]
	s_waitcnt vmcnt(0)
	v_add_f64 v[67:68], v[81:82], -v[67:68]
	buffer_store_dword v68, off, s[0:3], 0 offset:84
	buffer_store_dword v67, off, s[0:3], 0 offset:80
	v_cmpx_lt_u32_e32 9, v0
	s_cbranch_execz .LBB31_183
; %bb.182:
	s_clause 0x1
	buffer_load_dword v67, off, s[0:3], 0 offset:72
	buffer_load_dword v68, off, s[0:3], 0 offset:76
	buffer_store_dword v66, off, s[0:3], 0 offset:72
	buffer_store_dword v66, off, s[0:3], 0 offset:76
	s_waitcnt vmcnt(0)
	ds_write_b64 v65, v[67:68]
.LBB31_183:
	s_or_b32 exec_lo, exec_lo, s4
	s_waitcnt lgkmcnt(0)
	s_waitcnt_vscnt null, 0x0
	s_barrier
	buffer_gl0_inv
	s_clause 0x1c
	buffer_load_dword v75, off, s[0:3], 0 offset:80
	buffer_load_dword v76, off, s[0:3], 0 offset:84
	;; [unrolled: 1-line block ×29, first 2 shown]
	ds_read_b128 v[67:70], v66 offset:336
	ds_read_b128 v[71:74], v66 offset:352
	buffer_load_dword v100, off, s[0:3], 0 offset:196
	s_mov_b32 s4, exec_lo
	s_waitcnt vmcnt(28) lgkmcnt(1)
	v_fma_f64 v[67:68], v[75:76], v[67:68], 0
	s_clause 0x7
	buffer_load_dword v76, off, s[0:3], 0 offset:204
	buffer_load_dword v105, off, s[0:3], 0 offset:224
	;; [unrolled: 1-line block ×8, first 2 shown]
	s_waitcnt vmcnt(34)
	v_fma_f64 v[67:68], v[77:78], v[69:70], v[67:68]
	s_waitcnt vmcnt(32) lgkmcnt(0)
	v_fma_f64 v[67:68], v[79:80], v[71:72], v[67:68]
	s_waitcnt vmcnt(30)
	v_fma_f64 v[77:78], v[81:82], v[73:74], v[67:68]
	ds_read_b128 v[67:70], v66 offset:368
	ds_read_b128 v[71:74], v66 offset:384
	s_waitcnt vmcnt(28) lgkmcnt(1)
	v_fma_f64 v[67:68], v[83:84], v[67:68], v[77:78]
	s_clause 0x5
	buffer_load_dword v78, off, s[0:3], 0 offset:236
	buffer_load_dword v79, off, s[0:3], 0 offset:248
	;; [unrolled: 1-line block ×6, first 2 shown]
	s_waitcnt vmcnt(32)
	v_fma_f64 v[67:68], v[85:86], v[69:70], v[67:68]
	s_waitcnt vmcnt(30) lgkmcnt(0)
	v_fma_f64 v[67:68], v[87:88], v[71:72], v[67:68]
	s_waitcnt vmcnt(25)
	v_fma_f64 v[83:84], v[89:90], v[73:74], v[67:68]
	ds_read_b128 v[67:70], v66 offset:400
	s_clause 0x1
	buffer_load_dword v85, off, s[0:3], 0 offset:72
	buffer_load_dword v86, off, s[0:3], 0 offset:76
	ds_read_b128 v[71:74], v66 offset:416
	s_waitcnt vmcnt(26) lgkmcnt(1)
	v_fma_f64 v[67:68], v[95:96], v[67:68], v[83:84]
	s_waitcnt vmcnt(25)
	v_fma_f64 v[67:68], v[93:94], v[69:70], v[67:68]
	s_waitcnt vmcnt(24) lgkmcnt(0)
	v_fma_f64 v[67:68], v[91:92], v[71:72], v[67:68]
	s_waitcnt vmcnt(19)
	v_fma_f64 v[83:84], v[97:98], v[73:74], v[67:68]
	ds_read_b128 v[67:70], v66 offset:432
	ds_read_b128 v[71:74], v66 offset:448
	s_waitcnt vmcnt(18) lgkmcnt(1)
	v_fma_f64 v[67:68], v[103:104], v[67:68], v[83:84]
	s_waitcnt vmcnt(17)
	v_fma_f64 v[67:68], v[101:102], v[69:70], v[67:68]
	s_waitcnt vmcnt(16) lgkmcnt(0)
	v_fma_f64 v[67:68], v[99:100], v[71:72], v[67:68]
	s_waitcnt vmcnt(11)
	v_fma_f64 v[75:76], v[75:76], v[73:74], v[67:68]
	ds_read_b128 v[67:70], v66 offset:464
	;; [unrolled: 10-line block ×3, first 2 shown]
	s_waitcnt vmcnt(3) lgkmcnt(0)
	v_fma_f64 v[66:67], v[81:82], v[66:67], v[70:71]
	s_waitcnt vmcnt(2)
	v_fma_f64 v[66:67], v[79:80], v[68:69], v[66:67]
	s_waitcnt vmcnt(0)
	v_add_f64 v[66:67], v[85:86], -v[66:67]
	buffer_store_dword v67, off, s[0:3], 0 offset:76
	buffer_store_dword v66, off, s[0:3], 0 offset:72
	v_cmpx_lt_u32_e32 8, v0
	s_cbranch_execz .LBB31_185
; %bb.184:
	s_clause 0x1
	buffer_load_dword v66, off, s[0:3], 0 offset:64
	buffer_load_dword v67, off, s[0:3], 0 offset:68
	v_mov_b32_e32 v68, 0
	buffer_store_dword v68, off, s[0:3], 0 offset:64
	buffer_store_dword v68, off, s[0:3], 0 offset:68
	s_waitcnt vmcnt(0)
	ds_write_b64 v65, v[66:67]
.LBB31_185:
	s_or_b32 exec_lo, exec_lo, s4
	s_waitcnt lgkmcnt(0)
	s_waitcnt_vscnt null, 0x0
	s_barrier
	buffer_gl0_inv
	s_clause 0x1c
	buffer_load_dword v75, off, s[0:3], 0 offset:72
	buffer_load_dword v76, off, s[0:3], 0 offset:76
	;; [unrolled: 1-line block ×29, first 2 shown]
	v_mov_b32_e32 v66, 0
	buffer_load_dword v100, off, s[0:3], 0 offset:188
	s_mov_b32 s4, exec_lo
	ds_read2_b64 v[67:70], v66 offset0:41 offset1:42
	ds_read2_b64 v[71:74], v66 offset0:43 offset1:44
	s_waitcnt vmcnt(28) lgkmcnt(1)
	v_fma_f64 v[67:68], v[75:76], v[67:68], 0
	s_clause 0x7
	buffer_load_dword v76, off, s[0:3], 0 offset:196
	buffer_load_dword v105, off, s[0:3], 0 offset:216
	;; [unrolled: 1-line block ×8, first 2 shown]
	s_waitcnt vmcnt(34)
	v_fma_f64 v[67:68], v[77:78], v[69:70], v[67:68]
	s_waitcnt vmcnt(32) lgkmcnt(0)
	v_fma_f64 v[67:68], v[79:80], v[71:72], v[67:68]
	s_waitcnt vmcnt(30)
	v_fma_f64 v[77:78], v[81:82], v[73:74], v[67:68]
	ds_read2_b64 v[67:70], v66 offset0:45 offset1:46
	ds_read2_b64 v[71:74], v66 offset0:47 offset1:48
	s_waitcnt vmcnt(28) lgkmcnt(1)
	v_fma_f64 v[67:68], v[83:84], v[67:68], v[77:78]
	s_clause 0x7
	buffer_load_dword v78, off, s[0:3], 0 offset:228
	buffer_load_dword v79, off, s[0:3], 0 offset:248
	;; [unrolled: 1-line block ×8, first 2 shown]
	s_waitcnt vmcnt(34)
	v_fma_f64 v[67:68], v[85:86], v[69:70], v[67:68]
	s_waitcnt vmcnt(32) lgkmcnt(0)
	v_fma_f64 v[67:68], v[87:88], v[71:72], v[67:68]
	s_waitcnt vmcnt(27)
	v_fma_f64 v[85:86], v[89:90], v[73:74], v[67:68]
	ds_read2_b64 v[67:70], v66 offset0:49 offset1:50
	ds_read2_b64 v[71:74], v66 offset0:51 offset1:52
	s_waitcnt vmcnt(26) lgkmcnt(1)
	v_fma_f64 v[67:68], v[95:96], v[67:68], v[85:86]
	s_clause 0x1
	buffer_load_dword v85, off, s[0:3], 0 offset:64
	buffer_load_dword v86, off, s[0:3], 0 offset:68
	s_waitcnt vmcnt(27)
	v_fma_f64 v[67:68], v[93:94], v[69:70], v[67:68]
	s_waitcnt vmcnt(26) lgkmcnt(0)
	v_fma_f64 v[67:68], v[91:92], v[71:72], v[67:68]
	s_waitcnt vmcnt(21)
	v_fma_f64 v[87:88], v[97:98], v[73:74], v[67:68]
	ds_read2_b64 v[67:70], v66 offset0:53 offset1:54
	ds_read2_b64 v[71:74], v66 offset0:55 offset1:56
	s_waitcnt vmcnt(20) lgkmcnt(1)
	v_fma_f64 v[67:68], v[103:104], v[67:68], v[87:88]
	s_waitcnt vmcnt(19)
	v_fma_f64 v[67:68], v[101:102], v[69:70], v[67:68]
	s_waitcnt vmcnt(18) lgkmcnt(0)
	v_fma_f64 v[67:68], v[99:100], v[71:72], v[67:68]
	s_waitcnt vmcnt(13)
	v_fma_f64 v[75:76], v[75:76], v[73:74], v[67:68]
	ds_read2_b64 v[67:70], v66 offset0:57 offset1:58
	ds_read2_b64 v[71:74], v66 offset0:59 offset1:60
	s_waitcnt vmcnt(12) lgkmcnt(1)
	v_fma_f64 v[67:68], v[109:110], v[67:68], v[75:76]
	s_waitcnt vmcnt(11)
	v_fma_f64 v[67:68], v[107:108], v[69:70], v[67:68]
	s_waitcnt vmcnt(10) lgkmcnt(0)
	v_fma_f64 v[67:68], v[105:106], v[71:72], v[67:68]
	s_waitcnt vmcnt(5)
	v_fma_f64 v[71:72], v[77:78], v[73:74], v[67:68]
	ds_read2_b64 v[67:70], v66 offset0:61 offset1:62
	ds_read_b64 v[73:74], v66 offset:504
	s_waitcnt vmcnt(4) lgkmcnt(1)
	v_fma_f64 v[67:68], v[83:84], v[67:68], v[71:72]
	s_waitcnt vmcnt(3)
	v_fma_f64 v[67:68], v[81:82], v[69:70], v[67:68]
	s_waitcnt vmcnt(2) lgkmcnt(0)
	v_fma_f64 v[67:68], v[79:80], v[73:74], v[67:68]
	s_waitcnt vmcnt(0)
	v_add_f64 v[67:68], v[85:86], -v[67:68]
	buffer_store_dword v68, off, s[0:3], 0 offset:68
	buffer_store_dword v67, off, s[0:3], 0 offset:64
	v_cmpx_lt_u32_e32 7, v0
	s_cbranch_execz .LBB31_187
; %bb.186:
	s_clause 0x1
	buffer_load_dword v67, off, s[0:3], 0 offset:56
	buffer_load_dword v68, off, s[0:3], 0 offset:60
	buffer_store_dword v66, off, s[0:3], 0 offset:56
	buffer_store_dword v66, off, s[0:3], 0 offset:60
	s_waitcnt vmcnt(0)
	ds_write_b64 v65, v[67:68]
.LBB31_187:
	s_or_b32 exec_lo, exec_lo, s4
	s_waitcnt lgkmcnt(0)
	s_waitcnt_vscnt null, 0x0
	s_barrier
	buffer_gl0_inv
	s_clause 0x1c
	buffer_load_dword v75, off, s[0:3], 0 offset:64
	buffer_load_dword v76, off, s[0:3], 0 offset:68
	buffer_load_dword v77, off, s[0:3], 0 offset:72
	buffer_load_dword v78, off, s[0:3], 0 offset:76
	buffer_load_dword v79, off, s[0:3], 0 offset:80
	buffer_load_dword v80, off, s[0:3], 0 offset:84
	buffer_load_dword v81, off, s[0:3], 0 offset:88
	buffer_load_dword v82, off, s[0:3], 0 offset:92
	buffer_load_dword v83, off, s[0:3], 0 offset:96
	buffer_load_dword v84, off, s[0:3], 0 offset:100
	buffer_load_dword v85, off, s[0:3], 0 offset:104
	buffer_load_dword v86, off, s[0:3], 0 offset:108
	buffer_load_dword v87, off, s[0:3], 0 offset:112
	buffer_load_dword v88, off, s[0:3], 0 offset:116
	buffer_load_dword v90, off, s[0:3], 0 offset:124
	buffer_load_dword v91, off, s[0:3], 0 offset:144
	buffer_load_dword v93, off, s[0:3], 0 offset:136
	buffer_load_dword v95, off, s[0:3], 0 offset:128
	buffer_load_dword v89, off, s[0:3], 0 offset:120
	buffer_load_dword v96, off, s[0:3], 0 offset:132
	buffer_load_dword v94, off, s[0:3], 0 offset:140
	buffer_load_dword v92, off, s[0:3], 0 offset:148
	buffer_load_dword v98, off, s[0:3], 0 offset:156
	buffer_load_dword v99, off, s[0:3], 0 offset:176
	buffer_load_dword v101, off, s[0:3], 0 offset:168
	buffer_load_dword v103, off, s[0:3], 0 offset:160
	buffer_load_dword v97, off, s[0:3], 0 offset:152
	buffer_load_dword v104, off, s[0:3], 0 offset:164
	buffer_load_dword v102, off, s[0:3], 0 offset:172
	ds_read_b128 v[67:70], v66 offset:320
	ds_read_b128 v[71:74], v66 offset:336
	buffer_load_dword v100, off, s[0:3], 0 offset:180
	s_mov_b32 s4, exec_lo
	s_waitcnt vmcnt(28) lgkmcnt(1)
	v_fma_f64 v[67:68], v[75:76], v[67:68], 0
	s_clause 0x7
	buffer_load_dword v76, off, s[0:3], 0 offset:188
	buffer_load_dword v105, off, s[0:3], 0 offset:208
	;; [unrolled: 1-line block ×8, first 2 shown]
	s_waitcnt vmcnt(34)
	v_fma_f64 v[67:68], v[77:78], v[69:70], v[67:68]
	s_waitcnt vmcnt(32) lgkmcnt(0)
	v_fma_f64 v[67:68], v[79:80], v[71:72], v[67:68]
	s_waitcnt vmcnt(30)
	v_fma_f64 v[77:78], v[81:82], v[73:74], v[67:68]
	ds_read_b128 v[67:70], v66 offset:352
	ds_read_b128 v[71:74], v66 offset:368
	s_waitcnt vmcnt(28) lgkmcnt(1)
	v_fma_f64 v[67:68], v[83:84], v[67:68], v[77:78]
	s_clause 0x7
	buffer_load_dword v78, off, s[0:3], 0 offset:220
	buffer_load_dword v79, off, s[0:3], 0 offset:240
	;; [unrolled: 1-line block ×8, first 2 shown]
	s_waitcnt vmcnt(34)
	v_fma_f64 v[67:68], v[85:86], v[69:70], v[67:68]
	s_waitcnt vmcnt(32) lgkmcnt(0)
	v_fma_f64 v[67:68], v[87:88], v[71:72], v[67:68]
	s_waitcnt vmcnt(27)
	v_fma_f64 v[85:86], v[89:90], v[73:74], v[67:68]
	ds_read_b128 v[67:70], v66 offset:384
	ds_read_b128 v[71:74], v66 offset:400
	s_waitcnt vmcnt(26) lgkmcnt(1)
	v_fma_f64 v[67:68], v[95:96], v[67:68], v[85:86]
	s_clause 0x3
	buffer_load_dword v86, off, s[0:3], 0 offset:252
	buffer_load_dword v85, off, s[0:3], 0 offset:248
	;; [unrolled: 1-line block ×4, first 2 shown]
	s_waitcnt vmcnt(29)
	v_fma_f64 v[67:68], v[93:94], v[69:70], v[67:68]
	s_waitcnt vmcnt(28) lgkmcnt(0)
	v_fma_f64 v[67:68], v[91:92], v[71:72], v[67:68]
	s_waitcnt vmcnt(23)
	v_fma_f64 v[89:90], v[97:98], v[73:74], v[67:68]
	ds_read_b128 v[67:70], v66 offset:416
	ds_read_b128 v[71:74], v66 offset:432
	s_waitcnt vmcnt(22) lgkmcnt(1)
	v_fma_f64 v[67:68], v[103:104], v[67:68], v[89:90]
	s_waitcnt vmcnt(21)
	v_fma_f64 v[67:68], v[101:102], v[69:70], v[67:68]
	s_waitcnt vmcnt(20) lgkmcnt(0)
	v_fma_f64 v[67:68], v[99:100], v[71:72], v[67:68]
	s_waitcnt vmcnt(15)
	v_fma_f64 v[75:76], v[75:76], v[73:74], v[67:68]
	ds_read_b128 v[67:70], v66 offset:448
	ds_read_b128 v[71:74], v66 offset:464
	s_waitcnt vmcnt(14) lgkmcnt(1)
	v_fma_f64 v[67:68], v[109:110], v[67:68], v[75:76]
	s_waitcnt vmcnt(13)
	v_fma_f64 v[67:68], v[107:108], v[69:70], v[67:68]
	s_waitcnt vmcnt(12) lgkmcnt(0)
	v_fma_f64 v[67:68], v[105:106], v[71:72], v[67:68]
	s_waitcnt vmcnt(7)
	v_fma_f64 v[75:76], v[77:78], v[73:74], v[67:68]
	ds_read_b128 v[67:70], v66 offset:480
	ds_read_b128 v[71:74], v66 offset:496
	s_waitcnt vmcnt(6) lgkmcnt(1)
	v_fma_f64 v[66:67], v[83:84], v[67:68], v[75:76]
	s_waitcnt vmcnt(5)
	v_fma_f64 v[66:67], v[81:82], v[69:70], v[66:67]
	s_waitcnt vmcnt(4) lgkmcnt(0)
	v_fma_f64 v[66:67], v[79:80], v[71:72], v[66:67]
	s_waitcnt vmcnt(2)
	v_fma_f64 v[66:67], v[85:86], v[73:74], v[66:67]
	s_waitcnt vmcnt(0)
	v_add_f64 v[66:67], v[87:88], -v[66:67]
	buffer_store_dword v67, off, s[0:3], 0 offset:60
	buffer_store_dword v66, off, s[0:3], 0 offset:56
	v_cmpx_lt_u32_e32 6, v0
	s_cbranch_execz .LBB31_189
; %bb.188:
	s_clause 0x1
	buffer_load_dword v66, off, s[0:3], 0 offset:48
	buffer_load_dword v67, off, s[0:3], 0 offset:52
	v_mov_b32_e32 v68, 0
	buffer_store_dword v68, off, s[0:3], 0 offset:48
	buffer_store_dword v68, off, s[0:3], 0 offset:52
	s_waitcnt vmcnt(0)
	ds_write_b64 v65, v[66:67]
.LBB31_189:
	s_or_b32 exec_lo, exec_lo, s4
	s_waitcnt lgkmcnt(0)
	s_waitcnt_vscnt null, 0x0
	s_barrier
	buffer_gl0_inv
	s_clause 0x1c
	buffer_load_dword v75, off, s[0:3], 0 offset:56
	buffer_load_dword v76, off, s[0:3], 0 offset:60
	;; [unrolled: 1-line block ×29, first 2 shown]
	v_mov_b32_e32 v66, 0
	buffer_load_dword v100, off, s[0:3], 0 offset:172
	s_mov_b32 s4, exec_lo
	ds_read2_b64 v[67:70], v66 offset0:39 offset1:40
	ds_read2_b64 v[71:74], v66 offset0:41 offset1:42
	s_waitcnt vmcnt(28) lgkmcnt(1)
	v_fma_f64 v[67:68], v[75:76], v[67:68], 0
	s_clause 0x7
	buffer_load_dword v76, off, s[0:3], 0 offset:180
	buffer_load_dword v105, off, s[0:3], 0 offset:200
	;; [unrolled: 1-line block ×8, first 2 shown]
	s_waitcnt vmcnt(34)
	v_fma_f64 v[67:68], v[77:78], v[69:70], v[67:68]
	s_waitcnt vmcnt(32) lgkmcnt(0)
	v_fma_f64 v[67:68], v[79:80], v[71:72], v[67:68]
	s_waitcnt vmcnt(30)
	v_fma_f64 v[77:78], v[81:82], v[73:74], v[67:68]
	ds_read2_b64 v[67:70], v66 offset0:43 offset1:44
	ds_read2_b64 v[71:74], v66 offset0:45 offset1:46
	s_waitcnt vmcnt(28) lgkmcnt(1)
	v_fma_f64 v[67:68], v[83:84], v[67:68], v[77:78]
	s_clause 0x7
	buffer_load_dword v78, off, s[0:3], 0 offset:212
	buffer_load_dword v79, off, s[0:3], 0 offset:232
	;; [unrolled: 1-line block ×8, first 2 shown]
	s_waitcnt vmcnt(34)
	v_fma_f64 v[67:68], v[85:86], v[69:70], v[67:68]
	s_waitcnt vmcnt(32) lgkmcnt(0)
	v_fma_f64 v[67:68], v[87:88], v[71:72], v[67:68]
	s_waitcnt vmcnt(27)
	v_fma_f64 v[85:86], v[89:90], v[73:74], v[67:68]
	ds_read2_b64 v[67:70], v66 offset0:47 offset1:48
	ds_read2_b64 v[71:74], v66 offset0:49 offset1:50
	s_waitcnt vmcnt(26) lgkmcnt(1)
	v_fma_f64 v[67:68], v[95:96], v[67:68], v[85:86]
	s_clause 0x5
	buffer_load_dword v86, off, s[0:3], 0 offset:244
	buffer_load_dword v87, off, s[0:3], 0 offset:248
	;; [unrolled: 1-line block ×6, first 2 shown]
	s_waitcnt vmcnt(31)
	v_fma_f64 v[67:68], v[93:94], v[69:70], v[67:68]
	s_waitcnt vmcnt(30) lgkmcnt(0)
	v_fma_f64 v[67:68], v[91:92], v[71:72], v[67:68]
	s_waitcnt vmcnt(25)
	v_fma_f64 v[91:92], v[97:98], v[73:74], v[67:68]
	ds_read2_b64 v[67:70], v66 offset0:51 offset1:52
	ds_read2_b64 v[71:74], v66 offset0:53 offset1:54
	s_waitcnt vmcnt(24) lgkmcnt(1)
	v_fma_f64 v[67:68], v[103:104], v[67:68], v[91:92]
	s_waitcnt vmcnt(23)
	v_fma_f64 v[67:68], v[101:102], v[69:70], v[67:68]
	s_waitcnt vmcnt(22) lgkmcnt(0)
	v_fma_f64 v[67:68], v[99:100], v[71:72], v[67:68]
	s_waitcnt vmcnt(17)
	v_fma_f64 v[75:76], v[75:76], v[73:74], v[67:68]
	ds_read2_b64 v[67:70], v66 offset0:55 offset1:56
	ds_read2_b64 v[71:74], v66 offset0:57 offset1:58
	s_waitcnt vmcnt(16) lgkmcnt(1)
	v_fma_f64 v[67:68], v[109:110], v[67:68], v[75:76]
	;; [unrolled: 10-line block ×3, first 2 shown]
	s_waitcnt vmcnt(7)
	v_fma_f64 v[67:68], v[81:82], v[69:70], v[67:68]
	ds_read_b64 v[69:70], v66 offset:504
	s_waitcnt vmcnt(6) lgkmcnt(1)
	v_fma_f64 v[67:68], v[79:80], v[71:72], v[67:68]
	s_waitcnt vmcnt(3)
	v_fma_f64 v[67:68], v[85:86], v[73:74], v[67:68]
	s_waitcnt vmcnt(2) lgkmcnt(0)
	v_fma_f64 v[67:68], v[87:88], v[69:70], v[67:68]
	s_waitcnt vmcnt(0)
	v_add_f64 v[67:68], v[89:90], -v[67:68]
	buffer_store_dword v68, off, s[0:3], 0 offset:52
	buffer_store_dword v67, off, s[0:3], 0 offset:48
	v_cmpx_lt_u32_e32 5, v0
	s_cbranch_execz .LBB31_191
; %bb.190:
	s_clause 0x1
	buffer_load_dword v67, off, s[0:3], 0 offset:40
	buffer_load_dword v68, off, s[0:3], 0 offset:44
	buffer_store_dword v66, off, s[0:3], 0 offset:40
	buffer_store_dword v66, off, s[0:3], 0 offset:44
	s_waitcnt vmcnt(0)
	ds_write_b64 v65, v[67:68]
.LBB31_191:
	s_or_b32 exec_lo, exec_lo, s4
	s_waitcnt lgkmcnt(0)
	s_waitcnt_vscnt null, 0x0
	s_barrier
	buffer_gl0_inv
	s_clause 0x1c
	buffer_load_dword v75, off, s[0:3], 0 offset:48
	buffer_load_dword v76, off, s[0:3], 0 offset:52
	;; [unrolled: 1-line block ×29, first 2 shown]
	ds_read_b128 v[67:70], v66 offset:304
	ds_read_b128 v[71:74], v66 offset:320
	buffer_load_dword v100, off, s[0:3], 0 offset:164
	s_mov_b32 s4, exec_lo
	s_waitcnt vmcnt(28) lgkmcnt(1)
	v_fma_f64 v[67:68], v[75:76], v[67:68], 0
	s_clause 0x7
	buffer_load_dword v76, off, s[0:3], 0 offset:172
	buffer_load_dword v105, off, s[0:3], 0 offset:192
	;; [unrolled: 1-line block ×8, first 2 shown]
	s_waitcnt vmcnt(34)
	v_fma_f64 v[67:68], v[77:78], v[69:70], v[67:68]
	s_waitcnt vmcnt(32) lgkmcnt(0)
	v_fma_f64 v[67:68], v[79:80], v[71:72], v[67:68]
	s_waitcnt vmcnt(30)
	v_fma_f64 v[77:78], v[81:82], v[73:74], v[67:68]
	ds_read_b128 v[67:70], v66 offset:336
	ds_read_b128 v[71:74], v66 offset:352
	s_waitcnt vmcnt(28) lgkmcnt(1)
	v_fma_f64 v[67:68], v[83:84], v[67:68], v[77:78]
	s_clause 0x7
	buffer_load_dword v78, off, s[0:3], 0 offset:204
	buffer_load_dword v79, off, s[0:3], 0 offset:224
	;; [unrolled: 1-line block ×8, first 2 shown]
	s_waitcnt vmcnt(34)
	v_fma_f64 v[67:68], v[85:86], v[69:70], v[67:68]
	s_waitcnt vmcnt(32) lgkmcnt(0)
	v_fma_f64 v[67:68], v[87:88], v[71:72], v[67:68]
	s_waitcnt vmcnt(27)
	v_fma_f64 v[85:86], v[89:90], v[73:74], v[67:68]
	ds_read_b128 v[67:70], v66 offset:368
	ds_read_b128 v[71:74], v66 offset:384
	s_waitcnt vmcnt(26) lgkmcnt(1)
	v_fma_f64 v[67:68], v[95:96], v[67:68], v[85:86]
	s_clause 0x5
	buffer_load_dword v86, off, s[0:3], 0 offset:236
	buffer_load_dword v87, off, s[0:3], 0 offset:248
	;; [unrolled: 1-line block ×6, first 2 shown]
	s_waitcnt vmcnt(31)
	v_fma_f64 v[67:68], v[93:94], v[69:70], v[67:68]
	s_waitcnt vmcnt(30) lgkmcnt(0)
	v_fma_f64 v[67:68], v[91:92], v[71:72], v[67:68]
	s_waitcnt vmcnt(25)
	v_fma_f64 v[91:92], v[97:98], v[73:74], v[67:68]
	ds_read_b128 v[67:70], v66 offset:400
	s_clause 0x1
	buffer_load_dword v93, off, s[0:3], 0 offset:40
	buffer_load_dword v94, off, s[0:3], 0 offset:44
	ds_read_b128 v[71:74], v66 offset:416
	s_waitcnt vmcnt(26) lgkmcnt(1)
	v_fma_f64 v[67:68], v[103:104], v[67:68], v[91:92]
	s_waitcnt vmcnt(25)
	v_fma_f64 v[67:68], v[101:102], v[69:70], v[67:68]
	s_waitcnt vmcnt(24) lgkmcnt(0)
	v_fma_f64 v[67:68], v[99:100], v[71:72], v[67:68]
	s_waitcnt vmcnt(19)
	v_fma_f64 v[75:76], v[75:76], v[73:74], v[67:68]
	ds_read_b128 v[67:70], v66 offset:432
	ds_read_b128 v[71:74], v66 offset:448
	s_waitcnt vmcnt(18) lgkmcnt(1)
	v_fma_f64 v[67:68], v[109:110], v[67:68], v[75:76]
	s_waitcnt vmcnt(17)
	v_fma_f64 v[67:68], v[107:108], v[69:70], v[67:68]
	s_waitcnt vmcnt(16) lgkmcnt(0)
	v_fma_f64 v[67:68], v[105:106], v[71:72], v[67:68]
	s_waitcnt vmcnt(11)
	v_fma_f64 v[75:76], v[77:78], v[73:74], v[67:68]
	ds_read_b128 v[67:70], v66 offset:464
	;; [unrolled: 10-line block ×3, first 2 shown]
	s_waitcnt vmcnt(3) lgkmcnt(0)
	v_fma_f64 v[66:67], v[89:90], v[66:67], v[70:71]
	s_waitcnt vmcnt(2)
	v_fma_f64 v[66:67], v[87:88], v[68:69], v[66:67]
	s_waitcnt vmcnt(0)
	v_add_f64 v[66:67], v[93:94], -v[66:67]
	buffer_store_dword v67, off, s[0:3], 0 offset:44
	buffer_store_dword v66, off, s[0:3], 0 offset:40
	v_cmpx_lt_u32_e32 4, v0
	s_cbranch_execz .LBB31_193
; %bb.192:
	s_clause 0x1
	buffer_load_dword v66, off, s[0:3], 0 offset:32
	buffer_load_dword v67, off, s[0:3], 0 offset:36
	v_mov_b32_e32 v68, 0
	buffer_store_dword v68, off, s[0:3], 0 offset:32
	buffer_store_dword v68, off, s[0:3], 0 offset:36
	s_waitcnt vmcnt(0)
	ds_write_b64 v65, v[66:67]
.LBB31_193:
	s_or_b32 exec_lo, exec_lo, s4
	s_waitcnt lgkmcnt(0)
	s_waitcnt_vscnt null, 0x0
	s_barrier
	buffer_gl0_inv
	s_clause 0x1c
	buffer_load_dword v75, off, s[0:3], 0 offset:40
	buffer_load_dword v76, off, s[0:3], 0 offset:44
	;; [unrolled: 1-line block ×29, first 2 shown]
	v_mov_b32_e32 v66, 0
	buffer_load_dword v100, off, s[0:3], 0 offset:156
	s_mov_b32 s4, exec_lo
	ds_read2_b64 v[67:70], v66 offset0:37 offset1:38
	ds_read2_b64 v[71:74], v66 offset0:39 offset1:40
	s_waitcnt vmcnt(28) lgkmcnt(1)
	v_fma_f64 v[67:68], v[75:76], v[67:68], 0
	s_clause 0x7
	buffer_load_dword v76, off, s[0:3], 0 offset:164
	buffer_load_dword v105, off, s[0:3], 0 offset:184
	buffer_load_dword v107, off, s[0:3], 0 offset:176
	buffer_load_dword v109, off, s[0:3], 0 offset:168
	buffer_load_dword v75, off, s[0:3], 0 offset:160
	buffer_load_dword v110, off, s[0:3], 0 offset:172
	buffer_load_dword v108, off, s[0:3], 0 offset:180
	buffer_load_dword v106, off, s[0:3], 0 offset:188
	s_waitcnt vmcnt(34)
	v_fma_f64 v[67:68], v[77:78], v[69:70], v[67:68]
	s_waitcnt vmcnt(32) lgkmcnt(0)
	v_fma_f64 v[67:68], v[79:80], v[71:72], v[67:68]
	s_waitcnt vmcnt(30)
	v_fma_f64 v[77:78], v[81:82], v[73:74], v[67:68]
	ds_read2_b64 v[67:70], v66 offset0:41 offset1:42
	ds_read2_b64 v[71:74], v66 offset0:43 offset1:44
	s_waitcnt vmcnt(28) lgkmcnt(1)
	v_fma_f64 v[67:68], v[83:84], v[67:68], v[77:78]
	s_clause 0x7
	buffer_load_dword v78, off, s[0:3], 0 offset:196
	buffer_load_dword v79, off, s[0:3], 0 offset:216
	buffer_load_dword v81, off, s[0:3], 0 offset:208
	buffer_load_dword v83, off, s[0:3], 0 offset:200
	buffer_load_dword v77, off, s[0:3], 0 offset:192
	buffer_load_dword v84, off, s[0:3], 0 offset:204
	buffer_load_dword v82, off, s[0:3], 0 offset:212
	buffer_load_dword v80, off, s[0:3], 0 offset:220
	s_waitcnt vmcnt(34)
	v_fma_f64 v[67:68], v[85:86], v[69:70], v[67:68]
	s_waitcnt vmcnt(32) lgkmcnt(0)
	v_fma_f64 v[67:68], v[87:88], v[71:72], v[67:68]
	s_waitcnt vmcnt(27)
	v_fma_f64 v[85:86], v[89:90], v[73:74], v[67:68]
	;; [unrolled: 19-line block ×3, first 2 shown]
	ds_read2_b64 v[67:70], v66 offset0:49 offset1:50
	ds_read2_b64 v[71:74], v66 offset0:51 offset1:52
	s_waitcnt vmcnt(26) lgkmcnt(1)
	v_fma_f64 v[67:68], v[103:104], v[67:68], v[91:92]
	s_clause 0x1
	buffer_load_dword v91, off, s[0:3], 0 offset:32
	buffer_load_dword v92, off, s[0:3], 0 offset:36
	s_waitcnt vmcnt(27)
	v_fma_f64 v[67:68], v[101:102], v[69:70], v[67:68]
	s_waitcnt vmcnt(26) lgkmcnt(0)
	v_fma_f64 v[67:68], v[99:100], v[71:72], v[67:68]
	s_waitcnt vmcnt(21)
	v_fma_f64 v[75:76], v[75:76], v[73:74], v[67:68]
	ds_read2_b64 v[67:70], v66 offset0:53 offset1:54
	ds_read2_b64 v[71:74], v66 offset0:55 offset1:56
	s_waitcnt vmcnt(20) lgkmcnt(1)
	v_fma_f64 v[67:68], v[109:110], v[67:68], v[75:76]
	s_waitcnt vmcnt(19)
	v_fma_f64 v[67:68], v[107:108], v[69:70], v[67:68]
	s_waitcnt vmcnt(18) lgkmcnt(0)
	v_fma_f64 v[67:68], v[105:106], v[71:72], v[67:68]
	s_waitcnt vmcnt(13)
	v_fma_f64 v[75:76], v[77:78], v[73:74], v[67:68]
	ds_read2_b64 v[67:70], v66 offset0:57 offset1:58
	ds_read2_b64 v[71:74], v66 offset0:59 offset1:60
	s_waitcnt vmcnt(12) lgkmcnt(1)
	v_fma_f64 v[67:68], v[83:84], v[67:68], v[75:76]
	s_waitcnt vmcnt(11)
	v_fma_f64 v[67:68], v[81:82], v[69:70], v[67:68]
	s_waitcnt vmcnt(10) lgkmcnt(0)
	v_fma_f64 v[67:68], v[79:80], v[71:72], v[67:68]
	s_waitcnt vmcnt(5)
	v_fma_f64 v[71:72], v[85:86], v[73:74], v[67:68]
	ds_read2_b64 v[67:70], v66 offset0:61 offset1:62
	ds_read_b64 v[73:74], v66 offset:504
	s_waitcnt vmcnt(4) lgkmcnt(1)
	v_fma_f64 v[67:68], v[95:96], v[67:68], v[71:72]
	s_waitcnt vmcnt(3)
	v_fma_f64 v[67:68], v[89:90], v[69:70], v[67:68]
	s_waitcnt vmcnt(2) lgkmcnt(0)
	v_fma_f64 v[67:68], v[87:88], v[73:74], v[67:68]
	s_waitcnt vmcnt(0)
	v_add_f64 v[67:68], v[91:92], -v[67:68]
	buffer_store_dword v68, off, s[0:3], 0 offset:36
	buffer_store_dword v67, off, s[0:3], 0 offset:32
	v_cmpx_lt_u32_e32 3, v0
	s_cbranch_execz .LBB31_195
; %bb.194:
	s_clause 0x1
	buffer_load_dword v67, off, s[0:3], 0 offset:24
	buffer_load_dword v68, off, s[0:3], 0 offset:28
	buffer_store_dword v66, off, s[0:3], 0 offset:24
	buffer_store_dword v66, off, s[0:3], 0 offset:28
	s_waitcnt vmcnt(0)
	ds_write_b64 v65, v[67:68]
.LBB31_195:
	s_or_b32 exec_lo, exec_lo, s4
	s_waitcnt lgkmcnt(0)
	s_waitcnt_vscnt null, 0x0
	s_barrier
	buffer_gl0_inv
	s_clause 0x1c
	buffer_load_dword v75, off, s[0:3], 0 offset:32
	buffer_load_dword v76, off, s[0:3], 0 offset:36
	;; [unrolled: 1-line block ×29, first 2 shown]
	ds_read_b128 v[67:70], v66 offset:288
	ds_read_b128 v[71:74], v66 offset:304
	buffer_load_dword v100, off, s[0:3], 0 offset:148
	s_mov_b32 s4, exec_lo
	s_waitcnt vmcnt(28) lgkmcnt(1)
	v_fma_f64 v[67:68], v[75:76], v[67:68], 0
	s_clause 0x7
	buffer_load_dword v76, off, s[0:3], 0 offset:156
	buffer_load_dword v105, off, s[0:3], 0 offset:176
	buffer_load_dword v107, off, s[0:3], 0 offset:168
	buffer_load_dword v109, off, s[0:3], 0 offset:160
	buffer_load_dword v75, off, s[0:3], 0 offset:152
	buffer_load_dword v110, off, s[0:3], 0 offset:164
	buffer_load_dword v108, off, s[0:3], 0 offset:172
	buffer_load_dword v106, off, s[0:3], 0 offset:180
	s_waitcnt vmcnt(34)
	v_fma_f64 v[67:68], v[77:78], v[69:70], v[67:68]
	s_waitcnt vmcnt(32) lgkmcnt(0)
	v_fma_f64 v[67:68], v[79:80], v[71:72], v[67:68]
	s_waitcnt vmcnt(30)
	v_fma_f64 v[77:78], v[81:82], v[73:74], v[67:68]
	ds_read_b128 v[67:70], v66 offset:320
	ds_read_b128 v[71:74], v66 offset:336
	s_waitcnt vmcnt(28) lgkmcnt(1)
	v_fma_f64 v[67:68], v[83:84], v[67:68], v[77:78]
	s_clause 0x7
	buffer_load_dword v78, off, s[0:3], 0 offset:188
	buffer_load_dword v79, off, s[0:3], 0 offset:208
	buffer_load_dword v81, off, s[0:3], 0 offset:200
	buffer_load_dword v83, off, s[0:3], 0 offset:192
	buffer_load_dword v77, off, s[0:3], 0 offset:184
	buffer_load_dword v84, off, s[0:3], 0 offset:196
	buffer_load_dword v82, off, s[0:3], 0 offset:204
	buffer_load_dword v80, off, s[0:3], 0 offset:212
	s_waitcnt vmcnt(34)
	v_fma_f64 v[67:68], v[85:86], v[69:70], v[67:68]
	s_waitcnt vmcnt(32) lgkmcnt(0)
	v_fma_f64 v[67:68], v[87:88], v[71:72], v[67:68]
	s_waitcnt vmcnt(27)
	v_fma_f64 v[85:86], v[89:90], v[73:74], v[67:68]
	ds_read_b128 v[67:70], v66 offset:352
	ds_read_b128 v[71:74], v66 offset:368
	;; [unrolled: 19-line block ×3, first 2 shown]
	s_waitcnt vmcnt(26) lgkmcnt(1)
	v_fma_f64 v[67:68], v[103:104], v[67:68], v[91:92]
	s_clause 0x3
	buffer_load_dword v92, off, s[0:3], 0 offset:252
	buffer_load_dword v91, off, s[0:3], 0 offset:248
	buffer_load_dword v93, off, s[0:3], 0 offset:24
	buffer_load_dword v94, off, s[0:3], 0 offset:28
	s_waitcnt vmcnt(29)
	v_fma_f64 v[67:68], v[101:102], v[69:70], v[67:68]
	s_waitcnt vmcnt(28) lgkmcnt(0)
	v_fma_f64 v[67:68], v[99:100], v[71:72], v[67:68]
	s_waitcnt vmcnt(23)
	v_fma_f64 v[75:76], v[75:76], v[73:74], v[67:68]
	ds_read_b128 v[67:70], v66 offset:416
	ds_read_b128 v[71:74], v66 offset:432
	s_waitcnt vmcnt(22) lgkmcnt(1)
	v_fma_f64 v[67:68], v[109:110], v[67:68], v[75:76]
	s_waitcnt vmcnt(21)
	v_fma_f64 v[67:68], v[107:108], v[69:70], v[67:68]
	s_waitcnt vmcnt(20) lgkmcnt(0)
	v_fma_f64 v[67:68], v[105:106], v[71:72], v[67:68]
	s_waitcnt vmcnt(15)
	v_fma_f64 v[75:76], v[77:78], v[73:74], v[67:68]
	ds_read_b128 v[67:70], v66 offset:448
	ds_read_b128 v[71:74], v66 offset:464
	s_waitcnt vmcnt(14) lgkmcnt(1)
	v_fma_f64 v[67:68], v[83:84], v[67:68], v[75:76]
	;; [unrolled: 10-line block ×3, first 2 shown]
	s_waitcnt vmcnt(5)
	v_fma_f64 v[66:67], v[89:90], v[69:70], v[66:67]
	s_waitcnt vmcnt(4) lgkmcnt(0)
	v_fma_f64 v[66:67], v[87:88], v[71:72], v[66:67]
	s_waitcnt vmcnt(2)
	v_fma_f64 v[66:67], v[91:92], v[73:74], v[66:67]
	s_waitcnt vmcnt(0)
	v_add_f64 v[66:67], v[93:94], -v[66:67]
	buffer_store_dword v67, off, s[0:3], 0 offset:28
	buffer_store_dword v66, off, s[0:3], 0 offset:24
	v_cmpx_lt_u32_e32 2, v0
	s_cbranch_execz .LBB31_197
; %bb.196:
	s_clause 0x1
	buffer_load_dword v66, off, s[0:3], 0 offset:16
	buffer_load_dword v67, off, s[0:3], 0 offset:20
	v_mov_b32_e32 v68, 0
	buffer_store_dword v68, off, s[0:3], 0 offset:16
	buffer_store_dword v68, off, s[0:3], 0 offset:20
	s_waitcnt vmcnt(0)
	ds_write_b64 v65, v[66:67]
.LBB31_197:
	s_or_b32 exec_lo, exec_lo, s4
	s_waitcnt lgkmcnt(0)
	s_waitcnt_vscnt null, 0x0
	s_barrier
	buffer_gl0_inv
	s_clause 0x1c
	buffer_load_dword v75, off, s[0:3], 0 offset:24
	buffer_load_dword v76, off, s[0:3], 0 offset:28
	;; [unrolled: 1-line block ×29, first 2 shown]
	v_mov_b32_e32 v66, 0
	buffer_load_dword v100, off, s[0:3], 0 offset:140
	s_mov_b32 s4, exec_lo
	ds_read2_b64 v[67:70], v66 offset0:35 offset1:36
	ds_read2_b64 v[71:74], v66 offset0:37 offset1:38
	s_waitcnt vmcnt(28) lgkmcnt(1)
	v_fma_f64 v[67:68], v[75:76], v[67:68], 0
	s_clause 0x7
	buffer_load_dword v76, off, s[0:3], 0 offset:148
	buffer_load_dword v105, off, s[0:3], 0 offset:168
	buffer_load_dword v107, off, s[0:3], 0 offset:160
	buffer_load_dword v109, off, s[0:3], 0 offset:152
	buffer_load_dword v75, off, s[0:3], 0 offset:144
	buffer_load_dword v110, off, s[0:3], 0 offset:156
	buffer_load_dword v108, off, s[0:3], 0 offset:164
	buffer_load_dword v106, off, s[0:3], 0 offset:172
	s_waitcnt vmcnt(34)
	v_fma_f64 v[67:68], v[77:78], v[69:70], v[67:68]
	s_waitcnt vmcnt(32) lgkmcnt(0)
	v_fma_f64 v[67:68], v[79:80], v[71:72], v[67:68]
	s_waitcnt vmcnt(30)
	v_fma_f64 v[77:78], v[81:82], v[73:74], v[67:68]
	ds_read2_b64 v[67:70], v66 offset0:39 offset1:40
	ds_read2_b64 v[71:74], v66 offset0:41 offset1:42
	s_waitcnt vmcnt(28) lgkmcnt(1)
	v_fma_f64 v[67:68], v[83:84], v[67:68], v[77:78]
	s_clause 0x7
	buffer_load_dword v78, off, s[0:3], 0 offset:180
	buffer_load_dword v79, off, s[0:3], 0 offset:200
	buffer_load_dword v81, off, s[0:3], 0 offset:192
	buffer_load_dword v83, off, s[0:3], 0 offset:184
	buffer_load_dword v77, off, s[0:3], 0 offset:176
	buffer_load_dword v84, off, s[0:3], 0 offset:188
	buffer_load_dword v82, off, s[0:3], 0 offset:196
	buffer_load_dword v80, off, s[0:3], 0 offset:204
	s_waitcnt vmcnt(34)
	v_fma_f64 v[67:68], v[85:86], v[69:70], v[67:68]
	s_waitcnt vmcnt(32) lgkmcnt(0)
	v_fma_f64 v[67:68], v[87:88], v[71:72], v[67:68]
	s_waitcnt vmcnt(27)
	v_fma_f64 v[85:86], v[89:90], v[73:74], v[67:68]
	;; [unrolled: 19-line block ×3, first 2 shown]
	ds_read2_b64 v[67:70], v66 offset0:47 offset1:48
	ds_read2_b64 v[71:74], v66 offset0:49 offset1:50
	s_waitcnt vmcnt(26) lgkmcnt(1)
	v_fma_f64 v[67:68], v[103:104], v[67:68], v[91:92]
	s_clause 0x5
	buffer_load_dword v92, off, s[0:3], 0 offset:244
	buffer_load_dword v93, off, s[0:3], 0 offset:248
	;; [unrolled: 1-line block ×6, first 2 shown]
	s_waitcnt vmcnt(31)
	v_fma_f64 v[67:68], v[101:102], v[69:70], v[67:68]
	s_waitcnt vmcnt(30) lgkmcnt(0)
	v_fma_f64 v[67:68], v[99:100], v[71:72], v[67:68]
	s_waitcnt vmcnt(25)
	v_fma_f64 v[75:76], v[75:76], v[73:74], v[67:68]
	ds_read2_b64 v[67:70], v66 offset0:51 offset1:52
	ds_read2_b64 v[71:74], v66 offset0:53 offset1:54
	s_waitcnt vmcnt(24) lgkmcnt(1)
	v_fma_f64 v[67:68], v[109:110], v[67:68], v[75:76]
	s_waitcnt vmcnt(23)
	v_fma_f64 v[67:68], v[107:108], v[69:70], v[67:68]
	s_waitcnt vmcnt(22) lgkmcnt(0)
	v_fma_f64 v[67:68], v[105:106], v[71:72], v[67:68]
	s_waitcnt vmcnt(17)
	v_fma_f64 v[75:76], v[77:78], v[73:74], v[67:68]
	ds_read2_b64 v[67:70], v66 offset0:55 offset1:56
	ds_read2_b64 v[71:74], v66 offset0:57 offset1:58
	s_waitcnt vmcnt(16) lgkmcnt(1)
	v_fma_f64 v[67:68], v[83:84], v[67:68], v[75:76]
	;; [unrolled: 10-line block ×3, first 2 shown]
	s_waitcnt vmcnt(7)
	v_fma_f64 v[67:68], v[89:90], v[69:70], v[67:68]
	ds_read_b64 v[69:70], v66 offset:504
	s_waitcnt vmcnt(6) lgkmcnt(1)
	v_fma_f64 v[67:68], v[87:88], v[71:72], v[67:68]
	s_waitcnt vmcnt(3)
	v_fma_f64 v[67:68], v[91:92], v[73:74], v[67:68]
	s_waitcnt vmcnt(2) lgkmcnt(0)
	v_fma_f64 v[67:68], v[93:94], v[69:70], v[67:68]
	s_waitcnt vmcnt(0)
	v_add_f64 v[67:68], v[97:98], -v[67:68]
	buffer_store_dword v68, off, s[0:3], 0 offset:20
	buffer_store_dword v67, off, s[0:3], 0 offset:16
	v_cmpx_lt_u32_e32 1, v0
	s_cbranch_execz .LBB31_199
; %bb.198:
	s_clause 0x1
	buffer_load_dword v67, off, s[0:3], 0 offset:8
	buffer_load_dword v68, off, s[0:3], 0 offset:12
	buffer_store_dword v66, off, s[0:3], 0 offset:8
	buffer_store_dword v66, off, s[0:3], 0 offset:12
	s_waitcnt vmcnt(0)
	ds_write_b64 v65, v[67:68]
.LBB31_199:
	s_or_b32 exec_lo, exec_lo, s4
	s_waitcnt lgkmcnt(0)
	s_waitcnt_vscnt null, 0x0
	s_barrier
	buffer_gl0_inv
	s_clause 0x1c
	buffer_load_dword v75, off, s[0:3], 0 offset:16
	buffer_load_dword v76, off, s[0:3], 0 offset:20
	;; [unrolled: 1-line block ×29, first 2 shown]
	ds_read_b128 v[67:70], v66 offset:272
	ds_read_b128 v[71:74], v66 offset:288
	buffer_load_dword v100, off, s[0:3], 0 offset:132
	s_mov_b32 s4, exec_lo
	s_waitcnt vmcnt(28) lgkmcnt(1)
	v_fma_f64 v[67:68], v[75:76], v[67:68], 0
	s_clause 0x7
	buffer_load_dword v76, off, s[0:3], 0 offset:140
	buffer_load_dword v105, off, s[0:3], 0 offset:160
	buffer_load_dword v107, off, s[0:3], 0 offset:152
	buffer_load_dword v109, off, s[0:3], 0 offset:144
	buffer_load_dword v75, off, s[0:3], 0 offset:136
	buffer_load_dword v110, off, s[0:3], 0 offset:148
	buffer_load_dword v108, off, s[0:3], 0 offset:156
	buffer_load_dword v106, off, s[0:3], 0 offset:164
	s_waitcnt vmcnt(34)
	v_fma_f64 v[67:68], v[77:78], v[69:70], v[67:68]
	s_waitcnt vmcnt(32) lgkmcnt(0)
	v_fma_f64 v[67:68], v[79:80], v[71:72], v[67:68]
	s_waitcnt vmcnt(30)
	v_fma_f64 v[77:78], v[81:82], v[73:74], v[67:68]
	ds_read_b128 v[67:70], v66 offset:304
	ds_read_b128 v[71:74], v66 offset:320
	s_waitcnt vmcnt(28) lgkmcnt(1)
	v_fma_f64 v[67:68], v[83:84], v[67:68], v[77:78]
	s_clause 0x7
	buffer_load_dword v78, off, s[0:3], 0 offset:172
	buffer_load_dword v79, off, s[0:3], 0 offset:192
	buffer_load_dword v81, off, s[0:3], 0 offset:184
	buffer_load_dword v83, off, s[0:3], 0 offset:176
	buffer_load_dword v77, off, s[0:3], 0 offset:168
	buffer_load_dword v84, off, s[0:3], 0 offset:180
	buffer_load_dword v82, off, s[0:3], 0 offset:188
	buffer_load_dword v80, off, s[0:3], 0 offset:196
	s_waitcnt vmcnt(34)
	v_fma_f64 v[67:68], v[85:86], v[69:70], v[67:68]
	s_waitcnt vmcnt(32) lgkmcnt(0)
	v_fma_f64 v[67:68], v[87:88], v[71:72], v[67:68]
	s_waitcnt vmcnt(27)
	v_fma_f64 v[85:86], v[89:90], v[73:74], v[67:68]
	ds_read_b128 v[67:70], v66 offset:336
	ds_read_b128 v[71:74], v66 offset:352
	;; [unrolled: 19-line block ×3, first 2 shown]
	s_waitcnt vmcnt(26) lgkmcnt(1)
	v_fma_f64 v[67:68], v[103:104], v[67:68], v[91:92]
	s_clause 0x5
	buffer_load_dword v92, off, s[0:3], 0 offset:236
	buffer_load_dword v93, off, s[0:3], 0 offset:248
	;; [unrolled: 1-line block ×6, first 2 shown]
	s_waitcnt vmcnt(31)
	v_fma_f64 v[67:68], v[101:102], v[69:70], v[67:68]
	s_waitcnt vmcnt(30) lgkmcnt(0)
	v_fma_f64 v[67:68], v[99:100], v[71:72], v[67:68]
	s_waitcnt vmcnt(25)
	v_fma_f64 v[75:76], v[75:76], v[73:74], v[67:68]
	ds_read_b128 v[67:70], v66 offset:400
	s_clause 0x1
	buffer_load_dword v99, off, s[0:3], 0 offset:8
	buffer_load_dword v100, off, s[0:3], 0 offset:12
	ds_read_b128 v[71:74], v66 offset:416
	s_waitcnt vmcnt(26) lgkmcnt(1)
	v_fma_f64 v[67:68], v[109:110], v[67:68], v[75:76]
	s_waitcnt vmcnt(25)
	v_fma_f64 v[67:68], v[107:108], v[69:70], v[67:68]
	s_waitcnt vmcnt(24) lgkmcnt(0)
	v_fma_f64 v[67:68], v[105:106], v[71:72], v[67:68]
	s_waitcnt vmcnt(19)
	v_fma_f64 v[75:76], v[77:78], v[73:74], v[67:68]
	ds_read_b128 v[67:70], v66 offset:432
	ds_read_b128 v[71:74], v66 offset:448
	s_waitcnt vmcnt(18) lgkmcnt(1)
	v_fma_f64 v[67:68], v[83:84], v[67:68], v[75:76]
	s_waitcnt vmcnt(17)
	v_fma_f64 v[67:68], v[81:82], v[69:70], v[67:68]
	s_waitcnt vmcnt(16) lgkmcnt(0)
	v_fma_f64 v[67:68], v[79:80], v[71:72], v[67:68]
	s_waitcnt vmcnt(11)
	v_fma_f64 v[75:76], v[85:86], v[73:74], v[67:68]
	ds_read_b128 v[67:70], v66 offset:464
	;; [unrolled: 10-line block ×3, first 2 shown]
	s_waitcnt vmcnt(3) lgkmcnt(0)
	v_fma_f64 v[66:67], v[97:98], v[66:67], v[70:71]
	s_waitcnt vmcnt(2)
	v_fma_f64 v[66:67], v[93:94], v[68:69], v[66:67]
	s_waitcnt vmcnt(0)
	v_add_f64 v[66:67], v[99:100], -v[66:67]
	buffer_store_dword v67, off, s[0:3], 0 offset:12
	buffer_store_dword v66, off, s[0:3], 0 offset:8
	v_cmpx_ne_u32_e32 0, v0
	s_cbranch_execz .LBB31_201
; %bb.200:
	s_clause 0x1
	buffer_load_dword v66, off, s[0:3], 0
	buffer_load_dword v67, off, s[0:3], 0 offset:4
	v_mov_b32_e32 v0, 0
	buffer_store_dword v0, off, s[0:3], 0
	buffer_store_dword v0, off, s[0:3], 0 offset:4
	s_waitcnt vmcnt(0)
	ds_write_b64 v65, v[66:67]
.LBB31_201:
	s_or_b32 exec_lo, exec_lo, s4
	s_waitcnt lgkmcnt(0)
	s_waitcnt_vscnt null, 0x0
	s_barrier
	buffer_gl0_inv
	s_clause 0x1c
	buffer_load_dword v73, off, s[0:3], 0 offset:8
	buffer_load_dword v74, off, s[0:3], 0 offset:12
	;; [unrolled: 1-line block ×29, first 2 shown]
	v_mov_b32_e32 v0, 0
	buffer_load_dword v98, off, s[0:3], 0 offset:124
	s_and_b32 vcc_lo, exec_lo, s22
	ds_read2_b64 v[65:68], v0 offset0:33 offset1:34
	ds_read2_b64 v[69:72], v0 offset0:35 offset1:36
	s_waitcnt vmcnt(28) lgkmcnt(1)
	v_fma_f64 v[65:66], v[73:74], v[65:66], 0
	s_clause 0x7
	buffer_load_dword v74, off, s[0:3], 0 offset:132
	buffer_load_dword v103, off, s[0:3], 0 offset:152
	buffer_load_dword v105, off, s[0:3], 0 offset:144
	buffer_load_dword v107, off, s[0:3], 0 offset:136
	buffer_load_dword v73, off, s[0:3], 0 offset:128
	buffer_load_dword v108, off, s[0:3], 0 offset:140
	buffer_load_dword v106, off, s[0:3], 0 offset:148
	buffer_load_dword v104, off, s[0:3], 0 offset:156
	s_waitcnt vmcnt(34)
	v_fma_f64 v[65:66], v[75:76], v[67:68], v[65:66]
	s_waitcnt vmcnt(32) lgkmcnt(0)
	v_fma_f64 v[65:66], v[77:78], v[69:70], v[65:66]
	s_waitcnt vmcnt(30)
	v_fma_f64 v[75:76], v[79:80], v[71:72], v[65:66]
	ds_read2_b64 v[65:68], v0 offset0:37 offset1:38
	ds_read2_b64 v[69:72], v0 offset0:39 offset1:40
	s_waitcnt vmcnt(28) lgkmcnt(1)
	v_fma_f64 v[65:66], v[81:82], v[65:66], v[75:76]
	s_clause 0x7
	buffer_load_dword v76, off, s[0:3], 0 offset:164
	buffer_load_dword v77, off, s[0:3], 0 offset:184
	buffer_load_dword v79, off, s[0:3], 0 offset:176
	buffer_load_dword v81, off, s[0:3], 0 offset:168
	buffer_load_dword v75, off, s[0:3], 0 offset:160
	buffer_load_dword v82, off, s[0:3], 0 offset:172
	buffer_load_dword v80, off, s[0:3], 0 offset:180
	buffer_load_dword v78, off, s[0:3], 0 offset:188
	s_waitcnt vmcnt(34)
	v_fma_f64 v[65:66], v[83:84], v[67:68], v[65:66]
	s_waitcnt vmcnt(32) lgkmcnt(0)
	v_fma_f64 v[65:66], v[85:86], v[69:70], v[65:66]
	s_waitcnt vmcnt(27)
	v_fma_f64 v[83:84], v[87:88], v[71:72], v[65:66]
	;; [unrolled: 19-line block ×3, first 2 shown]
	ds_read2_b64 v[65:68], v0 offset0:45 offset1:46
	ds_read2_b64 v[69:72], v0 offset0:47 offset1:48
	s_waitcnt vmcnt(26) lgkmcnt(1)
	v_fma_f64 v[89:90], v[101:102], v[65:66], v[89:90]
	s_clause 0x6
	buffer_load_dword v92, off, s[0:3], 0 offset:228
	buffer_load_dword v95, off, s[0:3], 0 offset:248
	;; [unrolled: 1-line block ×7, first 2 shown]
	s_waitcnt vmcnt(32)
	v_fma_f64 v[66:67], v[99:100], v[67:68], v[89:90]
	s_waitcnt vmcnt(31) lgkmcnt(0)
	v_fma_f64 v[67:68], v[97:98], v[69:70], v[66:67]
	buffer_load_dword v66, off, s[0:3], 0 offset:244
	s_waitcnt vmcnt(27)
	v_fma_f64 v[89:90], v[73:74], v[71:72], v[67:68]
	ds_read2_b64 v[67:70], v0 offset0:49 offset1:50
	ds_read2_b64 v[71:74], v0 offset0:51 offset1:52
	s_waitcnt vmcnt(26) lgkmcnt(1)
	v_fma_f64 v[67:68], v[107:108], v[67:68], v[89:90]
	s_clause 0x1
	buffer_load_dword v89, off, s[0:3], 0
	buffer_load_dword v90, off, s[0:3], 0 offset:4
	s_waitcnt vmcnt(27)
	v_fma_f64 v[67:68], v[105:106], v[69:70], v[67:68]
	s_waitcnt vmcnt(26) lgkmcnt(0)
	v_fma_f64 v[67:68], v[103:104], v[71:72], v[67:68]
	s_waitcnt vmcnt(21)
	v_fma_f64 v[75:76], v[75:76], v[73:74], v[67:68]
	ds_read2_b64 v[67:70], v0 offset0:53 offset1:54
	ds_read2_b64 v[71:74], v0 offset0:55 offset1:56
	s_waitcnt vmcnt(20) lgkmcnt(1)
	v_fma_f64 v[67:68], v[81:82], v[67:68], v[75:76]
	s_waitcnt vmcnt(19)
	v_fma_f64 v[67:68], v[79:80], v[69:70], v[67:68]
	s_waitcnt vmcnt(18) lgkmcnt(0)
	v_fma_f64 v[67:68], v[77:78], v[71:72], v[67:68]
	s_waitcnt vmcnt(13)
	v_fma_f64 v[75:76], v[83:84], v[73:74], v[67:68]
	ds_read2_b64 v[67:70], v0 offset0:57 offset1:58
	ds_read2_b64 v[71:74], v0 offset0:59 offset1:60
	s_waitcnt vmcnt(12) lgkmcnt(1)
	v_fma_f64 v[67:68], v[93:94], v[67:68], v[75:76]
	s_waitcnt vmcnt(11)
	v_fma_f64 v[67:68], v[87:88], v[69:70], v[67:68]
	s_waitcnt vmcnt(10) lgkmcnt(0)
	v_fma_f64 v[67:68], v[85:86], v[71:72], v[67:68]
	s_waitcnt vmcnt(5)
	v_fma_f64 v[71:72], v[91:92], v[73:74], v[67:68]
	ds_read2_b64 v[67:70], v0 offset0:61 offset1:62
	ds_read_b64 v[73:74], v0 offset:504
	s_waitcnt vmcnt(4) lgkmcnt(1)
	v_fma_f64 v[67:68], v[101:102], v[67:68], v[71:72]
	s_waitcnt vmcnt(2)
	v_fma_f64 v[67:68], v[65:66], v[69:70], v[67:68]
	s_waitcnt lgkmcnt(0)
	v_fma_f64 v[67:68], v[95:96], v[73:74], v[67:68]
	s_waitcnt vmcnt(0)
	v_add_f64 v[67:68], v[89:90], -v[67:68]
	buffer_store_dword v68, off, s[0:3], 0 offset:4
	buffer_store_dword v67, off, s[0:3], 0
	s_cbranch_vccz .LBB31_264
; %bb.202:
	global_load_dword v0, v0, s[20:21] offset:120
	s_waitcnt vmcnt(0)
	v_add_nc_u32_e32 v0, -1, v0
	v_cmp_ne_u32_e32 vcc_lo, 30, v0
	s_cbranch_vccz .LBB31_204
; %bb.203:
	v_lshlrev_b32_e32 v0, 3, v0
	s_clause 0x1
	buffer_load_dword v67, v0, s[0:3], 0 offen offset:4
	buffer_load_dword v68, v0, s[0:3], 0 offen
	s_waitcnt vmcnt(1)
	buffer_store_dword v67, off, s[0:3], 0 offset:244
	s_waitcnt vmcnt(0)
	buffer_store_dword v68, off, s[0:3], 0 offset:240
	buffer_store_dword v66, v0, s[0:3], 0 offen offset:4
	buffer_store_dword v65, v0, s[0:3], 0 offen
.LBB31_204:
	v_mov_b32_e32 v0, 0
	global_load_dword v65, v0, s[20:21] offset:116
	s_waitcnt vmcnt(0)
	v_add_nc_u32_e32 v65, -1, v65
	v_cmp_eq_u32_e32 vcc_lo, 29, v65
	s_cbranch_vccnz .LBB31_206
; %bb.205:
	v_lshlrev_b32_e32 v65, 3, v65
	s_clause 0x3
	buffer_load_dword v66, v65, s[0:3], 0 offen
	buffer_load_dword v67, v65, s[0:3], 0 offen offset:4
	buffer_load_dword v68, off, s[0:3], 0 offset:232
	buffer_load_dword v69, off, s[0:3], 0 offset:236
	s_waitcnt vmcnt(3)
	buffer_store_dword v66, off, s[0:3], 0 offset:232
	s_waitcnt vmcnt(2)
	buffer_store_dword v67, off, s[0:3], 0 offset:236
	s_waitcnt vmcnt(1)
	buffer_store_dword v68, v65, s[0:3], 0 offen
	s_waitcnt vmcnt(0)
	buffer_store_dword v69, v65, s[0:3], 0 offen offset:4
.LBB31_206:
	global_load_dword v0, v0, s[20:21] offset:112
	s_waitcnt vmcnt(0)
	v_add_nc_u32_e32 v0, -1, v0
	v_cmp_eq_u32_e32 vcc_lo, 28, v0
	s_cbranch_vccnz .LBB31_208
; %bb.207:
	v_lshlrev_b32_e32 v0, 3, v0
	s_clause 0x3
	buffer_load_dword v65, v0, s[0:3], 0 offen
	buffer_load_dword v66, v0, s[0:3], 0 offen offset:4
	buffer_load_dword v67, off, s[0:3], 0 offset:228
	buffer_load_dword v68, off, s[0:3], 0 offset:224
	s_waitcnt vmcnt(3)
	buffer_store_dword v65, off, s[0:3], 0 offset:224
	s_waitcnt vmcnt(2)
	buffer_store_dword v66, off, s[0:3], 0 offset:228
	s_waitcnt vmcnt(1)
	buffer_store_dword v67, v0, s[0:3], 0 offen offset:4
	s_waitcnt vmcnt(0)
	buffer_store_dword v68, v0, s[0:3], 0 offen
.LBB31_208:
	v_mov_b32_e32 v0, 0
	global_load_dword v65, v0, s[20:21] offset:108
	s_waitcnt vmcnt(0)
	v_add_nc_u32_e32 v65, -1, v65
	v_cmp_eq_u32_e32 vcc_lo, 27, v65
	s_cbranch_vccnz .LBB31_210
; %bb.209:
	v_lshlrev_b32_e32 v65, 3, v65
	s_clause 0x3
	buffer_load_dword v66, v65, s[0:3], 0 offen
	buffer_load_dword v67, v65, s[0:3], 0 offen offset:4
	buffer_load_dword v68, off, s[0:3], 0 offset:216
	buffer_load_dword v69, off, s[0:3], 0 offset:220
	s_waitcnt vmcnt(3)
	buffer_store_dword v66, off, s[0:3], 0 offset:216
	s_waitcnt vmcnt(2)
	buffer_store_dword v67, off, s[0:3], 0 offset:220
	s_waitcnt vmcnt(1)
	buffer_store_dword v68, v65, s[0:3], 0 offen
	s_waitcnt vmcnt(0)
	buffer_store_dword v69, v65, s[0:3], 0 offen offset:4
.LBB31_210:
	global_load_dword v0, v0, s[20:21] offset:104
	s_waitcnt vmcnt(0)
	v_add_nc_u32_e32 v0, -1, v0
	v_cmp_eq_u32_e32 vcc_lo, 26, v0
	s_cbranch_vccnz .LBB31_212
; %bb.211:
	v_lshlrev_b32_e32 v0, 3, v0
	s_clause 0x3
	buffer_load_dword v65, v0, s[0:3], 0 offen
	buffer_load_dword v66, v0, s[0:3], 0 offen offset:4
	buffer_load_dword v67, off, s[0:3], 0 offset:212
	buffer_load_dword v68, off, s[0:3], 0 offset:208
	s_waitcnt vmcnt(3)
	buffer_store_dword v65, off, s[0:3], 0 offset:208
	s_waitcnt vmcnt(2)
	buffer_store_dword v66, off, s[0:3], 0 offset:212
	s_waitcnt vmcnt(1)
	buffer_store_dword v67, v0, s[0:3], 0 offen offset:4
	s_waitcnt vmcnt(0)
	buffer_store_dword v68, v0, s[0:3], 0 offen
.LBB31_212:
	v_mov_b32_e32 v0, 0
	global_load_dword v65, v0, s[20:21] offset:100
	s_waitcnt vmcnt(0)
	v_add_nc_u32_e32 v65, -1, v65
	v_cmp_eq_u32_e32 vcc_lo, 25, v65
	s_cbranch_vccnz .LBB31_214
; %bb.213:
	v_lshlrev_b32_e32 v65, 3, v65
	s_clause 0x3
	buffer_load_dword v66, v65, s[0:3], 0 offen
	buffer_load_dword v67, v65, s[0:3], 0 offen offset:4
	buffer_load_dword v68, off, s[0:3], 0 offset:200
	buffer_load_dword v69, off, s[0:3], 0 offset:204
	s_waitcnt vmcnt(3)
	buffer_store_dword v66, off, s[0:3], 0 offset:200
	s_waitcnt vmcnt(2)
	buffer_store_dword v67, off, s[0:3], 0 offset:204
	s_waitcnt vmcnt(1)
	buffer_store_dword v68, v65, s[0:3], 0 offen
	s_waitcnt vmcnt(0)
	buffer_store_dword v69, v65, s[0:3], 0 offen offset:4
.LBB31_214:
	global_load_dword v0, v0, s[20:21] offset:96
	s_waitcnt vmcnt(0)
	v_add_nc_u32_e32 v0, -1, v0
	v_cmp_eq_u32_e32 vcc_lo, 24, v0
	s_cbranch_vccnz .LBB31_216
; %bb.215:
	v_lshlrev_b32_e32 v0, 3, v0
	s_clause 0x3
	buffer_load_dword v65, v0, s[0:3], 0 offen
	buffer_load_dword v66, v0, s[0:3], 0 offen offset:4
	buffer_load_dword v67, off, s[0:3], 0 offset:196
	buffer_load_dword v68, off, s[0:3], 0 offset:192
	s_waitcnt vmcnt(3)
	buffer_store_dword v65, off, s[0:3], 0 offset:192
	s_waitcnt vmcnt(2)
	buffer_store_dword v66, off, s[0:3], 0 offset:196
	s_waitcnt vmcnt(1)
	buffer_store_dword v67, v0, s[0:3], 0 offen offset:4
	s_waitcnt vmcnt(0)
	buffer_store_dword v68, v0, s[0:3], 0 offen
.LBB31_216:
	v_mov_b32_e32 v0, 0
	global_load_dword v65, v0, s[20:21] offset:92
	s_waitcnt vmcnt(0)
	v_add_nc_u32_e32 v65, -1, v65
	v_cmp_eq_u32_e32 vcc_lo, 23, v65
	s_cbranch_vccnz .LBB31_218
; %bb.217:
	v_lshlrev_b32_e32 v65, 3, v65
	s_clause 0x3
	buffer_load_dword v66, v65, s[0:3], 0 offen
	buffer_load_dword v67, v65, s[0:3], 0 offen offset:4
	buffer_load_dword v68, off, s[0:3], 0 offset:184
	buffer_load_dword v69, off, s[0:3], 0 offset:188
	s_waitcnt vmcnt(3)
	buffer_store_dword v66, off, s[0:3], 0 offset:184
	s_waitcnt vmcnt(2)
	buffer_store_dword v67, off, s[0:3], 0 offset:188
	s_waitcnt vmcnt(1)
	buffer_store_dword v68, v65, s[0:3], 0 offen
	s_waitcnt vmcnt(0)
	buffer_store_dword v69, v65, s[0:3], 0 offen offset:4
.LBB31_218:
	global_load_dword v0, v0, s[20:21] offset:88
	s_waitcnt vmcnt(0)
	v_add_nc_u32_e32 v0, -1, v0
	v_cmp_eq_u32_e32 vcc_lo, 22, v0
	s_cbranch_vccnz .LBB31_220
; %bb.219:
	v_lshlrev_b32_e32 v0, 3, v0
	s_clause 0x3
	buffer_load_dword v65, v0, s[0:3], 0 offen
	buffer_load_dword v66, v0, s[0:3], 0 offen offset:4
	buffer_load_dword v67, off, s[0:3], 0 offset:180
	buffer_load_dword v68, off, s[0:3], 0 offset:176
	s_waitcnt vmcnt(3)
	buffer_store_dword v65, off, s[0:3], 0 offset:176
	s_waitcnt vmcnt(2)
	buffer_store_dword v66, off, s[0:3], 0 offset:180
	s_waitcnt vmcnt(1)
	buffer_store_dword v67, v0, s[0:3], 0 offen offset:4
	s_waitcnt vmcnt(0)
	buffer_store_dword v68, v0, s[0:3], 0 offen
.LBB31_220:
	v_mov_b32_e32 v0, 0
	global_load_dword v65, v0, s[20:21] offset:84
	s_waitcnt vmcnt(0)
	v_add_nc_u32_e32 v65, -1, v65
	v_cmp_eq_u32_e32 vcc_lo, 21, v65
	s_cbranch_vccnz .LBB31_222
; %bb.221:
	v_lshlrev_b32_e32 v65, 3, v65
	s_clause 0x3
	buffer_load_dword v66, v65, s[0:3], 0 offen
	buffer_load_dword v67, v65, s[0:3], 0 offen offset:4
	buffer_load_dword v68, off, s[0:3], 0 offset:168
	buffer_load_dword v69, off, s[0:3], 0 offset:172
	s_waitcnt vmcnt(3)
	buffer_store_dword v66, off, s[0:3], 0 offset:168
	s_waitcnt vmcnt(2)
	buffer_store_dword v67, off, s[0:3], 0 offset:172
	s_waitcnt vmcnt(1)
	buffer_store_dword v68, v65, s[0:3], 0 offen
	s_waitcnt vmcnt(0)
	buffer_store_dword v69, v65, s[0:3], 0 offen offset:4
.LBB31_222:
	global_load_dword v0, v0, s[20:21] offset:80
	s_waitcnt vmcnt(0)
	v_add_nc_u32_e32 v0, -1, v0
	v_cmp_eq_u32_e32 vcc_lo, 20, v0
	s_cbranch_vccnz .LBB31_224
; %bb.223:
	v_lshlrev_b32_e32 v0, 3, v0
	s_clause 0x3
	buffer_load_dword v65, v0, s[0:3], 0 offen
	buffer_load_dword v66, v0, s[0:3], 0 offen offset:4
	buffer_load_dword v67, off, s[0:3], 0 offset:164
	buffer_load_dword v68, off, s[0:3], 0 offset:160
	s_waitcnt vmcnt(3)
	buffer_store_dword v65, off, s[0:3], 0 offset:160
	s_waitcnt vmcnt(2)
	buffer_store_dword v66, off, s[0:3], 0 offset:164
	s_waitcnt vmcnt(1)
	buffer_store_dword v67, v0, s[0:3], 0 offen offset:4
	s_waitcnt vmcnt(0)
	buffer_store_dword v68, v0, s[0:3], 0 offen
.LBB31_224:
	v_mov_b32_e32 v0, 0
	global_load_dword v65, v0, s[20:21] offset:76
	s_waitcnt vmcnt(0)
	v_add_nc_u32_e32 v65, -1, v65
	v_cmp_eq_u32_e32 vcc_lo, 19, v65
	s_cbranch_vccnz .LBB31_226
; %bb.225:
	v_lshlrev_b32_e32 v65, 3, v65
	s_clause 0x3
	buffer_load_dword v66, v65, s[0:3], 0 offen
	buffer_load_dword v67, v65, s[0:3], 0 offen offset:4
	buffer_load_dword v68, off, s[0:3], 0 offset:152
	buffer_load_dword v69, off, s[0:3], 0 offset:156
	s_waitcnt vmcnt(3)
	buffer_store_dword v66, off, s[0:3], 0 offset:152
	s_waitcnt vmcnt(2)
	buffer_store_dword v67, off, s[0:3], 0 offset:156
	s_waitcnt vmcnt(1)
	buffer_store_dword v68, v65, s[0:3], 0 offen
	s_waitcnt vmcnt(0)
	buffer_store_dword v69, v65, s[0:3], 0 offen offset:4
.LBB31_226:
	global_load_dword v0, v0, s[20:21] offset:72
	s_waitcnt vmcnt(0)
	v_add_nc_u32_e32 v0, -1, v0
	v_cmp_eq_u32_e32 vcc_lo, 18, v0
	s_cbranch_vccnz .LBB31_228
; %bb.227:
	v_lshlrev_b32_e32 v0, 3, v0
	s_clause 0x3
	buffer_load_dword v65, v0, s[0:3], 0 offen
	buffer_load_dword v66, v0, s[0:3], 0 offen offset:4
	buffer_load_dword v67, off, s[0:3], 0 offset:148
	buffer_load_dword v68, off, s[0:3], 0 offset:144
	s_waitcnt vmcnt(3)
	buffer_store_dword v65, off, s[0:3], 0 offset:144
	s_waitcnt vmcnt(2)
	buffer_store_dword v66, off, s[0:3], 0 offset:148
	s_waitcnt vmcnt(1)
	buffer_store_dword v67, v0, s[0:3], 0 offen offset:4
	s_waitcnt vmcnt(0)
	buffer_store_dword v68, v0, s[0:3], 0 offen
.LBB31_228:
	v_mov_b32_e32 v0, 0
	global_load_dword v65, v0, s[20:21] offset:68
	s_waitcnt vmcnt(0)
	v_add_nc_u32_e32 v65, -1, v65
	v_cmp_eq_u32_e32 vcc_lo, 17, v65
	s_cbranch_vccnz .LBB31_230
; %bb.229:
	v_lshlrev_b32_e32 v65, 3, v65
	s_clause 0x3
	buffer_load_dword v66, v65, s[0:3], 0 offen
	buffer_load_dword v67, v65, s[0:3], 0 offen offset:4
	buffer_load_dword v68, off, s[0:3], 0 offset:136
	buffer_load_dword v69, off, s[0:3], 0 offset:140
	s_waitcnt vmcnt(3)
	buffer_store_dword v66, off, s[0:3], 0 offset:136
	s_waitcnt vmcnt(2)
	buffer_store_dword v67, off, s[0:3], 0 offset:140
	s_waitcnt vmcnt(1)
	buffer_store_dword v68, v65, s[0:3], 0 offen
	s_waitcnt vmcnt(0)
	buffer_store_dword v69, v65, s[0:3], 0 offen offset:4
.LBB31_230:
	global_load_dword v0, v0, s[20:21] offset:64
	s_waitcnt vmcnt(0)
	v_add_nc_u32_e32 v0, -1, v0
	v_cmp_eq_u32_e32 vcc_lo, 16, v0
	s_cbranch_vccnz .LBB31_232
; %bb.231:
	v_lshlrev_b32_e32 v0, 3, v0
	s_clause 0x3
	buffer_load_dword v65, v0, s[0:3], 0 offen
	buffer_load_dword v66, v0, s[0:3], 0 offen offset:4
	buffer_load_dword v67, off, s[0:3], 0 offset:132
	buffer_load_dword v68, off, s[0:3], 0 offset:128
	s_waitcnt vmcnt(3)
	buffer_store_dword v65, off, s[0:3], 0 offset:128
	s_waitcnt vmcnt(2)
	buffer_store_dword v66, off, s[0:3], 0 offset:132
	s_waitcnt vmcnt(1)
	buffer_store_dword v67, v0, s[0:3], 0 offen offset:4
	s_waitcnt vmcnt(0)
	buffer_store_dword v68, v0, s[0:3], 0 offen
.LBB31_232:
	v_mov_b32_e32 v0, 0
	global_load_dword v65, v0, s[20:21] offset:60
	s_waitcnt vmcnt(0)
	v_add_nc_u32_e32 v65, -1, v65
	v_cmp_eq_u32_e32 vcc_lo, 15, v65
	s_cbranch_vccnz .LBB31_234
; %bb.233:
	v_lshlrev_b32_e32 v65, 3, v65
	s_clause 0x3
	buffer_load_dword v66, v65, s[0:3], 0 offen
	buffer_load_dword v67, v65, s[0:3], 0 offen offset:4
	buffer_load_dword v68, off, s[0:3], 0 offset:120
	buffer_load_dword v69, off, s[0:3], 0 offset:124
	s_waitcnt vmcnt(3)
	buffer_store_dword v66, off, s[0:3], 0 offset:120
	s_waitcnt vmcnt(2)
	buffer_store_dword v67, off, s[0:3], 0 offset:124
	s_waitcnt vmcnt(1)
	buffer_store_dword v68, v65, s[0:3], 0 offen
	s_waitcnt vmcnt(0)
	buffer_store_dword v69, v65, s[0:3], 0 offen offset:4
.LBB31_234:
	global_load_dword v0, v0, s[20:21] offset:56
	s_waitcnt vmcnt(0)
	v_add_nc_u32_e32 v0, -1, v0
	v_cmp_eq_u32_e32 vcc_lo, 14, v0
	s_cbranch_vccnz .LBB31_236
; %bb.235:
	v_lshlrev_b32_e32 v0, 3, v0
	s_clause 0x3
	buffer_load_dword v65, v0, s[0:3], 0 offen
	buffer_load_dword v66, v0, s[0:3], 0 offen offset:4
	buffer_load_dword v67, off, s[0:3], 0 offset:116
	buffer_load_dword v68, off, s[0:3], 0 offset:112
	s_waitcnt vmcnt(3)
	buffer_store_dword v65, off, s[0:3], 0 offset:112
	s_waitcnt vmcnt(2)
	buffer_store_dword v66, off, s[0:3], 0 offset:116
	s_waitcnt vmcnt(1)
	buffer_store_dword v67, v0, s[0:3], 0 offen offset:4
	s_waitcnt vmcnt(0)
	buffer_store_dword v68, v0, s[0:3], 0 offen
.LBB31_236:
	v_mov_b32_e32 v0, 0
	global_load_dword v65, v0, s[20:21] offset:52
	s_waitcnt vmcnt(0)
	v_add_nc_u32_e32 v65, -1, v65
	v_cmp_eq_u32_e32 vcc_lo, 13, v65
	s_cbranch_vccnz .LBB31_238
; %bb.237:
	v_lshlrev_b32_e32 v65, 3, v65
	s_clause 0x3
	buffer_load_dword v66, v65, s[0:3], 0 offen
	buffer_load_dword v67, v65, s[0:3], 0 offen offset:4
	buffer_load_dword v68, off, s[0:3], 0 offset:104
	buffer_load_dword v69, off, s[0:3], 0 offset:108
	s_waitcnt vmcnt(3)
	buffer_store_dword v66, off, s[0:3], 0 offset:104
	s_waitcnt vmcnt(2)
	buffer_store_dword v67, off, s[0:3], 0 offset:108
	s_waitcnt vmcnt(1)
	buffer_store_dword v68, v65, s[0:3], 0 offen
	s_waitcnt vmcnt(0)
	buffer_store_dword v69, v65, s[0:3], 0 offen offset:4
.LBB31_238:
	global_load_dword v0, v0, s[20:21] offset:48
	s_waitcnt vmcnt(0)
	v_add_nc_u32_e32 v0, -1, v0
	v_cmp_eq_u32_e32 vcc_lo, 12, v0
	s_cbranch_vccnz .LBB31_240
; %bb.239:
	v_lshlrev_b32_e32 v0, 3, v0
	s_clause 0x3
	buffer_load_dword v65, v0, s[0:3], 0 offen
	buffer_load_dword v66, v0, s[0:3], 0 offen offset:4
	buffer_load_dword v67, off, s[0:3], 0 offset:100
	buffer_load_dword v68, off, s[0:3], 0 offset:96
	s_waitcnt vmcnt(3)
	buffer_store_dword v65, off, s[0:3], 0 offset:96
	s_waitcnt vmcnt(2)
	buffer_store_dword v66, off, s[0:3], 0 offset:100
	s_waitcnt vmcnt(1)
	buffer_store_dword v67, v0, s[0:3], 0 offen offset:4
	s_waitcnt vmcnt(0)
	buffer_store_dword v68, v0, s[0:3], 0 offen
.LBB31_240:
	v_mov_b32_e32 v0, 0
	global_load_dword v65, v0, s[20:21] offset:44
	s_waitcnt vmcnt(0)
	v_add_nc_u32_e32 v65, -1, v65
	v_cmp_eq_u32_e32 vcc_lo, 11, v65
	s_cbranch_vccnz .LBB31_242
; %bb.241:
	v_lshlrev_b32_e32 v65, 3, v65
	s_clause 0x3
	buffer_load_dword v66, v65, s[0:3], 0 offen
	buffer_load_dword v67, v65, s[0:3], 0 offen offset:4
	buffer_load_dword v68, off, s[0:3], 0 offset:88
	buffer_load_dword v69, off, s[0:3], 0 offset:92
	s_waitcnt vmcnt(3)
	buffer_store_dword v66, off, s[0:3], 0 offset:88
	s_waitcnt vmcnt(2)
	buffer_store_dword v67, off, s[0:3], 0 offset:92
	s_waitcnt vmcnt(1)
	buffer_store_dword v68, v65, s[0:3], 0 offen
	s_waitcnt vmcnt(0)
	buffer_store_dword v69, v65, s[0:3], 0 offen offset:4
.LBB31_242:
	global_load_dword v0, v0, s[20:21] offset:40
	s_waitcnt vmcnt(0)
	v_add_nc_u32_e32 v0, -1, v0
	v_cmp_eq_u32_e32 vcc_lo, 10, v0
	s_cbranch_vccnz .LBB31_244
; %bb.243:
	v_lshlrev_b32_e32 v0, 3, v0
	s_clause 0x3
	buffer_load_dword v65, v0, s[0:3], 0 offen
	buffer_load_dword v66, v0, s[0:3], 0 offen offset:4
	buffer_load_dword v67, off, s[0:3], 0 offset:84
	buffer_load_dword v68, off, s[0:3], 0 offset:80
	s_waitcnt vmcnt(3)
	buffer_store_dword v65, off, s[0:3], 0 offset:80
	s_waitcnt vmcnt(2)
	buffer_store_dword v66, off, s[0:3], 0 offset:84
	s_waitcnt vmcnt(1)
	buffer_store_dword v67, v0, s[0:3], 0 offen offset:4
	s_waitcnt vmcnt(0)
	buffer_store_dword v68, v0, s[0:3], 0 offen
.LBB31_244:
	v_mov_b32_e32 v0, 0
	global_load_dword v65, v0, s[20:21] offset:36
	s_waitcnt vmcnt(0)
	v_add_nc_u32_e32 v65, -1, v65
	v_cmp_eq_u32_e32 vcc_lo, 9, v65
	s_cbranch_vccnz .LBB31_246
; %bb.245:
	v_lshlrev_b32_e32 v65, 3, v65
	s_clause 0x3
	buffer_load_dword v66, v65, s[0:3], 0 offen
	buffer_load_dword v67, v65, s[0:3], 0 offen offset:4
	buffer_load_dword v68, off, s[0:3], 0 offset:72
	buffer_load_dword v69, off, s[0:3], 0 offset:76
	s_waitcnt vmcnt(3)
	buffer_store_dword v66, off, s[0:3], 0 offset:72
	s_waitcnt vmcnt(2)
	buffer_store_dword v67, off, s[0:3], 0 offset:76
	s_waitcnt vmcnt(1)
	buffer_store_dword v68, v65, s[0:3], 0 offen
	s_waitcnt vmcnt(0)
	buffer_store_dword v69, v65, s[0:3], 0 offen offset:4
.LBB31_246:
	global_load_dword v0, v0, s[20:21] offset:32
	s_waitcnt vmcnt(0)
	v_add_nc_u32_e32 v0, -1, v0
	v_cmp_eq_u32_e32 vcc_lo, 8, v0
	s_cbranch_vccnz .LBB31_248
; %bb.247:
	v_lshlrev_b32_e32 v0, 3, v0
	s_clause 0x3
	buffer_load_dword v65, v0, s[0:3], 0 offen
	buffer_load_dword v66, v0, s[0:3], 0 offen offset:4
	buffer_load_dword v67, off, s[0:3], 0 offset:68
	buffer_load_dword v68, off, s[0:3], 0 offset:64
	s_waitcnt vmcnt(3)
	buffer_store_dword v65, off, s[0:3], 0 offset:64
	s_waitcnt vmcnt(2)
	buffer_store_dword v66, off, s[0:3], 0 offset:68
	s_waitcnt vmcnt(1)
	buffer_store_dword v67, v0, s[0:3], 0 offen offset:4
	s_waitcnt vmcnt(0)
	buffer_store_dword v68, v0, s[0:3], 0 offen
.LBB31_248:
	v_mov_b32_e32 v0, 0
	global_load_dword v65, v0, s[20:21] offset:28
	s_waitcnt vmcnt(0)
	v_add_nc_u32_e32 v65, -1, v65
	v_cmp_eq_u32_e32 vcc_lo, 7, v65
	s_cbranch_vccnz .LBB31_250
; %bb.249:
	v_lshlrev_b32_e32 v65, 3, v65
	s_clause 0x3
	buffer_load_dword v66, v65, s[0:3], 0 offen
	buffer_load_dword v67, v65, s[0:3], 0 offen offset:4
	buffer_load_dword v68, off, s[0:3], 0 offset:56
	buffer_load_dword v69, off, s[0:3], 0 offset:60
	s_waitcnt vmcnt(3)
	buffer_store_dword v66, off, s[0:3], 0 offset:56
	s_waitcnt vmcnt(2)
	buffer_store_dword v67, off, s[0:3], 0 offset:60
	s_waitcnt vmcnt(1)
	buffer_store_dword v68, v65, s[0:3], 0 offen
	s_waitcnt vmcnt(0)
	buffer_store_dword v69, v65, s[0:3], 0 offen offset:4
.LBB31_250:
	global_load_dword v0, v0, s[20:21] offset:24
	s_waitcnt vmcnt(0)
	v_add_nc_u32_e32 v0, -1, v0
	v_cmp_eq_u32_e32 vcc_lo, 6, v0
	s_cbranch_vccnz .LBB31_252
; %bb.251:
	v_lshlrev_b32_e32 v0, 3, v0
	s_clause 0x3
	buffer_load_dword v65, v0, s[0:3], 0 offen
	buffer_load_dword v66, v0, s[0:3], 0 offen offset:4
	buffer_load_dword v67, off, s[0:3], 0 offset:52
	buffer_load_dword v68, off, s[0:3], 0 offset:48
	s_waitcnt vmcnt(3)
	buffer_store_dword v65, off, s[0:3], 0 offset:48
	s_waitcnt vmcnt(2)
	buffer_store_dword v66, off, s[0:3], 0 offset:52
	s_waitcnt vmcnt(1)
	buffer_store_dword v67, v0, s[0:3], 0 offen offset:4
	s_waitcnt vmcnt(0)
	buffer_store_dword v68, v0, s[0:3], 0 offen
.LBB31_252:
	v_mov_b32_e32 v0, 0
	global_load_dword v65, v0, s[20:21] offset:20
	s_waitcnt vmcnt(0)
	v_add_nc_u32_e32 v65, -1, v65
	v_cmp_eq_u32_e32 vcc_lo, 5, v65
	s_cbranch_vccnz .LBB31_254
; %bb.253:
	v_lshlrev_b32_e32 v65, 3, v65
	s_clause 0x3
	buffer_load_dword v66, v65, s[0:3], 0 offen
	buffer_load_dword v67, v65, s[0:3], 0 offen offset:4
	buffer_load_dword v68, off, s[0:3], 0 offset:40
	buffer_load_dword v69, off, s[0:3], 0 offset:44
	s_waitcnt vmcnt(3)
	buffer_store_dword v66, off, s[0:3], 0 offset:40
	s_waitcnt vmcnt(2)
	buffer_store_dword v67, off, s[0:3], 0 offset:44
	s_waitcnt vmcnt(1)
	buffer_store_dword v68, v65, s[0:3], 0 offen
	s_waitcnt vmcnt(0)
	buffer_store_dword v69, v65, s[0:3], 0 offen offset:4
.LBB31_254:
	global_load_dword v0, v0, s[20:21] offset:16
	s_waitcnt vmcnt(0)
	v_add_nc_u32_e32 v0, -1, v0
	v_cmp_eq_u32_e32 vcc_lo, 4, v0
	s_cbranch_vccnz .LBB31_256
; %bb.255:
	v_lshlrev_b32_e32 v0, 3, v0
	s_clause 0x3
	buffer_load_dword v65, v0, s[0:3], 0 offen
	buffer_load_dword v66, v0, s[0:3], 0 offen offset:4
	buffer_load_dword v67, off, s[0:3], 0 offset:36
	buffer_load_dword v68, off, s[0:3], 0 offset:32
	s_waitcnt vmcnt(3)
	buffer_store_dword v65, off, s[0:3], 0 offset:32
	s_waitcnt vmcnt(2)
	buffer_store_dword v66, off, s[0:3], 0 offset:36
	s_waitcnt vmcnt(1)
	buffer_store_dword v67, v0, s[0:3], 0 offen offset:4
	s_waitcnt vmcnt(0)
	buffer_store_dword v68, v0, s[0:3], 0 offen
.LBB31_256:
	v_mov_b32_e32 v0, 0
	global_load_dword v65, v0, s[20:21] offset:12
	s_waitcnt vmcnt(0)
	v_add_nc_u32_e32 v65, -1, v65
	v_cmp_eq_u32_e32 vcc_lo, 3, v65
	s_cbranch_vccnz .LBB31_258
; %bb.257:
	v_lshlrev_b32_e32 v65, 3, v65
	s_clause 0x3
	buffer_load_dword v66, v65, s[0:3], 0 offen
	buffer_load_dword v67, v65, s[0:3], 0 offen offset:4
	buffer_load_dword v68, off, s[0:3], 0 offset:24
	buffer_load_dword v69, off, s[0:3], 0 offset:28
	s_waitcnt vmcnt(3)
	buffer_store_dword v66, off, s[0:3], 0 offset:24
	s_waitcnt vmcnt(2)
	buffer_store_dword v67, off, s[0:3], 0 offset:28
	s_waitcnt vmcnt(1)
	buffer_store_dword v68, v65, s[0:3], 0 offen
	s_waitcnt vmcnt(0)
	buffer_store_dword v69, v65, s[0:3], 0 offen offset:4
.LBB31_258:
	global_load_dword v0, v0, s[20:21] offset:8
	s_waitcnt vmcnt(0)
	v_add_nc_u32_e32 v0, -1, v0
	v_cmp_eq_u32_e32 vcc_lo, 2, v0
	s_cbranch_vccnz .LBB31_260
; %bb.259:
	v_lshlrev_b32_e32 v0, 3, v0
	s_clause 0x3
	buffer_load_dword v65, v0, s[0:3], 0 offen
	buffer_load_dword v66, v0, s[0:3], 0 offen offset:4
	buffer_load_dword v67, off, s[0:3], 0 offset:20
	buffer_load_dword v68, off, s[0:3], 0 offset:16
	s_waitcnt vmcnt(3)
	buffer_store_dword v65, off, s[0:3], 0 offset:16
	s_waitcnt vmcnt(2)
	buffer_store_dword v66, off, s[0:3], 0 offset:20
	s_waitcnt vmcnt(1)
	buffer_store_dword v67, v0, s[0:3], 0 offen offset:4
	s_waitcnt vmcnt(0)
	buffer_store_dword v68, v0, s[0:3], 0 offen
.LBB31_260:
	v_mov_b32_e32 v0, 0
	global_load_dword v65, v0, s[20:21] offset:4
	s_waitcnt vmcnt(0)
	v_add_nc_u32_e32 v65, -1, v65
	v_cmp_eq_u32_e32 vcc_lo, 1, v65
	s_cbranch_vccnz .LBB31_262
; %bb.261:
	v_lshlrev_b32_e32 v65, 3, v65
	s_clause 0x3
	buffer_load_dword v66, v65, s[0:3], 0 offen
	buffer_load_dword v67, v65, s[0:3], 0 offen offset:4
	buffer_load_dword v68, off, s[0:3], 0 offset:8
	buffer_load_dword v69, off, s[0:3], 0 offset:12
	s_waitcnt vmcnt(3)
	buffer_store_dword v66, off, s[0:3], 0 offset:8
	s_waitcnt vmcnt(2)
	buffer_store_dword v67, off, s[0:3], 0 offset:12
	s_waitcnt vmcnt(1)
	buffer_store_dword v68, v65, s[0:3], 0 offen
	s_waitcnt vmcnt(0)
	buffer_store_dword v69, v65, s[0:3], 0 offen offset:4
.LBB31_262:
	global_load_dword v0, v0, s[20:21]
	s_clause 0x1
	buffer_load_dword v67, off, s[0:3], 0
	buffer_load_dword v68, off, s[0:3], 0 offset:4
	s_waitcnt vmcnt(2)
	v_add_nc_u32_e32 v0, -1, v0
	v_cmp_eq_u32_e32 vcc_lo, 0, v0
	s_cbranch_vccnz .LBB31_264
; %bb.263:
	v_lshlrev_b32_e32 v0, 3, v0
	s_clause 0x1
	buffer_load_dword v65, v0, s[0:3], 0 offen offset:4
	buffer_load_dword v66, v0, s[0:3], 0 offen
	s_waitcnt vmcnt(1)
	buffer_store_dword v65, off, s[0:3], 0 offset:4
	s_waitcnt vmcnt(0)
	buffer_store_dword v66, off, s[0:3], 0
	buffer_store_dword v68, v0, s[0:3], 0 offen offset:4
	buffer_store_dword v67, v0, s[0:3], 0 offen
	s_clause 0x1
	buffer_load_dword v67, off, s[0:3], 0
	buffer_load_dword v68, off, s[0:3], 0 offset:4
.LBB31_264:
	s_clause 0x7
	buffer_load_dword v65, off, s[0:3], 0 offset:8
	buffer_load_dword v66, off, s[0:3], 0 offset:12
	buffer_load_dword v69, off, s[0:3], 0 offset:16
	buffer_load_dword v70, off, s[0:3], 0 offset:20
	buffer_load_dword v71, off, s[0:3], 0 offset:24
	buffer_load_dword v72, off, s[0:3], 0 offset:28
	buffer_load_dword v73, off, s[0:3], 0 offset:32
	buffer_load_dword v74, off, s[0:3], 0 offset:36
	s_waitcnt vmcnt(8)
	global_store_dwordx2 v[63:64], v[67:68], off
	s_clause 0x1f
	buffer_load_dword v63, off, s[0:3], 0 offset:40
	buffer_load_dword v64, off, s[0:3], 0 offset:44
	;; [unrolled: 1-line block ×32, first 2 shown]
	s_waitcnt vmcnt(38)
	global_store_dwordx2 v[25:26], v[65:66], off
	s_clause 0x7
	buffer_load_dword v25, off, s[0:3], 0 offset:168
	buffer_load_dword v26, off, s[0:3], 0 offset:172
	;; [unrolled: 1-line block ×8, first 2 shown]
	s_waitcnt vmcnt(44)
	global_store_dwordx2 v[9:10], v[69:70], off
	s_waitcnt vmcnt(42)
	global_store_dwordx2 v[13:14], v[71:72], off
	s_clause 0x7
	buffer_load_dword v9, off, s[0:3], 0 offset:200
	buffer_load_dword v10, off, s[0:3], 0 offset:204
	buffer_load_dword v13, off, s[0:3], 0 offset:208
	buffer_load_dword v14, off, s[0:3], 0 offset:212
	buffer_load_dword v69, off, s[0:3], 0 offset:216
	buffer_load_dword v70, off, s[0:3], 0 offset:220
	buffer_load_dword v71, off, s[0:3], 0 offset:224
	buffer_load_dword v72, off, s[0:3], 0 offset:228
	s_waitcnt vmcnt(48)
	global_store_dwordx2 v[5:6], v[73:74], off
	s_clause 0x5
	buffer_load_dword v5, off, s[0:3], 0 offset:232
	buffer_load_dword v6, off, s[0:3], 0 offset:236
	;; [unrolled: 1-line block ×6, first 2 shown]
	s_waitcnt vmcnt(52)
	global_store_dwordx2 v[1:2], v[63:64], off
	s_waitcnt vmcnt(50)
	global_store_dwordx2 v[3:4], v[67:68], off
	;; [unrolled: 2-line block ×27, first 2 shown]
	s_endpgm
	.section	.rodata,"a",@progbits
	.p2align	6, 0x0
	.amdhsa_kernel _ZN9rocsolver6v33100L18getri_kernel_smallILi32EdPdEEvT1_iilPiilS4_bb
		.amdhsa_group_segment_fixed_size 520
		.amdhsa_private_segment_fixed_size 272
		.amdhsa_kernarg_size 60
		.amdhsa_user_sgpr_count 6
		.amdhsa_user_sgpr_private_segment_buffer 1
		.amdhsa_user_sgpr_dispatch_ptr 0
		.amdhsa_user_sgpr_queue_ptr 0
		.amdhsa_user_sgpr_kernarg_segment_ptr 1
		.amdhsa_user_sgpr_dispatch_id 0
		.amdhsa_user_sgpr_flat_scratch_init 0
		.amdhsa_user_sgpr_private_segment_size 0
		.amdhsa_wavefront_size32 1
		.amdhsa_uses_dynamic_stack 0
		.amdhsa_system_sgpr_private_segment_wavefront_offset 1
		.amdhsa_system_sgpr_workgroup_id_x 1
		.amdhsa_system_sgpr_workgroup_id_y 0
		.amdhsa_system_sgpr_workgroup_id_z 0
		.amdhsa_system_sgpr_workgroup_info 0
		.amdhsa_system_vgpr_workitem_id 0
		.amdhsa_next_free_vgpr 111
		.amdhsa_next_free_sgpr 23
		.amdhsa_reserve_vcc 1
		.amdhsa_reserve_flat_scratch 0
		.amdhsa_float_round_mode_32 0
		.amdhsa_float_round_mode_16_64 0
		.amdhsa_float_denorm_mode_32 3
		.amdhsa_float_denorm_mode_16_64 3
		.amdhsa_dx10_clamp 1
		.amdhsa_ieee_mode 1
		.amdhsa_fp16_overflow 0
		.amdhsa_workgroup_processor_mode 1
		.amdhsa_memory_ordered 1
		.amdhsa_forward_progress 1
		.amdhsa_shared_vgpr_count 0
		.amdhsa_exception_fp_ieee_invalid_op 0
		.amdhsa_exception_fp_denorm_src 0
		.amdhsa_exception_fp_ieee_div_zero 0
		.amdhsa_exception_fp_ieee_overflow 0
		.amdhsa_exception_fp_ieee_underflow 0
		.amdhsa_exception_fp_ieee_inexact 0
		.amdhsa_exception_int_div_zero 0
	.end_amdhsa_kernel
	.section	.text._ZN9rocsolver6v33100L18getri_kernel_smallILi32EdPdEEvT1_iilPiilS4_bb,"axG",@progbits,_ZN9rocsolver6v33100L18getri_kernel_smallILi32EdPdEEvT1_iilPiilS4_bb,comdat
.Lfunc_end31:
	.size	_ZN9rocsolver6v33100L18getri_kernel_smallILi32EdPdEEvT1_iilPiilS4_bb, .Lfunc_end31-_ZN9rocsolver6v33100L18getri_kernel_smallILi32EdPdEEvT1_iilPiilS4_bb
                                        ; -- End function
	.set _ZN9rocsolver6v33100L18getri_kernel_smallILi32EdPdEEvT1_iilPiilS4_bb.num_vgpr, 111
	.set _ZN9rocsolver6v33100L18getri_kernel_smallILi32EdPdEEvT1_iilPiilS4_bb.num_agpr, 0
	.set _ZN9rocsolver6v33100L18getri_kernel_smallILi32EdPdEEvT1_iilPiilS4_bb.numbered_sgpr, 23
	.set _ZN9rocsolver6v33100L18getri_kernel_smallILi32EdPdEEvT1_iilPiilS4_bb.num_named_barrier, 0
	.set _ZN9rocsolver6v33100L18getri_kernel_smallILi32EdPdEEvT1_iilPiilS4_bb.private_seg_size, 272
	.set _ZN9rocsolver6v33100L18getri_kernel_smallILi32EdPdEEvT1_iilPiilS4_bb.uses_vcc, 1
	.set _ZN9rocsolver6v33100L18getri_kernel_smallILi32EdPdEEvT1_iilPiilS4_bb.uses_flat_scratch, 0
	.set _ZN9rocsolver6v33100L18getri_kernel_smallILi32EdPdEEvT1_iilPiilS4_bb.has_dyn_sized_stack, 0
	.set _ZN9rocsolver6v33100L18getri_kernel_smallILi32EdPdEEvT1_iilPiilS4_bb.has_recursion, 0
	.set _ZN9rocsolver6v33100L18getri_kernel_smallILi32EdPdEEvT1_iilPiilS4_bb.has_indirect_call, 0
	.section	.AMDGPU.csdata,"",@progbits
; Kernel info:
; codeLenInByte = 34188
; TotalNumSgprs: 25
; NumVgprs: 111
; ScratchSize: 272
; MemoryBound: 0
; FloatMode: 240
; IeeeMode: 1
; LDSByteSize: 520 bytes/workgroup (compile time only)
; SGPRBlocks: 0
; VGPRBlocks: 13
; NumSGPRsForWavesPerEU: 25
; NumVGPRsForWavesPerEU: 111
; Occupancy: 9
; WaveLimiterHint : 1
; COMPUTE_PGM_RSRC2:SCRATCH_EN: 1
; COMPUTE_PGM_RSRC2:USER_SGPR: 6
; COMPUTE_PGM_RSRC2:TRAP_HANDLER: 0
; COMPUTE_PGM_RSRC2:TGID_X_EN: 1
; COMPUTE_PGM_RSRC2:TGID_Y_EN: 0
; COMPUTE_PGM_RSRC2:TGID_Z_EN: 0
; COMPUTE_PGM_RSRC2:TIDIG_COMP_CNT: 0
	.section	.text._ZN9rocsolver6v33100L18getri_kernel_smallILi33EdPdEEvT1_iilPiilS4_bb,"axG",@progbits,_ZN9rocsolver6v33100L18getri_kernel_smallILi33EdPdEEvT1_iilPiilS4_bb,comdat
	.globl	_ZN9rocsolver6v33100L18getri_kernel_smallILi33EdPdEEvT1_iilPiilS4_bb ; -- Begin function _ZN9rocsolver6v33100L18getri_kernel_smallILi33EdPdEEvT1_iilPiilS4_bb
	.p2align	8
	.type	_ZN9rocsolver6v33100L18getri_kernel_smallILi33EdPdEEvT1_iilPiilS4_bb,@function
_ZN9rocsolver6v33100L18getri_kernel_smallILi33EdPdEEvT1_iilPiilS4_bb: ; @_ZN9rocsolver6v33100L18getri_kernel_smallILi33EdPdEEvT1_iilPiilS4_bb
; %bb.0:
	s_add_u32 s0, s0, s7
	s_addc_u32 s1, s1, 0
	s_mov_b32 s7, exec_lo
	v_cmpx_gt_u32_e32 33, v0
	s_cbranch_execz .LBB32_142
; %bb.1:
	s_clause 0x2
	s_load_dword s7, s[4:5], 0x38
	s_load_dwordx4 s[16:19], s[4:5], 0x10
	s_load_dwordx4 s[8:11], s[4:5], 0x28
                                        ; implicit-def: $sgpr20_sgpr21
	s_waitcnt lgkmcnt(0)
	s_bitcmp1_b32 s7, 8
	s_cselect_b32 s22, -1, 0
	s_bfe_u32 s12, s7, 0x10008
	s_ashr_i32 s7, s6, 31
	s_cmp_eq_u32 s12, 0
	s_cbranch_scc1 .LBB32_3
; %bb.2:
	s_load_dword s12, s[4:5], 0x20
	s_mul_i32 s13, s8, s7
	s_mul_hi_u32 s14, s8, s6
	s_mul_i32 s9, s9, s6
	s_add_i32 s13, s14, s13
	s_mul_i32 s8, s8, s6
	s_add_i32 s9, s13, s9
	s_lshl_b64 s[8:9], s[8:9], 2
	s_waitcnt lgkmcnt(0)
	s_ashr_i32 s13, s12, 31
	s_add_u32 s14, s18, s8
	s_addc_u32 s15, s19, s9
	s_lshl_b64 s[8:9], s[12:13], 2
	s_add_u32 s20, s14, s8
	s_addc_u32 s21, s15, s9
.LBB32_3:
	s_clause 0x1
	s_load_dwordx4 s[12:15], s[4:5], 0x0
	s_load_dword s8, s[4:5], 0x38
	s_mul_i32 s4, s16, s7
	s_mul_hi_u32 s5, s16, s6
	s_mul_i32 s9, s17, s6
	s_add_i32 s5, s5, s4
	s_mul_i32 s4, s16, s6
	s_add_i32 s5, s5, s9
	v_lshlrev_b32_e32 v69, 3, v0
	s_lshl_b64 s[4:5], s[4:5], 3
	s_waitcnt lgkmcnt(0)
	v_add3_u32 v1, s15, s15, v0
	s_ashr_i32 s17, s14, 31
	s_mov_b32 s16, s14
	s_add_u32 s9, s12, s4
	s_addc_u32 s12, s13, s5
	v_add_nc_u32_e32 v3, s15, v1
	v_ashrrev_i32_e32 v2, 31, v1
	s_lshl_b64 s[4:5], s[16:17], 3
	s_add_u32 s4, s9, s4
	v_add_nc_u32_e32 v5, s15, v3
	v_ashrrev_i32_e32 v4, 31, v3
	v_lshlrev_b64 v[1:2], 3, v[1:2]
	s_addc_u32 s5, s12, s5
	v_add_co_u32 v65, s9, s4, v69
	v_add_nc_u32_e32 v7, s15, v5
	v_ashrrev_i32_e32 v6, 31, v5
	v_lshlrev_b64 v[3:4], 3, v[3:4]
	v_add_co_u32 v11, vcc_lo, s4, v1
	v_add_nc_u32_e32 v9, s15, v7
	v_add_co_ci_u32_e64 v12, null, s5, v2, vcc_lo
	v_lshlrev_b64 v[1:2], 3, v[5:6]
	v_ashrrev_i32_e32 v8, 31, v7
	v_add_co_u32 v15, vcc_lo, s4, v3
	v_ashrrev_i32_e32 v10, 31, v9
	v_add_nc_u32_e32 v13, s15, v9
	v_add_co_ci_u32_e64 v16, null, s5, v4, vcc_lo
	v_lshlrev_b64 v[3:4], 3, v[7:8]
	v_add_co_u32 v5, vcc_lo, s4, v1
	v_add_co_ci_u32_e64 v6, null, s5, v2, vcc_lo
	v_lshlrev_b64 v[1:2], 3, v[9:10]
	v_ashrrev_i32_e32 v14, 31, v13
	v_add_nc_u32_e32 v9, s15, v13
	v_add_co_u32 v7, vcc_lo, s4, v3
	v_add_co_ci_u32_e64 v8, null, s5, v4, vcc_lo
	v_lshlrev_b64 v[3:4], 3, v[13:14]
	v_add_nc_u32_e32 v13, s15, v9
	v_ashrrev_i32_e32 v10, 31, v9
	v_add_co_u32 v1, vcc_lo, s4, v1
	s_mov_b32 s12, s15
	v_add_nc_u32_e32 v17, s15, v13
	v_ashrrev_i32_e32 v14, 31, v13
	v_lshlrev_b64 v[9:10], 3, v[9:10]
	s_ashr_i32 s13, s15, 31
	v_add_co_ci_u32_e64 v66, null, s5, 0, s9
	v_add_nc_u32_e32 v19, s15, v17
	v_ashrrev_i32_e32 v18, 31, v17
	v_add_co_ci_u32_e64 v2, null, s5, v2, vcc_lo
	v_add_co_u32 v3, vcc_lo, s4, v3
	v_add_nc_u32_e32 v23, s15, v19
	v_ashrrev_i32_e32 v20, 31, v19
	v_lshlrev_b64 v[13:14], 3, v[13:14]
	s_lshl_b64 s[12:13], s[12:13], 3
	v_add_co_ci_u32_e64 v4, null, s5, v4, vcc_lo
	v_ashrrev_i32_e32 v24, 31, v23
	v_add_co_u32 v33, vcc_lo, v65, s12
	v_lshlrev_b64 v[17:18], 3, v[17:18]
	v_add_co_ci_u32_e64 v34, null, s13, v66, vcc_lo
	v_add_co_u32 v9, vcc_lo, s4, v9
	v_lshlrev_b64 v[19:20], 3, v[19:20]
	v_add_co_ci_u32_e64 v10, null, s5, v10, vcc_lo
	;; [unrolled: 3-line block ×3, first 2 shown]
	v_add_co_u32 v17, vcc_lo, s4, v17
	v_add_co_ci_u32_e64 v18, null, s5, v18, vcc_lo
	v_add_co_u32 v19, vcc_lo, s4, v19
	v_add_co_ci_u32_e64 v20, null, s5, v20, vcc_lo
	v_add_co_u32 v21, vcc_lo, s4, v21
	s_clause 0x4
	global_load_dwordx2 v[67:68], v69, s[4:5]
	global_load_dwordx2 v[70:71], v[33:34], off
	global_load_dwordx2 v[72:73], v[11:12], off
	;; [unrolled: 1-line block ×4, first 2 shown]
	v_add_co_ci_u32_e64 v22, null, s5, v22, vcc_lo
	s_clause 0x7
	global_load_dwordx2 v[78:79], v[7:8], off
	global_load_dwordx2 v[80:81], v[1:2], off
	;; [unrolled: 1-line block ×8, first 2 shown]
	v_add_nc_u32_e32 v23, s15, v23
	s_bitcmp0_b32 s8, 0
	v_add_nc_u32_e32 v25, s15, v23
	v_ashrrev_i32_e32 v24, 31, v23
	v_add_nc_u32_e32 v27, s15, v25
	v_ashrrev_i32_e32 v26, 31, v25
	v_lshlrev_b64 v[23:24], 3, v[23:24]
	v_add_nc_u32_e32 v29, s15, v27
	v_ashrrev_i32_e32 v28, 31, v27
	v_lshlrev_b64 v[25:26], 3, v[25:26]
	v_add_co_u32 v23, vcc_lo, s4, v23
	v_add_nc_u32_e32 v31, s15, v29
	v_ashrrev_i32_e32 v30, 31, v29
	v_lshlrev_b64 v[27:28], 3, v[27:28]
	v_add_co_ci_u32_e64 v24, null, s5, v24, vcc_lo
	v_add_nc_u32_e32 v35, s15, v31
	v_ashrrev_i32_e32 v32, 31, v31
	v_lshlrev_b64 v[29:30], 3, v[29:30]
	v_add_co_u32 v25, vcc_lo, s4, v25
	v_add_nc_u32_e32 v37, s15, v35
	v_ashrrev_i32_e32 v36, 31, v35
	v_lshlrev_b64 v[31:32], 3, v[31:32]
	v_add_co_ci_u32_e64 v26, null, s5, v26, vcc_lo
	v_add_nc_u32_e32 v39, s15, v37
	v_ashrrev_i32_e32 v38, 31, v37
	v_add_co_u32 v27, vcc_lo, s4, v27
	v_lshlrev_b64 v[35:36], 3, v[35:36]
	v_add_nc_u32_e32 v41, s15, v39
	v_ashrrev_i32_e32 v40, 31, v39
	v_add_co_ci_u32_e64 v28, null, s5, v28, vcc_lo
	v_add_co_u32 v29, vcc_lo, s4, v29
	v_add_nc_u32_e32 v43, s15, v41
	v_ashrrev_i32_e32 v42, 31, v41
	v_lshlrev_b64 v[37:38], 3, v[37:38]
	v_add_co_ci_u32_e64 v30, null, s5, v30, vcc_lo
	v_add_nc_u32_e32 v45, s15, v43
	v_ashrrev_i32_e32 v44, 31, v43
	v_add_co_u32 v31, vcc_lo, s4, v31
	v_lshlrev_b64 v[39:40], 3, v[39:40]
	v_add_nc_u32_e32 v47, s15, v45
	v_ashrrev_i32_e32 v46, 31, v45
	v_add_co_ci_u32_e64 v32, null, s5, v32, vcc_lo
	v_add_co_u32 v35, vcc_lo, s4, v35
	v_add_nc_u32_e32 v49, s15, v47
	v_lshlrev_b64 v[41:42], 3, v[41:42]
	v_ashrrev_i32_e32 v48, 31, v47
	v_add_co_ci_u32_e64 v36, null, s5, v36, vcc_lo
	v_add_nc_u32_e32 v51, s15, v49
	v_add_co_u32 v37, vcc_lo, s4, v37
	v_lshlrev_b64 v[43:44], 3, v[43:44]
	v_ashrrev_i32_e32 v50, 31, v49
	v_add_nc_u32_e32 v53, s15, v51
	v_add_co_ci_u32_e64 v38, null, s5, v38, vcc_lo
	v_add_co_u32 v39, vcc_lo, s4, v39
	v_add_nc_u32_e32 v55, s15, v53
	v_lshlrev_b64 v[45:46], 3, v[45:46]
	v_ashrrev_i32_e32 v52, 31, v51
	v_add_co_ci_u32_e64 v40, null, s5, v40, vcc_lo
	v_add_nc_u32_e32 v57, s15, v55
	v_add_co_u32 v41, vcc_lo, s4, v41
	v_lshlrev_b64 v[47:48], 3, v[47:48]
	v_ashrrev_i32_e32 v54, 31, v53
	v_add_nc_u32_e32 v59, s15, v57
	v_add_co_ci_u32_e64 v42, null, s5, v42, vcc_lo
	v_add_co_u32 v43, vcc_lo, s4, v43
	v_add_nc_u32_e32 v61, s15, v59
	v_lshlrev_b64 v[49:50], 3, v[49:50]
	v_ashrrev_i32_e32 v56, 31, v55
	v_add_co_ci_u32_e64 v44, null, s5, v44, vcc_lo
	v_add_co_u32 v45, vcc_lo, s4, v45
	v_lshlrev_b64 v[51:52], 3, v[51:52]
	v_ashrrev_i32_e32 v58, 31, v57
	v_add_co_ci_u32_e64 v46, null, s5, v46, vcc_lo
	v_add_co_u32 v47, vcc_lo, s4, v47
	v_lshlrev_b64 v[53:54], 3, v[53:54]
	v_add_nc_u32_e32 v63, s15, v61
	v_ashrrev_i32_e32 v60, 31, v59
	v_add_co_ci_u32_e64 v48, null, s5, v48, vcc_lo
	v_add_co_u32 v49, vcc_lo, s4, v49
	v_lshlrev_b64 v[55:56], 3, v[55:56]
	v_ashrrev_i32_e32 v62, 31, v61
	v_add_co_ci_u32_e64 v50, null, s5, v50, vcc_lo
	v_add_co_u32 v51, vcc_lo, s4, v51
	v_lshlrev_b64 v[57:58], 3, v[57:58]
	;; [unrolled: 4-line block ×3, first 2 shown]
	v_add_co_ci_u32_e64 v54, null, s5, v54, vcc_lo
	v_add_co_u32 v55, vcc_lo, s4, v55
	v_lshlrev_b64 v[61:62], 3, v[61:62]
	v_add_co_ci_u32_e64 v56, null, s5, v56, vcc_lo
	v_add_co_u32 v57, vcc_lo, s4, v57
	v_lshlrev_b64 v[102:103], 3, v[63:64]
	v_add_co_ci_u32_e64 v58, null, s5, v58, vcc_lo
	v_add_co_u32 v59, vcc_lo, s4, v59
	v_add_co_ci_u32_e64 v60, null, s5, v60, vcc_lo
	v_add_co_u32 v63, vcc_lo, s4, v61
	;; [unrolled: 2-line block ×3, first 2 shown]
	s_clause 0x3
	global_load_dwordx2 v[94:95], v[23:24], off
	global_load_dwordx2 v[96:97], v[25:26], off
	;; [unrolled: 1-line block ×4, first 2 shown]
	v_add_co_ci_u32_e64 v62, null, s5, v103, vcc_lo
	s_mov_b32 s5, -1
	s_waitcnt vmcnt(16)
	buffer_store_dword v68, off, s[0:3], 0 offset:4
	buffer_store_dword v67, off, s[0:3], 0
	s_clause 0x3
	global_load_dwordx2 v[67:68], v[31:32], off
	global_load_dwordx2 v[102:103], v[35:36], off
	;; [unrolled: 1-line block ×4, first 2 shown]
	s_waitcnt vmcnt(19)
	buffer_store_dword v71, off, s[0:3], 0 offset:12
	buffer_store_dword v70, off, s[0:3], 0 offset:8
	s_waitcnt vmcnt(18)
	buffer_store_dword v73, off, s[0:3], 0 offset:20
	buffer_store_dword v72, off, s[0:3], 0 offset:16
	;; [unrolled: 3-line block ×4, first 2 shown]
	s_clause 0x3
	global_load_dwordx2 v[70:71], v[41:42], off
	global_load_dwordx2 v[72:73], v[43:44], off
	;; [unrolled: 1-line block ×4, first 2 shown]
	s_waitcnt vmcnt(19)
	buffer_store_dword v79, off, s[0:3], 0 offset:44
	buffer_store_dword v78, off, s[0:3], 0 offset:40
	s_waitcnt vmcnt(18)
	buffer_store_dword v81, off, s[0:3], 0 offset:52
	buffer_store_dword v80, off, s[0:3], 0 offset:48
	s_waitcnt vmcnt(17)
	buffer_store_dword v83, off, s[0:3], 0 offset:60
	buffer_store_dword v82, off, s[0:3], 0 offset:56
	s_waitcnt vmcnt(16)
	buffer_store_dword v85, off, s[0:3], 0 offset:68
	buffer_store_dword v84, off, s[0:3], 0 offset:64
	s_clause 0x3
	global_load_dwordx2 v[78:79], v[49:50], off
	global_load_dwordx2 v[80:81], v[51:52], off
	;; [unrolled: 1-line block ×4, first 2 shown]
	s_waitcnt vmcnt(19)
	buffer_store_dword v86, off, s[0:3], 0 offset:72
	buffer_store_dword v87, off, s[0:3], 0 offset:76
	global_load_dwordx2 v[86:87], v[57:58], off
	s_waitcnt vmcnt(19)
	buffer_store_dword v88, off, s[0:3], 0 offset:80
	buffer_store_dword v89, off, s[0:3], 0 offset:84
	s_waitcnt vmcnt(18)
	buffer_store_dword v90, off, s[0:3], 0 offset:88
	buffer_store_dword v91, off, s[0:3], 0 offset:92
	s_clause 0x1
	global_load_dwordx2 v[88:89], v[59:60], off
	global_load_dwordx2 v[90:91], v[63:64], off
	s_waitcnt vmcnt(19)
	buffer_store_dword v92, off, s[0:3], 0 offset:96
	buffer_store_dword v93, off, s[0:3], 0 offset:100
	global_load_dwordx2 v[92:93], v[61:62], off
	s_waitcnt vmcnt(19)
	buffer_store_dword v94, off, s[0:3], 0 offset:104
	buffer_store_dword v95, off, s[0:3], 0 offset:108
	s_waitcnt vmcnt(18)
	buffer_store_dword v97, off, s[0:3], 0 offset:116
	buffer_store_dword v96, off, s[0:3], 0 offset:112
	;; [unrolled: 3-line block ×20, first 2 shown]
	s_cbranch_scc1 .LBB32_140
; %bb.4:
	v_cmp_eq_u32_e64 s4, 0, v0
	s_and_saveexec_b32 s5, s4
; %bb.5:
	v_mov_b32_e32 v67, 0
	ds_write_b32 v67, v67 offset:264
; %bb.6:
	s_or_b32 exec_lo, exec_lo, s5
	v_lshl_add_u32 v67, v0, 3, 0
	s_waitcnt lgkmcnt(0)
	s_waitcnt_vscnt null, 0x0
	s_barrier
	buffer_gl0_inv
	s_mov_b32 s8, exec_lo
	s_clause 0x1
	buffer_load_dword v70, v67, s[0:3], 0 offen
	buffer_load_dword v71, v67, s[0:3], 0 offen offset:4
	s_waitcnt vmcnt(0)
	v_cmpx_eq_f64_e32 0, v[70:71]
	s_cbranch_execz .LBB32_10
; %bb.7:
	v_mov_b32_e32 v68, 0
	s_mov_b32 s9, 0
	ds_read_b32 v70, v68 offset:264
	s_waitcnt lgkmcnt(0)
	v_readfirstlane_b32 s5, v70
	v_add_nc_u32_e32 v70, 1, v0
	s_cmp_eq_u32 s5, 0
	v_cmp_gt_i32_e32 vcc_lo, s5, v70
	s_cselect_b32 s12, -1, 0
	s_or_b32 s12, s12, vcc_lo
	s_and_b32 exec_lo, exec_lo, s12
	s_cbranch_execz .LBB32_10
; %bb.8:
	v_mov_b32_e32 v71, s5
.LBB32_9:                               ; =>This Inner Loop Header: Depth=1
	ds_cmpst_rtn_b32 v71, v68, v71, v70 offset:264
	s_waitcnt lgkmcnt(0)
	v_cmp_ne_u32_e32 vcc_lo, 0, v71
	v_cmp_le_i32_e64 s5, v71, v70
	s_and_b32 s5, vcc_lo, s5
	s_and_b32 s5, exec_lo, s5
	s_or_b32 s9, s5, s9
	s_andn2_b32 exec_lo, exec_lo, s9
	s_cbranch_execnz .LBB32_9
.LBB32_10:
	s_or_b32 exec_lo, exec_lo, s8
	v_mov_b32_e32 v68, 0
	s_barrier
	buffer_gl0_inv
	ds_read_b32 v70, v68 offset:264
	s_and_saveexec_b32 s5, s4
	s_cbranch_execz .LBB32_12
; %bb.11:
	s_lshl_b64 s[8:9], s[6:7], 2
	s_add_u32 s8, s10, s8
	s_addc_u32 s9, s11, s9
	s_waitcnt lgkmcnt(0)
	global_store_dword v68, v70, s[8:9]
.LBB32_12:
	s_or_b32 exec_lo, exec_lo, s5
	s_waitcnt lgkmcnt(0)
	v_cmp_ne_u32_e32 vcc_lo, 0, v70
	s_mov_b32 s5, 0
	s_cbranch_vccnz .LBB32_140
; %bb.13:
	s_clause 0x1
	buffer_load_dword v70, v67, s[0:3], 0 offen
	buffer_load_dword v71, v67, s[0:3], 0 offen offset:4
	s_waitcnt vmcnt(0)
	v_div_scale_f64 v[72:73], null, v[70:71], v[70:71], 1.0
	v_div_scale_f64 v[78:79], vcc_lo, 1.0, v[70:71], 1.0
	v_rcp_f64_e32 v[74:75], v[72:73]
	v_fma_f64 v[76:77], -v[72:73], v[74:75], 1.0
	v_fma_f64 v[74:75], v[74:75], v[76:77], v[74:75]
	v_fma_f64 v[76:77], -v[72:73], v[74:75], 1.0
	v_fma_f64 v[74:75], v[74:75], v[76:77], v[74:75]
	v_mul_f64 v[76:77], v[78:79], v[74:75]
	v_fma_f64 v[72:73], -v[72:73], v[76:77], v[78:79]
	v_div_fmas_f64 v[72:73], v[72:73], v[74:75], v[76:77]
	v_div_fixup_f64 v[71:72], v[72:73], v[70:71], 1.0
	v_add_nc_u32_e32 v70, 0x110, v69
	buffer_store_dword v72, v67, s[0:3], 0 offen offset:4
	buffer_store_dword v71, v67, s[0:3], 0 offen
	s_clause 0x1
	buffer_load_dword v74, off, s[0:3], 0 offset:12
	buffer_load_dword v73, off, s[0:3], 0 offset:8
	v_xor_b32_e32 v72, 0x80000000, v72
	s_waitcnt vmcnt(0)
	ds_write2_b64 v69, v[71:72], v[73:74] offset1:34
	s_waitcnt lgkmcnt(0)
	s_waitcnt_vscnt null, 0x0
	s_barrier
	buffer_gl0_inv
	s_and_saveexec_b32 s5, s4
	s_cbranch_execz .LBB32_15
; %bb.14:
	s_clause 0x1
	buffer_load_dword v71, v67, s[0:3], 0 offen
	buffer_load_dword v72, v67, s[0:3], 0 offen offset:4
	ds_read_b64 v[73:74], v70
	v_mov_b32_e32 v68, 0
	ds_read_b64 v[75:76], v68 offset:8
	s_waitcnt vmcnt(0) lgkmcnt(1)
	v_fma_f64 v[71:72], v[71:72], v[73:74], 0
	s_waitcnt lgkmcnt(0)
	v_mul_f64 v[71:72], v[71:72], v[75:76]
	buffer_store_dword v71, off, s[0:3], 0 offset:8
	buffer_store_dword v72, off, s[0:3], 0 offset:12
.LBB32_15:
	s_or_b32 exec_lo, exec_lo, s5
	s_waitcnt_vscnt null, 0x0
	s_barrier
	buffer_gl0_inv
	s_clause 0x1
	buffer_load_dword v71, off, s[0:3], 0 offset:16
	buffer_load_dword v72, off, s[0:3], 0 offset:20
	s_mov_b32 s5, exec_lo
	s_waitcnt vmcnt(0)
	ds_write_b64 v70, v[71:72]
	s_waitcnt lgkmcnt(0)
	s_barrier
	buffer_gl0_inv
	v_cmpx_gt_u32_e32 2, v0
	s_cbranch_execz .LBB32_19
; %bb.16:
	s_clause 0x1
	buffer_load_dword v71, v67, s[0:3], 0 offen
	buffer_load_dword v72, v67, s[0:3], 0 offen offset:4
	ds_read_b64 v[67:68], v70
	s_waitcnt vmcnt(0) lgkmcnt(0)
	v_fma_f64 v[67:68], v[71:72], v[67:68], 0
	s_and_saveexec_b32 s8, s4
	s_cbranch_execz .LBB32_18
; %bb.17:
	s_clause 0x1
	buffer_load_dword v71, off, s[0:3], 0 offset:8
	buffer_load_dword v72, off, s[0:3], 0 offset:12
	v_mov_b32_e32 v73, 0
	ds_read_b64 v[73:74], v73 offset:280
	s_waitcnt vmcnt(0) lgkmcnt(0)
	v_fma_f64 v[67:68], v[71:72], v[73:74], v[67:68]
.LBB32_18:
	s_or_b32 exec_lo, exec_lo, s8
	v_mov_b32_e32 v71, 0
	ds_read_b64 v[71:72], v71 offset:16
	s_waitcnt lgkmcnt(0)
	v_mul_f64 v[67:68], v[67:68], v[71:72]
	buffer_store_dword v68, off, s[0:3], 0 offset:20
	buffer_store_dword v67, off, s[0:3], 0 offset:16
.LBB32_19:
	s_or_b32 exec_lo, exec_lo, s5
	s_waitcnt_vscnt null, 0x0
	s_barrier
	buffer_gl0_inv
	s_clause 0x1
	buffer_load_dword v67, off, s[0:3], 0 offset:24
	buffer_load_dword v68, off, s[0:3], 0 offset:28
	v_add_nc_u32_e32 v71, -1, v0
	s_mov_b32 s4, exec_lo
	s_waitcnt vmcnt(0)
	ds_write_b64 v70, v[67:68]
	s_waitcnt lgkmcnt(0)
	s_barrier
	buffer_gl0_inv
	v_cmpx_gt_u32_e32 3, v0
	s_cbranch_execz .LBB32_23
; %bb.20:
	v_mov_b32_e32 v67, 0
	v_add_nc_u32_e32 v72, -1, v0
	v_add_nc_u32_e32 v73, 0x110, v69
	v_mov_b32_e32 v68, 0
	v_mov_b32_e32 v74, v69
	s_mov_b32 s5, 0
.LBB32_21:                              ; =>This Inner Loop Header: Depth=1
	s_clause 0x1
	buffer_load_dword v75, v74, s[0:3], 0 offen
	buffer_load_dword v76, v74, s[0:3], 0 offen offset:4
	ds_read_b64 v[77:78], v73
	v_add_nc_u32_e32 v72, 1, v72
	v_add_nc_u32_e32 v73, 8, v73
	v_add_nc_u32_e32 v74, 8, v74
	v_cmp_lt_u32_e32 vcc_lo, 1, v72
	s_or_b32 s5, vcc_lo, s5
	s_waitcnt vmcnt(0) lgkmcnt(0)
	v_fma_f64 v[67:68], v[75:76], v[77:78], v[67:68]
	s_andn2_b32 exec_lo, exec_lo, s5
	s_cbranch_execnz .LBB32_21
; %bb.22:
	s_or_b32 exec_lo, exec_lo, s5
	v_mov_b32_e32 v72, 0
	ds_read_b64 v[72:73], v72 offset:24
	s_waitcnt lgkmcnt(0)
	v_mul_f64 v[67:68], v[67:68], v[72:73]
	buffer_store_dword v68, off, s[0:3], 0 offset:28
	buffer_store_dword v67, off, s[0:3], 0 offset:24
.LBB32_23:
	s_or_b32 exec_lo, exec_lo, s4
	s_waitcnt_vscnt null, 0x0
	s_barrier
	buffer_gl0_inv
	s_clause 0x1
	buffer_load_dword v67, off, s[0:3], 0 offset:32
	buffer_load_dword v68, off, s[0:3], 0 offset:36
	s_mov_b32 s4, exec_lo
	s_waitcnt vmcnt(0)
	ds_write_b64 v70, v[67:68]
	s_waitcnt lgkmcnt(0)
	s_barrier
	buffer_gl0_inv
	v_cmpx_gt_u32_e32 4, v0
	s_cbranch_execz .LBB32_27
; %bb.24:
	v_mov_b32_e32 v67, 0
	v_add_nc_u32_e32 v72, -1, v0
	v_add_nc_u32_e32 v73, 0x110, v69
	v_mov_b32_e32 v68, 0
	v_mov_b32_e32 v74, v69
	s_mov_b32 s5, 0
.LBB32_25:                              ; =>This Inner Loop Header: Depth=1
	s_clause 0x1
	buffer_load_dword v75, v74, s[0:3], 0 offen
	buffer_load_dword v76, v74, s[0:3], 0 offen offset:4
	ds_read_b64 v[77:78], v73
	v_add_nc_u32_e32 v72, 1, v72
	v_add_nc_u32_e32 v73, 8, v73
	v_add_nc_u32_e32 v74, 8, v74
	v_cmp_lt_u32_e32 vcc_lo, 2, v72
	s_or_b32 s5, vcc_lo, s5
	s_waitcnt vmcnt(0) lgkmcnt(0)
	v_fma_f64 v[67:68], v[75:76], v[77:78], v[67:68]
	s_andn2_b32 exec_lo, exec_lo, s5
	s_cbranch_execnz .LBB32_25
; %bb.26:
	s_or_b32 exec_lo, exec_lo, s5
	v_mov_b32_e32 v72, 0
	ds_read_b64 v[72:73], v72 offset:32
	s_waitcnt lgkmcnt(0)
	v_mul_f64 v[67:68], v[67:68], v[72:73]
	buffer_store_dword v68, off, s[0:3], 0 offset:36
	buffer_store_dword v67, off, s[0:3], 0 offset:32
.LBB32_27:
	s_or_b32 exec_lo, exec_lo, s4
	s_waitcnt_vscnt null, 0x0
	s_barrier
	buffer_gl0_inv
	s_clause 0x1
	buffer_load_dword v67, off, s[0:3], 0 offset:40
	buffer_load_dword v68, off, s[0:3], 0 offset:44
	;; [unrolled: 45-line block ×20, first 2 shown]
	s_mov_b32 s4, exec_lo
	s_waitcnt vmcnt(0)
	ds_write_b64 v70, v[67:68]
	s_waitcnt lgkmcnt(0)
	s_barrier
	buffer_gl0_inv
	v_cmpx_gt_u32_e32 23, v0
	s_cbranch_execz .LBB32_103
; %bb.100:
	v_mov_b32_e32 v67, 0
	v_add_nc_u32_e32 v72, -1, v0
	v_add_nc_u32_e32 v73, 0x110, v69
	v_mov_b32_e32 v68, 0
	v_mov_b32_e32 v74, v69
	s_mov_b32 s5, 0
.LBB32_101:                             ; =>This Inner Loop Header: Depth=1
	s_clause 0x1
	buffer_load_dword v75, v74, s[0:3], 0 offen
	buffer_load_dword v76, v74, s[0:3], 0 offen offset:4
	ds_read_b64 v[77:78], v73
	v_add_nc_u32_e32 v72, 1, v72
	v_add_nc_u32_e32 v73, 8, v73
	v_add_nc_u32_e32 v74, 8, v74
	v_cmp_lt_u32_e32 vcc_lo, 21, v72
	s_or_b32 s5, vcc_lo, s5
	s_waitcnt vmcnt(0) lgkmcnt(0)
	v_fma_f64 v[67:68], v[75:76], v[77:78], v[67:68]
	s_andn2_b32 exec_lo, exec_lo, s5
	s_cbranch_execnz .LBB32_101
; %bb.102:
	s_or_b32 exec_lo, exec_lo, s5
	v_mov_b32_e32 v72, 0
	ds_read_b64 v[72:73], v72 offset:184
	s_waitcnt lgkmcnt(0)
	v_mul_f64 v[67:68], v[67:68], v[72:73]
	buffer_store_dword v68, off, s[0:3], 0 offset:188
	buffer_store_dword v67, off, s[0:3], 0 offset:184
.LBB32_103:
	s_or_b32 exec_lo, exec_lo, s4
	s_waitcnt_vscnt null, 0x0
	s_barrier
	buffer_gl0_inv
	s_clause 0x1
	buffer_load_dword v67, off, s[0:3], 0 offset:192
	buffer_load_dword v68, off, s[0:3], 0 offset:196
	s_mov_b32 s4, exec_lo
	s_waitcnt vmcnt(0)
	ds_write_b64 v70, v[67:68]
	s_waitcnt lgkmcnt(0)
	s_barrier
	buffer_gl0_inv
	v_cmpx_gt_u32_e32 24, v0
	s_cbranch_execz .LBB32_107
; %bb.104:
	v_mov_b32_e32 v67, 0
	v_add_nc_u32_e32 v72, -1, v0
	v_add_nc_u32_e32 v73, 0x110, v69
	v_mov_b32_e32 v68, 0
	v_mov_b32_e32 v74, v69
	s_mov_b32 s5, 0
.LBB32_105:                             ; =>This Inner Loop Header: Depth=1
	s_clause 0x1
	buffer_load_dword v75, v74, s[0:3], 0 offen
	buffer_load_dword v76, v74, s[0:3], 0 offen offset:4
	ds_read_b64 v[77:78], v73
	v_add_nc_u32_e32 v72, 1, v72
	v_add_nc_u32_e32 v73, 8, v73
	v_add_nc_u32_e32 v74, 8, v74
	v_cmp_lt_u32_e32 vcc_lo, 22, v72
	s_or_b32 s5, vcc_lo, s5
	s_waitcnt vmcnt(0) lgkmcnt(0)
	v_fma_f64 v[67:68], v[75:76], v[77:78], v[67:68]
	s_andn2_b32 exec_lo, exec_lo, s5
	s_cbranch_execnz .LBB32_105
; %bb.106:
	s_or_b32 exec_lo, exec_lo, s5
	v_mov_b32_e32 v72, 0
	ds_read_b64 v[72:73], v72 offset:192
	s_waitcnt lgkmcnt(0)
	v_mul_f64 v[67:68], v[67:68], v[72:73]
	buffer_store_dword v68, off, s[0:3], 0 offset:196
	buffer_store_dword v67, off, s[0:3], 0 offset:192
.LBB32_107:
	s_or_b32 exec_lo, exec_lo, s4
	s_waitcnt_vscnt null, 0x0
	s_barrier
	buffer_gl0_inv
	s_clause 0x1
	buffer_load_dword v67, off, s[0:3], 0 offset:200
	buffer_load_dword v68, off, s[0:3], 0 offset:204
	;; [unrolled: 45-line block ×9, first 2 shown]
	s_mov_b32 s4, exec_lo
	s_waitcnt vmcnt(0)
	ds_write_b64 v70, v[67:68]
	s_waitcnt lgkmcnt(0)
	s_barrier
	buffer_gl0_inv
	v_cmpx_ne_u32_e32 32, v0
	s_cbranch_execz .LBB32_139
; %bb.136:
	v_mov_b32_e32 v67, 0
	v_mov_b32_e32 v68, 0
	s_mov_b32 s5, 0
.LBB32_137:                             ; =>This Inner Loop Header: Depth=1
	s_clause 0x1
	buffer_load_dword v72, v69, s[0:3], 0 offen
	buffer_load_dword v73, v69, s[0:3], 0 offen offset:4
	ds_read_b64 v[74:75], v70
	v_add_nc_u32_e32 v71, 1, v71
	v_add_nc_u32_e32 v70, 8, v70
	;; [unrolled: 1-line block ×3, first 2 shown]
	v_cmp_lt_u32_e32 vcc_lo, 30, v71
	s_or_b32 s5, vcc_lo, s5
	s_waitcnt vmcnt(0) lgkmcnt(0)
	v_fma_f64 v[67:68], v[72:73], v[74:75], v[67:68]
	s_andn2_b32 exec_lo, exec_lo, s5
	s_cbranch_execnz .LBB32_137
; %bb.138:
	s_or_b32 exec_lo, exec_lo, s5
	v_mov_b32_e32 v69, 0
	ds_read_b64 v[69:70], v69 offset:256
	s_waitcnt lgkmcnt(0)
	v_mul_f64 v[67:68], v[67:68], v[69:70]
	buffer_store_dword v68, off, s[0:3], 0 offset:260
	buffer_store_dword v67, off, s[0:3], 0 offset:256
.LBB32_139:
	s_or_b32 exec_lo, exec_lo, s4
	s_mov_b32 s5, -1
	s_waitcnt_vscnt null, 0x0
	s_barrier
	buffer_gl0_inv
.LBB32_140:
	s_and_b32 vcc_lo, exec_lo, s5
	s_cbranch_vccz .LBB32_142
; %bb.141:
	s_lshl_b64 s[4:5], s[6:7], 2
	v_mov_b32_e32 v67, 0
	s_add_u32 s4, s10, s4
	s_addc_u32 s5, s11, s5
	global_load_dword v67, v67, s[4:5]
	s_waitcnt vmcnt(0)
	v_cmp_ne_u32_e32 vcc_lo, 0, v67
	s_cbranch_vccz .LBB32_143
.LBB32_142:
	s_endpgm
.LBB32_143:
	v_lshl_add_u32 v67, v0, 3, 0x110
	s_mov_b32 s4, exec_lo
	v_cmpx_eq_u32_e32 32, v0
	s_cbranch_execz .LBB32_145
; %bb.144:
	s_clause 0x1
	buffer_load_dword v68, off, s[0:3], 0 offset:248
	buffer_load_dword v69, off, s[0:3], 0 offset:252
	v_mov_b32_e32 v70, 0
	buffer_store_dword v70, off, s[0:3], 0 offset:248
	buffer_store_dword v70, off, s[0:3], 0 offset:252
	s_waitcnt vmcnt(0)
	ds_write_b64 v67, v[68:69]
.LBB32_145:
	s_or_b32 exec_lo, exec_lo, s4
	s_waitcnt lgkmcnt(0)
	s_waitcnt_vscnt null, 0x0
	s_barrier
	buffer_gl0_inv
	s_clause 0x3
	buffer_load_dword v69, off, s[0:3], 0 offset:256
	buffer_load_dword v70, off, s[0:3], 0 offset:260
	;; [unrolled: 1-line block ×4, first 2 shown]
	v_mov_b32_e32 v68, 0
	s_mov_b32 s4, exec_lo
	ds_read_b64 v[73:74], v68 offset:528
	s_waitcnt vmcnt(2) lgkmcnt(0)
	v_fma_f64 v[69:70], v[69:70], v[73:74], 0
	s_waitcnt vmcnt(0)
	v_add_f64 v[69:70], v[71:72], -v[69:70]
	buffer_store_dword v69, off, s[0:3], 0 offset:248
	buffer_store_dword v70, off, s[0:3], 0 offset:252
	v_cmpx_lt_u32_e32 30, v0
	s_cbranch_execz .LBB32_147
; %bb.146:
	s_clause 0x1
	buffer_load_dword v69, off, s[0:3], 0 offset:240
	buffer_load_dword v70, off, s[0:3], 0 offset:244
	buffer_store_dword v68, off, s[0:3], 0 offset:240
	buffer_store_dword v68, off, s[0:3], 0 offset:244
	s_waitcnt vmcnt(0)
	ds_write_b64 v67, v[69:70]
.LBB32_147:
	s_or_b32 exec_lo, exec_lo, s4
	s_waitcnt lgkmcnt(0)
	s_waitcnt_vscnt null, 0x0
	s_barrier
	buffer_gl0_inv
	s_clause 0x5
	buffer_load_dword v72, off, s[0:3], 0 offset:248
	buffer_load_dword v73, off, s[0:3], 0 offset:252
	;; [unrolled: 1-line block ×6, first 2 shown]
	ds_read2_b64 v[68:71], v68 offset0:65 offset1:66
	s_mov_b32 s4, exec_lo
	s_waitcnt vmcnt(4) lgkmcnt(0)
	v_fma_f64 v[68:69], v[72:73], v[68:69], 0
	s_waitcnt vmcnt(2)
	v_fma_f64 v[68:69], v[74:75], v[70:71], v[68:69]
	s_waitcnt vmcnt(0)
	v_add_f64 v[68:69], v[76:77], -v[68:69]
	buffer_store_dword v68, off, s[0:3], 0 offset:240
	buffer_store_dword v69, off, s[0:3], 0 offset:244
	v_cmpx_lt_u32_e32 29, v0
	s_cbranch_execz .LBB32_149
; %bb.148:
	s_clause 0x1
	buffer_load_dword v68, off, s[0:3], 0 offset:232
	buffer_load_dword v69, off, s[0:3], 0 offset:236
	v_mov_b32_e32 v70, 0
	buffer_store_dword v70, off, s[0:3], 0 offset:232
	buffer_store_dword v70, off, s[0:3], 0 offset:236
	s_waitcnt vmcnt(0)
	ds_write_b64 v67, v[68:69]
.LBB32_149:
	s_or_b32 exec_lo, exec_lo, s4
	s_waitcnt lgkmcnt(0)
	s_waitcnt_vscnt null, 0x0
	s_barrier
	buffer_gl0_inv
	s_clause 0x7
	buffer_load_dword v73, off, s[0:3], 0 offset:240
	buffer_load_dword v74, off, s[0:3], 0 offset:244
	;; [unrolled: 1-line block ×8, first 2 shown]
	v_mov_b32_e32 v68, 0
	ds_read_b128 v[69:72], v68 offset:512
	ds_read_b64 v[81:82], v68 offset:528
	s_mov_b32 s4, exec_lo
	s_waitcnt vmcnt(6) lgkmcnt(1)
	v_fma_f64 v[69:70], v[73:74], v[69:70], 0
	s_waitcnt vmcnt(4)
	v_fma_f64 v[69:70], v[75:76], v[71:72], v[69:70]
	s_waitcnt vmcnt(2) lgkmcnt(0)
	v_fma_f64 v[69:70], v[77:78], v[81:82], v[69:70]
	s_waitcnt vmcnt(0)
	v_add_f64 v[69:70], v[79:80], -v[69:70]
	buffer_store_dword v69, off, s[0:3], 0 offset:232
	buffer_store_dword v70, off, s[0:3], 0 offset:236
	v_cmpx_lt_u32_e32 28, v0
	s_cbranch_execz .LBB32_151
; %bb.150:
	s_clause 0x1
	buffer_load_dword v69, off, s[0:3], 0 offset:224
	buffer_load_dword v70, off, s[0:3], 0 offset:228
	buffer_store_dword v68, off, s[0:3], 0 offset:224
	buffer_store_dword v68, off, s[0:3], 0 offset:228
	s_waitcnt vmcnt(0)
	ds_write_b64 v67, v[69:70]
.LBB32_151:
	s_or_b32 exec_lo, exec_lo, s4
	s_waitcnt lgkmcnt(0)
	s_waitcnt_vscnt null, 0x0
	s_barrier
	buffer_gl0_inv
	s_clause 0x9
	buffer_load_dword v77, off, s[0:3], 0 offset:232
	buffer_load_dword v78, off, s[0:3], 0 offset:236
	buffer_load_dword v79, off, s[0:3], 0 offset:240
	buffer_load_dword v80, off, s[0:3], 0 offset:244
	buffer_load_dword v81, off, s[0:3], 0 offset:248
	buffer_load_dword v82, off, s[0:3], 0 offset:252
	buffer_load_dword v83, off, s[0:3], 0 offset:256
	buffer_load_dword v84, off, s[0:3], 0 offset:260
	buffer_load_dword v85, off, s[0:3], 0 offset:224
	buffer_load_dword v86, off, s[0:3], 0 offset:228
	ds_read2_b64 v[69:72], v68 offset0:63 offset1:64
	ds_read2_b64 v[73:76], v68 offset0:65 offset1:66
	s_mov_b32 s4, exec_lo
	s_waitcnt vmcnt(8) lgkmcnt(1)
	v_fma_f64 v[68:69], v[77:78], v[69:70], 0
	s_waitcnt vmcnt(6)
	v_fma_f64 v[68:69], v[79:80], v[71:72], v[68:69]
	s_waitcnt vmcnt(4) lgkmcnt(0)
	v_fma_f64 v[68:69], v[81:82], v[73:74], v[68:69]
	s_waitcnt vmcnt(2)
	v_fma_f64 v[68:69], v[83:84], v[75:76], v[68:69]
	s_waitcnt vmcnt(0)
	v_add_f64 v[68:69], v[85:86], -v[68:69]
	buffer_store_dword v68, off, s[0:3], 0 offset:224
	buffer_store_dword v69, off, s[0:3], 0 offset:228
	v_cmpx_lt_u32_e32 27, v0
	s_cbranch_execz .LBB32_153
; %bb.152:
	s_clause 0x1
	buffer_load_dword v68, off, s[0:3], 0 offset:216
	buffer_load_dword v69, off, s[0:3], 0 offset:220
	v_mov_b32_e32 v70, 0
	buffer_store_dword v70, off, s[0:3], 0 offset:216
	buffer_store_dword v70, off, s[0:3], 0 offset:220
	s_waitcnt vmcnt(0)
	ds_write_b64 v67, v[68:69]
.LBB32_153:
	s_or_b32 exec_lo, exec_lo, s4
	s_waitcnt lgkmcnt(0)
	s_waitcnt_vscnt null, 0x0
	s_barrier
	buffer_gl0_inv
	s_clause 0xb
	buffer_load_dword v77, off, s[0:3], 0 offset:224
	buffer_load_dword v78, off, s[0:3], 0 offset:228
	;; [unrolled: 1-line block ×12, first 2 shown]
	v_mov_b32_e32 v68, 0
	ds_read_b128 v[69:72], v68 offset:496
	ds_read_b128 v[73:76], v68 offset:512
	s_mov_b32 s4, exec_lo
	s_waitcnt vmcnt(10) lgkmcnt(1)
	v_fma_f64 v[69:70], v[77:78], v[69:70], 0
	s_waitcnt vmcnt(8)
	v_fma_f64 v[69:70], v[79:80], v[71:72], v[69:70]
	ds_read_b64 v[71:72], v68 offset:528
	s_waitcnt vmcnt(6) lgkmcnt(1)
	v_fma_f64 v[69:70], v[81:82], v[73:74], v[69:70]
	s_waitcnt vmcnt(4)
	v_fma_f64 v[69:70], v[83:84], v[75:76], v[69:70]
	s_waitcnt vmcnt(2) lgkmcnt(0)
	v_fma_f64 v[69:70], v[85:86], v[71:72], v[69:70]
	s_waitcnt vmcnt(0)
	v_add_f64 v[69:70], v[87:88], -v[69:70]
	buffer_store_dword v69, off, s[0:3], 0 offset:216
	buffer_store_dword v70, off, s[0:3], 0 offset:220
	v_cmpx_lt_u32_e32 26, v0
	s_cbranch_execz .LBB32_155
; %bb.154:
	s_clause 0x1
	buffer_load_dword v69, off, s[0:3], 0 offset:208
	buffer_load_dword v70, off, s[0:3], 0 offset:212
	buffer_store_dword v68, off, s[0:3], 0 offset:208
	buffer_store_dword v68, off, s[0:3], 0 offset:212
	s_waitcnt vmcnt(0)
	ds_write_b64 v67, v[69:70]
.LBB32_155:
	s_or_b32 exec_lo, exec_lo, s4
	s_waitcnt lgkmcnt(0)
	s_waitcnt_vscnt null, 0x0
	s_barrier
	buffer_gl0_inv
	s_clause 0xd
	buffer_load_dword v77, off, s[0:3], 0 offset:216
	buffer_load_dword v78, off, s[0:3], 0 offset:220
	;; [unrolled: 1-line block ×14, first 2 shown]
	ds_read2_b64 v[69:72], v68 offset0:61 offset1:62
	ds_read2_b64 v[73:76], v68 offset0:63 offset1:64
	s_mov_b32 s4, exec_lo
	s_waitcnt vmcnt(12) lgkmcnt(1)
	v_fma_f64 v[69:70], v[77:78], v[69:70], 0
	s_waitcnt vmcnt(10)
	v_fma_f64 v[69:70], v[79:80], v[71:72], v[69:70]
	s_waitcnt vmcnt(8) lgkmcnt(0)
	v_fma_f64 v[69:70], v[81:82], v[73:74], v[69:70]
	s_waitcnt vmcnt(6)
	v_fma_f64 v[72:73], v[83:84], v[75:76], v[69:70]
	ds_read2_b64 v[68:71], v68 offset0:65 offset1:66
	s_waitcnt vmcnt(4) lgkmcnt(0)
	v_fma_f64 v[68:69], v[85:86], v[68:69], v[72:73]
	s_waitcnt vmcnt(2)
	v_fma_f64 v[68:69], v[87:88], v[70:71], v[68:69]
	s_waitcnt vmcnt(0)
	v_add_f64 v[68:69], v[89:90], -v[68:69]
	buffer_store_dword v68, off, s[0:3], 0 offset:208
	buffer_store_dword v69, off, s[0:3], 0 offset:212
	v_cmpx_lt_u32_e32 25, v0
	s_cbranch_execz .LBB32_157
; %bb.156:
	s_clause 0x1
	buffer_load_dword v68, off, s[0:3], 0 offset:200
	buffer_load_dword v69, off, s[0:3], 0 offset:204
	v_mov_b32_e32 v70, 0
	buffer_store_dword v70, off, s[0:3], 0 offset:200
	buffer_store_dword v70, off, s[0:3], 0 offset:204
	s_waitcnt vmcnt(0)
	ds_write_b64 v67, v[68:69]
.LBB32_157:
	s_or_b32 exec_lo, exec_lo, s4
	s_waitcnt lgkmcnt(0)
	s_waitcnt_vscnt null, 0x0
	s_barrier
	buffer_gl0_inv
	s_clause 0xf
	buffer_load_dword v77, off, s[0:3], 0 offset:208
	buffer_load_dword v78, off, s[0:3], 0 offset:212
	;; [unrolled: 1-line block ×16, first 2 shown]
	v_mov_b32_e32 v68, 0
	ds_read_b128 v[69:72], v68 offset:480
	ds_read_b128 v[73:76], v68 offset:496
	s_mov_b32 s4, exec_lo
	s_waitcnt vmcnt(14) lgkmcnt(1)
	v_fma_f64 v[69:70], v[77:78], v[69:70], 0
	s_waitcnt vmcnt(12)
	v_fma_f64 v[69:70], v[79:80], v[71:72], v[69:70]
	s_waitcnt vmcnt(10) lgkmcnt(0)
	v_fma_f64 v[69:70], v[81:82], v[73:74], v[69:70]
	s_waitcnt vmcnt(8)
	v_fma_f64 v[73:74], v[83:84], v[75:76], v[69:70]
	ds_read_b128 v[69:72], v68 offset:512
	ds_read_b64 v[75:76], v68 offset:528
	s_waitcnt vmcnt(6) lgkmcnt(1)
	v_fma_f64 v[69:70], v[85:86], v[69:70], v[73:74]
	s_waitcnt vmcnt(4)
	v_fma_f64 v[69:70], v[87:88], v[71:72], v[69:70]
	s_waitcnt vmcnt(2) lgkmcnt(0)
	v_fma_f64 v[69:70], v[89:90], v[75:76], v[69:70]
	s_waitcnt vmcnt(0)
	v_add_f64 v[69:70], v[91:92], -v[69:70]
	buffer_store_dword v69, off, s[0:3], 0 offset:200
	buffer_store_dword v70, off, s[0:3], 0 offset:204
	v_cmpx_lt_u32_e32 24, v0
	s_cbranch_execz .LBB32_159
; %bb.158:
	s_clause 0x1
	buffer_load_dword v69, off, s[0:3], 0 offset:192
	buffer_load_dword v70, off, s[0:3], 0 offset:196
	buffer_store_dword v68, off, s[0:3], 0 offset:192
	buffer_store_dword v68, off, s[0:3], 0 offset:196
	s_waitcnt vmcnt(0)
	ds_write_b64 v67, v[69:70]
.LBB32_159:
	s_or_b32 exec_lo, exec_lo, s4
	s_waitcnt lgkmcnt(0)
	s_waitcnt_vscnt null, 0x0
	s_barrier
	buffer_gl0_inv
	s_clause 0x11
	buffer_load_dword v73, off, s[0:3], 0 offset:200
	buffer_load_dword v74, off, s[0:3], 0 offset:204
	;; [unrolled: 1-line block ×18, first 2 shown]
	ds_read2_b64 v[69:72], v68 offset0:59 offset1:60
	s_mov_b32 s4, exec_lo
	s_waitcnt vmcnt(16) lgkmcnt(0)
	v_fma_f64 v[69:70], v[73:74], v[69:70], 0
	s_waitcnt vmcnt(14)
	v_fma_f64 v[73:74], v[75:76], v[71:72], v[69:70]
	ds_read2_b64 v[69:72], v68 offset0:61 offset1:62
	s_waitcnt vmcnt(12) lgkmcnt(0)
	v_fma_f64 v[69:70], v[77:78], v[69:70], v[73:74]
	s_waitcnt vmcnt(10)
	v_fma_f64 v[73:74], v[79:80], v[71:72], v[69:70]
	ds_read2_b64 v[69:72], v68 offset0:63 offset1:64
	;; [unrolled: 5-line block ×3, first 2 shown]
	s_waitcnt vmcnt(4) lgkmcnt(0)
	v_fma_f64 v[68:69], v[85:86], v[68:69], v[72:73]
	s_waitcnt vmcnt(2)
	v_fma_f64 v[68:69], v[87:88], v[70:71], v[68:69]
	s_waitcnt vmcnt(0)
	v_add_f64 v[68:69], v[89:90], -v[68:69]
	buffer_store_dword v68, off, s[0:3], 0 offset:192
	buffer_store_dword v69, off, s[0:3], 0 offset:196
	v_cmpx_lt_u32_e32 23, v0
	s_cbranch_execz .LBB32_161
; %bb.160:
	s_clause 0x1
	buffer_load_dword v68, off, s[0:3], 0 offset:184
	buffer_load_dword v69, off, s[0:3], 0 offset:188
	v_mov_b32_e32 v70, 0
	buffer_store_dword v70, off, s[0:3], 0 offset:184
	buffer_store_dword v70, off, s[0:3], 0 offset:188
	s_waitcnt vmcnt(0)
	ds_write_b64 v67, v[68:69]
.LBB32_161:
	s_or_b32 exec_lo, exec_lo, s4
	s_waitcnt lgkmcnt(0)
	s_waitcnt_vscnt null, 0x0
	s_barrier
	buffer_gl0_inv
	s_clause 0x13
	buffer_load_dword v73, off, s[0:3], 0 offset:192
	buffer_load_dword v74, off, s[0:3], 0 offset:196
	;; [unrolled: 1-line block ×20, first 2 shown]
	v_mov_b32_e32 v68, 0
	s_mov_b32 s4, exec_lo
	ds_read_b128 v[69:72], v68 offset:464
	s_waitcnt vmcnt(18) lgkmcnt(0)
	v_fma_f64 v[69:70], v[73:74], v[69:70], 0
	s_waitcnt vmcnt(16)
	v_fma_f64 v[73:74], v[75:76], v[71:72], v[69:70]
	ds_read_b128 v[69:72], v68 offset:480
	s_waitcnt vmcnt(14) lgkmcnt(0)
	v_fma_f64 v[69:70], v[77:78], v[69:70], v[73:74]
	s_waitcnt vmcnt(12)
	v_fma_f64 v[73:74], v[79:80], v[71:72], v[69:70]
	;; [unrolled: 5-line block ×4, first 2 shown]
	ds_read_b64 v[71:72], v68 offset:528
	s_waitcnt vmcnt(2) lgkmcnt(0)
	v_fma_f64 v[69:70], v[89:90], v[71:72], v[69:70]
	s_waitcnt vmcnt(0)
	v_add_f64 v[69:70], v[91:92], -v[69:70]
	buffer_store_dword v69, off, s[0:3], 0 offset:184
	buffer_store_dword v70, off, s[0:3], 0 offset:188
	v_cmpx_lt_u32_e32 22, v0
	s_cbranch_execz .LBB32_163
; %bb.162:
	s_clause 0x1
	buffer_load_dword v69, off, s[0:3], 0 offset:176
	buffer_load_dword v70, off, s[0:3], 0 offset:180
	buffer_store_dword v68, off, s[0:3], 0 offset:176
	buffer_store_dword v68, off, s[0:3], 0 offset:180
	s_waitcnt vmcnt(0)
	ds_write_b64 v67, v[69:70]
.LBB32_163:
	s_or_b32 exec_lo, exec_lo, s4
	s_waitcnt lgkmcnt(0)
	s_waitcnt_vscnt null, 0x0
	s_barrier
	buffer_gl0_inv
	s_clause 0x15
	buffer_load_dword v73, off, s[0:3], 0 offset:184
	buffer_load_dword v74, off, s[0:3], 0 offset:188
	;; [unrolled: 1-line block ×22, first 2 shown]
	ds_read2_b64 v[69:72], v68 offset0:57 offset1:58
	s_mov_b32 s4, exec_lo
	s_waitcnt vmcnt(20) lgkmcnt(0)
	v_fma_f64 v[69:70], v[73:74], v[69:70], 0
	s_waitcnt vmcnt(18)
	v_fma_f64 v[73:74], v[75:76], v[71:72], v[69:70]
	ds_read2_b64 v[69:72], v68 offset0:59 offset1:60
	s_waitcnt vmcnt(16) lgkmcnt(0)
	v_fma_f64 v[69:70], v[77:78], v[69:70], v[73:74]
	s_waitcnt vmcnt(14)
	v_fma_f64 v[73:74], v[79:80], v[71:72], v[69:70]
	ds_read2_b64 v[69:72], v68 offset0:61 offset1:62
	;; [unrolled: 5-line block ×4, first 2 shown]
	s_waitcnt vmcnt(4) lgkmcnt(0)
	v_fma_f64 v[68:69], v[89:90], v[68:69], v[72:73]
	s_waitcnt vmcnt(2)
	v_fma_f64 v[68:69], v[91:92], v[70:71], v[68:69]
	s_waitcnt vmcnt(0)
	v_add_f64 v[68:69], v[93:94], -v[68:69]
	buffer_store_dword v68, off, s[0:3], 0 offset:176
	buffer_store_dword v69, off, s[0:3], 0 offset:180
	v_cmpx_lt_u32_e32 21, v0
	s_cbranch_execz .LBB32_165
; %bb.164:
	s_clause 0x1
	buffer_load_dword v68, off, s[0:3], 0 offset:168
	buffer_load_dword v69, off, s[0:3], 0 offset:172
	v_mov_b32_e32 v70, 0
	buffer_store_dword v70, off, s[0:3], 0 offset:168
	buffer_store_dword v70, off, s[0:3], 0 offset:172
	s_waitcnt vmcnt(0)
	ds_write_b64 v67, v[68:69]
.LBB32_165:
	s_or_b32 exec_lo, exec_lo, s4
	s_waitcnt lgkmcnt(0)
	s_waitcnt_vscnt null, 0x0
	s_barrier
	buffer_gl0_inv
	s_clause 0x17
	buffer_load_dword v77, off, s[0:3], 0 offset:176
	buffer_load_dword v78, off, s[0:3], 0 offset:180
	;; [unrolled: 1-line block ×24, first 2 shown]
	v_mov_b32_e32 v68, 0
	ds_read_b128 v[69:72], v68 offset:448
	ds_read_b128 v[73:76], v68 offset:464
	s_mov_b32 s4, exec_lo
	s_waitcnt vmcnt(22) lgkmcnt(1)
	v_fma_f64 v[69:70], v[77:78], v[69:70], 0
	s_waitcnt vmcnt(20)
	v_fma_f64 v[69:70], v[79:80], v[71:72], v[69:70]
	s_waitcnt vmcnt(18) lgkmcnt(0)
	v_fma_f64 v[69:70], v[81:82], v[73:74], v[69:70]
	s_waitcnt vmcnt(16)
	v_fma_f64 v[77:78], v[83:84], v[75:76], v[69:70]
	ds_read_b128 v[69:72], v68 offset:480
	ds_read_b128 v[73:76], v68 offset:496
	s_waitcnt vmcnt(14) lgkmcnt(1)
	v_fma_f64 v[69:70], v[85:86], v[69:70], v[77:78]
	s_waitcnt vmcnt(12)
	v_fma_f64 v[69:70], v[87:88], v[71:72], v[69:70]
	s_waitcnt vmcnt(10) lgkmcnt(0)
	v_fma_f64 v[69:70], v[89:90], v[73:74], v[69:70]
	s_waitcnt vmcnt(5)
	v_fma_f64 v[73:74], v[91:92], v[75:76], v[69:70]
	ds_read_b128 v[69:72], v68 offset:512
	ds_read_b64 v[75:76], v68 offset:528
	s_waitcnt vmcnt(4) lgkmcnt(1)
	v_fma_f64 v[69:70], v[97:98], v[69:70], v[73:74]
	s_waitcnt vmcnt(3)
	v_fma_f64 v[69:70], v[95:96], v[71:72], v[69:70]
	s_waitcnt vmcnt(2) lgkmcnt(0)
	v_fma_f64 v[69:70], v[93:94], v[75:76], v[69:70]
	s_waitcnt vmcnt(0)
	v_add_f64 v[69:70], v[99:100], -v[69:70]
	buffer_store_dword v70, off, s[0:3], 0 offset:172
	buffer_store_dword v69, off, s[0:3], 0 offset:168
	v_cmpx_lt_u32_e32 20, v0
	s_cbranch_execz .LBB32_167
; %bb.166:
	s_clause 0x1
	buffer_load_dword v69, off, s[0:3], 0 offset:160
	buffer_load_dword v70, off, s[0:3], 0 offset:164
	buffer_store_dword v68, off, s[0:3], 0 offset:160
	buffer_store_dword v68, off, s[0:3], 0 offset:164
	s_waitcnt vmcnt(0)
	ds_write_b64 v67, v[69:70]
.LBB32_167:
	s_or_b32 exec_lo, exec_lo, s4
	s_waitcnt lgkmcnt(0)
	s_waitcnt_vscnt null, 0x0
	s_barrier
	buffer_gl0_inv
	s_clause 0x19
	buffer_load_dword v77, off, s[0:3], 0 offset:168
	buffer_load_dword v78, off, s[0:3], 0 offset:172
	;; [unrolled: 1-line block ×26, first 2 shown]
	ds_read2_b64 v[69:72], v68 offset0:55 offset1:56
	ds_read2_b64 v[73:76], v68 offset0:57 offset1:58
	s_mov_b32 s4, exec_lo
	s_waitcnt vmcnt(24) lgkmcnt(1)
	v_fma_f64 v[69:70], v[77:78], v[69:70], 0
	s_waitcnt vmcnt(22)
	v_fma_f64 v[69:70], v[79:80], v[71:72], v[69:70]
	s_waitcnt vmcnt(20) lgkmcnt(0)
	v_fma_f64 v[69:70], v[81:82], v[73:74], v[69:70]
	s_waitcnt vmcnt(18)
	v_fma_f64 v[77:78], v[83:84], v[75:76], v[69:70]
	ds_read2_b64 v[69:72], v68 offset0:59 offset1:60
	ds_read2_b64 v[73:76], v68 offset0:61 offset1:62
	s_waitcnt vmcnt(16) lgkmcnt(1)
	v_fma_f64 v[69:70], v[85:86], v[69:70], v[77:78]
	s_waitcnt vmcnt(14)
	v_fma_f64 v[69:70], v[87:88], v[71:72], v[69:70]
	s_waitcnt vmcnt(12) lgkmcnt(0)
	v_fma_f64 v[69:70], v[89:90], v[73:74], v[69:70]
	s_waitcnt vmcnt(7)
	v_fma_f64 v[77:78], v[91:92], v[75:76], v[69:70]
	ds_read2_b64 v[69:72], v68 offset0:63 offset1:64
	ds_read2_b64 v[73:76], v68 offset0:65 offset1:66
	s_waitcnt vmcnt(6) lgkmcnt(1)
	v_fma_f64 v[68:69], v[97:98], v[69:70], v[77:78]
	s_waitcnt vmcnt(5)
	v_fma_f64 v[68:69], v[95:96], v[71:72], v[68:69]
	s_waitcnt vmcnt(4) lgkmcnt(0)
	v_fma_f64 v[68:69], v[93:94], v[73:74], v[68:69]
	s_waitcnt vmcnt(2)
	v_fma_f64 v[68:69], v[99:100], v[75:76], v[68:69]
	s_waitcnt vmcnt(0)
	v_add_f64 v[68:69], v[101:102], -v[68:69]
	buffer_store_dword v69, off, s[0:3], 0 offset:164
	buffer_store_dword v68, off, s[0:3], 0 offset:160
	v_cmpx_lt_u32_e32 19, v0
	s_cbranch_execz .LBB32_169
; %bb.168:
	s_clause 0x1
	buffer_load_dword v68, off, s[0:3], 0 offset:152
	buffer_load_dword v69, off, s[0:3], 0 offset:156
	v_mov_b32_e32 v70, 0
	buffer_store_dword v70, off, s[0:3], 0 offset:152
	buffer_store_dword v70, off, s[0:3], 0 offset:156
	s_waitcnt vmcnt(0)
	ds_write_b64 v67, v[68:69]
.LBB32_169:
	s_or_b32 exec_lo, exec_lo, s4
	s_waitcnt lgkmcnt(0)
	s_waitcnt_vscnt null, 0x0
	s_barrier
	buffer_gl0_inv
	s_clause 0x1b
	buffer_load_dword v77, off, s[0:3], 0 offset:160
	buffer_load_dword v78, off, s[0:3], 0 offset:164
	;; [unrolled: 1-line block ×28, first 2 shown]
	v_mov_b32_e32 v68, 0
	ds_read_b128 v[69:72], v68 offset:432
	ds_read_b128 v[73:76], v68 offset:448
	s_mov_b32 s4, exec_lo
	s_waitcnt vmcnt(26) lgkmcnt(1)
	v_fma_f64 v[69:70], v[77:78], v[69:70], 0
	s_waitcnt vmcnt(24)
	v_fma_f64 v[69:70], v[79:80], v[71:72], v[69:70]
	s_waitcnt vmcnt(22) lgkmcnt(0)
	v_fma_f64 v[69:70], v[81:82], v[73:74], v[69:70]
	s_waitcnt vmcnt(20)
	v_fma_f64 v[77:78], v[83:84], v[75:76], v[69:70]
	ds_read_b128 v[69:72], v68 offset:464
	ds_read_b128 v[73:76], v68 offset:480
	s_waitcnt vmcnt(18) lgkmcnt(1)
	v_fma_f64 v[69:70], v[85:86], v[69:70], v[77:78]
	s_waitcnt vmcnt(16)
	v_fma_f64 v[69:70], v[87:88], v[71:72], v[69:70]
	s_waitcnt vmcnt(14) lgkmcnt(0)
	v_fma_f64 v[69:70], v[89:90], v[73:74], v[69:70]
	s_waitcnt vmcnt(9)
	v_fma_f64 v[77:78], v[91:92], v[75:76], v[69:70]
	ds_read_b128 v[69:72], v68 offset:496
	ds_read_b128 v[73:76], v68 offset:512
	s_waitcnt vmcnt(8) lgkmcnt(1)
	v_fma_f64 v[69:70], v[97:98], v[69:70], v[77:78]
	s_waitcnt vmcnt(7)
	v_fma_f64 v[69:70], v[95:96], v[71:72], v[69:70]
	ds_read_b64 v[71:72], v68 offset:528
	s_waitcnt vmcnt(6) lgkmcnt(1)
	v_fma_f64 v[69:70], v[93:94], v[73:74], v[69:70]
	s_waitcnt vmcnt(3)
	v_fma_f64 v[69:70], v[99:100], v[75:76], v[69:70]
	s_waitcnt vmcnt(2) lgkmcnt(0)
	v_fma_f64 v[69:70], v[101:102], v[71:72], v[69:70]
	s_waitcnt vmcnt(0)
	v_add_f64 v[69:70], v[103:104], -v[69:70]
	buffer_store_dword v70, off, s[0:3], 0 offset:156
	buffer_store_dword v69, off, s[0:3], 0 offset:152
	v_cmpx_lt_u32_e32 18, v0
	s_cbranch_execz .LBB32_171
; %bb.170:
	s_clause 0x1
	buffer_load_dword v69, off, s[0:3], 0 offset:144
	buffer_load_dword v70, off, s[0:3], 0 offset:148
	buffer_store_dword v68, off, s[0:3], 0 offset:144
	buffer_store_dword v68, off, s[0:3], 0 offset:148
	s_waitcnt vmcnt(0)
	ds_write_b64 v67, v[69:70]
.LBB32_171:
	s_or_b32 exec_lo, exec_lo, s4
	s_waitcnt lgkmcnt(0)
	s_waitcnt_vscnt null, 0x0
	s_barrier
	buffer_gl0_inv
	s_clause 0x1b
	buffer_load_dword v77, off, s[0:3], 0 offset:152
	buffer_load_dword v78, off, s[0:3], 0 offset:156
	;; [unrolled: 1-line block ×28, first 2 shown]
	ds_read2_b64 v[69:72], v68 offset0:53 offset1:54
	s_clause 0x1
	buffer_load_dword v105, off, s[0:3], 0 offset:144
	buffer_load_dword v106, off, s[0:3], 0 offset:148
	ds_read2_b64 v[73:76], v68 offset0:55 offset1:56
	s_mov_b32 s4, exec_lo
	s_waitcnt vmcnt(28) lgkmcnt(1)
	v_fma_f64 v[69:70], v[77:78], v[69:70], 0
	s_waitcnt vmcnt(26)
	v_fma_f64 v[69:70], v[79:80], v[71:72], v[69:70]
	s_waitcnt vmcnt(24) lgkmcnt(0)
	v_fma_f64 v[69:70], v[81:82], v[73:74], v[69:70]
	s_waitcnt vmcnt(22)
	v_fma_f64 v[77:78], v[83:84], v[75:76], v[69:70]
	ds_read2_b64 v[69:72], v68 offset0:57 offset1:58
	ds_read2_b64 v[73:76], v68 offset0:59 offset1:60
	s_waitcnt vmcnt(20) lgkmcnt(1)
	v_fma_f64 v[69:70], v[85:86], v[69:70], v[77:78]
	s_waitcnt vmcnt(18)
	v_fma_f64 v[69:70], v[87:88], v[71:72], v[69:70]
	s_waitcnt vmcnt(16) lgkmcnt(0)
	v_fma_f64 v[69:70], v[89:90], v[73:74], v[69:70]
	s_waitcnt vmcnt(11)
	v_fma_f64 v[77:78], v[91:92], v[75:76], v[69:70]
	ds_read2_b64 v[69:72], v68 offset0:61 offset1:62
	ds_read2_b64 v[73:76], v68 offset0:63 offset1:64
	s_waitcnt vmcnt(10) lgkmcnt(1)
	v_fma_f64 v[69:70], v[97:98], v[69:70], v[77:78]
	s_waitcnt vmcnt(9)
	v_fma_f64 v[69:70], v[95:96], v[71:72], v[69:70]
	s_waitcnt vmcnt(8) lgkmcnt(0)
	v_fma_f64 v[69:70], v[93:94], v[73:74], v[69:70]
	s_waitcnt vmcnt(4)
	v_fma_f64 v[72:73], v[99:100], v[75:76], v[69:70]
	ds_read2_b64 v[68:71], v68 offset0:65 offset1:66
	s_waitcnt vmcnt(3) lgkmcnt(0)
	v_fma_f64 v[68:69], v[103:104], v[68:69], v[72:73]
	s_waitcnt vmcnt(2)
	v_fma_f64 v[68:69], v[101:102], v[70:71], v[68:69]
	s_waitcnt vmcnt(0)
	v_add_f64 v[68:69], v[105:106], -v[68:69]
	buffer_store_dword v69, off, s[0:3], 0 offset:148
	buffer_store_dword v68, off, s[0:3], 0 offset:144
	v_cmpx_lt_u32_e32 17, v0
	s_cbranch_execz .LBB32_173
; %bb.172:
	s_clause 0x1
	buffer_load_dword v68, off, s[0:3], 0 offset:136
	buffer_load_dword v69, off, s[0:3], 0 offset:140
	v_mov_b32_e32 v70, 0
	buffer_store_dword v70, off, s[0:3], 0 offset:136
	buffer_store_dword v70, off, s[0:3], 0 offset:140
	s_waitcnt vmcnt(0)
	ds_write_b64 v67, v[68:69]
.LBB32_173:
	s_or_b32 exec_lo, exec_lo, s4
	s_waitcnt lgkmcnt(0)
	s_waitcnt_vscnt null, 0x0
	s_barrier
	buffer_gl0_inv
	s_clause 0x1c
	buffer_load_dword v77, off, s[0:3], 0 offset:144
	buffer_load_dword v78, off, s[0:3], 0 offset:148
	;; [unrolled: 1-line block ×29, first 2 shown]
	v_mov_b32_e32 v68, 0
	buffer_load_dword v102, off, s[0:3], 0 offset:260
	s_mov_b32 s4, exec_lo
	ds_read_b128 v[69:72], v68 offset:416
	ds_read_b128 v[73:76], v68 offset:432
	s_waitcnt vmcnt(28) lgkmcnt(1)
	v_fma_f64 v[69:70], v[77:78], v[69:70], 0
	s_clause 0x1
	buffer_load_dword v77, off, s[0:3], 0 offset:136
	buffer_load_dword v78, off, s[0:3], 0 offset:140
	s_waitcnt vmcnt(28)
	v_fma_f64 v[69:70], v[79:80], v[71:72], v[69:70]
	s_waitcnt vmcnt(26) lgkmcnt(0)
	v_fma_f64 v[69:70], v[81:82], v[73:74], v[69:70]
	s_waitcnt vmcnt(24)
	v_fma_f64 v[79:80], v[83:84], v[75:76], v[69:70]
	ds_read_b128 v[69:72], v68 offset:448
	ds_read_b128 v[73:76], v68 offset:464
	s_waitcnt vmcnt(22) lgkmcnt(1)
	v_fma_f64 v[69:70], v[85:86], v[69:70], v[79:80]
	s_waitcnt vmcnt(20)
	v_fma_f64 v[69:70], v[87:88], v[71:72], v[69:70]
	s_waitcnt vmcnt(18) lgkmcnt(0)
	v_fma_f64 v[69:70], v[89:90], v[73:74], v[69:70]
	s_waitcnt vmcnt(13)
	v_fma_f64 v[79:80], v[91:92], v[75:76], v[69:70]
	ds_read_b128 v[69:72], v68 offset:480
	ds_read_b128 v[73:76], v68 offset:496
	s_waitcnt vmcnt(12) lgkmcnt(1)
	v_fma_f64 v[69:70], v[97:98], v[69:70], v[79:80]
	s_waitcnt vmcnt(11)
	v_fma_f64 v[69:70], v[95:96], v[71:72], v[69:70]
	s_waitcnt vmcnt(10) lgkmcnt(0)
	v_fma_f64 v[69:70], v[93:94], v[73:74], v[69:70]
	s_waitcnt vmcnt(5)
	v_fma_f64 v[73:74], v[99:100], v[75:76], v[69:70]
	ds_read_b128 v[69:72], v68 offset:512
	ds_read_b64 v[75:76], v68 offset:528
	s_waitcnt vmcnt(4) lgkmcnt(1)
	v_fma_f64 v[69:70], v[105:106], v[69:70], v[73:74]
	s_waitcnt vmcnt(3)
	v_fma_f64 v[69:70], v[103:104], v[71:72], v[69:70]
	s_waitcnt vmcnt(2) lgkmcnt(0)
	v_fma_f64 v[69:70], v[101:102], v[75:76], v[69:70]
	s_waitcnt vmcnt(0)
	v_add_f64 v[69:70], v[77:78], -v[69:70]
	buffer_store_dword v70, off, s[0:3], 0 offset:140
	buffer_store_dword v69, off, s[0:3], 0 offset:136
	v_cmpx_lt_u32_e32 16, v0
	s_cbranch_execz .LBB32_175
; %bb.174:
	s_clause 0x1
	buffer_load_dword v69, off, s[0:3], 0 offset:128
	buffer_load_dword v70, off, s[0:3], 0 offset:132
	buffer_store_dword v68, off, s[0:3], 0 offset:128
	buffer_store_dword v68, off, s[0:3], 0 offset:132
	s_waitcnt vmcnt(0)
	ds_write_b64 v67, v[69:70]
.LBB32_175:
	s_or_b32 exec_lo, exec_lo, s4
	s_waitcnt lgkmcnt(0)
	s_waitcnt_vscnt null, 0x0
	s_barrier
	buffer_gl0_inv
	s_clause 0x1c
	buffer_load_dword v77, off, s[0:3], 0 offset:136
	buffer_load_dword v78, off, s[0:3], 0 offset:140
	;; [unrolled: 1-line block ×29, first 2 shown]
	ds_read2_b64 v[69:72], v68 offset0:51 offset1:52
	ds_read2_b64 v[73:76], v68 offset0:53 offset1:54
	buffer_load_dword v102, off, s[0:3], 0 offset:252
	s_mov_b32 s4, exec_lo
	s_waitcnt vmcnt(28) lgkmcnt(1)
	v_fma_f64 v[69:70], v[77:78], v[69:70], 0
	s_clause 0x1
	buffer_load_dword v78, off, s[0:3], 0 offset:260
	buffer_load_dword v77, off, s[0:3], 0 offset:256
	s_waitcnt vmcnt(28)
	v_fma_f64 v[69:70], v[79:80], v[71:72], v[69:70]
	s_clause 0x1
	buffer_load_dword v79, off, s[0:3], 0 offset:128
	buffer_load_dword v80, off, s[0:3], 0 offset:132
	s_waitcnt vmcnt(28) lgkmcnt(0)
	v_fma_f64 v[69:70], v[81:82], v[73:74], v[69:70]
	s_waitcnt vmcnt(26)
	v_fma_f64 v[81:82], v[83:84], v[75:76], v[69:70]
	ds_read2_b64 v[69:72], v68 offset0:55 offset1:56
	ds_read2_b64 v[73:76], v68 offset0:57 offset1:58
	s_waitcnt vmcnt(24) lgkmcnt(1)
	v_fma_f64 v[69:70], v[85:86], v[69:70], v[81:82]
	s_waitcnt vmcnt(22)
	v_fma_f64 v[69:70], v[87:88], v[71:72], v[69:70]
	s_waitcnt vmcnt(20) lgkmcnt(0)
	v_fma_f64 v[69:70], v[89:90], v[73:74], v[69:70]
	s_waitcnt vmcnt(15)
	v_fma_f64 v[81:82], v[91:92], v[75:76], v[69:70]
	ds_read2_b64 v[69:72], v68 offset0:59 offset1:60
	ds_read2_b64 v[73:76], v68 offset0:61 offset1:62
	s_waitcnt vmcnt(14) lgkmcnt(1)
	v_fma_f64 v[69:70], v[97:98], v[69:70], v[81:82]
	s_waitcnt vmcnt(13)
	v_fma_f64 v[69:70], v[95:96], v[71:72], v[69:70]
	s_waitcnt vmcnt(12) lgkmcnt(0)
	v_fma_f64 v[69:70], v[93:94], v[73:74], v[69:70]
	s_waitcnt vmcnt(7)
	v_fma_f64 v[81:82], v[99:100], v[75:76], v[69:70]
	ds_read2_b64 v[69:72], v68 offset0:63 offset1:64
	ds_read2_b64 v[73:76], v68 offset0:65 offset1:66
	s_waitcnt vmcnt(6) lgkmcnt(1)
	v_fma_f64 v[68:69], v[105:106], v[69:70], v[81:82]
	s_waitcnt vmcnt(5)
	v_fma_f64 v[68:69], v[103:104], v[71:72], v[68:69]
	s_waitcnt vmcnt(4) lgkmcnt(0)
	v_fma_f64 v[68:69], v[101:102], v[73:74], v[68:69]
	s_waitcnt vmcnt(2)
	v_fma_f64 v[68:69], v[77:78], v[75:76], v[68:69]
	s_waitcnt vmcnt(0)
	v_add_f64 v[68:69], v[79:80], -v[68:69]
	buffer_store_dword v69, off, s[0:3], 0 offset:132
	buffer_store_dword v68, off, s[0:3], 0 offset:128
	v_cmpx_lt_u32_e32 15, v0
	s_cbranch_execz .LBB32_177
; %bb.176:
	s_clause 0x1
	buffer_load_dword v68, off, s[0:3], 0 offset:120
	buffer_load_dword v69, off, s[0:3], 0 offset:124
	v_mov_b32_e32 v70, 0
	buffer_store_dword v70, off, s[0:3], 0 offset:120
	buffer_store_dword v70, off, s[0:3], 0 offset:124
	s_waitcnt vmcnt(0)
	ds_write_b64 v67, v[68:69]
.LBB32_177:
	s_or_b32 exec_lo, exec_lo, s4
	s_waitcnt lgkmcnt(0)
	s_waitcnt_vscnt null, 0x0
	s_barrier
	buffer_gl0_inv
	s_clause 0x1c
	buffer_load_dword v77, off, s[0:3], 0 offset:128
	buffer_load_dword v78, off, s[0:3], 0 offset:132
	buffer_load_dword v79, off, s[0:3], 0 offset:136
	buffer_load_dword v80, off, s[0:3], 0 offset:140
	buffer_load_dword v81, off, s[0:3], 0 offset:144
	buffer_load_dword v82, off, s[0:3], 0 offset:148
	buffer_load_dword v83, off, s[0:3], 0 offset:152
	buffer_load_dword v84, off, s[0:3], 0 offset:156
	buffer_load_dword v85, off, s[0:3], 0 offset:160
	buffer_load_dword v86, off, s[0:3], 0 offset:164
	buffer_load_dword v87, off, s[0:3], 0 offset:168
	buffer_load_dword v88, off, s[0:3], 0 offset:172
	buffer_load_dword v89, off, s[0:3], 0 offset:176
	buffer_load_dword v90, off, s[0:3], 0 offset:180
	buffer_load_dword v92, off, s[0:3], 0 offset:188
	buffer_load_dword v93, off, s[0:3], 0 offset:208
	buffer_load_dword v95, off, s[0:3], 0 offset:200
	buffer_load_dword v97, off, s[0:3], 0 offset:192
	buffer_load_dword v91, off, s[0:3], 0 offset:184
	buffer_load_dword v98, off, s[0:3], 0 offset:196
	buffer_load_dword v96, off, s[0:3], 0 offset:204
	buffer_load_dword v94, off, s[0:3], 0 offset:212
	buffer_load_dword v100, off, s[0:3], 0 offset:220
	buffer_load_dword v101, off, s[0:3], 0 offset:240
	buffer_load_dword v103, off, s[0:3], 0 offset:232
	buffer_load_dword v105, off, s[0:3], 0 offset:224
	buffer_load_dword v99, off, s[0:3], 0 offset:216
	buffer_load_dword v106, off, s[0:3], 0 offset:228
	buffer_load_dword v104, off, s[0:3], 0 offset:236
	v_mov_b32_e32 v68, 0
	buffer_load_dword v102, off, s[0:3], 0 offset:244
	s_mov_b32 s4, exec_lo
	ds_read_b128 v[69:72], v68 offset:400
	ds_read_b128 v[73:76], v68 offset:416
	s_waitcnt vmcnt(28) lgkmcnt(1)
	v_fma_f64 v[69:70], v[77:78], v[69:70], 0
	s_clause 0x3
	buffer_load_dword v78, off, s[0:3], 0 offset:252
	buffer_load_dword v107, off, s[0:3], 0 offset:256
	;; [unrolled: 1-line block ×4, first 2 shown]
	s_waitcnt vmcnt(30)
	v_fma_f64 v[69:70], v[79:80], v[71:72], v[69:70]
	s_clause 0x1
	buffer_load_dword v79, off, s[0:3], 0 offset:120
	buffer_load_dword v80, off, s[0:3], 0 offset:124
	s_waitcnt vmcnt(30) lgkmcnt(0)
	v_fma_f64 v[69:70], v[81:82], v[73:74], v[69:70]
	s_waitcnt vmcnt(28)
	v_fma_f64 v[81:82], v[83:84], v[75:76], v[69:70]
	ds_read_b128 v[69:72], v68 offset:432
	ds_read_b128 v[73:76], v68 offset:448
	s_waitcnt vmcnt(26) lgkmcnt(1)
	v_fma_f64 v[69:70], v[85:86], v[69:70], v[81:82]
	s_waitcnt vmcnt(24)
	v_fma_f64 v[69:70], v[87:88], v[71:72], v[69:70]
	s_waitcnt vmcnt(22) lgkmcnt(0)
	v_fma_f64 v[69:70], v[89:90], v[73:74], v[69:70]
	s_waitcnt vmcnt(17)
	v_fma_f64 v[81:82], v[91:92], v[75:76], v[69:70]
	ds_read_b128 v[69:72], v68 offset:464
	ds_read_b128 v[73:76], v68 offset:480
	s_waitcnt vmcnt(16) lgkmcnt(1)
	v_fma_f64 v[69:70], v[97:98], v[69:70], v[81:82]
	s_waitcnt vmcnt(15)
	v_fma_f64 v[69:70], v[95:96], v[71:72], v[69:70]
	;; [unrolled: 10-line block ×3, first 2 shown]
	ds_read_b64 v[71:72], v68 offset:528
	s_waitcnt vmcnt(6) lgkmcnt(1)
	v_fma_f64 v[69:70], v[101:102], v[73:74], v[69:70]
	s_waitcnt vmcnt(3)
	v_fma_f64 v[69:70], v[77:78], v[75:76], v[69:70]
	s_waitcnt vmcnt(2) lgkmcnt(0)
	v_fma_f64 v[69:70], v[107:108], v[71:72], v[69:70]
	s_waitcnt vmcnt(0)
	v_add_f64 v[69:70], v[79:80], -v[69:70]
	buffer_store_dword v70, off, s[0:3], 0 offset:124
	buffer_store_dword v69, off, s[0:3], 0 offset:120
	v_cmpx_lt_u32_e32 14, v0
	s_cbranch_execz .LBB32_179
; %bb.178:
	s_clause 0x1
	buffer_load_dword v69, off, s[0:3], 0 offset:112
	buffer_load_dword v70, off, s[0:3], 0 offset:116
	buffer_store_dword v68, off, s[0:3], 0 offset:112
	buffer_store_dword v68, off, s[0:3], 0 offset:116
	s_waitcnt vmcnt(0)
	ds_write_b64 v67, v[69:70]
.LBB32_179:
	s_or_b32 exec_lo, exec_lo, s4
	s_waitcnt lgkmcnt(0)
	s_waitcnt_vscnt null, 0x0
	s_barrier
	buffer_gl0_inv
	s_clause 0x1c
	buffer_load_dword v77, off, s[0:3], 0 offset:120
	buffer_load_dword v78, off, s[0:3], 0 offset:124
	;; [unrolled: 1-line block ×29, first 2 shown]
	ds_read2_b64 v[69:72], v68 offset0:49 offset1:50
	ds_read2_b64 v[73:76], v68 offset0:51 offset1:52
	buffer_load_dword v102, off, s[0:3], 0 offset:236
	s_mov_b32 s4, exec_lo
	s_waitcnt vmcnt(28) lgkmcnt(1)
	v_fma_f64 v[69:70], v[77:78], v[69:70], 0
	s_clause 0x5
	buffer_load_dword v78, off, s[0:3], 0 offset:244
	buffer_load_dword v107, off, s[0:3], 0 offset:256
	;; [unrolled: 1-line block ×6, first 2 shown]
	s_waitcnt vmcnt(32)
	v_fma_f64 v[69:70], v[79:80], v[71:72], v[69:70]
	s_waitcnt vmcnt(30) lgkmcnt(0)
	v_fma_f64 v[69:70], v[81:82], v[73:74], v[69:70]
	s_waitcnt vmcnt(28)
	v_fma_f64 v[79:80], v[83:84], v[75:76], v[69:70]
	ds_read2_b64 v[69:72], v68 offset0:53 offset1:54
	s_clause 0x1
	buffer_load_dword v81, off, s[0:3], 0 offset:112
	buffer_load_dword v82, off, s[0:3], 0 offset:116
	ds_read2_b64 v[73:76], v68 offset0:55 offset1:56
	s_waitcnt vmcnt(28) lgkmcnt(1)
	v_fma_f64 v[69:70], v[85:86], v[69:70], v[79:80]
	s_waitcnt vmcnt(26)
	v_fma_f64 v[69:70], v[87:88], v[71:72], v[69:70]
	s_waitcnt vmcnt(24) lgkmcnt(0)
	v_fma_f64 v[69:70], v[89:90], v[73:74], v[69:70]
	s_waitcnt vmcnt(19)
	v_fma_f64 v[79:80], v[91:92], v[75:76], v[69:70]
	ds_read2_b64 v[69:72], v68 offset0:57 offset1:58
	ds_read2_b64 v[73:76], v68 offset0:59 offset1:60
	s_waitcnt vmcnt(18) lgkmcnt(1)
	v_fma_f64 v[69:70], v[97:98], v[69:70], v[79:80]
	s_waitcnt vmcnt(17)
	v_fma_f64 v[69:70], v[95:96], v[71:72], v[69:70]
	s_waitcnt vmcnt(16) lgkmcnt(0)
	v_fma_f64 v[69:70], v[93:94], v[73:74], v[69:70]
	s_waitcnt vmcnt(11)
	v_fma_f64 v[79:80], v[99:100], v[75:76], v[69:70]
	ds_read2_b64 v[69:72], v68 offset0:61 offset1:62
	;; [unrolled: 10-line block ×3, first 2 shown]
	s_waitcnt vmcnt(3) lgkmcnt(0)
	v_fma_f64 v[68:69], v[109:110], v[68:69], v[72:73]
	s_waitcnt vmcnt(2)
	v_fma_f64 v[68:69], v[107:108], v[70:71], v[68:69]
	s_waitcnt vmcnt(0)
	v_add_f64 v[68:69], v[81:82], -v[68:69]
	buffer_store_dword v69, off, s[0:3], 0 offset:116
	buffer_store_dword v68, off, s[0:3], 0 offset:112
	v_cmpx_lt_u32_e32 13, v0
	s_cbranch_execz .LBB32_181
; %bb.180:
	s_clause 0x1
	buffer_load_dword v68, off, s[0:3], 0 offset:104
	buffer_load_dword v69, off, s[0:3], 0 offset:108
	v_mov_b32_e32 v70, 0
	buffer_store_dword v70, off, s[0:3], 0 offset:104
	buffer_store_dword v70, off, s[0:3], 0 offset:108
	s_waitcnt vmcnt(0)
	ds_write_b64 v67, v[68:69]
.LBB32_181:
	s_or_b32 exec_lo, exec_lo, s4
	s_waitcnt lgkmcnt(0)
	s_waitcnt_vscnt null, 0x0
	s_barrier
	buffer_gl0_inv
	s_clause 0x1c
	buffer_load_dword v77, off, s[0:3], 0 offset:112
	buffer_load_dword v78, off, s[0:3], 0 offset:116
	;; [unrolled: 1-line block ×29, first 2 shown]
	v_mov_b32_e32 v68, 0
	buffer_load_dword v102, off, s[0:3], 0 offset:228
	s_mov_b32 s4, exec_lo
	ds_read_b128 v[69:72], v68 offset:384
	ds_read_b128 v[73:76], v68 offset:400
	s_waitcnt vmcnt(28) lgkmcnt(1)
	v_fma_f64 v[69:70], v[77:78], v[69:70], 0
	s_clause 0x7
	buffer_load_dword v78, off, s[0:3], 0 offset:236
	buffer_load_dword v107, off, s[0:3], 0 offset:256
	;; [unrolled: 1-line block ×8, first 2 shown]
	s_waitcnt vmcnt(34)
	v_fma_f64 v[69:70], v[79:80], v[71:72], v[69:70]
	s_waitcnt vmcnt(32) lgkmcnt(0)
	v_fma_f64 v[69:70], v[81:82], v[73:74], v[69:70]
	s_waitcnt vmcnt(30)
	v_fma_f64 v[79:80], v[83:84], v[75:76], v[69:70]
	ds_read_b128 v[69:72], v68 offset:416
	ds_read_b128 v[73:76], v68 offset:432
	s_waitcnt vmcnt(28) lgkmcnt(1)
	v_fma_f64 v[69:70], v[85:86], v[69:70], v[79:80]
	s_clause 0x1
	buffer_load_dword v79, off, s[0:3], 0 offset:104
	buffer_load_dword v80, off, s[0:3], 0 offset:108
	s_waitcnt vmcnt(28)
	v_fma_f64 v[69:70], v[87:88], v[71:72], v[69:70]
	s_waitcnt vmcnt(26) lgkmcnt(0)
	v_fma_f64 v[69:70], v[89:90], v[73:74], v[69:70]
	s_waitcnt vmcnt(21)
	v_fma_f64 v[81:82], v[91:92], v[75:76], v[69:70]
	ds_read_b128 v[69:72], v68 offset:448
	ds_read_b128 v[73:76], v68 offset:464
	s_waitcnt vmcnt(20) lgkmcnt(1)
	v_fma_f64 v[69:70], v[97:98], v[69:70], v[81:82]
	s_waitcnt vmcnt(19)
	v_fma_f64 v[69:70], v[95:96], v[71:72], v[69:70]
	s_waitcnt vmcnt(18) lgkmcnt(0)
	v_fma_f64 v[69:70], v[93:94], v[73:74], v[69:70]
	s_waitcnt vmcnt(13)
	v_fma_f64 v[81:82], v[99:100], v[75:76], v[69:70]
	ds_read_b128 v[69:72], v68 offset:480
	ds_read_b128 v[73:76], v68 offset:496
	s_waitcnt vmcnt(12) lgkmcnt(1)
	v_fma_f64 v[69:70], v[105:106], v[69:70], v[81:82]
	s_waitcnt vmcnt(11)
	v_fma_f64 v[69:70], v[103:104], v[71:72], v[69:70]
	s_waitcnt vmcnt(10) lgkmcnt(0)
	v_fma_f64 v[69:70], v[101:102], v[73:74], v[69:70]
	s_waitcnt vmcnt(5)
	v_fma_f64 v[73:74], v[77:78], v[75:76], v[69:70]
	ds_read_b128 v[69:72], v68 offset:512
	ds_read_b64 v[75:76], v68 offset:528
	s_waitcnt vmcnt(4) lgkmcnt(1)
	v_fma_f64 v[69:70], v[111:112], v[69:70], v[73:74]
	s_waitcnt vmcnt(3)
	v_fma_f64 v[69:70], v[109:110], v[71:72], v[69:70]
	s_waitcnt vmcnt(2) lgkmcnt(0)
	v_fma_f64 v[69:70], v[107:108], v[75:76], v[69:70]
	s_waitcnt vmcnt(0)
	v_add_f64 v[69:70], v[79:80], -v[69:70]
	buffer_store_dword v70, off, s[0:3], 0 offset:108
	buffer_store_dword v69, off, s[0:3], 0 offset:104
	v_cmpx_lt_u32_e32 12, v0
	s_cbranch_execz .LBB32_183
; %bb.182:
	s_clause 0x1
	buffer_load_dword v69, off, s[0:3], 0 offset:96
	buffer_load_dword v70, off, s[0:3], 0 offset:100
	buffer_store_dword v68, off, s[0:3], 0 offset:96
	buffer_store_dword v68, off, s[0:3], 0 offset:100
	s_waitcnt vmcnt(0)
	ds_write_b64 v67, v[69:70]
.LBB32_183:
	s_or_b32 exec_lo, exec_lo, s4
	s_waitcnt lgkmcnt(0)
	s_waitcnt_vscnt null, 0x0
	s_barrier
	buffer_gl0_inv
	s_clause 0x1c
	buffer_load_dword v77, off, s[0:3], 0 offset:104
	buffer_load_dword v78, off, s[0:3], 0 offset:108
	;; [unrolled: 1-line block ×29, first 2 shown]
	ds_read2_b64 v[69:72], v68 offset0:47 offset1:48
	ds_read2_b64 v[73:76], v68 offset0:49 offset1:50
	buffer_load_dword v102, off, s[0:3], 0 offset:220
	s_mov_b32 s4, exec_lo
	s_waitcnt vmcnt(28) lgkmcnt(1)
	v_fma_f64 v[69:70], v[77:78], v[69:70], 0
	s_clause 0x7
	buffer_load_dword v78, off, s[0:3], 0 offset:228
	buffer_load_dword v107, off, s[0:3], 0 offset:248
	;; [unrolled: 1-line block ×8, first 2 shown]
	s_waitcnt vmcnt(34)
	v_fma_f64 v[69:70], v[79:80], v[71:72], v[69:70]
	s_waitcnt vmcnt(32) lgkmcnt(0)
	v_fma_f64 v[69:70], v[81:82], v[73:74], v[69:70]
	s_waitcnt vmcnt(30)
	v_fma_f64 v[79:80], v[83:84], v[75:76], v[69:70]
	ds_read2_b64 v[69:72], v68 offset0:51 offset1:52
	ds_read2_b64 v[73:76], v68 offset0:53 offset1:54
	s_waitcnt vmcnt(28) lgkmcnt(1)
	v_fma_f64 v[69:70], v[85:86], v[69:70], v[79:80]
	s_clause 0x3
	buffer_load_dword v80, off, s[0:3], 0 offset:260
	buffer_load_dword v79, off, s[0:3], 0 offset:256
	;; [unrolled: 1-line block ×4, first 2 shown]
	s_waitcnt vmcnt(30)
	v_fma_f64 v[69:70], v[87:88], v[71:72], v[69:70]
	s_waitcnt vmcnt(28) lgkmcnt(0)
	v_fma_f64 v[69:70], v[89:90], v[73:74], v[69:70]
	s_waitcnt vmcnt(23)
	v_fma_f64 v[83:84], v[91:92], v[75:76], v[69:70]
	ds_read2_b64 v[69:72], v68 offset0:55 offset1:56
	ds_read2_b64 v[73:76], v68 offset0:57 offset1:58
	s_waitcnt vmcnt(22) lgkmcnt(1)
	v_fma_f64 v[69:70], v[97:98], v[69:70], v[83:84]
	s_waitcnt vmcnt(21)
	v_fma_f64 v[69:70], v[95:96], v[71:72], v[69:70]
	s_waitcnt vmcnt(20) lgkmcnt(0)
	v_fma_f64 v[69:70], v[93:94], v[73:74], v[69:70]
	s_waitcnt vmcnt(15)
	v_fma_f64 v[83:84], v[99:100], v[75:76], v[69:70]
	ds_read2_b64 v[69:72], v68 offset0:59 offset1:60
	ds_read2_b64 v[73:76], v68 offset0:61 offset1:62
	s_waitcnt vmcnt(14) lgkmcnt(1)
	v_fma_f64 v[69:70], v[105:106], v[69:70], v[83:84]
	;; [unrolled: 10-line block ×3, first 2 shown]
	s_waitcnt vmcnt(5)
	v_fma_f64 v[68:69], v[109:110], v[71:72], v[68:69]
	s_waitcnt vmcnt(4) lgkmcnt(0)
	v_fma_f64 v[68:69], v[107:108], v[73:74], v[68:69]
	s_waitcnt vmcnt(2)
	v_fma_f64 v[68:69], v[79:80], v[75:76], v[68:69]
	s_waitcnt vmcnt(0)
	v_add_f64 v[68:69], v[81:82], -v[68:69]
	buffer_store_dword v69, off, s[0:3], 0 offset:100
	buffer_store_dword v68, off, s[0:3], 0 offset:96
	v_cmpx_lt_u32_e32 11, v0
	s_cbranch_execz .LBB32_185
; %bb.184:
	s_clause 0x1
	buffer_load_dword v68, off, s[0:3], 0 offset:88
	buffer_load_dword v69, off, s[0:3], 0 offset:92
	v_mov_b32_e32 v70, 0
	buffer_store_dword v70, off, s[0:3], 0 offset:88
	buffer_store_dword v70, off, s[0:3], 0 offset:92
	s_waitcnt vmcnt(0)
	ds_write_b64 v67, v[68:69]
.LBB32_185:
	s_or_b32 exec_lo, exec_lo, s4
	s_waitcnt lgkmcnt(0)
	s_waitcnt_vscnt null, 0x0
	s_barrier
	buffer_gl0_inv
	s_clause 0x1c
	buffer_load_dword v77, off, s[0:3], 0 offset:96
	buffer_load_dword v78, off, s[0:3], 0 offset:100
	;; [unrolled: 1-line block ×29, first 2 shown]
	v_mov_b32_e32 v68, 0
	buffer_load_dword v102, off, s[0:3], 0 offset:212
	s_mov_b32 s4, exec_lo
	ds_read_b128 v[69:72], v68 offset:368
	ds_read_b128 v[73:76], v68 offset:384
	s_waitcnt vmcnt(28) lgkmcnt(1)
	v_fma_f64 v[69:70], v[77:78], v[69:70], 0
	s_clause 0x7
	buffer_load_dword v78, off, s[0:3], 0 offset:220
	buffer_load_dword v107, off, s[0:3], 0 offset:240
	;; [unrolled: 1-line block ×8, first 2 shown]
	s_waitcnt vmcnt(34)
	v_fma_f64 v[69:70], v[79:80], v[71:72], v[69:70]
	s_waitcnt vmcnt(32) lgkmcnt(0)
	v_fma_f64 v[69:70], v[81:82], v[73:74], v[69:70]
	s_waitcnt vmcnt(30)
	v_fma_f64 v[79:80], v[83:84], v[75:76], v[69:70]
	ds_read_b128 v[69:72], v68 offset:400
	ds_read_b128 v[73:76], v68 offset:416
	s_waitcnt vmcnt(28) lgkmcnt(1)
	v_fma_f64 v[69:70], v[85:86], v[69:70], v[79:80]
	s_clause 0x5
	buffer_load_dword v80, off, s[0:3], 0 offset:252
	buffer_load_dword v81, off, s[0:3], 0 offset:256
	;; [unrolled: 1-line block ×6, first 2 shown]
	s_waitcnt vmcnt(32)
	v_fma_f64 v[69:70], v[87:88], v[71:72], v[69:70]
	s_waitcnt vmcnt(30) lgkmcnt(0)
	v_fma_f64 v[69:70], v[89:90], v[73:74], v[69:70]
	s_waitcnt vmcnt(25)
	v_fma_f64 v[85:86], v[91:92], v[75:76], v[69:70]
	ds_read_b128 v[69:72], v68 offset:432
	ds_read_b128 v[73:76], v68 offset:448
	s_waitcnt vmcnt(24) lgkmcnt(1)
	v_fma_f64 v[69:70], v[97:98], v[69:70], v[85:86]
	s_waitcnt vmcnt(23)
	v_fma_f64 v[69:70], v[95:96], v[71:72], v[69:70]
	s_waitcnt vmcnt(22) lgkmcnt(0)
	v_fma_f64 v[69:70], v[93:94], v[73:74], v[69:70]
	s_waitcnt vmcnt(17)
	v_fma_f64 v[85:86], v[99:100], v[75:76], v[69:70]
	ds_read_b128 v[69:72], v68 offset:464
	ds_read_b128 v[73:76], v68 offset:480
	s_waitcnt vmcnt(16) lgkmcnt(1)
	v_fma_f64 v[69:70], v[105:106], v[69:70], v[85:86]
	;; [unrolled: 10-line block ×3, first 2 shown]
	s_waitcnt vmcnt(7)
	v_fma_f64 v[69:70], v[109:110], v[71:72], v[69:70]
	ds_read_b64 v[71:72], v68 offset:528
	s_waitcnt vmcnt(6) lgkmcnt(1)
	v_fma_f64 v[69:70], v[107:108], v[73:74], v[69:70]
	s_waitcnt vmcnt(3)
	v_fma_f64 v[69:70], v[79:80], v[75:76], v[69:70]
	s_waitcnt vmcnt(2) lgkmcnt(0)
	v_fma_f64 v[69:70], v[81:82], v[71:72], v[69:70]
	s_waitcnt vmcnt(0)
	v_add_f64 v[69:70], v[83:84], -v[69:70]
	buffer_store_dword v70, off, s[0:3], 0 offset:92
	buffer_store_dword v69, off, s[0:3], 0 offset:88
	v_cmpx_lt_u32_e32 10, v0
	s_cbranch_execz .LBB32_187
; %bb.186:
	s_clause 0x1
	buffer_load_dword v69, off, s[0:3], 0 offset:80
	buffer_load_dword v70, off, s[0:3], 0 offset:84
	buffer_store_dword v68, off, s[0:3], 0 offset:80
	buffer_store_dword v68, off, s[0:3], 0 offset:84
	s_waitcnt vmcnt(0)
	ds_write_b64 v67, v[69:70]
.LBB32_187:
	s_or_b32 exec_lo, exec_lo, s4
	s_waitcnt lgkmcnt(0)
	s_waitcnt_vscnt null, 0x0
	s_barrier
	buffer_gl0_inv
	s_clause 0x1c
	buffer_load_dword v77, off, s[0:3], 0 offset:88
	buffer_load_dword v78, off, s[0:3], 0 offset:92
	buffer_load_dword v79, off, s[0:3], 0 offset:96
	buffer_load_dword v80, off, s[0:3], 0 offset:100
	buffer_load_dword v81, off, s[0:3], 0 offset:104
	buffer_load_dword v82, off, s[0:3], 0 offset:108
	buffer_load_dword v83, off, s[0:3], 0 offset:112
	buffer_load_dword v84, off, s[0:3], 0 offset:116
	buffer_load_dword v85, off, s[0:3], 0 offset:120
	buffer_load_dword v86, off, s[0:3], 0 offset:124
	buffer_load_dword v87, off, s[0:3], 0 offset:128
	buffer_load_dword v88, off, s[0:3], 0 offset:132
	buffer_load_dword v89, off, s[0:3], 0 offset:136
	buffer_load_dword v90, off, s[0:3], 0 offset:140
	buffer_load_dword v92, off, s[0:3], 0 offset:148
	buffer_load_dword v93, off, s[0:3], 0 offset:168
	buffer_load_dword v95, off, s[0:3], 0 offset:160
	buffer_load_dword v97, off, s[0:3], 0 offset:152
	buffer_load_dword v91, off, s[0:3], 0 offset:144
	buffer_load_dword v98, off, s[0:3], 0 offset:156
	buffer_load_dword v96, off, s[0:3], 0 offset:164
	buffer_load_dword v94, off, s[0:3], 0 offset:172
	buffer_load_dword v100, off, s[0:3], 0 offset:180
	buffer_load_dword v101, off, s[0:3], 0 offset:200
	buffer_load_dword v103, off, s[0:3], 0 offset:192
	buffer_load_dword v105, off, s[0:3], 0 offset:184
	buffer_load_dword v99, off, s[0:3], 0 offset:176
	buffer_load_dword v106, off, s[0:3], 0 offset:188
	buffer_load_dword v104, off, s[0:3], 0 offset:196
	ds_read2_b64 v[69:72], v68 offset0:45 offset1:46
	ds_read2_b64 v[73:76], v68 offset0:47 offset1:48
	buffer_load_dword v102, off, s[0:3], 0 offset:204
	s_mov_b32 s4, exec_lo
	s_waitcnt vmcnt(28) lgkmcnt(1)
	v_fma_f64 v[69:70], v[77:78], v[69:70], 0
	s_clause 0x7
	buffer_load_dword v78, off, s[0:3], 0 offset:212
	buffer_load_dword v107, off, s[0:3], 0 offset:232
	;; [unrolled: 1-line block ×8, first 2 shown]
	s_waitcnt vmcnt(34)
	v_fma_f64 v[69:70], v[79:80], v[71:72], v[69:70]
	s_waitcnt vmcnt(32) lgkmcnt(0)
	v_fma_f64 v[69:70], v[81:82], v[73:74], v[69:70]
	s_waitcnt vmcnt(30)
	v_fma_f64 v[79:80], v[83:84], v[75:76], v[69:70]
	ds_read2_b64 v[69:72], v68 offset0:49 offset1:50
	ds_read2_b64 v[73:76], v68 offset0:51 offset1:52
	s_waitcnt vmcnt(28) lgkmcnt(1)
	v_fma_f64 v[69:70], v[85:86], v[69:70], v[79:80]
	s_clause 0x5
	buffer_load_dword v80, off, s[0:3], 0 offset:244
	buffer_load_dword v81, off, s[0:3], 0 offset:256
	;; [unrolled: 1-line block ×6, first 2 shown]
	s_waitcnt vmcnt(32)
	v_fma_f64 v[69:70], v[87:88], v[71:72], v[69:70]
	s_waitcnt vmcnt(30) lgkmcnt(0)
	v_fma_f64 v[69:70], v[89:90], v[73:74], v[69:70]
	s_waitcnt vmcnt(25)
	v_fma_f64 v[85:86], v[91:92], v[75:76], v[69:70]
	ds_read2_b64 v[69:72], v68 offset0:53 offset1:54
	s_clause 0x1
	buffer_load_dword v87, off, s[0:3], 0 offset:80
	buffer_load_dword v88, off, s[0:3], 0 offset:84
	ds_read2_b64 v[73:76], v68 offset0:55 offset1:56
	s_waitcnt vmcnt(26) lgkmcnt(1)
	v_fma_f64 v[69:70], v[97:98], v[69:70], v[85:86]
	s_waitcnt vmcnt(25)
	v_fma_f64 v[69:70], v[95:96], v[71:72], v[69:70]
	s_waitcnt vmcnt(24) lgkmcnt(0)
	v_fma_f64 v[69:70], v[93:94], v[73:74], v[69:70]
	s_waitcnt vmcnt(19)
	v_fma_f64 v[85:86], v[99:100], v[75:76], v[69:70]
	ds_read2_b64 v[69:72], v68 offset0:57 offset1:58
	ds_read2_b64 v[73:76], v68 offset0:59 offset1:60
	s_waitcnt vmcnt(18) lgkmcnt(1)
	v_fma_f64 v[69:70], v[105:106], v[69:70], v[85:86]
	s_waitcnt vmcnt(17)
	v_fma_f64 v[69:70], v[103:104], v[71:72], v[69:70]
	s_waitcnt vmcnt(16) lgkmcnt(0)
	v_fma_f64 v[69:70], v[101:102], v[73:74], v[69:70]
	s_waitcnt vmcnt(11)
	v_fma_f64 v[77:78], v[77:78], v[75:76], v[69:70]
	ds_read2_b64 v[69:72], v68 offset0:61 offset1:62
	;; [unrolled: 10-line block ×3, first 2 shown]
	s_waitcnt vmcnt(3) lgkmcnt(0)
	v_fma_f64 v[68:69], v[83:84], v[68:69], v[72:73]
	s_waitcnt vmcnt(2)
	v_fma_f64 v[68:69], v[81:82], v[70:71], v[68:69]
	s_waitcnt vmcnt(0)
	v_add_f64 v[68:69], v[87:88], -v[68:69]
	buffer_store_dword v69, off, s[0:3], 0 offset:84
	buffer_store_dword v68, off, s[0:3], 0 offset:80
	v_cmpx_lt_u32_e32 9, v0
	s_cbranch_execz .LBB32_189
; %bb.188:
	s_clause 0x1
	buffer_load_dword v68, off, s[0:3], 0 offset:72
	buffer_load_dword v69, off, s[0:3], 0 offset:76
	v_mov_b32_e32 v70, 0
	buffer_store_dword v70, off, s[0:3], 0 offset:72
	buffer_store_dword v70, off, s[0:3], 0 offset:76
	s_waitcnt vmcnt(0)
	ds_write_b64 v67, v[68:69]
.LBB32_189:
	s_or_b32 exec_lo, exec_lo, s4
	s_waitcnt lgkmcnt(0)
	s_waitcnt_vscnt null, 0x0
	s_barrier
	buffer_gl0_inv
	s_clause 0x1c
	buffer_load_dword v77, off, s[0:3], 0 offset:80
	buffer_load_dword v78, off, s[0:3], 0 offset:84
	;; [unrolled: 1-line block ×29, first 2 shown]
	v_mov_b32_e32 v68, 0
	buffer_load_dword v102, off, s[0:3], 0 offset:196
	s_mov_b32 s4, exec_lo
	ds_read_b128 v[69:72], v68 offset:352
	ds_read_b128 v[73:76], v68 offset:368
	s_waitcnt vmcnt(28) lgkmcnt(1)
	v_fma_f64 v[69:70], v[77:78], v[69:70], 0
	s_clause 0x7
	buffer_load_dword v78, off, s[0:3], 0 offset:204
	buffer_load_dword v107, off, s[0:3], 0 offset:224
	;; [unrolled: 1-line block ×8, first 2 shown]
	s_waitcnt vmcnt(34)
	v_fma_f64 v[69:70], v[79:80], v[71:72], v[69:70]
	s_waitcnt vmcnt(32) lgkmcnt(0)
	v_fma_f64 v[69:70], v[81:82], v[73:74], v[69:70]
	s_waitcnt vmcnt(30)
	v_fma_f64 v[79:80], v[83:84], v[75:76], v[69:70]
	ds_read_b128 v[69:72], v68 offset:384
	ds_read_b128 v[73:76], v68 offset:400
	s_waitcnt vmcnt(28) lgkmcnt(1)
	v_fma_f64 v[69:70], v[85:86], v[69:70], v[79:80]
	s_clause 0x7
	buffer_load_dword v80, off, s[0:3], 0 offset:236
	buffer_load_dword v81, off, s[0:3], 0 offset:256
	;; [unrolled: 1-line block ×8, first 2 shown]
	s_waitcnt vmcnt(34)
	v_fma_f64 v[69:70], v[87:88], v[71:72], v[69:70]
	s_waitcnt vmcnt(32) lgkmcnt(0)
	v_fma_f64 v[69:70], v[89:90], v[73:74], v[69:70]
	s_waitcnt vmcnt(27)
	v_fma_f64 v[87:88], v[91:92], v[75:76], v[69:70]
	ds_read_b128 v[69:72], v68 offset:416
	ds_read_b128 v[73:76], v68 offset:432
	s_waitcnt vmcnt(26) lgkmcnt(1)
	v_fma_f64 v[69:70], v[97:98], v[69:70], v[87:88]
	s_clause 0x1
	buffer_load_dword v87, off, s[0:3], 0 offset:72
	buffer_load_dword v88, off, s[0:3], 0 offset:76
	s_waitcnt vmcnt(27)
	v_fma_f64 v[69:70], v[95:96], v[71:72], v[69:70]
	s_waitcnt vmcnt(26) lgkmcnt(0)
	v_fma_f64 v[69:70], v[93:94], v[73:74], v[69:70]
	s_waitcnt vmcnt(21)
	v_fma_f64 v[89:90], v[99:100], v[75:76], v[69:70]
	ds_read_b128 v[69:72], v68 offset:448
	ds_read_b128 v[73:76], v68 offset:464
	s_waitcnt vmcnt(20) lgkmcnt(1)
	v_fma_f64 v[69:70], v[105:106], v[69:70], v[89:90]
	s_waitcnt vmcnt(19)
	v_fma_f64 v[69:70], v[103:104], v[71:72], v[69:70]
	s_waitcnt vmcnt(18) lgkmcnt(0)
	v_fma_f64 v[69:70], v[101:102], v[73:74], v[69:70]
	s_waitcnt vmcnt(13)
	v_fma_f64 v[77:78], v[77:78], v[75:76], v[69:70]
	ds_read_b128 v[69:72], v68 offset:480
	ds_read_b128 v[73:76], v68 offset:496
	s_waitcnt vmcnt(12) lgkmcnt(1)
	v_fma_f64 v[69:70], v[111:112], v[69:70], v[77:78]
	s_waitcnt vmcnt(11)
	v_fma_f64 v[69:70], v[109:110], v[71:72], v[69:70]
	s_waitcnt vmcnt(10) lgkmcnt(0)
	v_fma_f64 v[69:70], v[107:108], v[73:74], v[69:70]
	s_waitcnt vmcnt(5)
	v_fma_f64 v[73:74], v[79:80], v[75:76], v[69:70]
	ds_read_b128 v[69:72], v68 offset:512
	ds_read_b64 v[75:76], v68 offset:528
	s_waitcnt vmcnt(4) lgkmcnt(1)
	v_fma_f64 v[69:70], v[85:86], v[69:70], v[73:74]
	s_waitcnt vmcnt(3)
	v_fma_f64 v[69:70], v[83:84], v[71:72], v[69:70]
	s_waitcnt vmcnt(2) lgkmcnt(0)
	v_fma_f64 v[69:70], v[81:82], v[75:76], v[69:70]
	s_waitcnt vmcnt(0)
	v_add_f64 v[69:70], v[87:88], -v[69:70]
	buffer_store_dword v70, off, s[0:3], 0 offset:76
	buffer_store_dword v69, off, s[0:3], 0 offset:72
	v_cmpx_lt_u32_e32 8, v0
	s_cbranch_execz .LBB32_191
; %bb.190:
	s_clause 0x1
	buffer_load_dword v69, off, s[0:3], 0 offset:64
	buffer_load_dword v70, off, s[0:3], 0 offset:68
	buffer_store_dword v68, off, s[0:3], 0 offset:64
	buffer_store_dword v68, off, s[0:3], 0 offset:68
	s_waitcnt vmcnt(0)
	ds_write_b64 v67, v[69:70]
.LBB32_191:
	s_or_b32 exec_lo, exec_lo, s4
	s_waitcnt lgkmcnt(0)
	s_waitcnt_vscnt null, 0x0
	s_barrier
	buffer_gl0_inv
	s_clause 0x1c
	buffer_load_dword v77, off, s[0:3], 0 offset:72
	buffer_load_dword v78, off, s[0:3], 0 offset:76
	;; [unrolled: 1-line block ×29, first 2 shown]
	ds_read2_b64 v[69:72], v68 offset0:43 offset1:44
	ds_read2_b64 v[73:76], v68 offset0:45 offset1:46
	buffer_load_dword v102, off, s[0:3], 0 offset:188
	s_mov_b32 s4, exec_lo
	s_waitcnt vmcnt(28) lgkmcnt(1)
	v_fma_f64 v[69:70], v[77:78], v[69:70], 0
	s_clause 0x7
	buffer_load_dword v78, off, s[0:3], 0 offset:196
	buffer_load_dword v107, off, s[0:3], 0 offset:216
	;; [unrolled: 1-line block ×8, first 2 shown]
	s_waitcnt vmcnt(34)
	v_fma_f64 v[69:70], v[79:80], v[71:72], v[69:70]
	s_waitcnt vmcnt(32) lgkmcnt(0)
	v_fma_f64 v[69:70], v[81:82], v[73:74], v[69:70]
	s_waitcnt vmcnt(30)
	v_fma_f64 v[79:80], v[83:84], v[75:76], v[69:70]
	ds_read2_b64 v[69:72], v68 offset0:47 offset1:48
	ds_read2_b64 v[73:76], v68 offset0:49 offset1:50
	s_waitcnt vmcnt(28) lgkmcnt(1)
	v_fma_f64 v[69:70], v[85:86], v[69:70], v[79:80]
	s_clause 0x7
	buffer_load_dword v80, off, s[0:3], 0 offset:228
	buffer_load_dword v81, off, s[0:3], 0 offset:248
	;; [unrolled: 1-line block ×8, first 2 shown]
	s_waitcnt vmcnt(34)
	v_fma_f64 v[69:70], v[87:88], v[71:72], v[69:70]
	s_waitcnt vmcnt(32) lgkmcnt(0)
	v_fma_f64 v[69:70], v[89:90], v[73:74], v[69:70]
	s_waitcnt vmcnt(27)
	v_fma_f64 v[87:88], v[91:92], v[75:76], v[69:70]
	ds_read2_b64 v[69:72], v68 offset0:51 offset1:52
	ds_read2_b64 v[73:76], v68 offset0:53 offset1:54
	s_waitcnt vmcnt(26) lgkmcnt(1)
	v_fma_f64 v[69:70], v[97:98], v[69:70], v[87:88]
	s_clause 0x3
	buffer_load_dword v88, off, s[0:3], 0 offset:260
	buffer_load_dword v87, off, s[0:3], 0 offset:256
	;; [unrolled: 1-line block ×4, first 2 shown]
	s_waitcnt vmcnt(29)
	v_fma_f64 v[69:70], v[95:96], v[71:72], v[69:70]
	s_waitcnt vmcnt(28) lgkmcnt(0)
	v_fma_f64 v[69:70], v[93:94], v[73:74], v[69:70]
	s_waitcnt vmcnt(23)
	v_fma_f64 v[91:92], v[99:100], v[75:76], v[69:70]
	ds_read2_b64 v[69:72], v68 offset0:55 offset1:56
	ds_read2_b64 v[73:76], v68 offset0:57 offset1:58
	s_waitcnt vmcnt(22) lgkmcnt(1)
	v_fma_f64 v[69:70], v[105:106], v[69:70], v[91:92]
	s_waitcnt vmcnt(21)
	v_fma_f64 v[69:70], v[103:104], v[71:72], v[69:70]
	s_waitcnt vmcnt(20) lgkmcnt(0)
	v_fma_f64 v[69:70], v[101:102], v[73:74], v[69:70]
	s_waitcnt vmcnt(15)
	v_fma_f64 v[77:78], v[77:78], v[75:76], v[69:70]
	ds_read2_b64 v[69:72], v68 offset0:59 offset1:60
	ds_read2_b64 v[73:76], v68 offset0:61 offset1:62
	s_waitcnt vmcnt(14) lgkmcnt(1)
	v_fma_f64 v[69:70], v[111:112], v[69:70], v[77:78]
	;; [unrolled: 10-line block ×3, first 2 shown]
	s_waitcnt vmcnt(5)
	v_fma_f64 v[68:69], v[83:84], v[71:72], v[68:69]
	s_waitcnt vmcnt(4) lgkmcnt(0)
	v_fma_f64 v[68:69], v[81:82], v[73:74], v[68:69]
	s_waitcnt vmcnt(2)
	v_fma_f64 v[68:69], v[87:88], v[75:76], v[68:69]
	s_waitcnt vmcnt(0)
	v_add_f64 v[68:69], v[89:90], -v[68:69]
	buffer_store_dword v69, off, s[0:3], 0 offset:68
	buffer_store_dword v68, off, s[0:3], 0 offset:64
	v_cmpx_lt_u32_e32 7, v0
	s_cbranch_execz .LBB32_193
; %bb.192:
	s_clause 0x1
	buffer_load_dword v68, off, s[0:3], 0 offset:56
	buffer_load_dword v69, off, s[0:3], 0 offset:60
	v_mov_b32_e32 v70, 0
	buffer_store_dword v70, off, s[0:3], 0 offset:56
	buffer_store_dword v70, off, s[0:3], 0 offset:60
	s_waitcnt vmcnt(0)
	ds_write_b64 v67, v[68:69]
.LBB32_193:
	s_or_b32 exec_lo, exec_lo, s4
	s_waitcnt lgkmcnt(0)
	s_waitcnt_vscnt null, 0x0
	s_barrier
	buffer_gl0_inv
	s_clause 0x1c
	buffer_load_dword v77, off, s[0:3], 0 offset:64
	buffer_load_dword v78, off, s[0:3], 0 offset:68
	;; [unrolled: 1-line block ×29, first 2 shown]
	v_mov_b32_e32 v68, 0
	buffer_load_dword v102, off, s[0:3], 0 offset:180
	s_mov_b32 s4, exec_lo
	ds_read_b128 v[69:72], v68 offset:336
	ds_read_b128 v[73:76], v68 offset:352
	s_waitcnt vmcnt(28) lgkmcnt(1)
	v_fma_f64 v[69:70], v[77:78], v[69:70], 0
	s_clause 0x7
	buffer_load_dword v78, off, s[0:3], 0 offset:188
	buffer_load_dword v107, off, s[0:3], 0 offset:208
	;; [unrolled: 1-line block ×8, first 2 shown]
	s_waitcnt vmcnt(34)
	v_fma_f64 v[69:70], v[79:80], v[71:72], v[69:70]
	s_waitcnt vmcnt(32) lgkmcnt(0)
	v_fma_f64 v[69:70], v[81:82], v[73:74], v[69:70]
	s_waitcnt vmcnt(30)
	v_fma_f64 v[79:80], v[83:84], v[75:76], v[69:70]
	ds_read_b128 v[69:72], v68 offset:368
	ds_read_b128 v[73:76], v68 offset:384
	s_waitcnt vmcnt(28) lgkmcnt(1)
	v_fma_f64 v[69:70], v[85:86], v[69:70], v[79:80]
	s_clause 0x7
	buffer_load_dword v80, off, s[0:3], 0 offset:220
	buffer_load_dword v81, off, s[0:3], 0 offset:240
	;; [unrolled: 1-line block ×8, first 2 shown]
	s_waitcnt vmcnt(34)
	v_fma_f64 v[69:70], v[87:88], v[71:72], v[69:70]
	s_waitcnt vmcnt(32) lgkmcnt(0)
	v_fma_f64 v[69:70], v[89:90], v[73:74], v[69:70]
	s_waitcnt vmcnt(27)
	v_fma_f64 v[87:88], v[91:92], v[75:76], v[69:70]
	ds_read_b128 v[69:72], v68 offset:400
	ds_read_b128 v[73:76], v68 offset:416
	s_waitcnt vmcnt(26) lgkmcnt(1)
	v_fma_f64 v[69:70], v[97:98], v[69:70], v[87:88]
	s_clause 0x5
	buffer_load_dword v88, off, s[0:3], 0 offset:252
	buffer_load_dword v89, off, s[0:3], 0 offset:256
	;; [unrolled: 1-line block ×6, first 2 shown]
	s_waitcnt vmcnt(31)
	v_fma_f64 v[69:70], v[95:96], v[71:72], v[69:70]
	s_waitcnt vmcnt(30) lgkmcnt(0)
	v_fma_f64 v[69:70], v[93:94], v[73:74], v[69:70]
	s_waitcnt vmcnt(25)
	v_fma_f64 v[93:94], v[99:100], v[75:76], v[69:70]
	ds_read_b128 v[69:72], v68 offset:432
	ds_read_b128 v[73:76], v68 offset:448
	s_waitcnt vmcnt(24) lgkmcnt(1)
	v_fma_f64 v[69:70], v[105:106], v[69:70], v[93:94]
	s_waitcnt vmcnt(23)
	v_fma_f64 v[69:70], v[103:104], v[71:72], v[69:70]
	s_waitcnt vmcnt(22) lgkmcnt(0)
	v_fma_f64 v[69:70], v[101:102], v[73:74], v[69:70]
	s_waitcnt vmcnt(17)
	v_fma_f64 v[77:78], v[77:78], v[75:76], v[69:70]
	ds_read_b128 v[69:72], v68 offset:464
	ds_read_b128 v[73:76], v68 offset:480
	s_waitcnt vmcnt(16) lgkmcnt(1)
	v_fma_f64 v[69:70], v[111:112], v[69:70], v[77:78]
	;; [unrolled: 10-line block ×3, first 2 shown]
	s_waitcnt vmcnt(7)
	v_fma_f64 v[69:70], v[83:84], v[71:72], v[69:70]
	ds_read_b64 v[71:72], v68 offset:528
	s_waitcnt vmcnt(6) lgkmcnt(1)
	v_fma_f64 v[69:70], v[81:82], v[73:74], v[69:70]
	s_waitcnt vmcnt(3)
	v_fma_f64 v[69:70], v[87:88], v[75:76], v[69:70]
	s_waitcnt vmcnt(2) lgkmcnt(0)
	v_fma_f64 v[69:70], v[89:90], v[71:72], v[69:70]
	s_waitcnt vmcnt(0)
	v_add_f64 v[69:70], v[91:92], -v[69:70]
	buffer_store_dword v70, off, s[0:3], 0 offset:60
	buffer_store_dword v69, off, s[0:3], 0 offset:56
	v_cmpx_lt_u32_e32 6, v0
	s_cbranch_execz .LBB32_195
; %bb.194:
	s_clause 0x1
	buffer_load_dword v69, off, s[0:3], 0 offset:48
	buffer_load_dword v70, off, s[0:3], 0 offset:52
	buffer_store_dword v68, off, s[0:3], 0 offset:48
	buffer_store_dword v68, off, s[0:3], 0 offset:52
	s_waitcnt vmcnt(0)
	ds_write_b64 v67, v[69:70]
.LBB32_195:
	s_or_b32 exec_lo, exec_lo, s4
	s_waitcnt lgkmcnt(0)
	s_waitcnt_vscnt null, 0x0
	s_barrier
	buffer_gl0_inv
	s_clause 0x1c
	buffer_load_dword v77, off, s[0:3], 0 offset:56
	buffer_load_dword v78, off, s[0:3], 0 offset:60
	;; [unrolled: 1-line block ×29, first 2 shown]
	ds_read2_b64 v[69:72], v68 offset0:41 offset1:42
	ds_read2_b64 v[73:76], v68 offset0:43 offset1:44
	buffer_load_dword v102, off, s[0:3], 0 offset:172
	s_mov_b32 s4, exec_lo
	s_waitcnt vmcnt(28) lgkmcnt(1)
	v_fma_f64 v[69:70], v[77:78], v[69:70], 0
	s_clause 0x7
	buffer_load_dword v78, off, s[0:3], 0 offset:180
	buffer_load_dword v107, off, s[0:3], 0 offset:200
	buffer_load_dword v109, off, s[0:3], 0 offset:192
	buffer_load_dword v111, off, s[0:3], 0 offset:184
	buffer_load_dword v77, off, s[0:3], 0 offset:176
	buffer_load_dword v112, off, s[0:3], 0 offset:188
	buffer_load_dword v110, off, s[0:3], 0 offset:196
	buffer_load_dword v108, off, s[0:3], 0 offset:204
	s_waitcnt vmcnt(34)
	v_fma_f64 v[69:70], v[79:80], v[71:72], v[69:70]
	s_waitcnt vmcnt(32) lgkmcnt(0)
	v_fma_f64 v[69:70], v[81:82], v[73:74], v[69:70]
	s_waitcnt vmcnt(30)
	v_fma_f64 v[79:80], v[83:84], v[75:76], v[69:70]
	ds_read2_b64 v[69:72], v68 offset0:45 offset1:46
	ds_read2_b64 v[73:76], v68 offset0:47 offset1:48
	s_waitcnt vmcnt(28) lgkmcnt(1)
	v_fma_f64 v[69:70], v[85:86], v[69:70], v[79:80]
	s_clause 0x7
	buffer_load_dword v80, off, s[0:3], 0 offset:212
	buffer_load_dword v81, off, s[0:3], 0 offset:232
	;; [unrolled: 1-line block ×8, first 2 shown]
	s_waitcnt vmcnt(34)
	v_fma_f64 v[69:70], v[87:88], v[71:72], v[69:70]
	s_waitcnt vmcnt(32) lgkmcnt(0)
	v_fma_f64 v[69:70], v[89:90], v[73:74], v[69:70]
	s_waitcnt vmcnt(27)
	v_fma_f64 v[87:88], v[91:92], v[75:76], v[69:70]
	ds_read2_b64 v[69:72], v68 offset0:49 offset1:50
	ds_read2_b64 v[73:76], v68 offset0:51 offset1:52
	s_waitcnt vmcnt(26) lgkmcnt(1)
	v_fma_f64 v[69:70], v[97:98], v[69:70], v[87:88]
	s_clause 0x5
	buffer_load_dword v88, off, s[0:3], 0 offset:244
	buffer_load_dword v89, off, s[0:3], 0 offset:256
	;; [unrolled: 1-line block ×6, first 2 shown]
	s_waitcnt vmcnt(31)
	v_fma_f64 v[69:70], v[95:96], v[71:72], v[69:70]
	s_waitcnt vmcnt(30) lgkmcnt(0)
	v_fma_f64 v[69:70], v[93:94], v[73:74], v[69:70]
	s_waitcnt vmcnt(25)
	v_fma_f64 v[93:94], v[99:100], v[75:76], v[69:70]
	ds_read2_b64 v[69:72], v68 offset0:53 offset1:54
	s_clause 0x1
	buffer_load_dword v95, off, s[0:3], 0 offset:48
	buffer_load_dword v96, off, s[0:3], 0 offset:52
	ds_read2_b64 v[73:76], v68 offset0:55 offset1:56
	s_waitcnt vmcnt(26) lgkmcnt(1)
	v_fma_f64 v[69:70], v[105:106], v[69:70], v[93:94]
	s_waitcnt vmcnt(25)
	v_fma_f64 v[69:70], v[103:104], v[71:72], v[69:70]
	s_waitcnt vmcnt(24) lgkmcnt(0)
	v_fma_f64 v[69:70], v[101:102], v[73:74], v[69:70]
	s_waitcnt vmcnt(19)
	v_fma_f64 v[77:78], v[77:78], v[75:76], v[69:70]
	ds_read2_b64 v[69:72], v68 offset0:57 offset1:58
	ds_read2_b64 v[73:76], v68 offset0:59 offset1:60
	s_waitcnt vmcnt(18) lgkmcnt(1)
	v_fma_f64 v[69:70], v[111:112], v[69:70], v[77:78]
	s_waitcnt vmcnt(17)
	v_fma_f64 v[69:70], v[109:110], v[71:72], v[69:70]
	s_waitcnt vmcnt(16) lgkmcnt(0)
	v_fma_f64 v[69:70], v[107:108], v[73:74], v[69:70]
	s_waitcnt vmcnt(11)
	v_fma_f64 v[77:78], v[79:80], v[75:76], v[69:70]
	ds_read2_b64 v[69:72], v68 offset0:61 offset1:62
	;; [unrolled: 10-line block ×3, first 2 shown]
	s_waitcnt vmcnt(3) lgkmcnt(0)
	v_fma_f64 v[68:69], v[91:92], v[68:69], v[72:73]
	s_waitcnt vmcnt(2)
	v_fma_f64 v[68:69], v[89:90], v[70:71], v[68:69]
	s_waitcnt vmcnt(0)
	v_add_f64 v[68:69], v[95:96], -v[68:69]
	buffer_store_dword v69, off, s[0:3], 0 offset:52
	buffer_store_dword v68, off, s[0:3], 0 offset:48
	v_cmpx_lt_u32_e32 5, v0
	s_cbranch_execz .LBB32_197
; %bb.196:
	s_clause 0x1
	buffer_load_dword v68, off, s[0:3], 0 offset:40
	buffer_load_dword v69, off, s[0:3], 0 offset:44
	v_mov_b32_e32 v70, 0
	buffer_store_dword v70, off, s[0:3], 0 offset:40
	buffer_store_dword v70, off, s[0:3], 0 offset:44
	s_waitcnt vmcnt(0)
	ds_write_b64 v67, v[68:69]
.LBB32_197:
	s_or_b32 exec_lo, exec_lo, s4
	s_waitcnt lgkmcnt(0)
	s_waitcnt_vscnt null, 0x0
	s_barrier
	buffer_gl0_inv
	s_clause 0x1c
	buffer_load_dword v77, off, s[0:3], 0 offset:48
	buffer_load_dword v78, off, s[0:3], 0 offset:52
	buffer_load_dword v79, off, s[0:3], 0 offset:56
	buffer_load_dword v80, off, s[0:3], 0 offset:60
	buffer_load_dword v81, off, s[0:3], 0 offset:64
	buffer_load_dword v82, off, s[0:3], 0 offset:68
	buffer_load_dword v83, off, s[0:3], 0 offset:72
	buffer_load_dword v84, off, s[0:3], 0 offset:76
	buffer_load_dword v85, off, s[0:3], 0 offset:80
	buffer_load_dword v86, off, s[0:3], 0 offset:84
	buffer_load_dword v87, off, s[0:3], 0 offset:88
	buffer_load_dword v88, off, s[0:3], 0 offset:92
	buffer_load_dword v89, off, s[0:3], 0 offset:96
	buffer_load_dword v90, off, s[0:3], 0 offset:100
	buffer_load_dword v92, off, s[0:3], 0 offset:108
	buffer_load_dword v93, off, s[0:3], 0 offset:128
	buffer_load_dword v95, off, s[0:3], 0 offset:120
	buffer_load_dword v97, off, s[0:3], 0 offset:112
	buffer_load_dword v91, off, s[0:3], 0 offset:104
	buffer_load_dword v98, off, s[0:3], 0 offset:116
	buffer_load_dword v96, off, s[0:3], 0 offset:124
	buffer_load_dword v94, off, s[0:3], 0 offset:132
	buffer_load_dword v100, off, s[0:3], 0 offset:140
	buffer_load_dword v101, off, s[0:3], 0 offset:160
	buffer_load_dword v103, off, s[0:3], 0 offset:152
	buffer_load_dword v105, off, s[0:3], 0 offset:144
	buffer_load_dword v99, off, s[0:3], 0 offset:136
	buffer_load_dword v106, off, s[0:3], 0 offset:148
	buffer_load_dword v104, off, s[0:3], 0 offset:156
	v_mov_b32_e32 v68, 0
	buffer_load_dword v102, off, s[0:3], 0 offset:164
	s_mov_b32 s4, exec_lo
	ds_read_b128 v[69:72], v68 offset:320
	ds_read_b128 v[73:76], v68 offset:336
	s_waitcnt vmcnt(28) lgkmcnt(1)
	v_fma_f64 v[69:70], v[77:78], v[69:70], 0
	s_clause 0x7
	buffer_load_dword v78, off, s[0:3], 0 offset:172
	buffer_load_dword v107, off, s[0:3], 0 offset:192
	buffer_load_dword v109, off, s[0:3], 0 offset:184
	buffer_load_dword v111, off, s[0:3], 0 offset:176
	buffer_load_dword v77, off, s[0:3], 0 offset:168
	buffer_load_dword v112, off, s[0:3], 0 offset:180
	buffer_load_dword v110, off, s[0:3], 0 offset:188
	buffer_load_dword v108, off, s[0:3], 0 offset:196
	s_waitcnt vmcnt(34)
	v_fma_f64 v[69:70], v[79:80], v[71:72], v[69:70]
	s_waitcnt vmcnt(32) lgkmcnt(0)
	v_fma_f64 v[69:70], v[81:82], v[73:74], v[69:70]
	s_waitcnt vmcnt(30)
	v_fma_f64 v[79:80], v[83:84], v[75:76], v[69:70]
	ds_read_b128 v[69:72], v68 offset:352
	ds_read_b128 v[73:76], v68 offset:368
	s_waitcnt vmcnt(28) lgkmcnt(1)
	v_fma_f64 v[69:70], v[85:86], v[69:70], v[79:80]
	s_clause 0x7
	buffer_load_dword v80, off, s[0:3], 0 offset:204
	buffer_load_dword v81, off, s[0:3], 0 offset:224
	buffer_load_dword v83, off, s[0:3], 0 offset:216
	buffer_load_dword v85, off, s[0:3], 0 offset:208
	buffer_load_dword v79, off, s[0:3], 0 offset:200
	buffer_load_dword v86, off, s[0:3], 0 offset:212
	buffer_load_dword v84, off, s[0:3], 0 offset:220
	buffer_load_dword v82, off, s[0:3], 0 offset:228
	s_waitcnt vmcnt(34)
	v_fma_f64 v[69:70], v[87:88], v[71:72], v[69:70]
	s_waitcnt vmcnt(32) lgkmcnt(0)
	v_fma_f64 v[69:70], v[89:90], v[73:74], v[69:70]
	s_waitcnt vmcnt(27)
	v_fma_f64 v[87:88], v[91:92], v[75:76], v[69:70]
	;; [unrolled: 19-line block ×3, first 2 shown]
	ds_read_b128 v[69:72], v68 offset:416
	ds_read_b128 v[73:76], v68 offset:432
	s_waitcnt vmcnt(26) lgkmcnt(1)
	v_fma_f64 v[69:70], v[105:106], v[69:70], v[93:94]
	s_clause 0x1
	buffer_load_dword v93, off, s[0:3], 0 offset:40
	buffer_load_dword v94, off, s[0:3], 0 offset:44
	s_waitcnt vmcnt(27)
	v_fma_f64 v[69:70], v[103:104], v[71:72], v[69:70]
	s_waitcnt vmcnt(26) lgkmcnt(0)
	v_fma_f64 v[69:70], v[101:102], v[73:74], v[69:70]
	s_waitcnt vmcnt(21)
	v_fma_f64 v[77:78], v[77:78], v[75:76], v[69:70]
	ds_read_b128 v[69:72], v68 offset:448
	ds_read_b128 v[73:76], v68 offset:464
	s_waitcnt vmcnt(20) lgkmcnt(1)
	v_fma_f64 v[69:70], v[111:112], v[69:70], v[77:78]
	s_waitcnt vmcnt(19)
	v_fma_f64 v[69:70], v[109:110], v[71:72], v[69:70]
	s_waitcnt vmcnt(18) lgkmcnt(0)
	v_fma_f64 v[69:70], v[107:108], v[73:74], v[69:70]
	s_waitcnt vmcnt(13)
	v_fma_f64 v[77:78], v[79:80], v[75:76], v[69:70]
	ds_read_b128 v[69:72], v68 offset:480
	ds_read_b128 v[73:76], v68 offset:496
	s_waitcnt vmcnt(12) lgkmcnt(1)
	v_fma_f64 v[69:70], v[85:86], v[69:70], v[77:78]
	s_waitcnt vmcnt(11)
	v_fma_f64 v[69:70], v[83:84], v[71:72], v[69:70]
	s_waitcnt vmcnt(10) lgkmcnt(0)
	v_fma_f64 v[69:70], v[81:82], v[73:74], v[69:70]
	s_waitcnt vmcnt(5)
	v_fma_f64 v[73:74], v[87:88], v[75:76], v[69:70]
	ds_read_b128 v[69:72], v68 offset:512
	ds_read_b64 v[75:76], v68 offset:528
	s_waitcnt vmcnt(4) lgkmcnt(1)
	v_fma_f64 v[69:70], v[97:98], v[69:70], v[73:74]
	s_waitcnt vmcnt(3)
	v_fma_f64 v[69:70], v[91:92], v[71:72], v[69:70]
	s_waitcnt vmcnt(2) lgkmcnt(0)
	v_fma_f64 v[69:70], v[89:90], v[75:76], v[69:70]
	s_waitcnt vmcnt(0)
	v_add_f64 v[69:70], v[93:94], -v[69:70]
	buffer_store_dword v70, off, s[0:3], 0 offset:44
	buffer_store_dword v69, off, s[0:3], 0 offset:40
	v_cmpx_lt_u32_e32 4, v0
	s_cbranch_execz .LBB32_199
; %bb.198:
	s_clause 0x1
	buffer_load_dword v69, off, s[0:3], 0 offset:32
	buffer_load_dword v70, off, s[0:3], 0 offset:36
	buffer_store_dword v68, off, s[0:3], 0 offset:32
	buffer_store_dword v68, off, s[0:3], 0 offset:36
	s_waitcnt vmcnt(0)
	ds_write_b64 v67, v[69:70]
.LBB32_199:
	s_or_b32 exec_lo, exec_lo, s4
	s_waitcnt lgkmcnt(0)
	s_waitcnt_vscnt null, 0x0
	s_barrier
	buffer_gl0_inv
	s_clause 0x1c
	buffer_load_dword v77, off, s[0:3], 0 offset:40
	buffer_load_dword v78, off, s[0:3], 0 offset:44
	;; [unrolled: 1-line block ×29, first 2 shown]
	ds_read2_b64 v[69:72], v68 offset0:39 offset1:40
	ds_read2_b64 v[73:76], v68 offset0:41 offset1:42
	buffer_load_dword v102, off, s[0:3], 0 offset:156
	s_mov_b32 s4, exec_lo
	s_waitcnt vmcnt(28) lgkmcnt(1)
	v_fma_f64 v[69:70], v[77:78], v[69:70], 0
	s_clause 0x7
	buffer_load_dword v78, off, s[0:3], 0 offset:164
	buffer_load_dword v107, off, s[0:3], 0 offset:184
	buffer_load_dword v109, off, s[0:3], 0 offset:176
	buffer_load_dword v111, off, s[0:3], 0 offset:168
	buffer_load_dword v77, off, s[0:3], 0 offset:160
	buffer_load_dword v112, off, s[0:3], 0 offset:172
	buffer_load_dword v110, off, s[0:3], 0 offset:180
	buffer_load_dword v108, off, s[0:3], 0 offset:188
	s_waitcnt vmcnt(34)
	v_fma_f64 v[69:70], v[79:80], v[71:72], v[69:70]
	s_waitcnt vmcnt(32) lgkmcnt(0)
	v_fma_f64 v[69:70], v[81:82], v[73:74], v[69:70]
	s_waitcnt vmcnt(30)
	v_fma_f64 v[79:80], v[83:84], v[75:76], v[69:70]
	ds_read2_b64 v[69:72], v68 offset0:43 offset1:44
	ds_read2_b64 v[73:76], v68 offset0:45 offset1:46
	s_waitcnt vmcnt(28) lgkmcnt(1)
	v_fma_f64 v[69:70], v[85:86], v[69:70], v[79:80]
	s_clause 0x7
	buffer_load_dword v80, off, s[0:3], 0 offset:196
	buffer_load_dword v81, off, s[0:3], 0 offset:216
	buffer_load_dword v83, off, s[0:3], 0 offset:208
	buffer_load_dword v85, off, s[0:3], 0 offset:200
	buffer_load_dword v79, off, s[0:3], 0 offset:192
	buffer_load_dword v86, off, s[0:3], 0 offset:204
	buffer_load_dword v84, off, s[0:3], 0 offset:212
	buffer_load_dword v82, off, s[0:3], 0 offset:220
	s_waitcnt vmcnt(34)
	v_fma_f64 v[69:70], v[87:88], v[71:72], v[69:70]
	s_waitcnt vmcnt(32) lgkmcnt(0)
	v_fma_f64 v[69:70], v[89:90], v[73:74], v[69:70]
	s_waitcnt vmcnt(27)
	v_fma_f64 v[87:88], v[91:92], v[75:76], v[69:70]
	ds_read2_b64 v[69:72], v68 offset0:47 offset1:48
	ds_read2_b64 v[73:76], v68 offset0:49 offset1:50
	;; [unrolled: 19-line block ×3, first 2 shown]
	s_waitcnt vmcnt(26) lgkmcnt(1)
	v_fma_f64 v[69:70], v[105:106], v[69:70], v[93:94]
	s_clause 0x3
	buffer_load_dword v94, off, s[0:3], 0 offset:260
	buffer_load_dword v93, off, s[0:3], 0 offset:256
	;; [unrolled: 1-line block ×4, first 2 shown]
	s_waitcnt vmcnt(29)
	v_fma_f64 v[69:70], v[103:104], v[71:72], v[69:70]
	s_waitcnt vmcnt(28) lgkmcnt(0)
	v_fma_f64 v[69:70], v[101:102], v[73:74], v[69:70]
	s_waitcnt vmcnt(23)
	v_fma_f64 v[77:78], v[77:78], v[75:76], v[69:70]
	ds_read2_b64 v[69:72], v68 offset0:55 offset1:56
	ds_read2_b64 v[73:76], v68 offset0:57 offset1:58
	s_waitcnt vmcnt(22) lgkmcnt(1)
	v_fma_f64 v[69:70], v[111:112], v[69:70], v[77:78]
	s_waitcnt vmcnt(21)
	v_fma_f64 v[69:70], v[109:110], v[71:72], v[69:70]
	s_waitcnt vmcnt(20) lgkmcnt(0)
	v_fma_f64 v[69:70], v[107:108], v[73:74], v[69:70]
	s_waitcnt vmcnt(15)
	v_fma_f64 v[77:78], v[79:80], v[75:76], v[69:70]
	ds_read2_b64 v[69:72], v68 offset0:59 offset1:60
	ds_read2_b64 v[73:76], v68 offset0:61 offset1:62
	s_waitcnt vmcnt(14) lgkmcnt(1)
	v_fma_f64 v[69:70], v[85:86], v[69:70], v[77:78]
	;; [unrolled: 10-line block ×3, first 2 shown]
	s_waitcnt vmcnt(5)
	v_fma_f64 v[68:69], v[91:92], v[71:72], v[68:69]
	s_waitcnt vmcnt(4) lgkmcnt(0)
	v_fma_f64 v[68:69], v[89:90], v[73:74], v[68:69]
	s_waitcnt vmcnt(2)
	v_fma_f64 v[68:69], v[93:94], v[75:76], v[68:69]
	s_waitcnt vmcnt(0)
	v_add_f64 v[68:69], v[95:96], -v[68:69]
	buffer_store_dword v69, off, s[0:3], 0 offset:36
	buffer_store_dword v68, off, s[0:3], 0 offset:32
	v_cmpx_lt_u32_e32 3, v0
	s_cbranch_execz .LBB32_201
; %bb.200:
	s_clause 0x1
	buffer_load_dword v68, off, s[0:3], 0 offset:24
	buffer_load_dword v69, off, s[0:3], 0 offset:28
	v_mov_b32_e32 v70, 0
	buffer_store_dword v70, off, s[0:3], 0 offset:24
	buffer_store_dword v70, off, s[0:3], 0 offset:28
	s_waitcnt vmcnt(0)
	ds_write_b64 v67, v[68:69]
.LBB32_201:
	s_or_b32 exec_lo, exec_lo, s4
	s_waitcnt lgkmcnt(0)
	s_waitcnt_vscnt null, 0x0
	s_barrier
	buffer_gl0_inv
	s_clause 0x1c
	buffer_load_dword v77, off, s[0:3], 0 offset:32
	buffer_load_dword v78, off, s[0:3], 0 offset:36
	;; [unrolled: 1-line block ×29, first 2 shown]
	v_mov_b32_e32 v68, 0
	buffer_load_dword v102, off, s[0:3], 0 offset:148
	s_mov_b32 s4, exec_lo
	ds_read_b128 v[69:72], v68 offset:304
	ds_read_b128 v[73:76], v68 offset:320
	s_waitcnt vmcnt(28) lgkmcnt(1)
	v_fma_f64 v[69:70], v[77:78], v[69:70], 0
	s_clause 0x7
	buffer_load_dword v78, off, s[0:3], 0 offset:156
	buffer_load_dword v107, off, s[0:3], 0 offset:176
	buffer_load_dword v109, off, s[0:3], 0 offset:168
	buffer_load_dword v111, off, s[0:3], 0 offset:160
	buffer_load_dword v77, off, s[0:3], 0 offset:152
	buffer_load_dword v112, off, s[0:3], 0 offset:164
	buffer_load_dword v110, off, s[0:3], 0 offset:172
	buffer_load_dword v108, off, s[0:3], 0 offset:180
	s_waitcnt vmcnt(34)
	v_fma_f64 v[69:70], v[79:80], v[71:72], v[69:70]
	s_waitcnt vmcnt(32) lgkmcnt(0)
	v_fma_f64 v[69:70], v[81:82], v[73:74], v[69:70]
	s_waitcnt vmcnt(30)
	v_fma_f64 v[79:80], v[83:84], v[75:76], v[69:70]
	ds_read_b128 v[69:72], v68 offset:336
	ds_read_b128 v[73:76], v68 offset:352
	s_waitcnt vmcnt(28) lgkmcnt(1)
	v_fma_f64 v[69:70], v[85:86], v[69:70], v[79:80]
	s_clause 0x7
	buffer_load_dword v80, off, s[0:3], 0 offset:188
	buffer_load_dword v81, off, s[0:3], 0 offset:208
	buffer_load_dword v83, off, s[0:3], 0 offset:200
	buffer_load_dword v85, off, s[0:3], 0 offset:192
	buffer_load_dword v79, off, s[0:3], 0 offset:184
	buffer_load_dword v86, off, s[0:3], 0 offset:196
	buffer_load_dword v84, off, s[0:3], 0 offset:204
	buffer_load_dword v82, off, s[0:3], 0 offset:212
	s_waitcnt vmcnt(34)
	v_fma_f64 v[69:70], v[87:88], v[71:72], v[69:70]
	s_waitcnt vmcnt(32) lgkmcnt(0)
	v_fma_f64 v[69:70], v[89:90], v[73:74], v[69:70]
	s_waitcnt vmcnt(27)
	v_fma_f64 v[87:88], v[91:92], v[75:76], v[69:70]
	ds_read_b128 v[69:72], v68 offset:368
	ds_read_b128 v[73:76], v68 offset:384
	s_waitcnt vmcnt(26) lgkmcnt(1)
	v_fma_f64 v[69:70], v[97:98], v[69:70], v[87:88]
	s_clause 0x7
	buffer_load_dword v88, off, s[0:3], 0 offset:220
	buffer_load_dword v89, off, s[0:3], 0 offset:240
	buffer_load_dword v91, off, s[0:3], 0 offset:232
	buffer_load_dword v97, off, s[0:3], 0 offset:224
	buffer_load_dword v87, off, s[0:3], 0 offset:216
	buffer_load_dword v98, off, s[0:3], 0 offset:228
	buffer_load_dword v92, off, s[0:3], 0 offset:236
	buffer_load_dword v90, off, s[0:3], 0 offset:244
	s_waitcnt vmcnt(33)
	v_fma_f64 v[69:70], v[95:96], v[71:72], v[69:70]
	s_waitcnt vmcnt(32) lgkmcnt(0)
	v_fma_f64 v[69:70], v[93:94], v[73:74], v[69:70]
	s_waitcnt vmcnt(27)
	v_fma_f64 v[93:94], v[99:100], v[75:76], v[69:70]
	ds_read_b128 v[69:72], v68 offset:400
	ds_read_b128 v[73:76], v68 offset:416
	s_waitcnt vmcnt(26) lgkmcnt(1)
	v_fma_f64 v[69:70], v[105:106], v[69:70], v[93:94]
	s_clause 0x5
	buffer_load_dword v94, off, s[0:3], 0 offset:252
	buffer_load_dword v95, off, s[0:3], 0 offset:256
	buffer_load_dword v93, off, s[0:3], 0 offset:248
	buffer_load_dword v96, off, s[0:3], 0 offset:260
	buffer_load_dword v99, off, s[0:3], 0 offset:24
	buffer_load_dword v100, off, s[0:3], 0 offset:28
	s_waitcnt vmcnt(31)
	v_fma_f64 v[69:70], v[103:104], v[71:72], v[69:70]
	s_waitcnt vmcnt(30) lgkmcnt(0)
	v_fma_f64 v[69:70], v[101:102], v[73:74], v[69:70]
	s_waitcnt vmcnt(25)
	v_fma_f64 v[77:78], v[77:78], v[75:76], v[69:70]
	ds_read_b128 v[69:72], v68 offset:432
	ds_read_b128 v[73:76], v68 offset:448
	s_waitcnt vmcnt(24) lgkmcnt(1)
	v_fma_f64 v[69:70], v[111:112], v[69:70], v[77:78]
	s_waitcnt vmcnt(23)
	v_fma_f64 v[69:70], v[109:110], v[71:72], v[69:70]
	s_waitcnt vmcnt(22) lgkmcnt(0)
	v_fma_f64 v[69:70], v[107:108], v[73:74], v[69:70]
	s_waitcnt vmcnt(17)
	v_fma_f64 v[77:78], v[79:80], v[75:76], v[69:70]
	ds_read_b128 v[69:72], v68 offset:464
	ds_read_b128 v[73:76], v68 offset:480
	s_waitcnt vmcnt(16) lgkmcnt(1)
	v_fma_f64 v[69:70], v[85:86], v[69:70], v[77:78]
	;; [unrolled: 10-line block ×3, first 2 shown]
	s_waitcnt vmcnt(7)
	v_fma_f64 v[69:70], v[91:92], v[71:72], v[69:70]
	ds_read_b64 v[71:72], v68 offset:528
	s_waitcnt vmcnt(6) lgkmcnt(1)
	v_fma_f64 v[69:70], v[89:90], v[73:74], v[69:70]
	s_waitcnt vmcnt(3)
	v_fma_f64 v[69:70], v[93:94], v[75:76], v[69:70]
	s_waitcnt vmcnt(2) lgkmcnt(0)
	v_fma_f64 v[69:70], v[95:96], v[71:72], v[69:70]
	s_waitcnt vmcnt(0)
	v_add_f64 v[69:70], v[99:100], -v[69:70]
	buffer_store_dword v70, off, s[0:3], 0 offset:28
	buffer_store_dword v69, off, s[0:3], 0 offset:24
	v_cmpx_lt_u32_e32 2, v0
	s_cbranch_execz .LBB32_203
; %bb.202:
	s_clause 0x1
	buffer_load_dword v69, off, s[0:3], 0 offset:16
	buffer_load_dword v70, off, s[0:3], 0 offset:20
	buffer_store_dword v68, off, s[0:3], 0 offset:16
	buffer_store_dword v68, off, s[0:3], 0 offset:20
	s_waitcnt vmcnt(0)
	ds_write_b64 v67, v[69:70]
.LBB32_203:
	s_or_b32 exec_lo, exec_lo, s4
	s_waitcnt lgkmcnt(0)
	s_waitcnt_vscnt null, 0x0
	s_barrier
	buffer_gl0_inv
	s_clause 0x1c
	buffer_load_dword v77, off, s[0:3], 0 offset:24
	buffer_load_dword v78, off, s[0:3], 0 offset:28
	;; [unrolled: 1-line block ×29, first 2 shown]
	ds_read2_b64 v[69:72], v68 offset0:37 offset1:38
	ds_read2_b64 v[73:76], v68 offset0:39 offset1:40
	buffer_load_dword v102, off, s[0:3], 0 offset:140
	s_mov_b32 s4, exec_lo
	s_waitcnt vmcnt(28) lgkmcnt(1)
	v_fma_f64 v[69:70], v[77:78], v[69:70], 0
	s_clause 0x7
	buffer_load_dword v78, off, s[0:3], 0 offset:148
	buffer_load_dword v107, off, s[0:3], 0 offset:168
	buffer_load_dword v109, off, s[0:3], 0 offset:160
	buffer_load_dword v111, off, s[0:3], 0 offset:152
	buffer_load_dword v77, off, s[0:3], 0 offset:144
	buffer_load_dword v112, off, s[0:3], 0 offset:156
	buffer_load_dword v110, off, s[0:3], 0 offset:164
	buffer_load_dword v108, off, s[0:3], 0 offset:172
	s_waitcnt vmcnt(34)
	v_fma_f64 v[69:70], v[79:80], v[71:72], v[69:70]
	s_waitcnt vmcnt(32) lgkmcnt(0)
	v_fma_f64 v[69:70], v[81:82], v[73:74], v[69:70]
	s_waitcnt vmcnt(30)
	v_fma_f64 v[79:80], v[83:84], v[75:76], v[69:70]
	ds_read2_b64 v[69:72], v68 offset0:41 offset1:42
	ds_read2_b64 v[73:76], v68 offset0:43 offset1:44
	s_waitcnt vmcnt(28) lgkmcnt(1)
	v_fma_f64 v[69:70], v[85:86], v[69:70], v[79:80]
	s_clause 0x7
	buffer_load_dword v80, off, s[0:3], 0 offset:180
	buffer_load_dword v81, off, s[0:3], 0 offset:200
	buffer_load_dword v83, off, s[0:3], 0 offset:192
	buffer_load_dword v85, off, s[0:3], 0 offset:184
	buffer_load_dword v79, off, s[0:3], 0 offset:176
	buffer_load_dword v86, off, s[0:3], 0 offset:188
	buffer_load_dword v84, off, s[0:3], 0 offset:196
	buffer_load_dword v82, off, s[0:3], 0 offset:204
	s_waitcnt vmcnt(34)
	v_fma_f64 v[69:70], v[87:88], v[71:72], v[69:70]
	s_waitcnt vmcnt(32) lgkmcnt(0)
	v_fma_f64 v[69:70], v[89:90], v[73:74], v[69:70]
	s_waitcnt vmcnt(27)
	v_fma_f64 v[87:88], v[91:92], v[75:76], v[69:70]
	ds_read2_b64 v[69:72], v68 offset0:45 offset1:46
	ds_read2_b64 v[73:76], v68 offset0:47 offset1:48
	;; [unrolled: 19-line block ×3, first 2 shown]
	s_waitcnt vmcnt(26) lgkmcnt(1)
	v_fma_f64 v[69:70], v[105:106], v[69:70], v[93:94]
	s_clause 0x5
	buffer_load_dword v94, off, s[0:3], 0 offset:244
	buffer_load_dword v95, off, s[0:3], 0 offset:256
	;; [unrolled: 1-line block ×6, first 2 shown]
	s_waitcnt vmcnt(31)
	v_fma_f64 v[69:70], v[103:104], v[71:72], v[69:70]
	s_waitcnt vmcnt(30) lgkmcnt(0)
	v_fma_f64 v[69:70], v[101:102], v[73:74], v[69:70]
	s_waitcnt vmcnt(25)
	v_fma_f64 v[77:78], v[77:78], v[75:76], v[69:70]
	ds_read2_b64 v[69:72], v68 offset0:53 offset1:54
	s_clause 0x1
	buffer_load_dword v101, off, s[0:3], 0 offset:16
	buffer_load_dword v102, off, s[0:3], 0 offset:20
	ds_read2_b64 v[73:76], v68 offset0:55 offset1:56
	s_waitcnt vmcnt(26) lgkmcnt(1)
	v_fma_f64 v[69:70], v[111:112], v[69:70], v[77:78]
	s_waitcnt vmcnt(25)
	v_fma_f64 v[69:70], v[109:110], v[71:72], v[69:70]
	s_waitcnt vmcnt(24) lgkmcnt(0)
	v_fma_f64 v[69:70], v[107:108], v[73:74], v[69:70]
	s_waitcnt vmcnt(19)
	v_fma_f64 v[77:78], v[79:80], v[75:76], v[69:70]
	ds_read2_b64 v[69:72], v68 offset0:57 offset1:58
	ds_read2_b64 v[73:76], v68 offset0:59 offset1:60
	s_waitcnt vmcnt(18) lgkmcnt(1)
	v_fma_f64 v[69:70], v[85:86], v[69:70], v[77:78]
	s_waitcnt vmcnt(17)
	v_fma_f64 v[69:70], v[83:84], v[71:72], v[69:70]
	s_waitcnt vmcnt(16) lgkmcnt(0)
	v_fma_f64 v[69:70], v[81:82], v[73:74], v[69:70]
	s_waitcnt vmcnt(11)
	v_fma_f64 v[77:78], v[87:88], v[75:76], v[69:70]
	ds_read2_b64 v[69:72], v68 offset0:61 offset1:62
	;; [unrolled: 10-line block ×3, first 2 shown]
	s_waitcnt vmcnt(3) lgkmcnt(0)
	v_fma_f64 v[68:69], v[99:100], v[68:69], v[72:73]
	s_waitcnt vmcnt(2)
	v_fma_f64 v[68:69], v[95:96], v[70:71], v[68:69]
	s_waitcnt vmcnt(0)
	v_add_f64 v[68:69], v[101:102], -v[68:69]
	buffer_store_dword v69, off, s[0:3], 0 offset:20
	buffer_store_dword v68, off, s[0:3], 0 offset:16
	v_cmpx_lt_u32_e32 1, v0
	s_cbranch_execz .LBB32_205
; %bb.204:
	s_clause 0x1
	buffer_load_dword v68, off, s[0:3], 0 offset:8
	buffer_load_dword v69, off, s[0:3], 0 offset:12
	v_mov_b32_e32 v70, 0
	buffer_store_dword v70, off, s[0:3], 0 offset:8
	buffer_store_dword v70, off, s[0:3], 0 offset:12
	s_waitcnt vmcnt(0)
	ds_write_b64 v67, v[68:69]
.LBB32_205:
	s_or_b32 exec_lo, exec_lo, s4
	s_waitcnt lgkmcnt(0)
	s_waitcnt_vscnt null, 0x0
	s_barrier
	buffer_gl0_inv
	s_clause 0x1c
	buffer_load_dword v78, off, s[0:3], 0 offset:16
	buffer_load_dword v79, off, s[0:3], 0 offset:20
	;; [unrolled: 1-line block ×29, first 2 shown]
	v_mov_b32_e32 v69, 0
	buffer_load_dword v103, off, s[0:3], 0 offset:132
	s_mov_b32 s4, exec_lo
	ds_read_b128 v[70:73], v69 offset:288
	ds_read_b128 v[74:77], v69 offset:304
	s_waitcnt vmcnt(28) lgkmcnt(1)
	v_fma_f64 v[70:71], v[78:79], v[70:71], 0
	s_clause 0x7
	buffer_load_dword v79, off, s[0:3], 0 offset:140
	buffer_load_dword v108, off, s[0:3], 0 offset:160
	buffer_load_dword v110, off, s[0:3], 0 offset:152
	buffer_load_dword v112, off, s[0:3], 0 offset:144
	buffer_load_dword v78, off, s[0:3], 0 offset:136
	buffer_load_dword v113, off, s[0:3], 0 offset:148
	buffer_load_dword v111, off, s[0:3], 0 offset:156
	buffer_load_dword v109, off, s[0:3], 0 offset:164
	s_waitcnt vmcnt(34)
	v_fma_f64 v[70:71], v[80:81], v[72:73], v[70:71]
	s_waitcnt vmcnt(32) lgkmcnt(0)
	v_fma_f64 v[70:71], v[82:83], v[74:75], v[70:71]
	s_waitcnt vmcnt(30)
	v_fma_f64 v[80:81], v[84:85], v[76:77], v[70:71]
	ds_read_b128 v[70:73], v69 offset:320
	ds_read_b128 v[74:77], v69 offset:336
	s_waitcnt vmcnt(28) lgkmcnt(1)
	v_fma_f64 v[70:71], v[86:87], v[70:71], v[80:81]
	s_clause 0x7
	buffer_load_dword v81, off, s[0:3], 0 offset:172
	buffer_load_dword v82, off, s[0:3], 0 offset:192
	buffer_load_dword v84, off, s[0:3], 0 offset:184
	buffer_load_dword v86, off, s[0:3], 0 offset:176
	buffer_load_dword v80, off, s[0:3], 0 offset:168
	buffer_load_dword v87, off, s[0:3], 0 offset:180
	buffer_load_dword v85, off, s[0:3], 0 offset:188
	buffer_load_dword v83, off, s[0:3], 0 offset:196
	s_waitcnt vmcnt(34)
	v_fma_f64 v[70:71], v[88:89], v[72:73], v[70:71]
	s_waitcnt vmcnt(32) lgkmcnt(0)
	v_fma_f64 v[70:71], v[90:91], v[74:75], v[70:71]
	s_waitcnt vmcnt(27)
	v_fma_f64 v[88:89], v[92:93], v[76:77], v[70:71]
	;; [unrolled: 19-line block ×4, first 2 shown]
	ds_read_b128 v[70:73], v69 offset:416
	ds_read_b128 v[74:77], v69 offset:432
	s_waitcnt vmcnt(26) lgkmcnt(1)
	v_fma_f64 v[70:71], v[112:113], v[70:71], v[78:79]
	s_clause 0x1
	buffer_load_dword v78, off, s[0:3], 0 offset:8
	buffer_load_dword v79, off, s[0:3], 0 offset:12
	s_waitcnt vmcnt(27)
	v_fma_f64 v[70:71], v[110:111], v[72:73], v[70:71]
	s_waitcnt vmcnt(26) lgkmcnt(0)
	v_fma_f64 v[70:71], v[108:109], v[74:75], v[70:71]
	s_waitcnt vmcnt(21)
	v_fma_f64 v[80:81], v[80:81], v[76:77], v[70:71]
	ds_read_b128 v[70:73], v69 offset:448
	ds_read_b128 v[74:77], v69 offset:464
	s_waitcnt vmcnt(20) lgkmcnt(1)
	v_fma_f64 v[70:71], v[86:87], v[70:71], v[80:81]
	s_waitcnt vmcnt(19)
	v_fma_f64 v[70:71], v[84:85], v[72:73], v[70:71]
	s_waitcnt vmcnt(18) lgkmcnt(0)
	v_fma_f64 v[70:71], v[82:83], v[74:75], v[70:71]
	s_waitcnt vmcnt(13)
	v_fma_f64 v[80:81], v[88:89], v[76:77], v[70:71]
	ds_read_b128 v[70:73], v69 offset:480
	ds_read_b128 v[74:77], v69 offset:496
	s_waitcnt vmcnt(12) lgkmcnt(1)
	v_fma_f64 v[70:71], v[98:99], v[70:71], v[80:81]
	s_waitcnt vmcnt(11)
	v_fma_f64 v[70:71], v[92:93], v[72:73], v[70:71]
	s_waitcnt vmcnt(10) lgkmcnt(0)
	v_fma_f64 v[70:71], v[90:91], v[74:75], v[70:71]
	s_waitcnt vmcnt(5)
	v_fma_f64 v[74:75], v[94:95], v[76:77], v[70:71]
	ds_read_b128 v[70:73], v69 offset:512
	ds_read_b64 v[76:77], v69 offset:528
	s_waitcnt vmcnt(4) lgkmcnt(1)
	v_fma_f64 v[70:71], v[106:107], v[70:71], v[74:75]
	s_waitcnt vmcnt(3)
	v_fma_f64 v[70:71], v[100:101], v[72:73], v[70:71]
	s_waitcnt vmcnt(2) lgkmcnt(0)
	v_fma_f64 v[70:71], v[96:97], v[76:77], v[70:71]
	s_waitcnt vmcnt(0)
	v_add_f64 v[70:71], v[78:79], -v[70:71]
	buffer_store_dword v71, off, s[0:3], 0 offset:12
	buffer_store_dword v70, off, s[0:3], 0 offset:8
	v_cmpx_ne_u32_e32 0, v0
	s_cbranch_execz .LBB32_207
; %bb.206:
	s_clause 0x1
	buffer_load_dword v70, off, s[0:3], 0
	buffer_load_dword v71, off, s[0:3], 0 offset:4
	buffer_store_dword v69, off, s[0:3], 0
	buffer_store_dword v69, off, s[0:3], 0 offset:4
	s_waitcnt vmcnt(0)
	ds_write_b64 v67, v[70:71]
.LBB32_207:
	s_or_b32 exec_lo, exec_lo, s4
	s_waitcnt lgkmcnt(0)
	s_waitcnt_vscnt null, 0x0
	s_barrier
	buffer_gl0_inv
	s_clause 0x1c
	buffer_load_dword v67, off, s[0:3], 0 offset:8
	buffer_load_dword v68, off, s[0:3], 0 offset:12
	;; [unrolled: 1-line block ×29, first 2 shown]
	ds_read2_b64 v[70:73], v69 offset0:35 offset1:36
	ds_read2_b64 v[74:77], v69 offset0:37 offset1:38
	s_clause 0x8
	buffer_load_dword v101, off, s[0:3], 0 offset:124
	buffer_load_dword v107, off, s[0:3], 0 offset:132
	;; [unrolled: 1-line block ×9, first 2 shown]
	s_and_b32 vcc_lo, exec_lo, s22
	s_waitcnt vmcnt(36) lgkmcnt(1)
	v_fma_f64 v[67:68], v[67:68], v[70:71], 0
	s_waitcnt vmcnt(34)
	v_fma_f64 v[67:68], v[78:79], v[72:73], v[67:68]
	ds_read2_b64 v[70:73], v69 offset0:39 offset1:40
	s_waitcnt vmcnt(32) lgkmcnt(1)
	v_fma_f64 v[67:68], v[80:81], v[74:75], v[67:68]
	s_waitcnt vmcnt(30)
	v_fma_f64 v[67:68], v[82:83], v[76:77], v[67:68]
	ds_read2_b64 v[74:77], v69 offset0:41 offset1:42
	s_waitcnt vmcnt(28) lgkmcnt(1)
	v_fma_f64 v[67:68], v[84:85], v[70:71], v[67:68]
	s_clause 0x7
	buffer_load_dword v79, off, s[0:3], 0 offset:164
	buffer_load_dword v80, off, s[0:3], 0 offset:184
	buffer_load_dword v82, off, s[0:3], 0 offset:176
	buffer_load_dword v84, off, s[0:3], 0 offset:168
	buffer_load_dword v78, off, s[0:3], 0 offset:160
	buffer_load_dword v85, off, s[0:3], 0 offset:172
	buffer_load_dword v83, off, s[0:3], 0 offset:180
	buffer_load_dword v81, off, s[0:3], 0 offset:188
	s_waitcnt vmcnt(34)
	v_fma_f64 v[67:68], v[86:87], v[72:73], v[67:68]
	ds_read2_b64 v[70:73], v69 offset0:43 offset1:44
	s_waitcnt vmcnt(32) lgkmcnt(1)
	v_fma_f64 v[67:68], v[88:89], v[74:75], v[67:68]
	s_waitcnt vmcnt(27)
	v_fma_f64 v[67:68], v[90:91], v[76:77], v[67:68]
	ds_read2_b64 v[74:77], v69 offset0:45 offset1:46
	s_waitcnt vmcnt(26) lgkmcnt(1)
	v_fma_f64 v[67:68], v[96:97], v[70:71], v[67:68]
	s_clause 0x7
	buffer_load_dword v87, off, s[0:3], 0 offset:196
	buffer_load_dword v88, off, s[0:3], 0 offset:216
	buffer_load_dword v90, off, s[0:3], 0 offset:208
	buffer_load_dword v96, off, s[0:3], 0 offset:200
	buffer_load_dword v86, off, s[0:3], 0 offset:192
	buffer_load_dword v97, off, s[0:3], 0 offset:204
	buffer_load_dword v91, off, s[0:3], 0 offset:212
	buffer_load_dword v89, off, s[0:3], 0 offset:220
	;; [unrolled: 19-line block ×3, first 2 shown]
	s_waitcnt vmcnt(33)
	v_fma_f64 v[70:71], v[102:103], v[72:73], v[70:71]
	s_waitcnt vmcnt(32) lgkmcnt(0)
	v_fma_f64 v[70:71], v[100:101], v[74:75], v[70:71]
	s_waitcnt vmcnt(27)
	v_fma_f64 v[100:101], v[106:107], v[76:77], v[70:71]
	ds_read2_b64 v[70:73], v69 offset0:51 offset1:52
	ds_read2_b64 v[74:77], v69 offset0:53 offset1:54
	s_waitcnt vmcnt(26) lgkmcnt(1)
	v_fma_f64 v[70:71], v[112:113], v[70:71], v[100:101]
	s_clause 0x3
	buffer_load_dword v101, off, s[0:3], 0 offset:260
	buffer_load_dword v100, off, s[0:3], 0 offset:256
	buffer_load_dword v102, off, s[0:3], 0
	buffer_load_dword v103, off, s[0:3], 0 offset:4
	s_waitcnt vmcnt(29)
	v_fma_f64 v[70:71], v[110:111], v[72:73], v[70:71]
	s_waitcnt vmcnt(28) lgkmcnt(0)
	v_fma_f64 v[70:71], v[108:109], v[74:75], v[70:71]
	s_waitcnt vmcnt(23)
	v_fma_f64 v[78:79], v[78:79], v[76:77], v[70:71]
	ds_read2_b64 v[70:73], v69 offset0:55 offset1:56
	ds_read2_b64 v[74:77], v69 offset0:57 offset1:58
	s_waitcnt vmcnt(22) lgkmcnt(1)
	v_fma_f64 v[70:71], v[84:85], v[70:71], v[78:79]
	s_waitcnt vmcnt(21)
	v_fma_f64 v[70:71], v[82:83], v[72:73], v[70:71]
	s_waitcnt vmcnt(20) lgkmcnt(0)
	v_fma_f64 v[70:71], v[80:81], v[74:75], v[70:71]
	s_waitcnt vmcnt(15)
	v_fma_f64 v[78:79], v[86:87], v[76:77], v[70:71]
	ds_read2_b64 v[70:73], v69 offset0:59 offset1:60
	ds_read2_b64 v[74:77], v69 offset0:61 offset1:62
	s_waitcnt vmcnt(14) lgkmcnt(1)
	v_fma_f64 v[70:71], v[96:97], v[70:71], v[78:79]
	;; [unrolled: 10-line block ×3, first 2 shown]
	s_waitcnt vmcnt(5)
	v_fma_f64 v[69:70], v[94:95], v[72:73], v[69:70]
	s_waitcnt vmcnt(4) lgkmcnt(0)
	v_fma_f64 v[69:70], v[67:68], v[74:75], v[69:70]
	s_waitcnt vmcnt(2)
	v_fma_f64 v[69:70], v[100:101], v[76:77], v[69:70]
	s_waitcnt vmcnt(0)
	v_add_f64 v[69:70], v[102:103], -v[69:70]
	buffer_store_dword v70, off, s[0:3], 0 offset:4
	buffer_store_dword v69, off, s[0:3], 0
	s_cbranch_vccz .LBB32_272
; %bb.208:
	v_mov_b32_e32 v0, 0
	global_load_dword v69, v0, s[20:21] offset:124
	s_waitcnt vmcnt(0)
	v_add_nc_u32_e32 v69, -1, v69
	v_cmp_ne_u32_e32 vcc_lo, 31, v69
	s_cbranch_vccz .LBB32_210
; %bb.209:
	v_lshlrev_b32_e32 v69, 3, v69
	s_clause 0x1
	buffer_load_dword v70, v69, s[0:3], 0 offen
	buffer_load_dword v71, v69, s[0:3], 0 offen offset:4
	s_waitcnt vmcnt(1)
	buffer_store_dword v70, off, s[0:3], 0 offset:248
	s_waitcnt vmcnt(0)
	buffer_store_dword v71, off, s[0:3], 0 offset:252
	buffer_store_dword v67, v69, s[0:3], 0 offen
	buffer_store_dword v68, v69, s[0:3], 0 offen offset:4
.LBB32_210:
	global_load_dword v0, v0, s[20:21] offset:120
	s_waitcnt vmcnt(0)
	v_add_nc_u32_e32 v0, -1, v0
	v_cmp_eq_u32_e32 vcc_lo, 30, v0
	s_cbranch_vccnz .LBB32_212
; %bb.211:
	v_lshlrev_b32_e32 v0, 3, v0
	s_clause 0x3
	buffer_load_dword v67, v0, s[0:3], 0 offen
	buffer_load_dword v68, v0, s[0:3], 0 offen offset:4
	buffer_load_dword v69, off, s[0:3], 0 offset:244
	buffer_load_dword v70, off, s[0:3], 0 offset:240
	s_waitcnt vmcnt(3)
	buffer_store_dword v67, off, s[0:3], 0 offset:240
	s_waitcnt vmcnt(2)
	buffer_store_dword v68, off, s[0:3], 0 offset:244
	s_waitcnt vmcnt(1)
	buffer_store_dword v69, v0, s[0:3], 0 offen offset:4
	s_waitcnt vmcnt(0)
	buffer_store_dword v70, v0, s[0:3], 0 offen
.LBB32_212:
	v_mov_b32_e32 v0, 0
	global_load_dword v67, v0, s[20:21] offset:116
	s_waitcnt vmcnt(0)
	v_add_nc_u32_e32 v67, -1, v67
	v_cmp_eq_u32_e32 vcc_lo, 29, v67
	s_cbranch_vccnz .LBB32_214
; %bb.213:
	v_lshlrev_b32_e32 v67, 3, v67
	s_clause 0x3
	buffer_load_dword v68, v67, s[0:3], 0 offen
	buffer_load_dword v69, v67, s[0:3], 0 offen offset:4
	buffer_load_dword v70, off, s[0:3], 0 offset:232
	buffer_load_dword v71, off, s[0:3], 0 offset:236
	s_waitcnt vmcnt(3)
	buffer_store_dword v68, off, s[0:3], 0 offset:232
	s_waitcnt vmcnt(2)
	buffer_store_dword v69, off, s[0:3], 0 offset:236
	s_waitcnt vmcnt(1)
	buffer_store_dword v70, v67, s[0:3], 0 offen
	s_waitcnt vmcnt(0)
	buffer_store_dword v71, v67, s[0:3], 0 offen offset:4
.LBB32_214:
	global_load_dword v0, v0, s[20:21] offset:112
	s_waitcnt vmcnt(0)
	v_add_nc_u32_e32 v0, -1, v0
	v_cmp_eq_u32_e32 vcc_lo, 28, v0
	s_cbranch_vccnz .LBB32_216
; %bb.215:
	v_lshlrev_b32_e32 v0, 3, v0
	s_clause 0x3
	buffer_load_dword v67, v0, s[0:3], 0 offen
	buffer_load_dword v68, v0, s[0:3], 0 offen offset:4
	buffer_load_dword v69, off, s[0:3], 0 offset:228
	buffer_load_dword v70, off, s[0:3], 0 offset:224
	s_waitcnt vmcnt(3)
	buffer_store_dword v67, off, s[0:3], 0 offset:224
	s_waitcnt vmcnt(2)
	buffer_store_dword v68, off, s[0:3], 0 offset:228
	s_waitcnt vmcnt(1)
	buffer_store_dword v69, v0, s[0:3], 0 offen offset:4
	s_waitcnt vmcnt(0)
	buffer_store_dword v70, v0, s[0:3], 0 offen
.LBB32_216:
	v_mov_b32_e32 v0, 0
	global_load_dword v67, v0, s[20:21] offset:108
	s_waitcnt vmcnt(0)
	v_add_nc_u32_e32 v67, -1, v67
	v_cmp_eq_u32_e32 vcc_lo, 27, v67
	s_cbranch_vccnz .LBB32_218
; %bb.217:
	v_lshlrev_b32_e32 v67, 3, v67
	s_clause 0x3
	buffer_load_dword v68, v67, s[0:3], 0 offen
	buffer_load_dword v69, v67, s[0:3], 0 offen offset:4
	buffer_load_dword v70, off, s[0:3], 0 offset:216
	buffer_load_dword v71, off, s[0:3], 0 offset:220
	s_waitcnt vmcnt(3)
	buffer_store_dword v68, off, s[0:3], 0 offset:216
	s_waitcnt vmcnt(2)
	buffer_store_dword v69, off, s[0:3], 0 offset:220
	s_waitcnt vmcnt(1)
	buffer_store_dword v70, v67, s[0:3], 0 offen
	s_waitcnt vmcnt(0)
	buffer_store_dword v71, v67, s[0:3], 0 offen offset:4
.LBB32_218:
	;; [unrolled: 43-line block ×15, first 2 shown]
	global_load_dword v0, v0, s[20:21]
	s_clause 0x1
	buffer_load_dword v69, off, s[0:3], 0
	buffer_load_dword v70, off, s[0:3], 0 offset:4
	s_waitcnt vmcnt(2)
	v_add_nc_u32_e32 v0, -1, v0
	v_cmp_eq_u32_e32 vcc_lo, 0, v0
	s_cbranch_vccnz .LBB32_272
; %bb.271:
	v_lshlrev_b32_e32 v0, 3, v0
	s_clause 0x1
	buffer_load_dword v67, v0, s[0:3], 0 offen offset:4
	buffer_load_dword v68, v0, s[0:3], 0 offen
	s_waitcnt vmcnt(1)
	buffer_store_dword v67, off, s[0:3], 0 offset:4
	s_waitcnt vmcnt(0)
	buffer_store_dword v68, off, s[0:3], 0
	buffer_store_dword v70, v0, s[0:3], 0 offen offset:4
	buffer_store_dword v69, v0, s[0:3], 0 offen
	s_clause 0x1
	buffer_load_dword v69, off, s[0:3], 0
	buffer_load_dword v70, off, s[0:3], 0 offset:4
.LBB32_272:
	s_clause 0x9
	buffer_load_dword v67, off, s[0:3], 0 offset:8
	buffer_load_dword v68, off, s[0:3], 0 offset:12
	;; [unrolled: 1-line block ×10, first 2 shown]
	s_waitcnt vmcnt(10)
	global_store_dwordx2 v[65:66], v[69:70], off
	s_clause 0x1d
	buffer_load_dword v65, off, s[0:3], 0 offset:48
	buffer_load_dword v66, off, s[0:3], 0 offset:52
	buffer_load_dword v69, off, s[0:3], 0 offset:56
	buffer_load_dword v70, off, s[0:3], 0 offset:60
	buffer_load_dword v79, off, s[0:3], 0 offset:64
	buffer_load_dword v80, off, s[0:3], 0 offset:68
	buffer_load_dword v81, off, s[0:3], 0 offset:72
	buffer_load_dword v82, off, s[0:3], 0 offset:76
	buffer_load_dword v83, off, s[0:3], 0 offset:80
	buffer_load_dword v84, off, s[0:3], 0 offset:84
	buffer_load_dword v85, off, s[0:3], 0 offset:88
	buffer_load_dword v86, off, s[0:3], 0 offset:92
	buffer_load_dword v87, off, s[0:3], 0 offset:96
	buffer_load_dword v88, off, s[0:3], 0 offset:100
	buffer_load_dword v89, off, s[0:3], 0 offset:104
	buffer_load_dword v90, off, s[0:3], 0 offset:108
	buffer_load_dword v91, off, s[0:3], 0 offset:112
	buffer_load_dword v92, off, s[0:3], 0 offset:116
	buffer_load_dword v93, off, s[0:3], 0 offset:120
	buffer_load_dword v94, off, s[0:3], 0 offset:124
	buffer_load_dword v95, off, s[0:3], 0 offset:128
	buffer_load_dword v96, off, s[0:3], 0 offset:132
	buffer_load_dword v97, off, s[0:3], 0 offset:136
	buffer_load_dword v98, off, s[0:3], 0 offset:140
	buffer_load_dword v99, off, s[0:3], 0 offset:144
	buffer_load_dword v100, off, s[0:3], 0 offset:148
	buffer_load_dword v101, off, s[0:3], 0 offset:152
	buffer_load_dword v102, off, s[0:3], 0 offset:156
	buffer_load_dword v103, off, s[0:3], 0 offset:160
	buffer_load_dword v104, off, s[0:3], 0 offset:164
	s_waitcnt vmcnt(38)
	global_store_dwordx2 v[33:34], v[67:68], off
	s_clause 0x7
	buffer_load_dword v33, off, s[0:3], 0 offset:168
	buffer_load_dword v34, off, s[0:3], 0 offset:172
	buffer_load_dword v67, off, s[0:3], 0 offset:176
	buffer_load_dword v68, off, s[0:3], 0 offset:180
	buffer_load_dword v105, off, s[0:3], 0 offset:184
	buffer_load_dword v106, off, s[0:3], 0 offset:188
	buffer_load_dword v107, off, s[0:3], 0 offset:192
	buffer_load_dword v108, off, s[0:3], 0 offset:196
	s_waitcnt vmcnt(44)
	global_store_dwordx2 v[11:12], v[71:72], off
	s_waitcnt vmcnt(42)
	global_store_dwordx2 v[15:16], v[73:74], off
	s_clause 0x7
	buffer_load_dword v11, off, s[0:3], 0 offset:200
	buffer_load_dword v12, off, s[0:3], 0 offset:204
	buffer_load_dword v15, off, s[0:3], 0 offset:208
	buffer_load_dword v16, off, s[0:3], 0 offset:212
	buffer_load_dword v71, off, s[0:3], 0 offset:216
	buffer_load_dword v72, off, s[0:3], 0 offset:220
	buffer_load_dword v73, off, s[0:3], 0 offset:224
	buffer_load_dword v74, off, s[0:3], 0 offset:228
	s_waitcnt vmcnt(48)
	global_store_dwordx2 v[5:6], v[75:76], off
	s_waitcnt vmcnt(46)
	global_store_dwordx2 v[7:8], v[77:78], off
	s_clause 0x7
	buffer_load_dword v5, off, s[0:3], 0 offset:232
	buffer_load_dword v6, off, s[0:3], 0 offset:236
	buffer_load_dword v7, off, s[0:3], 0 offset:240
	buffer_load_dword v8, off, s[0:3], 0 offset:244
	buffer_load_dword v75, off, s[0:3], 0 offset:248
	buffer_load_dword v76, off, s[0:3], 0 offset:252
	buffer_load_dword v77, off, s[0:3], 0 offset:256
	buffer_load_dword v78, off, s[0:3], 0 offset:260
	s_waitcnt vmcnt(52)
	global_store_dwordx2 v[1:2], v[65:66], off
	s_waitcnt vmcnt(50)
	global_store_dwordx2 v[3:4], v[69:70], off
	s_waitcnt vmcnt(48)
	global_store_dwordx2 v[9:10], v[79:80], off
	;; [unrolled: 2-line block ×26, first 2 shown]
	s_endpgm
	.section	.rodata,"a",@progbits
	.p2align	6, 0x0
	.amdhsa_kernel _ZN9rocsolver6v33100L18getri_kernel_smallILi33EdPdEEvT1_iilPiilS4_bb
		.amdhsa_group_segment_fixed_size 536
		.amdhsa_private_segment_fixed_size 272
		.amdhsa_kernarg_size 60
		.amdhsa_user_sgpr_count 6
		.amdhsa_user_sgpr_private_segment_buffer 1
		.amdhsa_user_sgpr_dispatch_ptr 0
		.amdhsa_user_sgpr_queue_ptr 0
		.amdhsa_user_sgpr_kernarg_segment_ptr 1
		.amdhsa_user_sgpr_dispatch_id 0
		.amdhsa_user_sgpr_flat_scratch_init 0
		.amdhsa_user_sgpr_private_segment_size 0
		.amdhsa_wavefront_size32 1
		.amdhsa_uses_dynamic_stack 0
		.amdhsa_system_sgpr_private_segment_wavefront_offset 1
		.amdhsa_system_sgpr_workgroup_id_x 1
		.amdhsa_system_sgpr_workgroup_id_y 0
		.amdhsa_system_sgpr_workgroup_id_z 0
		.amdhsa_system_sgpr_workgroup_info 0
		.amdhsa_system_vgpr_workitem_id 0
		.amdhsa_next_free_vgpr 114
		.amdhsa_next_free_sgpr 23
		.amdhsa_reserve_vcc 1
		.amdhsa_reserve_flat_scratch 0
		.amdhsa_float_round_mode_32 0
		.amdhsa_float_round_mode_16_64 0
		.amdhsa_float_denorm_mode_32 3
		.amdhsa_float_denorm_mode_16_64 3
		.amdhsa_dx10_clamp 1
		.amdhsa_ieee_mode 1
		.amdhsa_fp16_overflow 0
		.amdhsa_workgroup_processor_mode 1
		.amdhsa_memory_ordered 1
		.amdhsa_forward_progress 1
		.amdhsa_shared_vgpr_count 0
		.amdhsa_exception_fp_ieee_invalid_op 0
		.amdhsa_exception_fp_denorm_src 0
		.amdhsa_exception_fp_ieee_div_zero 0
		.amdhsa_exception_fp_ieee_overflow 0
		.amdhsa_exception_fp_ieee_underflow 0
		.amdhsa_exception_fp_ieee_inexact 0
		.amdhsa_exception_int_div_zero 0
	.end_amdhsa_kernel
	.section	.text._ZN9rocsolver6v33100L18getri_kernel_smallILi33EdPdEEvT1_iilPiilS4_bb,"axG",@progbits,_ZN9rocsolver6v33100L18getri_kernel_smallILi33EdPdEEvT1_iilPiilS4_bb,comdat
.Lfunc_end32:
	.size	_ZN9rocsolver6v33100L18getri_kernel_smallILi33EdPdEEvT1_iilPiilS4_bb, .Lfunc_end32-_ZN9rocsolver6v33100L18getri_kernel_smallILi33EdPdEEvT1_iilPiilS4_bb
                                        ; -- End function
	.set _ZN9rocsolver6v33100L18getri_kernel_smallILi33EdPdEEvT1_iilPiilS4_bb.num_vgpr, 114
	.set _ZN9rocsolver6v33100L18getri_kernel_smallILi33EdPdEEvT1_iilPiilS4_bb.num_agpr, 0
	.set _ZN9rocsolver6v33100L18getri_kernel_smallILi33EdPdEEvT1_iilPiilS4_bb.numbered_sgpr, 23
	.set _ZN9rocsolver6v33100L18getri_kernel_smallILi33EdPdEEvT1_iilPiilS4_bb.num_named_barrier, 0
	.set _ZN9rocsolver6v33100L18getri_kernel_smallILi33EdPdEEvT1_iilPiilS4_bb.private_seg_size, 272
	.set _ZN9rocsolver6v33100L18getri_kernel_smallILi33EdPdEEvT1_iilPiilS4_bb.uses_vcc, 1
	.set _ZN9rocsolver6v33100L18getri_kernel_smallILi33EdPdEEvT1_iilPiilS4_bb.uses_flat_scratch, 0
	.set _ZN9rocsolver6v33100L18getri_kernel_smallILi33EdPdEEvT1_iilPiilS4_bb.has_dyn_sized_stack, 0
	.set _ZN9rocsolver6v33100L18getri_kernel_smallILi33EdPdEEvT1_iilPiilS4_bb.has_recursion, 0
	.set _ZN9rocsolver6v33100L18getri_kernel_smallILi33EdPdEEvT1_iilPiilS4_bb.has_indirect_call, 0
	.section	.AMDGPU.csdata,"",@progbits
; Kernel info:
; codeLenInByte = 35792
; TotalNumSgprs: 25
; NumVgprs: 114
; ScratchSize: 272
; MemoryBound: 0
; FloatMode: 240
; IeeeMode: 1
; LDSByteSize: 536 bytes/workgroup (compile time only)
; SGPRBlocks: 0
; VGPRBlocks: 14
; NumSGPRsForWavesPerEU: 25
; NumVGPRsForWavesPerEU: 114
; Occupancy: 8
; WaveLimiterHint : 1
; COMPUTE_PGM_RSRC2:SCRATCH_EN: 1
; COMPUTE_PGM_RSRC2:USER_SGPR: 6
; COMPUTE_PGM_RSRC2:TRAP_HANDLER: 0
; COMPUTE_PGM_RSRC2:TGID_X_EN: 1
; COMPUTE_PGM_RSRC2:TGID_Y_EN: 0
; COMPUTE_PGM_RSRC2:TGID_Z_EN: 0
; COMPUTE_PGM_RSRC2:TIDIG_COMP_CNT: 0
	.section	.text._ZN9rocsolver6v33100L18getri_kernel_smallILi34EdPdEEvT1_iilPiilS4_bb,"axG",@progbits,_ZN9rocsolver6v33100L18getri_kernel_smallILi34EdPdEEvT1_iilPiilS4_bb,comdat
	.globl	_ZN9rocsolver6v33100L18getri_kernel_smallILi34EdPdEEvT1_iilPiilS4_bb ; -- Begin function _ZN9rocsolver6v33100L18getri_kernel_smallILi34EdPdEEvT1_iilPiilS4_bb
	.p2align	8
	.type	_ZN9rocsolver6v33100L18getri_kernel_smallILi34EdPdEEvT1_iilPiilS4_bb,@function
_ZN9rocsolver6v33100L18getri_kernel_smallILi34EdPdEEvT1_iilPiilS4_bb: ; @_ZN9rocsolver6v33100L18getri_kernel_smallILi34EdPdEEvT1_iilPiilS4_bb
; %bb.0:
	s_add_u32 s0, s0, s7
	s_addc_u32 s1, s1, 0
	s_mov_b32 s7, exec_lo
	v_cmpx_gt_u32_e32 34, v0
	s_cbranch_execz .LBB33_146
; %bb.1:
	s_clause 0x2
	s_load_dword s7, s[4:5], 0x38
	s_load_dwordx4 s[16:19], s[4:5], 0x10
	s_load_dwordx4 s[8:11], s[4:5], 0x28
                                        ; implicit-def: $sgpr20_sgpr21
	s_waitcnt lgkmcnt(0)
	s_bitcmp1_b32 s7, 8
	s_cselect_b32 s22, -1, 0
	s_bfe_u32 s12, s7, 0x10008
	s_ashr_i32 s7, s6, 31
	s_cmp_eq_u32 s12, 0
	s_cbranch_scc1 .LBB33_3
; %bb.2:
	s_load_dword s12, s[4:5], 0x20
	s_mul_i32 s13, s8, s7
	s_mul_hi_u32 s14, s8, s6
	s_mul_i32 s9, s9, s6
	s_add_i32 s13, s14, s13
	s_mul_i32 s8, s8, s6
	s_add_i32 s9, s13, s9
	s_lshl_b64 s[8:9], s[8:9], 2
	s_waitcnt lgkmcnt(0)
	s_ashr_i32 s13, s12, 31
	s_add_u32 s14, s18, s8
	s_addc_u32 s15, s19, s9
	s_lshl_b64 s[8:9], s[12:13], 2
	s_add_u32 s20, s14, s8
	s_addc_u32 s21, s15, s9
.LBB33_3:
	s_clause 0x1
	s_load_dwordx4 s[12:15], s[4:5], 0x0
	s_load_dword s8, s[4:5], 0x38
	s_mul_i32 s4, s16, s7
	s_mul_hi_u32 s5, s16, s6
	s_mul_i32 s9, s17, s6
	s_add_i32 s5, s5, s4
	s_mul_i32 s4, s16, s6
	s_add_i32 s5, s5, s9
	v_lshlrev_b32_e32 v71, 3, v0
	s_lshl_b64 s[4:5], s[4:5], 3
	s_waitcnt lgkmcnt(0)
	v_add3_u32 v1, s15, s15, v0
	s_ashr_i32 s17, s14, 31
	s_mov_b32 s16, s14
	s_add_u32 s9, s12, s4
	s_addc_u32 s12, s13, s5
	v_add_nc_u32_e32 v3, s15, v1
	v_ashrrev_i32_e32 v2, 31, v1
	s_lshl_b64 s[4:5], s[16:17], 3
	s_add_u32 s4, s9, s4
	v_add_nc_u32_e32 v5, s15, v3
	v_ashrrev_i32_e32 v4, 31, v3
	v_lshlrev_b64 v[1:2], 3, v[1:2]
	s_addc_u32 s5, s12, s5
	v_add_co_u32 v67, s9, s4, v71
	v_add_nc_u32_e32 v9, s15, v5
	v_ashrrev_i32_e32 v6, 31, v5
	v_lshlrev_b64 v[3:4], 3, v[3:4]
	v_add_co_u32 v7, vcc_lo, s4, v1
	v_add_nc_u32_e32 v11, s15, v9
	v_ashrrev_i32_e32 v10, 31, v9
	v_lshlrev_b64 v[5:6], 3, v[5:6]
	v_add_co_ci_u32_e64 v8, null, s5, v2, vcc_lo
	v_add_nc_u32_e32 v13, s15, v11
	v_ashrrev_i32_e32 v12, 31, v11
	v_lshlrev_b64 v[9:10], 3, v[9:10]
	v_add_co_u32 v1, vcc_lo, s4, v3
	v_add_nc_u32_e32 v15, s15, v13
	v_ashrrev_i32_e32 v14, 31, v13
	v_lshlrev_b64 v[11:12], 3, v[11:12]
	v_add_co_ci_u32_e64 v2, null, s5, v4, vcc_lo
	v_add_nc_u32_e32 v17, s15, v15
	v_ashrrev_i32_e32 v16, 31, v15
	v_add_co_u32 v3, vcc_lo, s4, v5
	v_lshlrev_b64 v[13:14], 3, v[13:14]
	v_add_nc_u32_e32 v19, s15, v17
	v_ashrrev_i32_e32 v18, 31, v17
	v_add_co_ci_u32_e64 v4, null, s5, v6, vcc_lo
	v_add_co_u32 v5, vcc_lo, s4, v9
	v_add_nc_u32_e32 v21, s15, v19
	v_lshlrev_b64 v[15:16], 3, v[15:16]
	v_ashrrev_i32_e32 v20, 31, v19
	v_add_co_ci_u32_e64 v6, null, s5, v10, vcc_lo
	v_add_nc_u32_e32 v23, s15, v21
	v_add_co_u32 v9, vcc_lo, s4, v11
	v_lshlrev_b64 v[17:18], 3, v[17:18]
	v_ashrrev_i32_e32 v22, 31, v21
	v_add_nc_u32_e32 v25, s15, v23
	v_add_co_ci_u32_e64 v10, null, s5, v12, vcc_lo
	v_add_co_u32 v11, vcc_lo, s4, v13
	v_add_nc_u32_e32 v27, s15, v25
	v_ashrrev_i32_e32 v24, 31, v23
	v_add_co_ci_u32_e64 v12, null, s5, v14, vcc_lo
	v_add_co_u32 v13, vcc_lo, s4, v15
	v_lshlrev_b64 v[19:20], 3, v[19:20]
	s_mov_b32 s12, s15
	s_ashr_i32 s13, s15, 31
	v_add_co_ci_u32_e64 v68, null, s5, 0, s9
	v_ashrrev_i32_e32 v26, 31, v25
	v_add_co_ci_u32_e64 v14, null, s5, v16, vcc_lo
	v_add_co_u32 v15, vcc_lo, s4, v17
	s_lshl_b64 s[12:13], s[12:13], 3
	v_lshlrev_b64 v[21:22], 3, v[21:22]
	v_ashrrev_i32_e32 v28, 31, v27
	v_add_co_ci_u32_e64 v16, null, s5, v18, vcc_lo
	v_add_co_u32 v29, vcc_lo, v67, s12
	v_lshlrev_b64 v[23:24], 3, v[23:24]
	v_add_co_ci_u32_e64 v30, null, s13, v68, vcc_lo
	v_add_co_u32 v17, vcc_lo, s4, v19
	v_lshlrev_b64 v[25:26], 3, v[25:26]
	;; [unrolled: 3-line block ×3, first 2 shown]
	v_add_co_ci_u32_e64 v20, null, s5, v22, vcc_lo
	v_add_co_u32 v21, vcc_lo, s4, v23
	v_add_co_ci_u32_e64 v22, null, s5, v24, vcc_lo
	v_add_co_u32 v23, vcc_lo, s4, v25
	;; [unrolled: 2-line block ×3, first 2 shown]
	s_clause 0x5
	global_load_dwordx2 v[69:70], v71, s[4:5]
	global_load_dwordx2 v[72:73], v[29:30], off
	global_load_dwordx2 v[74:75], v[7:8], off
	;; [unrolled: 1-line block ×5, first 2 shown]
	v_add_co_ci_u32_e64 v26, null, s5, v32, vcc_lo
	s_clause 0x8
	global_load_dwordx2 v[82:83], v[9:10], off
	global_load_dwordx2 v[84:85], v[11:12], off
	;; [unrolled: 1-line block ×9, first 2 shown]
	v_add_nc_u32_e32 v27, s15, v27
	s_bitcmp0_b32 s8, 0
	v_add_nc_u32_e32 v31, s15, v27
	v_ashrrev_i32_e32 v28, 31, v27
	v_add_nc_u32_e32 v33, s15, v31
	v_ashrrev_i32_e32 v32, 31, v31
	v_lshlrev_b64 v[27:28], 3, v[27:28]
	v_add_nc_u32_e32 v35, s15, v33
	v_ashrrev_i32_e32 v34, 31, v33
	v_lshlrev_b64 v[31:32], 3, v[31:32]
	v_add_co_u32 v27, vcc_lo, s4, v27
	v_add_nc_u32_e32 v37, s15, v35
	v_ashrrev_i32_e32 v36, 31, v35
	v_lshlrev_b64 v[33:34], 3, v[33:34]
	v_add_co_ci_u32_e64 v28, null, s5, v28, vcc_lo
	v_add_nc_u32_e32 v39, s15, v37
	v_ashrrev_i32_e32 v38, 31, v37
	v_lshlrev_b64 v[35:36], 3, v[35:36]
	v_add_co_u32 v31, vcc_lo, s4, v31
	v_add_nc_u32_e32 v41, s15, v39
	v_ashrrev_i32_e32 v40, 31, v39
	v_lshlrev_b64 v[37:38], 3, v[37:38]
	v_add_co_ci_u32_e64 v32, null, s5, v32, vcc_lo
	v_add_nc_u32_e32 v43, s15, v41
	v_ashrrev_i32_e32 v42, 31, v41
	v_add_co_u32 v33, vcc_lo, s4, v33
	v_lshlrev_b64 v[39:40], 3, v[39:40]
	v_add_nc_u32_e32 v45, s15, v43
	v_ashrrev_i32_e32 v44, 31, v43
	v_add_co_ci_u32_e64 v34, null, s5, v34, vcc_lo
	v_add_co_u32 v35, vcc_lo, s4, v35
	v_add_nc_u32_e32 v47, s15, v45
	v_ashrrev_i32_e32 v46, 31, v45
	v_lshlrev_b64 v[41:42], 3, v[41:42]
	v_add_co_ci_u32_e64 v36, null, s5, v36, vcc_lo
	v_add_nc_u32_e32 v49, s15, v47
	v_ashrrev_i32_e32 v48, 31, v47
	v_add_co_u32 v37, vcc_lo, s4, v37
	v_lshlrev_b64 v[43:44], 3, v[43:44]
	v_add_nc_u32_e32 v51, s15, v49
	v_ashrrev_i32_e32 v50, 31, v49
	v_add_co_ci_u32_e64 v38, null, s5, v38, vcc_lo
	v_add_co_u32 v39, vcc_lo, s4, v39
	v_add_nc_u32_e32 v53, s15, v51
	v_lshlrev_b64 v[45:46], 3, v[45:46]
	v_ashrrev_i32_e32 v52, 31, v51
	v_add_co_ci_u32_e64 v40, null, s5, v40, vcc_lo
	v_add_nc_u32_e32 v55, s15, v53
	v_add_co_u32 v41, vcc_lo, s4, v41
	v_lshlrev_b64 v[47:48], 3, v[47:48]
	v_ashrrev_i32_e32 v54, 31, v53
	v_add_nc_u32_e32 v57, s15, v55
	v_add_co_ci_u32_e64 v42, null, s5, v42, vcc_lo
	v_add_co_u32 v43, vcc_lo, s4, v43
	v_add_nc_u32_e32 v59, s15, v57
	v_lshlrev_b64 v[49:50], 3, v[49:50]
	v_ashrrev_i32_e32 v56, 31, v55
	v_add_co_ci_u32_e64 v44, null, s5, v44, vcc_lo
	v_add_nc_u32_e32 v61, s15, v59
	v_add_co_u32 v45, vcc_lo, s4, v45
	v_lshlrev_b64 v[51:52], 3, v[51:52]
	v_ashrrev_i32_e32 v58, 31, v57
	v_add_nc_u32_e32 v63, s15, v61
	v_add_co_ci_u32_e64 v46, null, s5, v46, vcc_lo
	v_add_co_u32 v47, vcc_lo, s4, v47
	v_lshlrev_b64 v[53:54], 3, v[53:54]
	v_ashrrev_i32_e32 v60, 31, v59
	v_add_co_ci_u32_e64 v48, null, s5, v48, vcc_lo
	v_add_co_u32 v49, vcc_lo, s4, v49
	v_lshlrev_b64 v[55:56], 3, v[55:56]
	v_add_nc_u32_e32 v65, s15, v63
	v_ashrrev_i32_e32 v62, 31, v61
	v_add_co_ci_u32_e64 v50, null, s5, v50, vcc_lo
	v_add_co_u32 v51, vcc_lo, s4, v51
	v_lshlrev_b64 v[57:58], 3, v[57:58]
	v_ashrrev_i32_e32 v64, 31, v63
	v_add_co_ci_u32_e64 v52, null, s5, v52, vcc_lo
	v_add_co_u32 v53, vcc_lo, s4, v53
	v_lshlrev_b64 v[59:60], 3, v[59:60]
	;; [unrolled: 4-line block ×3, first 2 shown]
	v_add_co_ci_u32_e64 v56, null, s5, v56, vcc_lo
	v_add_co_u32 v57, vcc_lo, s4, v57
	v_lshlrev_b64 v[63:64], 3, v[63:64]
	v_add_co_ci_u32_e64 v58, null, s5, v58, vcc_lo
	v_add_co_u32 v59, vcc_lo, s4, v59
	v_lshlrev_b64 v[104:105], 3, v[65:66]
	v_add_co_ci_u32_e64 v60, null, s5, v60, vcc_lo
	v_add_co_u32 v61, vcc_lo, s4, v61
	v_add_co_ci_u32_e64 v62, null, s5, v62, vcc_lo
	v_add_co_u32 v65, vcc_lo, s4, v63
	;; [unrolled: 2-line block ×3, first 2 shown]
	s_clause 0x1
	global_load_dwordx2 v[100:101], v[27:28], off
	global_load_dwordx2 v[102:103], v[31:32], off
	v_add_co_ci_u32_e64 v64, null, s5, v105, vcc_lo
	s_mov_b32 s5, -1
	s_waitcnt vmcnt(16)
	buffer_store_dword v70, off, s[0:3], 0 offset:4
	buffer_store_dword v69, off, s[0:3], 0
	s_waitcnt vmcnt(15)
	buffer_store_dword v73, off, s[0:3], 0 offset:12
	buffer_store_dword v72, off, s[0:3], 0 offset:8
	s_clause 0x3
	global_load_dwordx2 v[69:70], v[33:34], off
	global_load_dwordx2 v[72:73], v[35:36], off
	;; [unrolled: 1-line block ×4, first 2 shown]
	s_waitcnt vmcnt(18)
	buffer_store_dword v75, off, s[0:3], 0 offset:20
	buffer_store_dword v74, off, s[0:3], 0 offset:16
	s_waitcnt vmcnt(17)
	buffer_store_dword v77, off, s[0:3], 0 offset:28
	buffer_store_dword v76, off, s[0:3], 0 offset:24
	;; [unrolled: 3-line block ×4, first 2 shown]
	s_clause 0x3
	global_load_dwordx2 v[74:75], v[41:42], off
	global_load_dwordx2 v[76:77], v[43:44], off
	;; [unrolled: 1-line block ×4, first 2 shown]
	s_waitcnt vmcnt(18)
	buffer_store_dword v83, off, s[0:3], 0 offset:52
	buffer_store_dword v82, off, s[0:3], 0 offset:48
	s_waitcnt vmcnt(17)
	buffer_store_dword v85, off, s[0:3], 0 offset:60
	buffer_store_dword v84, off, s[0:3], 0 offset:56
	;; [unrolled: 3-line block ×4, first 2 shown]
	s_clause 0x3
	global_load_dwordx2 v[82:83], v[49:50], off
	global_load_dwordx2 v[84:85], v[51:52], off
	;; [unrolled: 1-line block ×4, first 2 shown]
	s_waitcnt vmcnt(18)
	buffer_store_dword v90, off, s[0:3], 0 offset:80
	buffer_store_dword v91, off, s[0:3], 0 offset:84
	s_waitcnt vmcnt(17)
	buffer_store_dword v92, off, s[0:3], 0 offset:88
	buffer_store_dword v93, off, s[0:3], 0 offset:92
	s_clause 0x1
	global_load_dwordx2 v[90:91], v[57:58], off
	global_load_dwordx2 v[92:93], v[59:60], off
	s_waitcnt vmcnt(18)
	buffer_store_dword v94, off, s[0:3], 0 offset:96
	buffer_store_dword v95, off, s[0:3], 0 offset:100
	s_waitcnt vmcnt(17)
	buffer_store_dword v96, off, s[0:3], 0 offset:104
	buffer_store_dword v97, off, s[0:3], 0 offset:108
	s_clause 0x1
	global_load_dwordx2 v[94:95], v[61:62], off
	global_load_dwordx2 v[96:97], v[65:66], off
	s_waitcnt vmcnt(18)
	buffer_store_dword v99, off, s[0:3], 0 offset:116
	buffer_store_dword v98, off, s[0:3], 0 offset:112
	global_load_dwordx2 v[98:99], v[63:64], off
	s_waitcnt vmcnt(18)
	buffer_store_dword v100, off, s[0:3], 0 offset:120
	buffer_store_dword v101, off, s[0:3], 0 offset:124
	s_waitcnt vmcnt(17)
	buffer_store_dword v102, off, s[0:3], 0 offset:128
	buffer_store_dword v103, off, s[0:3], 0 offset:132
	;; [unrolled: 3-line block ×19, first 2 shown]
	s_cbranch_scc1 .LBB33_144
; %bb.4:
	v_cmp_eq_u32_e64 s4, 0, v0
	s_and_saveexec_b32 s5, s4
; %bb.5:
	v_mov_b32_e32 v69, 0
	ds_write_b32 v69, v69 offset:544
; %bb.6:
	s_or_b32 exec_lo, exec_lo, s5
	v_lshl_add_u32 v69, v0, 3, 0
	s_waitcnt lgkmcnt(0)
	s_waitcnt_vscnt null, 0x0
	s_barrier
	buffer_gl0_inv
	s_mov_b32 s8, exec_lo
	s_clause 0x1
	buffer_load_dword v72, v69, s[0:3], 0 offen
	buffer_load_dword v73, v69, s[0:3], 0 offen offset:4
	s_waitcnt vmcnt(0)
	v_cmpx_eq_f64_e32 0, v[72:73]
	s_cbranch_execz .LBB33_10
; %bb.7:
	v_mov_b32_e32 v70, 0
	s_mov_b32 s9, 0
	ds_read_b32 v72, v70 offset:544
	s_waitcnt lgkmcnt(0)
	v_readfirstlane_b32 s5, v72
	v_add_nc_u32_e32 v72, 1, v0
	s_cmp_eq_u32 s5, 0
	v_cmp_gt_i32_e32 vcc_lo, s5, v72
	s_cselect_b32 s12, -1, 0
	s_or_b32 s12, s12, vcc_lo
	s_and_b32 exec_lo, exec_lo, s12
	s_cbranch_execz .LBB33_10
; %bb.8:
	v_mov_b32_e32 v73, s5
.LBB33_9:                               ; =>This Inner Loop Header: Depth=1
	ds_cmpst_rtn_b32 v73, v70, v73, v72 offset:544
	s_waitcnt lgkmcnt(0)
	v_cmp_ne_u32_e32 vcc_lo, 0, v73
	v_cmp_le_i32_e64 s5, v73, v72
	s_and_b32 s5, vcc_lo, s5
	s_and_b32 s5, exec_lo, s5
	s_or_b32 s9, s5, s9
	s_andn2_b32 exec_lo, exec_lo, s9
	s_cbranch_execnz .LBB33_9
.LBB33_10:
	s_or_b32 exec_lo, exec_lo, s8
	v_mov_b32_e32 v70, 0
	s_barrier
	buffer_gl0_inv
	ds_read_b32 v72, v70 offset:544
	s_and_saveexec_b32 s5, s4
	s_cbranch_execz .LBB33_12
; %bb.11:
	s_lshl_b64 s[8:9], s[6:7], 2
	s_add_u32 s8, s10, s8
	s_addc_u32 s9, s11, s9
	s_waitcnt lgkmcnt(0)
	global_store_dword v70, v72, s[8:9]
.LBB33_12:
	s_or_b32 exec_lo, exec_lo, s5
	s_waitcnt lgkmcnt(0)
	v_cmp_ne_u32_e32 vcc_lo, 0, v72
	s_mov_b32 s5, 0
	s_cbranch_vccnz .LBB33_144
; %bb.13:
	s_clause 0x1
	buffer_load_dword v72, v69, s[0:3], 0 offen
	buffer_load_dword v73, v69, s[0:3], 0 offen offset:4
	s_waitcnt vmcnt(0)
	v_div_scale_f64 v[74:75], null, v[72:73], v[72:73], 1.0
	v_div_scale_f64 v[80:81], vcc_lo, 1.0, v[72:73], 1.0
	v_rcp_f64_e32 v[76:77], v[74:75]
	v_fma_f64 v[78:79], -v[74:75], v[76:77], 1.0
	v_fma_f64 v[76:77], v[76:77], v[78:79], v[76:77]
	v_fma_f64 v[78:79], -v[74:75], v[76:77], 1.0
	v_fma_f64 v[76:77], v[76:77], v[78:79], v[76:77]
	v_mul_f64 v[78:79], v[80:81], v[76:77]
	v_fma_f64 v[74:75], -v[74:75], v[78:79], v[80:81]
	v_div_fmas_f64 v[74:75], v[74:75], v[76:77], v[78:79]
	v_div_fixup_f64 v[73:74], v[74:75], v[72:73], 1.0
	v_add_nc_u32_e32 v72, 0x110, v71
	buffer_store_dword v74, v69, s[0:3], 0 offen offset:4
	buffer_store_dword v73, v69, s[0:3], 0 offen
	s_clause 0x1
	buffer_load_dword v76, off, s[0:3], 0 offset:12
	buffer_load_dword v75, off, s[0:3], 0 offset:8
	v_xor_b32_e32 v74, 0x80000000, v74
	s_waitcnt vmcnt(0)
	ds_write2_b64 v71, v[73:74], v[75:76] offset1:34
	s_waitcnt lgkmcnt(0)
	s_waitcnt_vscnt null, 0x0
	s_barrier
	buffer_gl0_inv
	s_and_saveexec_b32 s5, s4
	s_cbranch_execz .LBB33_15
; %bb.14:
	s_clause 0x1
	buffer_load_dword v73, v69, s[0:3], 0 offen
	buffer_load_dword v74, v69, s[0:3], 0 offen offset:4
	ds_read_b64 v[75:76], v72
	v_mov_b32_e32 v70, 0
	ds_read_b64 v[77:78], v70 offset:8
	s_waitcnt vmcnt(0) lgkmcnt(1)
	v_fma_f64 v[73:74], v[73:74], v[75:76], 0
	s_waitcnt lgkmcnt(0)
	v_mul_f64 v[73:74], v[73:74], v[77:78]
	buffer_store_dword v73, off, s[0:3], 0 offset:8
	buffer_store_dword v74, off, s[0:3], 0 offset:12
.LBB33_15:
	s_or_b32 exec_lo, exec_lo, s5
	s_waitcnt_vscnt null, 0x0
	s_barrier
	buffer_gl0_inv
	s_clause 0x1
	buffer_load_dword v73, off, s[0:3], 0 offset:16
	buffer_load_dword v74, off, s[0:3], 0 offset:20
	s_mov_b32 s5, exec_lo
	s_waitcnt vmcnt(0)
	ds_write_b64 v72, v[73:74]
	s_waitcnt lgkmcnt(0)
	s_barrier
	buffer_gl0_inv
	v_cmpx_gt_u32_e32 2, v0
	s_cbranch_execz .LBB33_19
; %bb.16:
	s_clause 0x1
	buffer_load_dword v73, v69, s[0:3], 0 offen
	buffer_load_dword v74, v69, s[0:3], 0 offen offset:4
	ds_read_b64 v[69:70], v72
	s_waitcnt vmcnt(0) lgkmcnt(0)
	v_fma_f64 v[69:70], v[73:74], v[69:70], 0
	s_and_saveexec_b32 s8, s4
	s_cbranch_execz .LBB33_18
; %bb.17:
	s_clause 0x1
	buffer_load_dword v73, off, s[0:3], 0 offset:8
	buffer_load_dword v74, off, s[0:3], 0 offset:12
	v_mov_b32_e32 v75, 0
	ds_read_b64 v[75:76], v75 offset:280
	s_waitcnt vmcnt(0) lgkmcnt(0)
	v_fma_f64 v[69:70], v[73:74], v[75:76], v[69:70]
.LBB33_18:
	s_or_b32 exec_lo, exec_lo, s8
	v_mov_b32_e32 v73, 0
	ds_read_b64 v[73:74], v73 offset:16
	s_waitcnt lgkmcnt(0)
	v_mul_f64 v[69:70], v[69:70], v[73:74]
	buffer_store_dword v70, off, s[0:3], 0 offset:20
	buffer_store_dword v69, off, s[0:3], 0 offset:16
.LBB33_19:
	s_or_b32 exec_lo, exec_lo, s5
	s_waitcnt_vscnt null, 0x0
	s_barrier
	buffer_gl0_inv
	s_clause 0x1
	buffer_load_dword v69, off, s[0:3], 0 offset:24
	buffer_load_dword v70, off, s[0:3], 0 offset:28
	v_add_nc_u32_e32 v73, -1, v0
	s_mov_b32 s4, exec_lo
	s_waitcnt vmcnt(0)
	ds_write_b64 v72, v[69:70]
	s_waitcnt lgkmcnt(0)
	s_barrier
	buffer_gl0_inv
	v_cmpx_gt_u32_e32 3, v0
	s_cbranch_execz .LBB33_23
; %bb.20:
	v_mov_b32_e32 v69, 0
	v_add_nc_u32_e32 v74, -1, v0
	v_add_nc_u32_e32 v75, 0x110, v71
	v_mov_b32_e32 v70, 0
	v_mov_b32_e32 v76, v71
	s_mov_b32 s5, 0
.LBB33_21:                              ; =>This Inner Loop Header: Depth=1
	s_clause 0x1
	buffer_load_dword v77, v76, s[0:3], 0 offen
	buffer_load_dword v78, v76, s[0:3], 0 offen offset:4
	ds_read_b64 v[79:80], v75
	v_add_nc_u32_e32 v74, 1, v74
	v_add_nc_u32_e32 v75, 8, v75
	v_add_nc_u32_e32 v76, 8, v76
	v_cmp_lt_u32_e32 vcc_lo, 1, v74
	s_or_b32 s5, vcc_lo, s5
	s_waitcnt vmcnt(0) lgkmcnt(0)
	v_fma_f64 v[69:70], v[77:78], v[79:80], v[69:70]
	s_andn2_b32 exec_lo, exec_lo, s5
	s_cbranch_execnz .LBB33_21
; %bb.22:
	s_or_b32 exec_lo, exec_lo, s5
	v_mov_b32_e32 v74, 0
	ds_read_b64 v[74:75], v74 offset:24
	s_waitcnt lgkmcnt(0)
	v_mul_f64 v[69:70], v[69:70], v[74:75]
	buffer_store_dword v70, off, s[0:3], 0 offset:28
	buffer_store_dword v69, off, s[0:3], 0 offset:24
.LBB33_23:
	s_or_b32 exec_lo, exec_lo, s4
	s_waitcnt_vscnt null, 0x0
	s_barrier
	buffer_gl0_inv
	s_clause 0x1
	buffer_load_dword v69, off, s[0:3], 0 offset:32
	buffer_load_dword v70, off, s[0:3], 0 offset:36
	s_mov_b32 s4, exec_lo
	s_waitcnt vmcnt(0)
	ds_write_b64 v72, v[69:70]
	s_waitcnt lgkmcnt(0)
	s_barrier
	buffer_gl0_inv
	v_cmpx_gt_u32_e32 4, v0
	s_cbranch_execz .LBB33_27
; %bb.24:
	v_mov_b32_e32 v69, 0
	v_add_nc_u32_e32 v74, -1, v0
	v_add_nc_u32_e32 v75, 0x110, v71
	v_mov_b32_e32 v70, 0
	v_mov_b32_e32 v76, v71
	s_mov_b32 s5, 0
.LBB33_25:                              ; =>This Inner Loop Header: Depth=1
	s_clause 0x1
	buffer_load_dword v77, v76, s[0:3], 0 offen
	buffer_load_dword v78, v76, s[0:3], 0 offen offset:4
	ds_read_b64 v[79:80], v75
	v_add_nc_u32_e32 v74, 1, v74
	v_add_nc_u32_e32 v75, 8, v75
	v_add_nc_u32_e32 v76, 8, v76
	v_cmp_lt_u32_e32 vcc_lo, 2, v74
	s_or_b32 s5, vcc_lo, s5
	s_waitcnt vmcnt(0) lgkmcnt(0)
	v_fma_f64 v[69:70], v[77:78], v[79:80], v[69:70]
	s_andn2_b32 exec_lo, exec_lo, s5
	s_cbranch_execnz .LBB33_25
; %bb.26:
	s_or_b32 exec_lo, exec_lo, s5
	v_mov_b32_e32 v74, 0
	ds_read_b64 v[74:75], v74 offset:32
	s_waitcnt lgkmcnt(0)
	v_mul_f64 v[69:70], v[69:70], v[74:75]
	buffer_store_dword v70, off, s[0:3], 0 offset:36
	buffer_store_dword v69, off, s[0:3], 0 offset:32
.LBB33_27:
	s_or_b32 exec_lo, exec_lo, s4
	s_waitcnt_vscnt null, 0x0
	s_barrier
	buffer_gl0_inv
	s_clause 0x1
	buffer_load_dword v69, off, s[0:3], 0 offset:40
	buffer_load_dword v70, off, s[0:3], 0 offset:44
	;; [unrolled: 45-line block ×20, first 2 shown]
	s_mov_b32 s4, exec_lo
	s_waitcnt vmcnt(0)
	ds_write_b64 v72, v[69:70]
	s_waitcnt lgkmcnt(0)
	s_barrier
	buffer_gl0_inv
	v_cmpx_gt_u32_e32 23, v0
	s_cbranch_execz .LBB33_103
; %bb.100:
	v_mov_b32_e32 v69, 0
	v_add_nc_u32_e32 v74, -1, v0
	v_add_nc_u32_e32 v75, 0x110, v71
	v_mov_b32_e32 v70, 0
	v_mov_b32_e32 v76, v71
	s_mov_b32 s5, 0
.LBB33_101:                             ; =>This Inner Loop Header: Depth=1
	s_clause 0x1
	buffer_load_dword v77, v76, s[0:3], 0 offen
	buffer_load_dword v78, v76, s[0:3], 0 offen offset:4
	ds_read_b64 v[79:80], v75
	v_add_nc_u32_e32 v74, 1, v74
	v_add_nc_u32_e32 v75, 8, v75
	v_add_nc_u32_e32 v76, 8, v76
	v_cmp_lt_u32_e32 vcc_lo, 21, v74
	s_or_b32 s5, vcc_lo, s5
	s_waitcnt vmcnt(0) lgkmcnt(0)
	v_fma_f64 v[69:70], v[77:78], v[79:80], v[69:70]
	s_andn2_b32 exec_lo, exec_lo, s5
	s_cbranch_execnz .LBB33_101
; %bb.102:
	s_or_b32 exec_lo, exec_lo, s5
	v_mov_b32_e32 v74, 0
	ds_read_b64 v[74:75], v74 offset:184
	s_waitcnt lgkmcnt(0)
	v_mul_f64 v[69:70], v[69:70], v[74:75]
	buffer_store_dword v70, off, s[0:3], 0 offset:188
	buffer_store_dword v69, off, s[0:3], 0 offset:184
.LBB33_103:
	s_or_b32 exec_lo, exec_lo, s4
	s_waitcnt_vscnt null, 0x0
	s_barrier
	buffer_gl0_inv
	s_clause 0x1
	buffer_load_dword v69, off, s[0:3], 0 offset:192
	buffer_load_dword v70, off, s[0:3], 0 offset:196
	s_mov_b32 s4, exec_lo
	s_waitcnt vmcnt(0)
	ds_write_b64 v72, v[69:70]
	s_waitcnt lgkmcnt(0)
	s_barrier
	buffer_gl0_inv
	v_cmpx_gt_u32_e32 24, v0
	s_cbranch_execz .LBB33_107
; %bb.104:
	v_mov_b32_e32 v69, 0
	v_add_nc_u32_e32 v74, -1, v0
	v_add_nc_u32_e32 v75, 0x110, v71
	v_mov_b32_e32 v70, 0
	v_mov_b32_e32 v76, v71
	s_mov_b32 s5, 0
.LBB33_105:                             ; =>This Inner Loop Header: Depth=1
	s_clause 0x1
	buffer_load_dword v77, v76, s[0:3], 0 offen
	buffer_load_dword v78, v76, s[0:3], 0 offen offset:4
	ds_read_b64 v[79:80], v75
	v_add_nc_u32_e32 v74, 1, v74
	v_add_nc_u32_e32 v75, 8, v75
	v_add_nc_u32_e32 v76, 8, v76
	v_cmp_lt_u32_e32 vcc_lo, 22, v74
	s_or_b32 s5, vcc_lo, s5
	s_waitcnt vmcnt(0) lgkmcnt(0)
	v_fma_f64 v[69:70], v[77:78], v[79:80], v[69:70]
	s_andn2_b32 exec_lo, exec_lo, s5
	s_cbranch_execnz .LBB33_105
; %bb.106:
	s_or_b32 exec_lo, exec_lo, s5
	v_mov_b32_e32 v74, 0
	ds_read_b64 v[74:75], v74 offset:192
	s_waitcnt lgkmcnt(0)
	v_mul_f64 v[69:70], v[69:70], v[74:75]
	buffer_store_dword v70, off, s[0:3], 0 offset:196
	buffer_store_dword v69, off, s[0:3], 0 offset:192
.LBB33_107:
	s_or_b32 exec_lo, exec_lo, s4
	s_waitcnt_vscnt null, 0x0
	s_barrier
	buffer_gl0_inv
	s_clause 0x1
	buffer_load_dword v69, off, s[0:3], 0 offset:200
	buffer_load_dword v70, off, s[0:3], 0 offset:204
	;; [unrolled: 45-line block ×10, first 2 shown]
	s_mov_b32 s4, exec_lo
	s_waitcnt vmcnt(0)
	ds_write_b64 v72, v[69:70]
	s_waitcnt lgkmcnt(0)
	s_barrier
	buffer_gl0_inv
	v_cmpx_ne_u32_e32 33, v0
	s_cbranch_execz .LBB33_143
; %bb.140:
	v_mov_b32_e32 v69, 0
	v_mov_b32_e32 v70, 0
	s_mov_b32 s5, 0
.LBB33_141:                             ; =>This Inner Loop Header: Depth=1
	s_clause 0x1
	buffer_load_dword v74, v71, s[0:3], 0 offen
	buffer_load_dword v75, v71, s[0:3], 0 offen offset:4
	ds_read_b64 v[76:77], v72
	v_add_nc_u32_e32 v73, 1, v73
	v_add_nc_u32_e32 v72, 8, v72
	v_add_nc_u32_e32 v71, 8, v71
	v_cmp_lt_u32_e32 vcc_lo, 31, v73
	s_or_b32 s5, vcc_lo, s5
	s_waitcnt vmcnt(0) lgkmcnt(0)
	v_fma_f64 v[69:70], v[74:75], v[76:77], v[69:70]
	s_andn2_b32 exec_lo, exec_lo, s5
	s_cbranch_execnz .LBB33_141
; %bb.142:
	s_or_b32 exec_lo, exec_lo, s5
	v_mov_b32_e32 v71, 0
	ds_read_b64 v[71:72], v71 offset:264
	s_waitcnt lgkmcnt(0)
	v_mul_f64 v[69:70], v[69:70], v[71:72]
	buffer_store_dword v70, off, s[0:3], 0 offset:268
	buffer_store_dword v69, off, s[0:3], 0 offset:264
.LBB33_143:
	s_or_b32 exec_lo, exec_lo, s4
	s_mov_b32 s5, -1
	s_waitcnt_vscnt null, 0x0
	s_barrier
	buffer_gl0_inv
.LBB33_144:
	s_and_b32 vcc_lo, exec_lo, s5
	s_cbranch_vccz .LBB33_146
; %bb.145:
	s_lshl_b64 s[4:5], s[6:7], 2
	v_mov_b32_e32 v69, 0
	s_add_u32 s4, s10, s4
	s_addc_u32 s5, s11, s5
	global_load_dword v69, v69, s[4:5]
	s_waitcnt vmcnt(0)
	v_cmp_ne_u32_e32 vcc_lo, 0, v69
	s_cbranch_vccz .LBB33_147
.LBB33_146:
	s_endpgm
.LBB33_147:
	v_lshl_add_u32 v69, v0, 3, 0x110
	s_mov_b32 s4, exec_lo
	v_cmpx_eq_u32_e32 33, v0
	s_cbranch_execz .LBB33_149
; %bb.148:
	s_clause 0x1
	buffer_load_dword v70, off, s[0:3], 0 offset:256
	buffer_load_dword v71, off, s[0:3], 0 offset:260
	v_mov_b32_e32 v72, 0
	buffer_store_dword v72, off, s[0:3], 0 offset:256
	buffer_store_dword v72, off, s[0:3], 0 offset:260
	s_waitcnt vmcnt(0)
	ds_write_b64 v69, v[70:71]
.LBB33_149:
	s_or_b32 exec_lo, exec_lo, s4
	s_waitcnt lgkmcnt(0)
	s_waitcnt_vscnt null, 0x0
	s_barrier
	buffer_gl0_inv
	s_clause 0x3
	buffer_load_dword v71, off, s[0:3], 0 offset:264
	buffer_load_dword v72, off, s[0:3], 0 offset:268
	;; [unrolled: 1-line block ×4, first 2 shown]
	v_mov_b32_e32 v70, 0
	s_mov_b32 s4, exec_lo
	ds_read_b64 v[75:76], v70 offset:536
	s_waitcnt vmcnt(2) lgkmcnt(0)
	v_fma_f64 v[71:72], v[71:72], v[75:76], 0
	s_waitcnt vmcnt(0)
	v_add_f64 v[71:72], v[73:74], -v[71:72]
	buffer_store_dword v71, off, s[0:3], 0 offset:256
	buffer_store_dword v72, off, s[0:3], 0 offset:260
	v_cmpx_lt_u32_e32 31, v0
	s_cbranch_execz .LBB33_151
; %bb.150:
	s_clause 0x1
	buffer_load_dword v71, off, s[0:3], 0 offset:248
	buffer_load_dword v72, off, s[0:3], 0 offset:252
	buffer_store_dword v70, off, s[0:3], 0 offset:248
	buffer_store_dword v70, off, s[0:3], 0 offset:252
	s_waitcnt vmcnt(0)
	ds_write_b64 v69, v[71:72]
.LBB33_151:
	s_or_b32 exec_lo, exec_lo, s4
	s_waitcnt lgkmcnt(0)
	s_waitcnt_vscnt null, 0x0
	s_barrier
	buffer_gl0_inv
	s_clause 0x5
	buffer_load_dword v74, off, s[0:3], 0 offset:256
	buffer_load_dword v75, off, s[0:3], 0 offset:260
	buffer_load_dword v76, off, s[0:3], 0 offset:264
	buffer_load_dword v77, off, s[0:3], 0 offset:268
	buffer_load_dword v78, off, s[0:3], 0 offset:248
	buffer_load_dword v79, off, s[0:3], 0 offset:252
	ds_read_b128 v[70:73], v70 offset:528
	s_mov_b32 s4, exec_lo
	s_waitcnt vmcnt(4) lgkmcnt(0)
	v_fma_f64 v[70:71], v[74:75], v[70:71], 0
	s_waitcnt vmcnt(2)
	v_fma_f64 v[70:71], v[76:77], v[72:73], v[70:71]
	s_waitcnt vmcnt(0)
	v_add_f64 v[70:71], v[78:79], -v[70:71]
	buffer_store_dword v70, off, s[0:3], 0 offset:248
	buffer_store_dword v71, off, s[0:3], 0 offset:252
	v_cmpx_lt_u32_e32 30, v0
	s_cbranch_execz .LBB33_153
; %bb.152:
	s_clause 0x1
	buffer_load_dword v70, off, s[0:3], 0 offset:240
	buffer_load_dword v71, off, s[0:3], 0 offset:244
	v_mov_b32_e32 v72, 0
	buffer_store_dword v72, off, s[0:3], 0 offset:240
	buffer_store_dword v72, off, s[0:3], 0 offset:244
	s_waitcnt vmcnt(0)
	ds_write_b64 v69, v[70:71]
.LBB33_153:
	s_or_b32 exec_lo, exec_lo, s4
	s_waitcnt lgkmcnt(0)
	s_waitcnt_vscnt null, 0x0
	s_barrier
	buffer_gl0_inv
	s_clause 0x7
	buffer_load_dword v75, off, s[0:3], 0 offset:248
	buffer_load_dword v76, off, s[0:3], 0 offset:252
	buffer_load_dword v77, off, s[0:3], 0 offset:256
	buffer_load_dword v78, off, s[0:3], 0 offset:260
	buffer_load_dword v79, off, s[0:3], 0 offset:264
	buffer_load_dword v80, off, s[0:3], 0 offset:268
	buffer_load_dword v81, off, s[0:3], 0 offset:240
	buffer_load_dword v82, off, s[0:3], 0 offset:244
	v_mov_b32_e32 v70, 0
	ds_read2_b64 v[71:74], v70 offset0:65 offset1:66
	ds_read_b64 v[83:84], v70 offset:536
	s_mov_b32 s4, exec_lo
	s_waitcnt vmcnt(6) lgkmcnt(1)
	v_fma_f64 v[71:72], v[75:76], v[71:72], 0
	s_waitcnt vmcnt(4)
	v_fma_f64 v[71:72], v[77:78], v[73:74], v[71:72]
	s_waitcnt vmcnt(2) lgkmcnt(0)
	v_fma_f64 v[71:72], v[79:80], v[83:84], v[71:72]
	s_waitcnt vmcnt(0)
	v_add_f64 v[71:72], v[81:82], -v[71:72]
	buffer_store_dword v71, off, s[0:3], 0 offset:240
	buffer_store_dword v72, off, s[0:3], 0 offset:244
	v_cmpx_lt_u32_e32 29, v0
	s_cbranch_execz .LBB33_155
; %bb.154:
	s_clause 0x1
	buffer_load_dword v71, off, s[0:3], 0 offset:232
	buffer_load_dword v72, off, s[0:3], 0 offset:236
	buffer_store_dword v70, off, s[0:3], 0 offset:232
	buffer_store_dword v70, off, s[0:3], 0 offset:236
	s_waitcnt vmcnt(0)
	ds_write_b64 v69, v[71:72]
.LBB33_155:
	s_or_b32 exec_lo, exec_lo, s4
	s_waitcnt lgkmcnt(0)
	s_waitcnt_vscnt null, 0x0
	s_barrier
	buffer_gl0_inv
	s_clause 0x9
	buffer_load_dword v79, off, s[0:3], 0 offset:240
	buffer_load_dword v80, off, s[0:3], 0 offset:244
	;; [unrolled: 1-line block ×10, first 2 shown]
	ds_read_b128 v[71:74], v70 offset:512
	ds_read_b128 v[75:78], v70 offset:528
	s_mov_b32 s4, exec_lo
	s_waitcnt vmcnt(8) lgkmcnt(1)
	v_fma_f64 v[70:71], v[79:80], v[71:72], 0
	s_waitcnt vmcnt(6)
	v_fma_f64 v[70:71], v[81:82], v[73:74], v[70:71]
	s_waitcnt vmcnt(4) lgkmcnt(0)
	v_fma_f64 v[70:71], v[83:84], v[75:76], v[70:71]
	s_waitcnt vmcnt(2)
	v_fma_f64 v[70:71], v[85:86], v[77:78], v[70:71]
	s_waitcnt vmcnt(0)
	v_add_f64 v[70:71], v[87:88], -v[70:71]
	buffer_store_dword v70, off, s[0:3], 0 offset:232
	buffer_store_dword v71, off, s[0:3], 0 offset:236
	v_cmpx_lt_u32_e32 28, v0
	s_cbranch_execz .LBB33_157
; %bb.156:
	s_clause 0x1
	buffer_load_dword v70, off, s[0:3], 0 offset:224
	buffer_load_dword v71, off, s[0:3], 0 offset:228
	v_mov_b32_e32 v72, 0
	buffer_store_dword v72, off, s[0:3], 0 offset:224
	buffer_store_dword v72, off, s[0:3], 0 offset:228
	s_waitcnt vmcnt(0)
	ds_write_b64 v69, v[70:71]
.LBB33_157:
	s_or_b32 exec_lo, exec_lo, s4
	s_waitcnt lgkmcnt(0)
	s_waitcnt_vscnt null, 0x0
	s_barrier
	buffer_gl0_inv
	s_clause 0xb
	buffer_load_dword v79, off, s[0:3], 0 offset:232
	buffer_load_dword v80, off, s[0:3], 0 offset:236
	;; [unrolled: 1-line block ×12, first 2 shown]
	v_mov_b32_e32 v70, 0
	ds_read2_b64 v[71:74], v70 offset0:63 offset1:64
	ds_read2_b64 v[75:78], v70 offset0:65 offset1:66
	s_mov_b32 s4, exec_lo
	s_waitcnt vmcnt(10) lgkmcnt(1)
	v_fma_f64 v[71:72], v[79:80], v[71:72], 0
	s_waitcnt vmcnt(8)
	v_fma_f64 v[71:72], v[81:82], v[73:74], v[71:72]
	ds_read_b64 v[73:74], v70 offset:536
	s_waitcnt vmcnt(6) lgkmcnt(1)
	v_fma_f64 v[71:72], v[83:84], v[75:76], v[71:72]
	s_waitcnt vmcnt(4)
	v_fma_f64 v[71:72], v[85:86], v[77:78], v[71:72]
	s_waitcnt vmcnt(2) lgkmcnt(0)
	v_fma_f64 v[71:72], v[87:88], v[73:74], v[71:72]
	s_waitcnt vmcnt(0)
	v_add_f64 v[71:72], v[89:90], -v[71:72]
	buffer_store_dword v71, off, s[0:3], 0 offset:224
	buffer_store_dword v72, off, s[0:3], 0 offset:228
	v_cmpx_lt_u32_e32 27, v0
	s_cbranch_execz .LBB33_159
; %bb.158:
	s_clause 0x1
	buffer_load_dword v71, off, s[0:3], 0 offset:216
	buffer_load_dword v72, off, s[0:3], 0 offset:220
	buffer_store_dword v70, off, s[0:3], 0 offset:216
	buffer_store_dword v70, off, s[0:3], 0 offset:220
	s_waitcnt vmcnt(0)
	ds_write_b64 v69, v[71:72]
.LBB33_159:
	s_or_b32 exec_lo, exec_lo, s4
	s_waitcnt lgkmcnt(0)
	s_waitcnt_vscnt null, 0x0
	s_barrier
	buffer_gl0_inv
	s_clause 0xd
	buffer_load_dword v79, off, s[0:3], 0 offset:224
	buffer_load_dword v80, off, s[0:3], 0 offset:228
	;; [unrolled: 1-line block ×14, first 2 shown]
	ds_read_b128 v[71:74], v70 offset:496
	ds_read_b128 v[75:78], v70 offset:512
	s_mov_b32 s4, exec_lo
	s_waitcnt vmcnt(12) lgkmcnt(1)
	v_fma_f64 v[71:72], v[79:80], v[71:72], 0
	s_waitcnt vmcnt(10)
	v_fma_f64 v[71:72], v[81:82], v[73:74], v[71:72]
	s_waitcnt vmcnt(8) lgkmcnt(0)
	v_fma_f64 v[71:72], v[83:84], v[75:76], v[71:72]
	s_waitcnt vmcnt(6)
	v_fma_f64 v[74:75], v[85:86], v[77:78], v[71:72]
	ds_read_b128 v[70:73], v70 offset:528
	s_waitcnt vmcnt(4) lgkmcnt(0)
	v_fma_f64 v[70:71], v[87:88], v[70:71], v[74:75]
	s_waitcnt vmcnt(2)
	v_fma_f64 v[70:71], v[89:90], v[72:73], v[70:71]
	s_waitcnt vmcnt(0)
	v_add_f64 v[70:71], v[91:92], -v[70:71]
	buffer_store_dword v70, off, s[0:3], 0 offset:216
	buffer_store_dword v71, off, s[0:3], 0 offset:220
	v_cmpx_lt_u32_e32 26, v0
	s_cbranch_execz .LBB33_161
; %bb.160:
	s_clause 0x1
	buffer_load_dword v70, off, s[0:3], 0 offset:208
	buffer_load_dword v71, off, s[0:3], 0 offset:212
	v_mov_b32_e32 v72, 0
	buffer_store_dword v72, off, s[0:3], 0 offset:208
	buffer_store_dword v72, off, s[0:3], 0 offset:212
	s_waitcnt vmcnt(0)
	ds_write_b64 v69, v[70:71]
.LBB33_161:
	s_or_b32 exec_lo, exec_lo, s4
	s_waitcnt lgkmcnt(0)
	s_waitcnt_vscnt null, 0x0
	s_barrier
	buffer_gl0_inv
	s_clause 0xf
	buffer_load_dword v79, off, s[0:3], 0 offset:216
	buffer_load_dword v80, off, s[0:3], 0 offset:220
	;; [unrolled: 1-line block ×16, first 2 shown]
	v_mov_b32_e32 v70, 0
	ds_read2_b64 v[71:74], v70 offset0:61 offset1:62
	ds_read2_b64 v[75:78], v70 offset0:63 offset1:64
	s_mov_b32 s4, exec_lo
	s_waitcnt vmcnt(14) lgkmcnt(1)
	v_fma_f64 v[71:72], v[79:80], v[71:72], 0
	s_waitcnt vmcnt(12)
	v_fma_f64 v[71:72], v[81:82], v[73:74], v[71:72]
	s_waitcnt vmcnt(10) lgkmcnt(0)
	v_fma_f64 v[71:72], v[83:84], v[75:76], v[71:72]
	s_waitcnt vmcnt(8)
	v_fma_f64 v[75:76], v[85:86], v[77:78], v[71:72]
	ds_read2_b64 v[71:74], v70 offset0:65 offset1:66
	ds_read_b64 v[77:78], v70 offset:536
	s_waitcnt vmcnt(6) lgkmcnt(1)
	v_fma_f64 v[71:72], v[87:88], v[71:72], v[75:76]
	s_waitcnt vmcnt(4)
	v_fma_f64 v[71:72], v[89:90], v[73:74], v[71:72]
	s_waitcnt vmcnt(2) lgkmcnt(0)
	v_fma_f64 v[71:72], v[91:92], v[77:78], v[71:72]
	s_waitcnt vmcnt(0)
	v_add_f64 v[71:72], v[93:94], -v[71:72]
	buffer_store_dword v71, off, s[0:3], 0 offset:208
	buffer_store_dword v72, off, s[0:3], 0 offset:212
	v_cmpx_lt_u32_e32 25, v0
	s_cbranch_execz .LBB33_163
; %bb.162:
	s_clause 0x1
	buffer_load_dword v71, off, s[0:3], 0 offset:200
	buffer_load_dword v72, off, s[0:3], 0 offset:204
	buffer_store_dword v70, off, s[0:3], 0 offset:200
	buffer_store_dword v70, off, s[0:3], 0 offset:204
	s_waitcnt vmcnt(0)
	ds_write_b64 v69, v[71:72]
.LBB33_163:
	s_or_b32 exec_lo, exec_lo, s4
	s_waitcnt lgkmcnt(0)
	s_waitcnt_vscnt null, 0x0
	s_barrier
	buffer_gl0_inv
	s_clause 0x11
	buffer_load_dword v79, off, s[0:3], 0 offset:208
	buffer_load_dword v80, off, s[0:3], 0 offset:212
	;; [unrolled: 1-line block ×18, first 2 shown]
	ds_read_b128 v[71:74], v70 offset:480
	ds_read_b128 v[75:78], v70 offset:496
	s_mov_b32 s4, exec_lo
	s_waitcnt vmcnt(16) lgkmcnt(1)
	v_fma_f64 v[71:72], v[79:80], v[71:72], 0
	s_waitcnt vmcnt(14)
	v_fma_f64 v[71:72], v[81:82], v[73:74], v[71:72]
	s_waitcnt vmcnt(12) lgkmcnt(0)
	v_fma_f64 v[71:72], v[83:84], v[75:76], v[71:72]
	s_waitcnt vmcnt(10)
	v_fma_f64 v[79:80], v[85:86], v[77:78], v[71:72]
	ds_read_b128 v[71:74], v70 offset:512
	ds_read_b128 v[75:78], v70 offset:528
	s_waitcnt vmcnt(8) lgkmcnt(1)
	v_fma_f64 v[70:71], v[87:88], v[71:72], v[79:80]
	s_waitcnt vmcnt(6)
	v_fma_f64 v[70:71], v[89:90], v[73:74], v[70:71]
	s_waitcnt vmcnt(4) lgkmcnt(0)
	v_fma_f64 v[70:71], v[91:92], v[75:76], v[70:71]
	s_waitcnt vmcnt(2)
	v_fma_f64 v[70:71], v[93:94], v[77:78], v[70:71]
	s_waitcnt vmcnt(0)
	v_add_f64 v[70:71], v[95:96], -v[70:71]
	buffer_store_dword v70, off, s[0:3], 0 offset:200
	buffer_store_dword v71, off, s[0:3], 0 offset:204
	v_cmpx_lt_u32_e32 24, v0
	s_cbranch_execz .LBB33_165
; %bb.164:
	s_clause 0x1
	buffer_load_dword v70, off, s[0:3], 0 offset:192
	buffer_load_dword v71, off, s[0:3], 0 offset:196
	v_mov_b32_e32 v72, 0
	buffer_store_dword v72, off, s[0:3], 0 offset:192
	buffer_store_dword v72, off, s[0:3], 0 offset:196
	s_waitcnt vmcnt(0)
	ds_write_b64 v69, v[70:71]
.LBB33_165:
	s_or_b32 exec_lo, exec_lo, s4
	s_waitcnt lgkmcnt(0)
	s_waitcnt_vscnt null, 0x0
	s_barrier
	buffer_gl0_inv
	s_clause 0x13
	buffer_load_dword v79, off, s[0:3], 0 offset:200
	buffer_load_dword v80, off, s[0:3], 0 offset:204
	;; [unrolled: 1-line block ×20, first 2 shown]
	v_mov_b32_e32 v70, 0
	ds_read2_b64 v[71:74], v70 offset0:59 offset1:60
	ds_read2_b64 v[75:78], v70 offset0:61 offset1:62
	s_mov_b32 s4, exec_lo
	s_waitcnt vmcnt(18) lgkmcnt(1)
	v_fma_f64 v[71:72], v[79:80], v[71:72], 0
	s_waitcnt vmcnt(16)
	v_fma_f64 v[71:72], v[81:82], v[73:74], v[71:72]
	s_waitcnt vmcnt(14) lgkmcnt(0)
	v_fma_f64 v[71:72], v[83:84], v[75:76], v[71:72]
	s_waitcnt vmcnt(12)
	v_fma_f64 v[79:80], v[85:86], v[77:78], v[71:72]
	ds_read2_b64 v[71:74], v70 offset0:63 offset1:64
	ds_read2_b64 v[75:78], v70 offset0:65 offset1:66
	s_waitcnt vmcnt(10) lgkmcnt(1)
	v_fma_f64 v[71:72], v[87:88], v[71:72], v[79:80]
	s_waitcnt vmcnt(8)
	v_fma_f64 v[71:72], v[89:90], v[73:74], v[71:72]
	ds_read_b64 v[73:74], v70 offset:536
	s_waitcnt vmcnt(6) lgkmcnt(1)
	v_fma_f64 v[71:72], v[91:92], v[75:76], v[71:72]
	s_waitcnt vmcnt(3)
	v_fma_f64 v[71:72], v[93:94], v[77:78], v[71:72]
	s_waitcnt vmcnt(2) lgkmcnt(0)
	v_fma_f64 v[71:72], v[95:96], v[73:74], v[71:72]
	s_waitcnt vmcnt(0)
	v_add_f64 v[71:72], v[97:98], -v[71:72]
	buffer_store_dword v71, off, s[0:3], 0 offset:192
	buffer_store_dword v72, off, s[0:3], 0 offset:196
	v_cmpx_lt_u32_e32 23, v0
	s_cbranch_execz .LBB33_167
; %bb.166:
	s_clause 0x1
	buffer_load_dword v71, off, s[0:3], 0 offset:184
	buffer_load_dword v72, off, s[0:3], 0 offset:188
	buffer_store_dword v70, off, s[0:3], 0 offset:184
	buffer_store_dword v70, off, s[0:3], 0 offset:188
	s_waitcnt vmcnt(0)
	ds_write_b64 v69, v[71:72]
.LBB33_167:
	s_or_b32 exec_lo, exec_lo, s4
	s_waitcnt lgkmcnt(0)
	s_waitcnt_vscnt null, 0x0
	s_barrier
	buffer_gl0_inv
	s_clause 0x15
	buffer_load_dword v79, off, s[0:3], 0 offset:192
	buffer_load_dword v80, off, s[0:3], 0 offset:196
	;; [unrolled: 1-line block ×22, first 2 shown]
	ds_read_b128 v[71:74], v70 offset:464
	ds_read_b128 v[75:78], v70 offset:480
	s_mov_b32 s4, exec_lo
	s_waitcnt vmcnt(20) lgkmcnt(1)
	v_fma_f64 v[71:72], v[79:80], v[71:72], 0
	s_waitcnt vmcnt(18)
	v_fma_f64 v[71:72], v[81:82], v[73:74], v[71:72]
	s_waitcnt vmcnt(16) lgkmcnt(0)
	v_fma_f64 v[71:72], v[83:84], v[75:76], v[71:72]
	s_waitcnt vmcnt(14)
	v_fma_f64 v[79:80], v[85:86], v[77:78], v[71:72]
	ds_read_b128 v[71:74], v70 offset:496
	ds_read_b128 v[75:78], v70 offset:512
	s_waitcnt vmcnt(12) lgkmcnt(1)
	v_fma_f64 v[71:72], v[87:88], v[71:72], v[79:80]
	s_waitcnt vmcnt(10)
	v_fma_f64 v[71:72], v[89:90], v[73:74], v[71:72]
	s_waitcnt vmcnt(8) lgkmcnt(0)
	v_fma_f64 v[71:72], v[91:92], v[75:76], v[71:72]
	s_waitcnt vmcnt(4)
	v_fma_f64 v[74:75], v[93:94], v[77:78], v[71:72]
	ds_read_b128 v[70:73], v70 offset:528
	s_waitcnt vmcnt(3) lgkmcnt(0)
	v_fma_f64 v[70:71], v[97:98], v[70:71], v[74:75]
	s_waitcnt vmcnt(2)
	v_fma_f64 v[70:71], v[95:96], v[72:73], v[70:71]
	s_waitcnt vmcnt(0)
	v_add_f64 v[70:71], v[99:100], -v[70:71]
	buffer_store_dword v70, off, s[0:3], 0 offset:184
	buffer_store_dword v71, off, s[0:3], 0 offset:188
	v_cmpx_lt_u32_e32 22, v0
	s_cbranch_execz .LBB33_169
; %bb.168:
	s_clause 0x1
	buffer_load_dword v70, off, s[0:3], 0 offset:176
	buffer_load_dword v71, off, s[0:3], 0 offset:180
	v_mov_b32_e32 v72, 0
	buffer_store_dword v72, off, s[0:3], 0 offset:176
	buffer_store_dword v72, off, s[0:3], 0 offset:180
	s_waitcnt vmcnt(0)
	ds_write_b64 v69, v[70:71]
.LBB33_169:
	s_or_b32 exec_lo, exec_lo, s4
	s_waitcnt lgkmcnt(0)
	s_waitcnt_vscnt null, 0x0
	s_barrier
	buffer_gl0_inv
	s_clause 0x17
	buffer_load_dword v79, off, s[0:3], 0 offset:184
	buffer_load_dword v80, off, s[0:3], 0 offset:188
	;; [unrolled: 1-line block ×24, first 2 shown]
	v_mov_b32_e32 v70, 0
	ds_read2_b64 v[71:74], v70 offset0:57 offset1:58
	ds_read2_b64 v[75:78], v70 offset0:59 offset1:60
	s_mov_b32 s4, exec_lo
	s_waitcnt vmcnt(22) lgkmcnt(1)
	v_fma_f64 v[71:72], v[79:80], v[71:72], 0
	s_waitcnt vmcnt(20)
	v_fma_f64 v[71:72], v[81:82], v[73:74], v[71:72]
	s_waitcnt vmcnt(18) lgkmcnt(0)
	v_fma_f64 v[71:72], v[83:84], v[75:76], v[71:72]
	s_waitcnt vmcnt(16)
	v_fma_f64 v[79:80], v[85:86], v[77:78], v[71:72]
	ds_read2_b64 v[71:74], v70 offset0:61 offset1:62
	ds_read2_b64 v[75:78], v70 offset0:63 offset1:64
	s_waitcnt vmcnt(14) lgkmcnt(1)
	v_fma_f64 v[71:72], v[87:88], v[71:72], v[79:80]
	s_waitcnt vmcnt(12)
	v_fma_f64 v[71:72], v[89:90], v[73:74], v[71:72]
	s_waitcnt vmcnt(10) lgkmcnt(0)
	v_fma_f64 v[71:72], v[91:92], v[75:76], v[71:72]
	s_waitcnt vmcnt(5)
	v_fma_f64 v[75:76], v[93:94], v[77:78], v[71:72]
	ds_read2_b64 v[71:74], v70 offset0:65 offset1:66
	ds_read_b64 v[77:78], v70 offset:536
	s_waitcnt vmcnt(4) lgkmcnt(1)
	v_fma_f64 v[71:72], v[99:100], v[71:72], v[75:76]
	s_waitcnt vmcnt(3)
	v_fma_f64 v[71:72], v[97:98], v[73:74], v[71:72]
	s_waitcnt vmcnt(2) lgkmcnt(0)
	v_fma_f64 v[71:72], v[95:96], v[77:78], v[71:72]
	s_waitcnt vmcnt(0)
	v_add_f64 v[71:72], v[101:102], -v[71:72]
	buffer_store_dword v72, off, s[0:3], 0 offset:180
	buffer_store_dword v71, off, s[0:3], 0 offset:176
	v_cmpx_lt_u32_e32 21, v0
	s_cbranch_execz .LBB33_171
; %bb.170:
	s_clause 0x1
	buffer_load_dword v71, off, s[0:3], 0 offset:168
	buffer_load_dword v72, off, s[0:3], 0 offset:172
	buffer_store_dword v70, off, s[0:3], 0 offset:168
	buffer_store_dword v70, off, s[0:3], 0 offset:172
	s_waitcnt vmcnt(0)
	ds_write_b64 v69, v[71:72]
.LBB33_171:
	s_or_b32 exec_lo, exec_lo, s4
	s_waitcnt lgkmcnt(0)
	s_waitcnt_vscnt null, 0x0
	s_barrier
	buffer_gl0_inv
	s_clause 0x19
	buffer_load_dword v79, off, s[0:3], 0 offset:176
	buffer_load_dword v80, off, s[0:3], 0 offset:180
	;; [unrolled: 1-line block ×26, first 2 shown]
	ds_read_b128 v[71:74], v70 offset:448
	ds_read_b128 v[75:78], v70 offset:464
	s_mov_b32 s4, exec_lo
	s_waitcnt vmcnt(24) lgkmcnt(1)
	v_fma_f64 v[71:72], v[79:80], v[71:72], 0
	s_waitcnt vmcnt(22)
	v_fma_f64 v[71:72], v[81:82], v[73:74], v[71:72]
	s_waitcnt vmcnt(20) lgkmcnt(0)
	v_fma_f64 v[71:72], v[83:84], v[75:76], v[71:72]
	s_waitcnt vmcnt(18)
	v_fma_f64 v[79:80], v[85:86], v[77:78], v[71:72]
	ds_read_b128 v[71:74], v70 offset:480
	ds_read_b128 v[75:78], v70 offset:496
	s_waitcnt vmcnt(16) lgkmcnt(1)
	v_fma_f64 v[71:72], v[87:88], v[71:72], v[79:80]
	s_waitcnt vmcnt(14)
	v_fma_f64 v[71:72], v[89:90], v[73:74], v[71:72]
	s_waitcnt vmcnt(12) lgkmcnt(0)
	v_fma_f64 v[71:72], v[91:92], v[75:76], v[71:72]
	s_waitcnt vmcnt(7)
	v_fma_f64 v[79:80], v[93:94], v[77:78], v[71:72]
	ds_read_b128 v[71:74], v70 offset:512
	ds_read_b128 v[75:78], v70 offset:528
	s_waitcnt vmcnt(6) lgkmcnt(1)
	v_fma_f64 v[70:71], v[99:100], v[71:72], v[79:80]
	s_waitcnt vmcnt(5)
	v_fma_f64 v[70:71], v[97:98], v[73:74], v[70:71]
	s_waitcnt vmcnt(4) lgkmcnt(0)
	v_fma_f64 v[70:71], v[95:96], v[75:76], v[70:71]
	s_waitcnt vmcnt(2)
	v_fma_f64 v[70:71], v[101:102], v[77:78], v[70:71]
	s_waitcnt vmcnt(0)
	v_add_f64 v[70:71], v[103:104], -v[70:71]
	buffer_store_dword v71, off, s[0:3], 0 offset:172
	buffer_store_dword v70, off, s[0:3], 0 offset:168
	v_cmpx_lt_u32_e32 20, v0
	s_cbranch_execz .LBB33_173
; %bb.172:
	s_clause 0x1
	buffer_load_dword v70, off, s[0:3], 0 offset:160
	buffer_load_dword v71, off, s[0:3], 0 offset:164
	v_mov_b32_e32 v72, 0
	buffer_store_dword v72, off, s[0:3], 0 offset:160
	buffer_store_dword v72, off, s[0:3], 0 offset:164
	s_waitcnt vmcnt(0)
	ds_write_b64 v69, v[70:71]
.LBB33_173:
	s_or_b32 exec_lo, exec_lo, s4
	s_waitcnt lgkmcnt(0)
	s_waitcnt_vscnt null, 0x0
	s_barrier
	buffer_gl0_inv
	s_clause 0x1b
	buffer_load_dword v79, off, s[0:3], 0 offset:168
	buffer_load_dword v80, off, s[0:3], 0 offset:172
	;; [unrolled: 1-line block ×28, first 2 shown]
	v_mov_b32_e32 v70, 0
	ds_read2_b64 v[71:74], v70 offset0:55 offset1:56
	ds_read2_b64 v[75:78], v70 offset0:57 offset1:58
	s_mov_b32 s4, exec_lo
	s_waitcnt vmcnt(26) lgkmcnt(1)
	v_fma_f64 v[71:72], v[79:80], v[71:72], 0
	s_waitcnt vmcnt(24)
	v_fma_f64 v[71:72], v[81:82], v[73:74], v[71:72]
	s_waitcnt vmcnt(22) lgkmcnt(0)
	v_fma_f64 v[71:72], v[83:84], v[75:76], v[71:72]
	s_waitcnt vmcnt(20)
	v_fma_f64 v[79:80], v[85:86], v[77:78], v[71:72]
	ds_read2_b64 v[71:74], v70 offset0:59 offset1:60
	ds_read2_b64 v[75:78], v70 offset0:61 offset1:62
	s_waitcnt vmcnt(18) lgkmcnt(1)
	v_fma_f64 v[71:72], v[87:88], v[71:72], v[79:80]
	s_waitcnt vmcnt(16)
	v_fma_f64 v[71:72], v[89:90], v[73:74], v[71:72]
	s_waitcnt vmcnt(14) lgkmcnt(0)
	v_fma_f64 v[71:72], v[91:92], v[75:76], v[71:72]
	s_waitcnt vmcnt(9)
	v_fma_f64 v[79:80], v[93:94], v[77:78], v[71:72]
	ds_read2_b64 v[71:74], v70 offset0:63 offset1:64
	ds_read2_b64 v[75:78], v70 offset0:65 offset1:66
	s_waitcnt vmcnt(8) lgkmcnt(1)
	v_fma_f64 v[71:72], v[99:100], v[71:72], v[79:80]
	s_waitcnt vmcnt(7)
	v_fma_f64 v[71:72], v[97:98], v[73:74], v[71:72]
	ds_read_b64 v[73:74], v70 offset:536
	s_waitcnt vmcnt(6) lgkmcnt(1)
	v_fma_f64 v[71:72], v[95:96], v[75:76], v[71:72]
	s_waitcnt vmcnt(3)
	v_fma_f64 v[71:72], v[101:102], v[77:78], v[71:72]
	s_waitcnt vmcnt(2) lgkmcnt(0)
	v_fma_f64 v[71:72], v[103:104], v[73:74], v[71:72]
	s_waitcnt vmcnt(0)
	v_add_f64 v[71:72], v[105:106], -v[71:72]
	buffer_store_dword v72, off, s[0:3], 0 offset:164
	buffer_store_dword v71, off, s[0:3], 0 offset:160
	v_cmpx_lt_u32_e32 19, v0
	s_cbranch_execz .LBB33_175
; %bb.174:
	s_clause 0x1
	buffer_load_dword v71, off, s[0:3], 0 offset:152
	buffer_load_dword v72, off, s[0:3], 0 offset:156
	buffer_store_dword v70, off, s[0:3], 0 offset:152
	buffer_store_dword v70, off, s[0:3], 0 offset:156
	s_waitcnt vmcnt(0)
	ds_write_b64 v69, v[71:72]
.LBB33_175:
	s_or_b32 exec_lo, exec_lo, s4
	s_waitcnt lgkmcnt(0)
	s_waitcnt_vscnt null, 0x0
	s_barrier
	buffer_gl0_inv
	s_clause 0x1b
	buffer_load_dword v79, off, s[0:3], 0 offset:160
	buffer_load_dword v80, off, s[0:3], 0 offset:164
	;; [unrolled: 1-line block ×28, first 2 shown]
	ds_read_b128 v[71:74], v70 offset:432
	s_clause 0x1
	buffer_load_dword v107, off, s[0:3], 0 offset:152
	buffer_load_dword v108, off, s[0:3], 0 offset:156
	ds_read_b128 v[75:78], v70 offset:448
	s_mov_b32 s4, exec_lo
	s_waitcnt vmcnt(28) lgkmcnt(1)
	v_fma_f64 v[71:72], v[79:80], v[71:72], 0
	s_waitcnt vmcnt(26)
	v_fma_f64 v[71:72], v[81:82], v[73:74], v[71:72]
	s_waitcnt vmcnt(24) lgkmcnt(0)
	v_fma_f64 v[71:72], v[83:84], v[75:76], v[71:72]
	s_waitcnt vmcnt(22)
	v_fma_f64 v[79:80], v[85:86], v[77:78], v[71:72]
	ds_read_b128 v[71:74], v70 offset:464
	ds_read_b128 v[75:78], v70 offset:480
	s_waitcnt vmcnt(20) lgkmcnt(1)
	v_fma_f64 v[71:72], v[87:88], v[71:72], v[79:80]
	s_waitcnt vmcnt(18)
	v_fma_f64 v[71:72], v[89:90], v[73:74], v[71:72]
	s_waitcnt vmcnt(16) lgkmcnt(0)
	v_fma_f64 v[71:72], v[91:92], v[75:76], v[71:72]
	s_waitcnt vmcnt(11)
	v_fma_f64 v[79:80], v[93:94], v[77:78], v[71:72]
	ds_read_b128 v[71:74], v70 offset:496
	ds_read_b128 v[75:78], v70 offset:512
	s_waitcnt vmcnt(10) lgkmcnt(1)
	v_fma_f64 v[71:72], v[99:100], v[71:72], v[79:80]
	s_waitcnt vmcnt(9)
	v_fma_f64 v[71:72], v[97:98], v[73:74], v[71:72]
	s_waitcnt vmcnt(8) lgkmcnt(0)
	v_fma_f64 v[71:72], v[95:96], v[75:76], v[71:72]
	s_waitcnt vmcnt(4)
	v_fma_f64 v[74:75], v[101:102], v[77:78], v[71:72]
	ds_read_b128 v[70:73], v70 offset:528
	s_waitcnt vmcnt(3) lgkmcnt(0)
	v_fma_f64 v[70:71], v[105:106], v[70:71], v[74:75]
	s_waitcnt vmcnt(2)
	v_fma_f64 v[70:71], v[103:104], v[72:73], v[70:71]
	s_waitcnt vmcnt(0)
	v_add_f64 v[70:71], v[107:108], -v[70:71]
	buffer_store_dword v71, off, s[0:3], 0 offset:156
	buffer_store_dword v70, off, s[0:3], 0 offset:152
	v_cmpx_lt_u32_e32 18, v0
	s_cbranch_execz .LBB33_177
; %bb.176:
	s_clause 0x1
	buffer_load_dword v70, off, s[0:3], 0 offset:144
	buffer_load_dword v71, off, s[0:3], 0 offset:148
	v_mov_b32_e32 v72, 0
	buffer_store_dword v72, off, s[0:3], 0 offset:144
	buffer_store_dword v72, off, s[0:3], 0 offset:148
	s_waitcnt vmcnt(0)
	ds_write_b64 v69, v[70:71]
.LBB33_177:
	s_or_b32 exec_lo, exec_lo, s4
	s_waitcnt lgkmcnt(0)
	s_waitcnt_vscnt null, 0x0
	s_barrier
	buffer_gl0_inv
	s_clause 0x1c
	buffer_load_dword v79, off, s[0:3], 0 offset:152
	buffer_load_dword v80, off, s[0:3], 0 offset:156
	;; [unrolled: 1-line block ×29, first 2 shown]
	v_mov_b32_e32 v70, 0
	buffer_load_dword v104, off, s[0:3], 0 offset:268
	s_mov_b32 s4, exec_lo
	ds_read2_b64 v[71:74], v70 offset0:53 offset1:54
	ds_read2_b64 v[75:78], v70 offset0:55 offset1:56
	s_waitcnt vmcnt(28) lgkmcnt(1)
	v_fma_f64 v[71:72], v[79:80], v[71:72], 0
	s_clause 0x1
	buffer_load_dword v79, off, s[0:3], 0 offset:144
	buffer_load_dword v80, off, s[0:3], 0 offset:148
	s_waitcnt vmcnt(28)
	v_fma_f64 v[71:72], v[81:82], v[73:74], v[71:72]
	s_waitcnt vmcnt(26) lgkmcnt(0)
	v_fma_f64 v[71:72], v[83:84], v[75:76], v[71:72]
	s_waitcnt vmcnt(24)
	v_fma_f64 v[81:82], v[85:86], v[77:78], v[71:72]
	ds_read2_b64 v[71:74], v70 offset0:57 offset1:58
	ds_read2_b64 v[75:78], v70 offset0:59 offset1:60
	s_waitcnt vmcnt(22) lgkmcnt(1)
	v_fma_f64 v[71:72], v[87:88], v[71:72], v[81:82]
	s_waitcnt vmcnt(20)
	v_fma_f64 v[71:72], v[89:90], v[73:74], v[71:72]
	s_waitcnt vmcnt(18) lgkmcnt(0)
	v_fma_f64 v[71:72], v[91:92], v[75:76], v[71:72]
	s_waitcnt vmcnt(13)
	v_fma_f64 v[81:82], v[93:94], v[77:78], v[71:72]
	ds_read2_b64 v[71:74], v70 offset0:61 offset1:62
	ds_read2_b64 v[75:78], v70 offset0:63 offset1:64
	s_waitcnt vmcnt(12) lgkmcnt(1)
	v_fma_f64 v[71:72], v[99:100], v[71:72], v[81:82]
	s_waitcnt vmcnt(11)
	v_fma_f64 v[71:72], v[97:98], v[73:74], v[71:72]
	s_waitcnt vmcnt(10) lgkmcnt(0)
	v_fma_f64 v[71:72], v[95:96], v[75:76], v[71:72]
	s_waitcnt vmcnt(5)
	v_fma_f64 v[75:76], v[101:102], v[77:78], v[71:72]
	ds_read2_b64 v[71:74], v70 offset0:65 offset1:66
	ds_read_b64 v[77:78], v70 offset:536
	s_waitcnt vmcnt(4) lgkmcnt(1)
	v_fma_f64 v[71:72], v[107:108], v[71:72], v[75:76]
	s_waitcnt vmcnt(3)
	v_fma_f64 v[71:72], v[105:106], v[73:74], v[71:72]
	s_waitcnt vmcnt(2) lgkmcnt(0)
	v_fma_f64 v[71:72], v[103:104], v[77:78], v[71:72]
	s_waitcnt vmcnt(0)
	v_add_f64 v[71:72], v[79:80], -v[71:72]
	buffer_store_dword v72, off, s[0:3], 0 offset:148
	buffer_store_dword v71, off, s[0:3], 0 offset:144
	v_cmpx_lt_u32_e32 17, v0
	s_cbranch_execz .LBB33_179
; %bb.178:
	s_clause 0x1
	buffer_load_dword v71, off, s[0:3], 0 offset:136
	buffer_load_dword v72, off, s[0:3], 0 offset:140
	buffer_store_dword v70, off, s[0:3], 0 offset:136
	buffer_store_dword v70, off, s[0:3], 0 offset:140
	s_waitcnt vmcnt(0)
	ds_write_b64 v69, v[71:72]
.LBB33_179:
	s_or_b32 exec_lo, exec_lo, s4
	s_waitcnt lgkmcnt(0)
	s_waitcnt_vscnt null, 0x0
	s_barrier
	buffer_gl0_inv
	s_clause 0x1c
	buffer_load_dword v79, off, s[0:3], 0 offset:144
	buffer_load_dword v80, off, s[0:3], 0 offset:148
	;; [unrolled: 1-line block ×29, first 2 shown]
	ds_read_b128 v[71:74], v70 offset:416
	ds_read_b128 v[75:78], v70 offset:432
	buffer_load_dword v104, off, s[0:3], 0 offset:260
	s_mov_b32 s4, exec_lo
	s_waitcnt vmcnt(28) lgkmcnt(1)
	v_fma_f64 v[71:72], v[79:80], v[71:72], 0
	s_clause 0x1
	buffer_load_dword v80, off, s[0:3], 0 offset:268
	buffer_load_dword v79, off, s[0:3], 0 offset:264
	s_waitcnt vmcnt(28)
	v_fma_f64 v[71:72], v[81:82], v[73:74], v[71:72]
	s_clause 0x1
	buffer_load_dword v81, off, s[0:3], 0 offset:136
	buffer_load_dword v82, off, s[0:3], 0 offset:140
	s_waitcnt vmcnt(28) lgkmcnt(0)
	v_fma_f64 v[71:72], v[83:84], v[75:76], v[71:72]
	s_waitcnt vmcnt(26)
	v_fma_f64 v[83:84], v[85:86], v[77:78], v[71:72]
	ds_read_b128 v[71:74], v70 offset:448
	ds_read_b128 v[75:78], v70 offset:464
	s_waitcnt vmcnt(24) lgkmcnt(1)
	v_fma_f64 v[71:72], v[87:88], v[71:72], v[83:84]
	s_waitcnt vmcnt(22)
	v_fma_f64 v[71:72], v[89:90], v[73:74], v[71:72]
	s_waitcnt vmcnt(20) lgkmcnt(0)
	v_fma_f64 v[71:72], v[91:92], v[75:76], v[71:72]
	s_waitcnt vmcnt(15)
	v_fma_f64 v[83:84], v[93:94], v[77:78], v[71:72]
	ds_read_b128 v[71:74], v70 offset:480
	ds_read_b128 v[75:78], v70 offset:496
	s_waitcnt vmcnt(14) lgkmcnt(1)
	v_fma_f64 v[71:72], v[99:100], v[71:72], v[83:84]
	s_waitcnt vmcnt(13)
	v_fma_f64 v[71:72], v[97:98], v[73:74], v[71:72]
	;; [unrolled: 10-line block ×3, first 2 shown]
	s_waitcnt vmcnt(4) lgkmcnt(0)
	v_fma_f64 v[70:71], v[103:104], v[75:76], v[70:71]
	s_waitcnt vmcnt(2)
	v_fma_f64 v[70:71], v[79:80], v[77:78], v[70:71]
	s_waitcnt vmcnt(0)
	v_add_f64 v[70:71], v[81:82], -v[70:71]
	buffer_store_dword v71, off, s[0:3], 0 offset:140
	buffer_store_dword v70, off, s[0:3], 0 offset:136
	v_cmpx_lt_u32_e32 16, v0
	s_cbranch_execz .LBB33_181
; %bb.180:
	s_clause 0x1
	buffer_load_dword v70, off, s[0:3], 0 offset:128
	buffer_load_dword v71, off, s[0:3], 0 offset:132
	v_mov_b32_e32 v72, 0
	buffer_store_dword v72, off, s[0:3], 0 offset:128
	buffer_store_dword v72, off, s[0:3], 0 offset:132
	s_waitcnt vmcnt(0)
	ds_write_b64 v69, v[70:71]
.LBB33_181:
	s_or_b32 exec_lo, exec_lo, s4
	s_waitcnt lgkmcnt(0)
	s_waitcnt_vscnt null, 0x0
	s_barrier
	buffer_gl0_inv
	s_clause 0x1c
	buffer_load_dword v79, off, s[0:3], 0 offset:136
	buffer_load_dword v80, off, s[0:3], 0 offset:140
	;; [unrolled: 1-line block ×29, first 2 shown]
	v_mov_b32_e32 v70, 0
	buffer_load_dword v104, off, s[0:3], 0 offset:252
	s_mov_b32 s4, exec_lo
	ds_read2_b64 v[71:74], v70 offset0:51 offset1:52
	ds_read2_b64 v[75:78], v70 offset0:53 offset1:54
	s_waitcnt vmcnt(28) lgkmcnt(1)
	v_fma_f64 v[71:72], v[79:80], v[71:72], 0
	s_clause 0x3
	buffer_load_dword v80, off, s[0:3], 0 offset:260
	buffer_load_dword v109, off, s[0:3], 0 offset:264
	;; [unrolled: 1-line block ×4, first 2 shown]
	s_waitcnt vmcnt(30)
	v_fma_f64 v[71:72], v[81:82], v[73:74], v[71:72]
	s_clause 0x1
	buffer_load_dword v81, off, s[0:3], 0 offset:128
	buffer_load_dword v82, off, s[0:3], 0 offset:132
	s_waitcnt vmcnt(30) lgkmcnt(0)
	v_fma_f64 v[71:72], v[83:84], v[75:76], v[71:72]
	s_waitcnt vmcnt(28)
	v_fma_f64 v[83:84], v[85:86], v[77:78], v[71:72]
	ds_read2_b64 v[71:74], v70 offset0:55 offset1:56
	ds_read2_b64 v[75:78], v70 offset0:57 offset1:58
	s_waitcnt vmcnt(26) lgkmcnt(1)
	v_fma_f64 v[71:72], v[87:88], v[71:72], v[83:84]
	s_waitcnt vmcnt(24)
	v_fma_f64 v[71:72], v[89:90], v[73:74], v[71:72]
	s_waitcnt vmcnt(22) lgkmcnt(0)
	v_fma_f64 v[71:72], v[91:92], v[75:76], v[71:72]
	s_waitcnt vmcnt(17)
	v_fma_f64 v[83:84], v[93:94], v[77:78], v[71:72]
	ds_read2_b64 v[71:74], v70 offset0:59 offset1:60
	ds_read2_b64 v[75:78], v70 offset0:61 offset1:62
	s_waitcnt vmcnt(16) lgkmcnt(1)
	v_fma_f64 v[71:72], v[99:100], v[71:72], v[83:84]
	s_waitcnt vmcnt(15)
	v_fma_f64 v[71:72], v[97:98], v[73:74], v[71:72]
	;; [unrolled: 10-line block ×3, first 2 shown]
	ds_read_b64 v[73:74], v70 offset:536
	s_waitcnt vmcnt(6) lgkmcnt(1)
	v_fma_f64 v[71:72], v[103:104], v[75:76], v[71:72]
	s_waitcnt vmcnt(3)
	v_fma_f64 v[71:72], v[79:80], v[77:78], v[71:72]
	s_waitcnt vmcnt(2) lgkmcnt(0)
	v_fma_f64 v[71:72], v[109:110], v[73:74], v[71:72]
	s_waitcnt vmcnt(0)
	v_add_f64 v[71:72], v[81:82], -v[71:72]
	buffer_store_dword v72, off, s[0:3], 0 offset:132
	buffer_store_dword v71, off, s[0:3], 0 offset:128
	v_cmpx_lt_u32_e32 15, v0
	s_cbranch_execz .LBB33_183
; %bb.182:
	s_clause 0x1
	buffer_load_dword v71, off, s[0:3], 0 offset:120
	buffer_load_dword v72, off, s[0:3], 0 offset:124
	buffer_store_dword v70, off, s[0:3], 0 offset:120
	buffer_store_dword v70, off, s[0:3], 0 offset:124
	s_waitcnt vmcnt(0)
	ds_write_b64 v69, v[71:72]
.LBB33_183:
	s_or_b32 exec_lo, exec_lo, s4
	s_waitcnt lgkmcnt(0)
	s_waitcnt_vscnt null, 0x0
	s_barrier
	buffer_gl0_inv
	s_clause 0x1b
	buffer_load_dword v75, off, s[0:3], 0 offset:128
	buffer_load_dword v76, off, s[0:3], 0 offset:132
	;; [unrolled: 1-line block ×28, first 2 shown]
	ds_read_b128 v[71:74], v70 offset:400
	s_clause 0x1
	buffer_load_dword v103, off, s[0:3], 0 offset:240
	buffer_load_dword v104, off, s[0:3], 0 offset:244
	s_mov_b32 s4, exec_lo
	s_waitcnt vmcnt(28) lgkmcnt(0)
	v_fma_f64 v[71:72], v[75:76], v[71:72], 0
	s_clause 0x1
	buffer_load_dword v76, off, s[0:3], 0 offset:252
	buffer_load_dword v75, off, s[0:3], 0 offset:248
	s_waitcnt vmcnt(28)
	v_fma_f64 v[77:78], v[77:78], v[73:74], v[71:72]
	ds_read_b128 v[71:74], v70 offset:416
	s_clause 0x1
	buffer_load_dword v105, off, s[0:3], 0 offset:256
	buffer_load_dword v106, off, s[0:3], 0 offset:260
	s_waitcnt vmcnt(28) lgkmcnt(0)
	v_fma_f64 v[71:72], v[79:80], v[71:72], v[77:78]
	s_clause 0x1
	buffer_load_dword v77, off, s[0:3], 0 offset:264
	buffer_load_dword v78, off, s[0:3], 0 offset:268
	s_waitcnt vmcnt(28)
	v_fma_f64 v[79:80], v[81:82], v[73:74], v[71:72]
	ds_read_b128 v[71:74], v70 offset:432
	s_clause 0x1
	buffer_load_dword v81, off, s[0:3], 0 offset:120
	buffer_load_dword v82, off, s[0:3], 0 offset:124
	s_waitcnt vmcnt(28) lgkmcnt(0)
	v_fma_f64 v[71:72], v[83:84], v[71:72], v[79:80]
	s_waitcnt vmcnt(26)
	v_fma_f64 v[79:80], v[85:86], v[73:74], v[71:72]
	ds_read_b128 v[71:74], v70 offset:448
	s_waitcnt vmcnt(24) lgkmcnt(0)
	v_fma_f64 v[71:72], v[87:88], v[71:72], v[79:80]
	s_waitcnt vmcnt(22)
	v_fma_f64 v[79:80], v[89:90], v[73:74], v[71:72]
	ds_read_b128 v[71:74], v70 offset:464
	;; [unrolled: 5-line block ×6, first 2 shown]
	s_waitcnt vmcnt(4) lgkmcnt(0)
	v_fma_f64 v[70:71], v[105:106], v[70:71], v[74:75]
	s_waitcnt vmcnt(2)
	v_fma_f64 v[70:71], v[77:78], v[72:73], v[70:71]
	s_waitcnt vmcnt(0)
	v_add_f64 v[70:71], v[81:82], -v[70:71]
	buffer_store_dword v71, off, s[0:3], 0 offset:124
	buffer_store_dword v70, off, s[0:3], 0 offset:120
	v_cmpx_lt_u32_e32 14, v0
	s_cbranch_execz .LBB33_185
; %bb.184:
	s_clause 0x1
	buffer_load_dword v70, off, s[0:3], 0 offset:112
	buffer_load_dword v71, off, s[0:3], 0 offset:116
	v_mov_b32_e32 v72, 0
	buffer_store_dword v72, off, s[0:3], 0 offset:112
	buffer_store_dword v72, off, s[0:3], 0 offset:116
	s_waitcnt vmcnt(0)
	ds_write_b64 v69, v[70:71]
.LBB33_185:
	s_or_b32 exec_lo, exec_lo, s4
	s_waitcnt lgkmcnt(0)
	s_waitcnt_vscnt null, 0x0
	s_barrier
	buffer_gl0_inv
	s_clause 0x1b
	buffer_load_dword v75, off, s[0:3], 0 offset:120
	buffer_load_dword v76, off, s[0:3], 0 offset:124
	;; [unrolled: 1-line block ×28, first 2 shown]
	v_mov_b32_e32 v70, 0
	s_mov_b32 s4, exec_lo
	ds_read2_b64 v[71:74], v70 offset0:49 offset1:50
	s_clause 0x1
	buffer_load_dword v103, off, s[0:3], 0 offset:232
	buffer_load_dword v104, off, s[0:3], 0 offset:236
	s_waitcnt vmcnt(28) lgkmcnt(0)
	v_fma_f64 v[71:72], v[75:76], v[71:72], 0
	s_clause 0x1
	buffer_load_dword v76, off, s[0:3], 0 offset:244
	buffer_load_dword v75, off, s[0:3], 0 offset:240
	s_waitcnt vmcnt(28)
	v_fma_f64 v[77:78], v[77:78], v[73:74], v[71:72]
	ds_read2_b64 v[71:74], v70 offset0:51 offset1:52
	s_clause 0x1
	buffer_load_dword v105, off, s[0:3], 0 offset:248
	buffer_load_dword v106, off, s[0:3], 0 offset:252
	s_waitcnt vmcnt(28) lgkmcnt(0)
	v_fma_f64 v[71:72], v[79:80], v[71:72], v[77:78]
	s_clause 0x1
	buffer_load_dword v77, off, s[0:3], 0 offset:256
	buffer_load_dword v78, off, s[0:3], 0 offset:260
	s_waitcnt vmcnt(28)
	v_fma_f64 v[79:80], v[81:82], v[73:74], v[71:72]
	;; [unrolled: 11-line block ×3, first 2 shown]
	ds_read2_b64 v[71:74], v70 offset0:55 offset1:56
	s_waitcnt vmcnt(26) lgkmcnt(0)
	v_fma_f64 v[71:72], v[87:88], v[71:72], v[83:84]
	s_waitcnt vmcnt(24)
	v_fma_f64 v[83:84], v[89:90], v[73:74], v[71:72]
	ds_read2_b64 v[71:74], v70 offset0:57 offset1:58
	s_waitcnt vmcnt(22) lgkmcnt(0)
	v_fma_f64 v[71:72], v[91:92], v[71:72], v[83:84]
	s_waitcnt vmcnt(20)
	v_fma_f64 v[83:84], v[93:94], v[73:74], v[71:72]
	;; [unrolled: 5-line block ×6, first 2 shown]
	ds_read_b64 v[73:74], v70 offset:536
	s_waitcnt vmcnt(2) lgkmcnt(0)
	v_fma_f64 v[71:72], v[81:82], v[73:74], v[71:72]
	s_waitcnt vmcnt(0)
	v_add_f64 v[71:72], v[79:80], -v[71:72]
	buffer_store_dword v72, off, s[0:3], 0 offset:116
	buffer_store_dword v71, off, s[0:3], 0 offset:112
	v_cmpx_lt_u32_e32 13, v0
	s_cbranch_execz .LBB33_187
; %bb.186:
	s_clause 0x1
	buffer_load_dword v71, off, s[0:3], 0 offset:104
	buffer_load_dword v72, off, s[0:3], 0 offset:108
	buffer_store_dword v70, off, s[0:3], 0 offset:104
	buffer_store_dword v70, off, s[0:3], 0 offset:108
	s_waitcnt vmcnt(0)
	ds_write_b64 v69, v[71:72]
.LBB33_187:
	s_or_b32 exec_lo, exec_lo, s4
	s_waitcnt lgkmcnt(0)
	s_waitcnt_vscnt null, 0x0
	s_barrier
	buffer_gl0_inv
	s_clause 0x1b
	buffer_load_dword v75, off, s[0:3], 0 offset:112
	buffer_load_dword v76, off, s[0:3], 0 offset:116
	;; [unrolled: 1-line block ×28, first 2 shown]
	ds_read_b128 v[71:74], v70 offset:384
	s_clause 0x1
	buffer_load_dword v103, off, s[0:3], 0 offset:224
	buffer_load_dword v104, off, s[0:3], 0 offset:228
	s_mov_b32 s4, exec_lo
	s_waitcnt vmcnt(28) lgkmcnt(0)
	v_fma_f64 v[71:72], v[75:76], v[71:72], 0
	s_clause 0x1
	buffer_load_dword v76, off, s[0:3], 0 offset:236
	buffer_load_dword v75, off, s[0:3], 0 offset:232
	s_waitcnt vmcnt(28)
	v_fma_f64 v[77:78], v[77:78], v[73:74], v[71:72]
	ds_read_b128 v[71:74], v70 offset:400
	s_clause 0x1
	buffer_load_dword v105, off, s[0:3], 0 offset:240
	buffer_load_dword v106, off, s[0:3], 0 offset:244
	s_waitcnt vmcnt(28) lgkmcnt(0)
	v_fma_f64 v[71:72], v[79:80], v[71:72], v[77:78]
	s_clause 0x1
	buffer_load_dword v77, off, s[0:3], 0 offset:248
	buffer_load_dword v78, off, s[0:3], 0 offset:252
	s_waitcnt vmcnt(28)
	v_fma_f64 v[79:80], v[81:82], v[73:74], v[71:72]
	ds_read_b128 v[71:74], v70 offset:416
	s_clause 0x1
	buffer_load_dword v81, off, s[0:3], 0 offset:256
	buffer_load_dword v82, off, s[0:3], 0 offset:260
	;; [unrolled: 11-line block ×3, first 2 shown]
	s_waitcnt vmcnt(28) lgkmcnt(0)
	v_fma_f64 v[71:72], v[87:88], v[71:72], v[83:84]
	s_waitcnt vmcnt(26)
	v_fma_f64 v[83:84], v[89:90], v[73:74], v[71:72]
	ds_read_b128 v[71:74], v70 offset:448
	s_waitcnt vmcnt(24) lgkmcnt(0)
	v_fma_f64 v[71:72], v[91:92], v[71:72], v[83:84]
	s_waitcnt vmcnt(22)
	v_fma_f64 v[83:84], v[93:94], v[73:74], v[71:72]
	ds_read_b128 v[71:74], v70 offset:464
	;; [unrolled: 5-line block ×6, first 2 shown]
	s_waitcnt vmcnt(4) lgkmcnt(0)
	v_fma_f64 v[70:71], v[81:82], v[70:71], v[74:75]
	s_waitcnt vmcnt(2)
	v_fma_f64 v[70:71], v[79:80], v[72:73], v[70:71]
	s_waitcnt vmcnt(0)
	v_add_f64 v[70:71], v[85:86], -v[70:71]
	buffer_store_dword v71, off, s[0:3], 0 offset:108
	buffer_store_dword v70, off, s[0:3], 0 offset:104
	v_cmpx_lt_u32_e32 12, v0
	s_cbranch_execz .LBB33_189
; %bb.188:
	s_clause 0x1
	buffer_load_dword v70, off, s[0:3], 0 offset:96
	buffer_load_dword v71, off, s[0:3], 0 offset:100
	v_mov_b32_e32 v72, 0
	buffer_store_dword v72, off, s[0:3], 0 offset:96
	buffer_store_dword v72, off, s[0:3], 0 offset:100
	s_waitcnt vmcnt(0)
	ds_write_b64 v69, v[70:71]
.LBB33_189:
	s_or_b32 exec_lo, exec_lo, s4
	s_waitcnt lgkmcnt(0)
	s_waitcnt_vscnt null, 0x0
	s_barrier
	buffer_gl0_inv
	s_clause 0x1b
	buffer_load_dword v75, off, s[0:3], 0 offset:104
	buffer_load_dword v76, off, s[0:3], 0 offset:108
	;; [unrolled: 1-line block ×28, first 2 shown]
	v_mov_b32_e32 v70, 0
	s_mov_b32 s4, exec_lo
	ds_read2_b64 v[71:74], v70 offset0:47 offset1:48
	s_clause 0x1
	buffer_load_dword v103, off, s[0:3], 0 offset:216
	buffer_load_dword v104, off, s[0:3], 0 offset:220
	s_waitcnt vmcnt(28) lgkmcnt(0)
	v_fma_f64 v[71:72], v[75:76], v[71:72], 0
	s_clause 0x1
	buffer_load_dword v76, off, s[0:3], 0 offset:228
	buffer_load_dword v75, off, s[0:3], 0 offset:224
	s_waitcnt vmcnt(28)
	v_fma_f64 v[77:78], v[77:78], v[73:74], v[71:72]
	ds_read2_b64 v[71:74], v70 offset0:49 offset1:50
	s_clause 0x1
	buffer_load_dword v105, off, s[0:3], 0 offset:232
	buffer_load_dword v106, off, s[0:3], 0 offset:236
	s_waitcnt vmcnt(28) lgkmcnt(0)
	v_fma_f64 v[71:72], v[79:80], v[71:72], v[77:78]
	s_clause 0x1
	buffer_load_dword v77, off, s[0:3], 0 offset:240
	buffer_load_dword v78, off, s[0:3], 0 offset:244
	s_waitcnt vmcnt(28)
	v_fma_f64 v[79:80], v[81:82], v[73:74], v[71:72]
	;; [unrolled: 11-line block ×4, first 2 shown]
	ds_read2_b64 v[71:74], v70 offset0:55 offset1:56
	s_waitcnt vmcnt(26) lgkmcnt(0)
	v_fma_f64 v[71:72], v[91:92], v[71:72], v[87:88]
	s_waitcnt vmcnt(24)
	v_fma_f64 v[87:88], v[93:94], v[73:74], v[71:72]
	ds_read2_b64 v[71:74], v70 offset0:57 offset1:58
	s_waitcnt vmcnt(22) lgkmcnt(0)
	v_fma_f64 v[71:72], v[95:96], v[71:72], v[87:88]
	s_waitcnt vmcnt(20)
	v_fma_f64 v[87:88], v[97:98], v[73:74], v[71:72]
	;; [unrolled: 5-line block ×6, first 2 shown]
	ds_read_b64 v[73:74], v70 offset:536
	s_waitcnt vmcnt(2) lgkmcnt(0)
	v_fma_f64 v[71:72], v[85:86], v[73:74], v[71:72]
	s_waitcnt vmcnt(0)
	v_add_f64 v[71:72], v[83:84], -v[71:72]
	buffer_store_dword v72, off, s[0:3], 0 offset:100
	buffer_store_dword v71, off, s[0:3], 0 offset:96
	v_cmpx_lt_u32_e32 11, v0
	s_cbranch_execz .LBB33_191
; %bb.190:
	s_clause 0x1
	buffer_load_dword v71, off, s[0:3], 0 offset:88
	buffer_load_dword v72, off, s[0:3], 0 offset:92
	buffer_store_dword v70, off, s[0:3], 0 offset:88
	buffer_store_dword v70, off, s[0:3], 0 offset:92
	s_waitcnt vmcnt(0)
	ds_write_b64 v69, v[71:72]
.LBB33_191:
	s_or_b32 exec_lo, exec_lo, s4
	s_waitcnt lgkmcnt(0)
	s_waitcnt_vscnt null, 0x0
	s_barrier
	buffer_gl0_inv
	s_clause 0x1b
	buffer_load_dword v75, off, s[0:3], 0 offset:96
	buffer_load_dword v76, off, s[0:3], 0 offset:100
	;; [unrolled: 1-line block ×28, first 2 shown]
	ds_read_b128 v[71:74], v70 offset:368
	s_clause 0x1
	buffer_load_dword v103, off, s[0:3], 0 offset:208
	buffer_load_dword v104, off, s[0:3], 0 offset:212
	s_mov_b32 s4, exec_lo
	s_waitcnt vmcnt(28) lgkmcnt(0)
	v_fma_f64 v[71:72], v[75:76], v[71:72], 0
	s_clause 0x1
	buffer_load_dword v76, off, s[0:3], 0 offset:220
	buffer_load_dword v75, off, s[0:3], 0 offset:216
	s_waitcnt vmcnt(28)
	v_fma_f64 v[77:78], v[77:78], v[73:74], v[71:72]
	ds_read_b128 v[71:74], v70 offset:384
	s_clause 0x1
	buffer_load_dword v105, off, s[0:3], 0 offset:224
	buffer_load_dword v106, off, s[0:3], 0 offset:228
	s_waitcnt vmcnt(28) lgkmcnt(0)
	v_fma_f64 v[71:72], v[79:80], v[71:72], v[77:78]
	s_clause 0x1
	buffer_load_dword v77, off, s[0:3], 0 offset:232
	buffer_load_dword v78, off, s[0:3], 0 offset:236
	s_waitcnt vmcnt(28)
	v_fma_f64 v[79:80], v[81:82], v[73:74], v[71:72]
	ds_read_b128 v[71:74], v70 offset:400
	s_clause 0x1
	buffer_load_dword v81, off, s[0:3], 0 offset:240
	buffer_load_dword v82, off, s[0:3], 0 offset:244
	;; [unrolled: 11-line block ×4, first 2 shown]
	s_waitcnt vmcnt(28) lgkmcnt(0)
	v_fma_f64 v[71:72], v[91:92], v[71:72], v[87:88]
	s_waitcnt vmcnt(26)
	v_fma_f64 v[87:88], v[93:94], v[73:74], v[71:72]
	ds_read_b128 v[71:74], v70 offset:448
	s_waitcnt vmcnt(24) lgkmcnt(0)
	v_fma_f64 v[71:72], v[95:96], v[71:72], v[87:88]
	s_waitcnt vmcnt(22)
	v_fma_f64 v[87:88], v[97:98], v[73:74], v[71:72]
	ds_read_b128 v[71:74], v70 offset:464
	;; [unrolled: 5-line block ×6, first 2 shown]
	s_waitcnt vmcnt(4) lgkmcnt(0)
	v_fma_f64 v[70:71], v[85:86], v[70:71], v[74:75]
	s_waitcnt vmcnt(2)
	v_fma_f64 v[70:71], v[83:84], v[72:73], v[70:71]
	s_waitcnt vmcnt(0)
	v_add_f64 v[70:71], v[89:90], -v[70:71]
	buffer_store_dword v71, off, s[0:3], 0 offset:92
	buffer_store_dword v70, off, s[0:3], 0 offset:88
	v_cmpx_lt_u32_e32 10, v0
	s_cbranch_execz .LBB33_193
; %bb.192:
	s_clause 0x1
	buffer_load_dword v70, off, s[0:3], 0 offset:80
	buffer_load_dword v71, off, s[0:3], 0 offset:84
	v_mov_b32_e32 v72, 0
	buffer_store_dword v72, off, s[0:3], 0 offset:80
	buffer_store_dword v72, off, s[0:3], 0 offset:84
	s_waitcnt vmcnt(0)
	ds_write_b64 v69, v[70:71]
.LBB33_193:
	s_or_b32 exec_lo, exec_lo, s4
	s_waitcnt lgkmcnt(0)
	s_waitcnt_vscnt null, 0x0
	s_barrier
	buffer_gl0_inv
	s_clause 0x1b
	buffer_load_dword v75, off, s[0:3], 0 offset:88
	buffer_load_dword v76, off, s[0:3], 0 offset:92
	;; [unrolled: 1-line block ×28, first 2 shown]
	v_mov_b32_e32 v70, 0
	s_mov_b32 s4, exec_lo
	ds_read2_b64 v[71:74], v70 offset0:45 offset1:46
	s_clause 0x1
	buffer_load_dword v103, off, s[0:3], 0 offset:200
	buffer_load_dword v104, off, s[0:3], 0 offset:204
	s_waitcnt vmcnt(28) lgkmcnt(0)
	v_fma_f64 v[71:72], v[75:76], v[71:72], 0
	s_clause 0x1
	buffer_load_dword v76, off, s[0:3], 0 offset:212
	buffer_load_dword v75, off, s[0:3], 0 offset:208
	s_waitcnt vmcnt(28)
	v_fma_f64 v[77:78], v[77:78], v[73:74], v[71:72]
	ds_read2_b64 v[71:74], v70 offset0:47 offset1:48
	s_clause 0x1
	buffer_load_dword v105, off, s[0:3], 0 offset:216
	buffer_load_dword v106, off, s[0:3], 0 offset:220
	s_waitcnt vmcnt(28) lgkmcnt(0)
	v_fma_f64 v[71:72], v[79:80], v[71:72], v[77:78]
	s_clause 0x1
	buffer_load_dword v77, off, s[0:3], 0 offset:224
	buffer_load_dword v78, off, s[0:3], 0 offset:228
	s_waitcnt vmcnt(28)
	v_fma_f64 v[79:80], v[81:82], v[73:74], v[71:72]
	;; [unrolled: 11-line block ×5, first 2 shown]
	ds_read2_b64 v[71:74], v70 offset0:55 offset1:56
	s_waitcnt vmcnt(26) lgkmcnt(0)
	v_fma_f64 v[71:72], v[95:96], v[71:72], v[91:92]
	s_waitcnt vmcnt(24)
	v_fma_f64 v[91:92], v[97:98], v[73:74], v[71:72]
	ds_read2_b64 v[71:74], v70 offset0:57 offset1:58
	s_waitcnt vmcnt(22) lgkmcnt(0)
	v_fma_f64 v[71:72], v[99:100], v[71:72], v[91:92]
	s_waitcnt vmcnt(20)
	v_fma_f64 v[91:92], v[101:102], v[73:74], v[71:72]
	ds_read2_b64 v[71:74], v70 offset0:59 offset1:60
	s_waitcnt vmcnt(18) lgkmcnt(0)
	v_fma_f64 v[71:72], v[103:104], v[71:72], v[91:92]
	s_waitcnt vmcnt(16)
	v_fma_f64 v[75:76], v[75:76], v[73:74], v[71:72]
	ds_read2_b64 v[71:74], v70 offset0:61 offset1:62
	s_waitcnt vmcnt(14) lgkmcnt(0)
	v_fma_f64 v[71:72], v[105:106], v[71:72], v[75:76]
	s_waitcnt vmcnt(12)
	v_fma_f64 v[75:76], v[77:78], v[73:74], v[71:72]
	ds_read2_b64 v[71:74], v70 offset0:63 offset1:64
	s_waitcnt vmcnt(10) lgkmcnt(0)
	v_fma_f64 v[71:72], v[81:82], v[71:72], v[75:76]
	s_waitcnt vmcnt(8)
	v_fma_f64 v[75:76], v[79:80], v[73:74], v[71:72]
	ds_read2_b64 v[71:74], v70 offset0:65 offset1:66
	s_waitcnt vmcnt(6) lgkmcnt(0)
	v_fma_f64 v[71:72], v[85:86], v[71:72], v[75:76]
	s_waitcnt vmcnt(4)
	v_fma_f64 v[71:72], v[83:84], v[73:74], v[71:72]
	ds_read_b64 v[73:74], v70 offset:536
	s_waitcnt vmcnt(2) lgkmcnt(0)
	v_fma_f64 v[71:72], v[89:90], v[73:74], v[71:72]
	s_waitcnt vmcnt(0)
	v_add_f64 v[71:72], v[87:88], -v[71:72]
	buffer_store_dword v72, off, s[0:3], 0 offset:84
	buffer_store_dword v71, off, s[0:3], 0 offset:80
	v_cmpx_lt_u32_e32 9, v0
	s_cbranch_execz .LBB33_195
; %bb.194:
	s_clause 0x1
	buffer_load_dword v71, off, s[0:3], 0 offset:72
	buffer_load_dword v72, off, s[0:3], 0 offset:76
	buffer_store_dword v70, off, s[0:3], 0 offset:72
	buffer_store_dword v70, off, s[0:3], 0 offset:76
	s_waitcnt vmcnt(0)
	ds_write_b64 v69, v[71:72]
.LBB33_195:
	s_or_b32 exec_lo, exec_lo, s4
	s_waitcnt lgkmcnt(0)
	s_waitcnt_vscnt null, 0x0
	s_barrier
	buffer_gl0_inv
	s_clause 0x1b
	buffer_load_dword v75, off, s[0:3], 0 offset:80
	buffer_load_dword v76, off, s[0:3], 0 offset:84
	buffer_load_dword v77, off, s[0:3], 0 offset:88
	buffer_load_dword v78, off, s[0:3], 0 offset:92
	buffer_load_dword v79, off, s[0:3], 0 offset:96
	buffer_load_dword v80, off, s[0:3], 0 offset:100
	buffer_load_dword v81, off, s[0:3], 0 offset:104
	buffer_load_dword v82, off, s[0:3], 0 offset:108
	buffer_load_dword v83, off, s[0:3], 0 offset:112
	buffer_load_dword v84, off, s[0:3], 0 offset:116
	buffer_load_dword v85, off, s[0:3], 0 offset:120
	buffer_load_dword v86, off, s[0:3], 0 offset:124
	buffer_load_dword v87, off, s[0:3], 0 offset:128
	buffer_load_dword v88, off, s[0:3], 0 offset:132
	buffer_load_dword v90, off, s[0:3], 0 offset:140
	buffer_load_dword v89, off, s[0:3], 0 offset:136
	buffer_load_dword v91, off, s[0:3], 0 offset:144
	buffer_load_dword v92, off, s[0:3], 0 offset:148
	buffer_load_dword v93, off, s[0:3], 0 offset:152
	buffer_load_dword v94, off, s[0:3], 0 offset:156
	buffer_load_dword v95, off, s[0:3], 0 offset:160
	buffer_load_dword v96, off, s[0:3], 0 offset:164
	buffer_load_dword v98, off, s[0:3], 0 offset:172
	buffer_load_dword v97, off, s[0:3], 0 offset:168
	buffer_load_dword v99, off, s[0:3], 0 offset:176
	buffer_load_dword v100, off, s[0:3], 0 offset:180
	buffer_load_dword v101, off, s[0:3], 0 offset:184
	buffer_load_dword v102, off, s[0:3], 0 offset:188
	ds_read_b128 v[71:74], v70 offset:352
	s_clause 0x1
	buffer_load_dword v103, off, s[0:3], 0 offset:192
	buffer_load_dword v104, off, s[0:3], 0 offset:196
	s_mov_b32 s4, exec_lo
	s_waitcnt vmcnt(28) lgkmcnt(0)
	v_fma_f64 v[71:72], v[75:76], v[71:72], 0
	s_clause 0x1
	buffer_load_dword v76, off, s[0:3], 0 offset:204
	buffer_load_dword v75, off, s[0:3], 0 offset:200
	s_waitcnt vmcnt(28)
	v_fma_f64 v[77:78], v[77:78], v[73:74], v[71:72]
	ds_read_b128 v[71:74], v70 offset:368
	s_clause 0x1
	buffer_load_dword v105, off, s[0:3], 0 offset:208
	buffer_load_dword v106, off, s[0:3], 0 offset:212
	s_waitcnt vmcnt(28) lgkmcnt(0)
	v_fma_f64 v[71:72], v[79:80], v[71:72], v[77:78]
	s_clause 0x1
	buffer_load_dword v77, off, s[0:3], 0 offset:216
	buffer_load_dword v78, off, s[0:3], 0 offset:220
	s_waitcnt vmcnt(28)
	v_fma_f64 v[79:80], v[81:82], v[73:74], v[71:72]
	ds_read_b128 v[71:74], v70 offset:384
	s_clause 0x1
	buffer_load_dword v81, off, s[0:3], 0 offset:224
	buffer_load_dword v82, off, s[0:3], 0 offset:228
	;; [unrolled: 11-line block ×5, first 2 shown]
	s_waitcnt vmcnt(28) lgkmcnt(0)
	v_fma_f64 v[71:72], v[95:96], v[71:72], v[91:92]
	s_waitcnt vmcnt(26)
	v_fma_f64 v[91:92], v[97:98], v[73:74], v[71:72]
	ds_read_b128 v[71:74], v70 offset:448
	s_waitcnt vmcnt(24) lgkmcnt(0)
	v_fma_f64 v[71:72], v[99:100], v[71:72], v[91:92]
	s_waitcnt vmcnt(22)
	v_fma_f64 v[91:92], v[101:102], v[73:74], v[71:72]
	ds_read_b128 v[71:74], v70 offset:464
	s_waitcnt vmcnt(20) lgkmcnt(0)
	v_fma_f64 v[71:72], v[103:104], v[71:72], v[91:92]
	s_waitcnt vmcnt(18)
	v_fma_f64 v[75:76], v[75:76], v[73:74], v[71:72]
	ds_read_b128 v[71:74], v70 offset:480
	s_waitcnt vmcnt(16) lgkmcnt(0)
	v_fma_f64 v[71:72], v[105:106], v[71:72], v[75:76]
	s_waitcnt vmcnt(14)
	v_fma_f64 v[75:76], v[77:78], v[73:74], v[71:72]
	ds_read_b128 v[71:74], v70 offset:496
	s_waitcnt vmcnt(12) lgkmcnt(0)
	v_fma_f64 v[71:72], v[81:82], v[71:72], v[75:76]
	s_waitcnt vmcnt(10)
	v_fma_f64 v[75:76], v[79:80], v[73:74], v[71:72]
	ds_read_b128 v[71:74], v70 offset:512
	s_waitcnt vmcnt(8) lgkmcnt(0)
	v_fma_f64 v[71:72], v[85:86], v[71:72], v[75:76]
	s_waitcnt vmcnt(6)
	v_fma_f64 v[74:75], v[83:84], v[73:74], v[71:72]
	ds_read_b128 v[70:73], v70 offset:528
	s_waitcnt vmcnt(4) lgkmcnt(0)
	v_fma_f64 v[70:71], v[89:90], v[70:71], v[74:75]
	s_waitcnt vmcnt(2)
	v_fma_f64 v[70:71], v[87:88], v[72:73], v[70:71]
	s_waitcnt vmcnt(0)
	v_add_f64 v[70:71], v[93:94], -v[70:71]
	buffer_store_dword v71, off, s[0:3], 0 offset:76
	buffer_store_dword v70, off, s[0:3], 0 offset:72
	v_cmpx_lt_u32_e32 8, v0
	s_cbranch_execz .LBB33_197
; %bb.196:
	s_clause 0x1
	buffer_load_dword v70, off, s[0:3], 0 offset:64
	buffer_load_dword v71, off, s[0:3], 0 offset:68
	v_mov_b32_e32 v72, 0
	buffer_store_dword v72, off, s[0:3], 0 offset:64
	buffer_store_dword v72, off, s[0:3], 0 offset:68
	s_waitcnt vmcnt(0)
	ds_write_b64 v69, v[70:71]
.LBB33_197:
	s_or_b32 exec_lo, exec_lo, s4
	s_waitcnt lgkmcnt(0)
	s_waitcnt_vscnt null, 0x0
	s_barrier
	buffer_gl0_inv
	s_clause 0x1b
	buffer_load_dword v75, off, s[0:3], 0 offset:72
	buffer_load_dword v76, off, s[0:3], 0 offset:76
	;; [unrolled: 1-line block ×28, first 2 shown]
	v_mov_b32_e32 v70, 0
	s_mov_b32 s4, exec_lo
	ds_read2_b64 v[71:74], v70 offset0:43 offset1:44
	s_clause 0x1
	buffer_load_dword v103, off, s[0:3], 0 offset:184
	buffer_load_dword v104, off, s[0:3], 0 offset:188
	s_waitcnt vmcnt(28) lgkmcnt(0)
	v_fma_f64 v[71:72], v[75:76], v[71:72], 0
	s_clause 0x1
	buffer_load_dword v76, off, s[0:3], 0 offset:196
	buffer_load_dword v75, off, s[0:3], 0 offset:192
	s_waitcnt vmcnt(28)
	v_fma_f64 v[77:78], v[77:78], v[73:74], v[71:72]
	ds_read2_b64 v[71:74], v70 offset0:45 offset1:46
	s_clause 0x1
	buffer_load_dword v105, off, s[0:3], 0 offset:200
	buffer_load_dword v106, off, s[0:3], 0 offset:204
	s_waitcnt vmcnt(28) lgkmcnt(0)
	v_fma_f64 v[71:72], v[79:80], v[71:72], v[77:78]
	s_clause 0x1
	buffer_load_dword v77, off, s[0:3], 0 offset:208
	buffer_load_dword v78, off, s[0:3], 0 offset:212
	s_waitcnt vmcnt(28)
	v_fma_f64 v[79:80], v[81:82], v[73:74], v[71:72]
	;; [unrolled: 11-line block ×6, first 2 shown]
	ds_read2_b64 v[71:74], v70 offset0:55 offset1:56
	s_waitcnt vmcnt(26) lgkmcnt(0)
	v_fma_f64 v[71:72], v[99:100], v[71:72], v[95:96]
	s_waitcnt vmcnt(24)
	v_fma_f64 v[95:96], v[101:102], v[73:74], v[71:72]
	ds_read2_b64 v[71:74], v70 offset0:57 offset1:58
	s_waitcnt vmcnt(22) lgkmcnt(0)
	v_fma_f64 v[71:72], v[103:104], v[71:72], v[95:96]
	s_waitcnt vmcnt(20)
	v_fma_f64 v[75:76], v[75:76], v[73:74], v[71:72]
	;; [unrolled: 5-line block ×6, first 2 shown]
	ds_read_b64 v[73:74], v70 offset:536
	s_waitcnt vmcnt(2) lgkmcnt(0)
	v_fma_f64 v[71:72], v[93:94], v[73:74], v[71:72]
	s_waitcnt vmcnt(0)
	v_add_f64 v[71:72], v[91:92], -v[71:72]
	buffer_store_dword v72, off, s[0:3], 0 offset:68
	buffer_store_dword v71, off, s[0:3], 0 offset:64
	v_cmpx_lt_u32_e32 7, v0
	s_cbranch_execz .LBB33_199
; %bb.198:
	s_clause 0x1
	buffer_load_dword v71, off, s[0:3], 0 offset:56
	buffer_load_dword v72, off, s[0:3], 0 offset:60
	buffer_store_dword v70, off, s[0:3], 0 offset:56
	buffer_store_dword v70, off, s[0:3], 0 offset:60
	s_waitcnt vmcnt(0)
	ds_write_b64 v69, v[71:72]
.LBB33_199:
	s_or_b32 exec_lo, exec_lo, s4
	s_waitcnt lgkmcnt(0)
	s_waitcnt_vscnt null, 0x0
	s_barrier
	buffer_gl0_inv
	s_clause 0x1b
	buffer_load_dword v75, off, s[0:3], 0 offset:64
	buffer_load_dword v76, off, s[0:3], 0 offset:68
	;; [unrolled: 1-line block ×28, first 2 shown]
	ds_read_b128 v[71:74], v70 offset:336
	s_clause 0x1
	buffer_load_dword v103, off, s[0:3], 0 offset:176
	buffer_load_dword v104, off, s[0:3], 0 offset:180
	s_mov_b32 s4, exec_lo
	s_waitcnt vmcnt(28) lgkmcnt(0)
	v_fma_f64 v[71:72], v[75:76], v[71:72], 0
	s_clause 0x1
	buffer_load_dword v76, off, s[0:3], 0 offset:188
	buffer_load_dword v75, off, s[0:3], 0 offset:184
	s_waitcnt vmcnt(28)
	v_fma_f64 v[77:78], v[77:78], v[73:74], v[71:72]
	ds_read_b128 v[71:74], v70 offset:352
	s_clause 0x1
	buffer_load_dword v105, off, s[0:3], 0 offset:192
	buffer_load_dword v106, off, s[0:3], 0 offset:196
	s_waitcnt vmcnt(28) lgkmcnt(0)
	v_fma_f64 v[71:72], v[79:80], v[71:72], v[77:78]
	s_clause 0x1
	buffer_load_dword v77, off, s[0:3], 0 offset:200
	buffer_load_dword v78, off, s[0:3], 0 offset:204
	s_waitcnt vmcnt(28)
	v_fma_f64 v[79:80], v[81:82], v[73:74], v[71:72]
	ds_read_b128 v[71:74], v70 offset:368
	s_clause 0x1
	buffer_load_dword v81, off, s[0:3], 0 offset:208
	buffer_load_dword v82, off, s[0:3], 0 offset:212
	;; [unrolled: 11-line block ×6, first 2 shown]
	s_waitcnt vmcnt(28) lgkmcnt(0)
	v_fma_f64 v[71:72], v[99:100], v[71:72], v[95:96]
	s_waitcnt vmcnt(26)
	v_fma_f64 v[95:96], v[101:102], v[73:74], v[71:72]
	ds_read_b128 v[71:74], v70 offset:448
	s_waitcnt vmcnt(24) lgkmcnt(0)
	v_fma_f64 v[71:72], v[103:104], v[71:72], v[95:96]
	s_waitcnt vmcnt(22)
	v_fma_f64 v[75:76], v[75:76], v[73:74], v[71:72]
	ds_read_b128 v[71:74], v70 offset:464
	;; [unrolled: 5-line block ×6, first 2 shown]
	s_waitcnt vmcnt(4) lgkmcnt(0)
	v_fma_f64 v[70:71], v[93:94], v[70:71], v[74:75]
	s_waitcnt vmcnt(2)
	v_fma_f64 v[70:71], v[91:92], v[72:73], v[70:71]
	s_waitcnt vmcnt(0)
	v_add_f64 v[70:71], v[97:98], -v[70:71]
	buffer_store_dword v71, off, s[0:3], 0 offset:60
	buffer_store_dword v70, off, s[0:3], 0 offset:56
	v_cmpx_lt_u32_e32 6, v0
	s_cbranch_execz .LBB33_201
; %bb.200:
	s_clause 0x1
	buffer_load_dword v70, off, s[0:3], 0 offset:48
	buffer_load_dword v71, off, s[0:3], 0 offset:52
	v_mov_b32_e32 v72, 0
	buffer_store_dword v72, off, s[0:3], 0 offset:48
	buffer_store_dword v72, off, s[0:3], 0 offset:52
	s_waitcnt vmcnt(0)
	ds_write_b64 v69, v[70:71]
.LBB33_201:
	s_or_b32 exec_lo, exec_lo, s4
	s_waitcnt lgkmcnt(0)
	s_waitcnt_vscnt null, 0x0
	s_barrier
	buffer_gl0_inv
	s_clause 0x1b
	buffer_load_dword v75, off, s[0:3], 0 offset:56
	buffer_load_dword v76, off, s[0:3], 0 offset:60
	;; [unrolled: 1-line block ×28, first 2 shown]
	v_mov_b32_e32 v70, 0
	s_mov_b32 s4, exec_lo
	ds_read2_b64 v[71:74], v70 offset0:41 offset1:42
	s_clause 0x1
	buffer_load_dword v103, off, s[0:3], 0 offset:168
	buffer_load_dword v104, off, s[0:3], 0 offset:172
	s_waitcnt vmcnt(28) lgkmcnt(0)
	v_fma_f64 v[71:72], v[75:76], v[71:72], 0
	s_clause 0x1
	buffer_load_dword v76, off, s[0:3], 0 offset:180
	buffer_load_dword v75, off, s[0:3], 0 offset:176
	s_waitcnt vmcnt(28)
	v_fma_f64 v[77:78], v[77:78], v[73:74], v[71:72]
	ds_read2_b64 v[71:74], v70 offset0:43 offset1:44
	s_clause 0x1
	buffer_load_dword v105, off, s[0:3], 0 offset:184
	buffer_load_dword v106, off, s[0:3], 0 offset:188
	s_waitcnt vmcnt(28) lgkmcnt(0)
	v_fma_f64 v[71:72], v[79:80], v[71:72], v[77:78]
	s_clause 0x1
	buffer_load_dword v77, off, s[0:3], 0 offset:192
	buffer_load_dword v78, off, s[0:3], 0 offset:196
	s_waitcnt vmcnt(28)
	v_fma_f64 v[79:80], v[81:82], v[73:74], v[71:72]
	;; [unrolled: 11-line block ×7, first 2 shown]
	ds_read2_b64 v[71:74], v70 offset0:55 offset1:56
	s_waitcnt vmcnt(26) lgkmcnt(0)
	v_fma_f64 v[71:72], v[103:104], v[71:72], v[99:100]
	s_waitcnt vmcnt(24)
	v_fma_f64 v[75:76], v[75:76], v[73:74], v[71:72]
	ds_read2_b64 v[71:74], v70 offset0:57 offset1:58
	s_waitcnt vmcnt(22) lgkmcnt(0)
	v_fma_f64 v[71:72], v[105:106], v[71:72], v[75:76]
	s_waitcnt vmcnt(20)
	v_fma_f64 v[75:76], v[77:78], v[73:74], v[71:72]
	;; [unrolled: 5-line block ×6, first 2 shown]
	ds_read_b64 v[73:74], v70 offset:536
	s_waitcnt vmcnt(2) lgkmcnt(0)
	v_fma_f64 v[71:72], v[97:98], v[73:74], v[71:72]
	s_waitcnt vmcnt(0)
	v_add_f64 v[71:72], v[95:96], -v[71:72]
	buffer_store_dword v72, off, s[0:3], 0 offset:52
	buffer_store_dword v71, off, s[0:3], 0 offset:48
	v_cmpx_lt_u32_e32 5, v0
	s_cbranch_execz .LBB33_203
; %bb.202:
	s_clause 0x1
	buffer_load_dword v71, off, s[0:3], 0 offset:40
	buffer_load_dword v72, off, s[0:3], 0 offset:44
	buffer_store_dword v70, off, s[0:3], 0 offset:40
	buffer_store_dword v70, off, s[0:3], 0 offset:44
	s_waitcnt vmcnt(0)
	ds_write_b64 v69, v[71:72]
.LBB33_203:
	s_or_b32 exec_lo, exec_lo, s4
	s_waitcnt lgkmcnt(0)
	s_waitcnt_vscnt null, 0x0
	s_barrier
	buffer_gl0_inv
	s_clause 0x1b
	buffer_load_dword v75, off, s[0:3], 0 offset:48
	buffer_load_dword v76, off, s[0:3], 0 offset:52
	;; [unrolled: 1-line block ×28, first 2 shown]
	ds_read_b128 v[71:74], v70 offset:320
	s_clause 0x1
	buffer_load_dword v103, off, s[0:3], 0 offset:160
	buffer_load_dword v104, off, s[0:3], 0 offset:164
	s_mov_b32 s4, exec_lo
	s_waitcnt vmcnt(28) lgkmcnt(0)
	v_fma_f64 v[71:72], v[75:76], v[71:72], 0
	s_clause 0x1
	buffer_load_dword v76, off, s[0:3], 0 offset:172
	buffer_load_dword v75, off, s[0:3], 0 offset:168
	s_waitcnt vmcnt(28)
	v_fma_f64 v[77:78], v[77:78], v[73:74], v[71:72]
	ds_read_b128 v[71:74], v70 offset:336
	s_clause 0x1
	buffer_load_dword v105, off, s[0:3], 0 offset:176
	buffer_load_dword v106, off, s[0:3], 0 offset:180
	s_waitcnt vmcnt(28) lgkmcnt(0)
	v_fma_f64 v[71:72], v[79:80], v[71:72], v[77:78]
	s_clause 0x1
	buffer_load_dword v77, off, s[0:3], 0 offset:184
	buffer_load_dword v78, off, s[0:3], 0 offset:188
	s_waitcnt vmcnt(28)
	v_fma_f64 v[79:80], v[81:82], v[73:74], v[71:72]
	ds_read_b128 v[71:74], v70 offset:352
	s_clause 0x1
	buffer_load_dword v81, off, s[0:3], 0 offset:192
	buffer_load_dword v82, off, s[0:3], 0 offset:196
	;; [unrolled: 11-line block ×7, first 2 shown]
	s_waitcnt vmcnt(28) lgkmcnt(0)
	v_fma_f64 v[71:72], v[103:104], v[71:72], v[99:100]
	s_waitcnt vmcnt(26)
	v_fma_f64 v[75:76], v[75:76], v[73:74], v[71:72]
	ds_read_b128 v[71:74], v70 offset:448
	s_waitcnt vmcnt(24) lgkmcnt(0)
	v_fma_f64 v[71:72], v[105:106], v[71:72], v[75:76]
	s_waitcnt vmcnt(22)
	v_fma_f64 v[75:76], v[77:78], v[73:74], v[71:72]
	ds_read_b128 v[71:74], v70 offset:464
	;; [unrolled: 5-line block ×6, first 2 shown]
	s_waitcnt vmcnt(4) lgkmcnt(0)
	v_fma_f64 v[70:71], v[97:98], v[70:71], v[74:75]
	s_waitcnt vmcnt(2)
	v_fma_f64 v[70:71], v[95:96], v[72:73], v[70:71]
	s_waitcnt vmcnt(0)
	v_add_f64 v[70:71], v[101:102], -v[70:71]
	buffer_store_dword v71, off, s[0:3], 0 offset:44
	buffer_store_dword v70, off, s[0:3], 0 offset:40
	v_cmpx_lt_u32_e32 4, v0
	s_cbranch_execz .LBB33_205
; %bb.204:
	s_clause 0x1
	buffer_load_dword v70, off, s[0:3], 0 offset:32
	buffer_load_dword v71, off, s[0:3], 0 offset:36
	v_mov_b32_e32 v72, 0
	buffer_store_dword v72, off, s[0:3], 0 offset:32
	buffer_store_dword v72, off, s[0:3], 0 offset:36
	s_waitcnt vmcnt(0)
	ds_write_b64 v69, v[70:71]
.LBB33_205:
	s_or_b32 exec_lo, exec_lo, s4
	s_waitcnt lgkmcnt(0)
	s_waitcnt_vscnt null, 0x0
	s_barrier
	buffer_gl0_inv
	s_clause 0x1b
	buffer_load_dword v75, off, s[0:3], 0 offset:40
	buffer_load_dword v76, off, s[0:3], 0 offset:44
	;; [unrolled: 1-line block ×28, first 2 shown]
	v_mov_b32_e32 v70, 0
	s_mov_b32 s4, exec_lo
	ds_read2_b64 v[71:74], v70 offset0:39 offset1:40
	s_clause 0x1
	buffer_load_dword v103, off, s[0:3], 0 offset:152
	buffer_load_dword v104, off, s[0:3], 0 offset:156
	s_waitcnt vmcnt(28) lgkmcnt(0)
	v_fma_f64 v[71:72], v[75:76], v[71:72], 0
	s_clause 0x1
	buffer_load_dword v76, off, s[0:3], 0 offset:164
	buffer_load_dword v75, off, s[0:3], 0 offset:160
	s_waitcnt vmcnt(28)
	v_fma_f64 v[77:78], v[77:78], v[73:74], v[71:72]
	ds_read2_b64 v[71:74], v70 offset0:41 offset1:42
	s_clause 0x1
	buffer_load_dword v105, off, s[0:3], 0 offset:168
	buffer_load_dword v106, off, s[0:3], 0 offset:172
	s_waitcnt vmcnt(28) lgkmcnt(0)
	v_fma_f64 v[71:72], v[79:80], v[71:72], v[77:78]
	s_clause 0x1
	buffer_load_dword v77, off, s[0:3], 0 offset:176
	buffer_load_dword v78, off, s[0:3], 0 offset:180
	s_waitcnt vmcnt(28)
	v_fma_f64 v[79:80], v[81:82], v[73:74], v[71:72]
	;; [unrolled: 11-line block ×8, first 2 shown]
	ds_read2_b64 v[71:74], v70 offset0:55 offset1:56
	s_waitcnt vmcnt(26) lgkmcnt(0)
	v_fma_f64 v[71:72], v[105:106], v[71:72], v[75:76]
	s_waitcnt vmcnt(24)
	v_fma_f64 v[75:76], v[77:78], v[73:74], v[71:72]
	ds_read2_b64 v[71:74], v70 offset0:57 offset1:58
	s_waitcnt vmcnt(22) lgkmcnt(0)
	v_fma_f64 v[71:72], v[81:82], v[71:72], v[75:76]
	s_waitcnt vmcnt(20)
	v_fma_f64 v[75:76], v[79:80], v[73:74], v[71:72]
	;; [unrolled: 5-line block ×6, first 2 shown]
	ds_read_b64 v[73:74], v70 offset:536
	s_waitcnt vmcnt(2) lgkmcnt(0)
	v_fma_f64 v[71:72], v[101:102], v[73:74], v[71:72]
	s_waitcnt vmcnt(0)
	v_add_f64 v[71:72], v[99:100], -v[71:72]
	buffer_store_dword v72, off, s[0:3], 0 offset:36
	buffer_store_dword v71, off, s[0:3], 0 offset:32
	v_cmpx_lt_u32_e32 3, v0
	s_cbranch_execz .LBB33_207
; %bb.206:
	s_clause 0x1
	buffer_load_dword v71, off, s[0:3], 0 offset:24
	buffer_load_dword v72, off, s[0:3], 0 offset:28
	buffer_store_dword v70, off, s[0:3], 0 offset:24
	buffer_store_dword v70, off, s[0:3], 0 offset:28
	s_waitcnt vmcnt(0)
	ds_write_b64 v69, v[71:72]
.LBB33_207:
	s_or_b32 exec_lo, exec_lo, s4
	s_waitcnt lgkmcnt(0)
	s_waitcnt_vscnt null, 0x0
	s_barrier
	buffer_gl0_inv
	s_clause 0x1b
	buffer_load_dword v75, off, s[0:3], 0 offset:32
	buffer_load_dword v76, off, s[0:3], 0 offset:36
	;; [unrolled: 1-line block ×28, first 2 shown]
	ds_read_b128 v[71:74], v70 offset:304
	s_clause 0x1
	buffer_load_dword v103, off, s[0:3], 0 offset:144
	buffer_load_dword v104, off, s[0:3], 0 offset:148
	s_mov_b32 s4, exec_lo
	s_waitcnt vmcnt(28) lgkmcnt(0)
	v_fma_f64 v[71:72], v[75:76], v[71:72], 0
	s_clause 0x1
	buffer_load_dword v76, off, s[0:3], 0 offset:156
	buffer_load_dword v75, off, s[0:3], 0 offset:152
	s_waitcnt vmcnt(28)
	v_fma_f64 v[77:78], v[77:78], v[73:74], v[71:72]
	ds_read_b128 v[71:74], v70 offset:320
	s_clause 0x1
	buffer_load_dword v105, off, s[0:3], 0 offset:160
	buffer_load_dword v106, off, s[0:3], 0 offset:164
	s_waitcnt vmcnt(28) lgkmcnt(0)
	v_fma_f64 v[71:72], v[79:80], v[71:72], v[77:78]
	s_clause 0x1
	buffer_load_dword v77, off, s[0:3], 0 offset:168
	buffer_load_dword v78, off, s[0:3], 0 offset:172
	s_waitcnt vmcnt(28)
	v_fma_f64 v[79:80], v[81:82], v[73:74], v[71:72]
	ds_read_b128 v[71:74], v70 offset:336
	s_clause 0x1
	buffer_load_dword v81, off, s[0:3], 0 offset:176
	buffer_load_dword v82, off, s[0:3], 0 offset:180
	;; [unrolled: 11-line block ×8, first 2 shown]
	s_waitcnt vmcnt(28) lgkmcnt(0)
	v_fma_f64 v[71:72], v[105:106], v[71:72], v[75:76]
	s_waitcnt vmcnt(26)
	v_fma_f64 v[75:76], v[77:78], v[73:74], v[71:72]
	ds_read_b128 v[71:74], v70 offset:448
	s_waitcnt vmcnt(24) lgkmcnt(0)
	v_fma_f64 v[71:72], v[81:82], v[71:72], v[75:76]
	s_waitcnt vmcnt(22)
	v_fma_f64 v[75:76], v[79:80], v[73:74], v[71:72]
	ds_read_b128 v[71:74], v70 offset:464
	;; [unrolled: 5-line block ×6, first 2 shown]
	s_waitcnt vmcnt(4) lgkmcnt(0)
	v_fma_f64 v[70:71], v[101:102], v[70:71], v[74:75]
	s_waitcnt vmcnt(2)
	v_fma_f64 v[70:71], v[99:100], v[72:73], v[70:71]
	s_waitcnt vmcnt(0)
	v_add_f64 v[70:71], v[103:104], -v[70:71]
	buffer_store_dword v71, off, s[0:3], 0 offset:28
	buffer_store_dword v70, off, s[0:3], 0 offset:24
	v_cmpx_lt_u32_e32 2, v0
	s_cbranch_execz .LBB33_209
; %bb.208:
	s_clause 0x1
	buffer_load_dword v70, off, s[0:3], 0 offset:16
	buffer_load_dword v71, off, s[0:3], 0 offset:20
	v_mov_b32_e32 v72, 0
	buffer_store_dword v72, off, s[0:3], 0 offset:16
	buffer_store_dword v72, off, s[0:3], 0 offset:20
	s_waitcnt vmcnt(0)
	ds_write_b64 v69, v[70:71]
.LBB33_209:
	s_or_b32 exec_lo, exec_lo, s4
	s_waitcnt lgkmcnt(0)
	s_waitcnt_vscnt null, 0x0
	s_barrier
	buffer_gl0_inv
	s_clause 0x1b
	buffer_load_dword v75, off, s[0:3], 0 offset:24
	buffer_load_dword v76, off, s[0:3], 0 offset:28
	;; [unrolled: 1-line block ×28, first 2 shown]
	v_mov_b32_e32 v70, 0
	s_mov_b32 s4, exec_lo
	ds_read2_b64 v[71:74], v70 offset0:37 offset1:38
	s_clause 0x1
	buffer_load_dword v103, off, s[0:3], 0 offset:136
	buffer_load_dword v104, off, s[0:3], 0 offset:140
	s_waitcnt vmcnt(28) lgkmcnt(0)
	v_fma_f64 v[71:72], v[75:76], v[71:72], 0
	s_clause 0x1
	buffer_load_dword v76, off, s[0:3], 0 offset:148
	buffer_load_dword v75, off, s[0:3], 0 offset:144
	s_waitcnt vmcnt(28)
	v_fma_f64 v[77:78], v[77:78], v[73:74], v[71:72]
	ds_read2_b64 v[71:74], v70 offset0:39 offset1:40
	s_clause 0x1
	buffer_load_dword v105, off, s[0:3], 0 offset:152
	buffer_load_dword v106, off, s[0:3], 0 offset:156
	s_waitcnt vmcnt(28) lgkmcnt(0)
	v_fma_f64 v[71:72], v[79:80], v[71:72], v[77:78]
	s_clause 0x1
	buffer_load_dword v77, off, s[0:3], 0 offset:160
	buffer_load_dword v78, off, s[0:3], 0 offset:164
	s_waitcnt vmcnt(28)
	v_fma_f64 v[79:80], v[81:82], v[73:74], v[71:72]
	;; [unrolled: 11-line block ×9, first 2 shown]
	ds_read2_b64 v[71:74], v70 offset0:55 offset1:56
	s_waitcnt vmcnt(26) lgkmcnt(0)
	v_fma_f64 v[71:72], v[81:82], v[71:72], v[77:78]
	s_waitcnt vmcnt(24)
	v_fma_f64 v[77:78], v[79:80], v[73:74], v[71:72]
	ds_read2_b64 v[71:74], v70 offset0:57 offset1:58
	s_waitcnt vmcnt(22) lgkmcnt(0)
	v_fma_f64 v[71:72], v[85:86], v[71:72], v[77:78]
	s_waitcnt vmcnt(20)
	v_fma_f64 v[77:78], v[83:84], v[73:74], v[71:72]
	;; [unrolled: 5-line block ×6, first 2 shown]
	ds_read_b64 v[73:74], v70 offset:536
	s_waitcnt vmcnt(2) lgkmcnt(0)
	v_fma_f64 v[71:72], v[103:104], v[73:74], v[71:72]
	s_waitcnt vmcnt(0)
	v_add_f64 v[71:72], v[75:76], -v[71:72]
	buffer_store_dword v72, off, s[0:3], 0 offset:20
	buffer_store_dword v71, off, s[0:3], 0 offset:16
	v_cmpx_lt_u32_e32 1, v0
	s_cbranch_execz .LBB33_211
; %bb.210:
	s_clause 0x1
	buffer_load_dword v71, off, s[0:3], 0 offset:8
	buffer_load_dword v72, off, s[0:3], 0 offset:12
	buffer_store_dword v70, off, s[0:3], 0 offset:8
	buffer_store_dword v70, off, s[0:3], 0 offset:12
	s_waitcnt vmcnt(0)
	ds_write_b64 v69, v[71:72]
.LBB33_211:
	s_or_b32 exec_lo, exec_lo, s4
	s_waitcnt lgkmcnt(0)
	s_waitcnt_vscnt null, 0x0
	s_barrier
	buffer_gl0_inv
	s_clause 0x1b
	buffer_load_dword v75, off, s[0:3], 0 offset:16
	buffer_load_dword v76, off, s[0:3], 0 offset:20
	;; [unrolled: 1-line block ×28, first 2 shown]
	ds_read_b128 v[71:74], v70 offset:288
	s_clause 0x1
	buffer_load_dword v103, off, s[0:3], 0 offset:128
	buffer_load_dword v104, off, s[0:3], 0 offset:132
	s_mov_b32 s4, exec_lo
	s_waitcnt vmcnt(28) lgkmcnt(0)
	v_fma_f64 v[71:72], v[75:76], v[71:72], 0
	s_clause 0x1
	buffer_load_dword v76, off, s[0:3], 0 offset:140
	buffer_load_dword v75, off, s[0:3], 0 offset:136
	s_waitcnt vmcnt(28)
	v_fma_f64 v[77:78], v[77:78], v[73:74], v[71:72]
	ds_read_b128 v[71:74], v70 offset:304
	s_clause 0x1
	buffer_load_dword v105, off, s[0:3], 0 offset:144
	buffer_load_dword v106, off, s[0:3], 0 offset:148
	s_waitcnt vmcnt(28) lgkmcnt(0)
	v_fma_f64 v[71:72], v[79:80], v[71:72], v[77:78]
	s_clause 0x1
	buffer_load_dword v77, off, s[0:3], 0 offset:152
	buffer_load_dword v78, off, s[0:3], 0 offset:156
	s_waitcnt vmcnt(28)
	v_fma_f64 v[79:80], v[81:82], v[73:74], v[71:72]
	ds_read_b128 v[71:74], v70 offset:320
	s_clause 0x1
	buffer_load_dword v81, off, s[0:3], 0 offset:160
	buffer_load_dword v82, off, s[0:3], 0 offset:164
	;; [unrolled: 11-line block ×9, first 2 shown]
	s_waitcnt vmcnt(28) lgkmcnt(0)
	v_fma_f64 v[71:72], v[81:82], v[71:72], v[77:78]
	s_waitcnt vmcnt(26)
	v_fma_f64 v[77:78], v[79:80], v[73:74], v[71:72]
	ds_read_b128 v[71:74], v70 offset:448
	s_waitcnt vmcnt(24) lgkmcnt(0)
	v_fma_f64 v[71:72], v[85:86], v[71:72], v[77:78]
	s_waitcnt vmcnt(22)
	v_fma_f64 v[77:78], v[83:84], v[73:74], v[71:72]
	ds_read_b128 v[71:74], v70 offset:464
	;; [unrolled: 5-line block ×6, first 2 shown]
	s_waitcnt vmcnt(4) lgkmcnt(0)
	v_fma_f64 v[70:71], v[103:104], v[70:71], v[77:78]
	s_waitcnt vmcnt(2)
	v_fma_f64 v[70:71], v[75:76], v[72:73], v[70:71]
	s_waitcnt vmcnt(0)
	v_add_f64 v[70:71], v[105:106], -v[70:71]
	buffer_store_dword v71, off, s[0:3], 0 offset:12
	buffer_store_dword v70, off, s[0:3], 0 offset:8
	v_cmpx_ne_u32_e32 0, v0
	s_cbranch_execz .LBB33_213
; %bb.212:
	s_clause 0x1
	buffer_load_dword v70, off, s[0:3], 0
	buffer_load_dword v71, off, s[0:3], 0 offset:4
	v_mov_b32_e32 v0, 0
	buffer_store_dword v0, off, s[0:3], 0
	buffer_store_dword v0, off, s[0:3], 0 offset:4
	s_waitcnt vmcnt(0)
	ds_write_b64 v69, v[70:71]
.LBB33_213:
	s_or_b32 exec_lo, exec_lo, s4
	s_waitcnt lgkmcnt(0)
	s_waitcnt_vscnt null, 0x0
	s_barrier
	buffer_gl0_inv
	s_clause 0x1c
	buffer_load_dword v77, off, s[0:3], 0 offset:8
	buffer_load_dword v78, off, s[0:3], 0 offset:12
	;; [unrolled: 1-line block ×29, first 2 shown]
	v_mov_b32_e32 v0, 0
	buffer_load_dword v102, off, s[0:3], 0 offset:124
	s_and_b32 vcc_lo, exec_lo, s22
	ds_read2_b64 v[69:72], v0 offset0:35 offset1:36
	ds_read2_b64 v[73:76], v0 offset0:37 offset1:38
	s_waitcnt vmcnt(28) lgkmcnt(1)
	v_fma_f64 v[69:70], v[77:78], v[69:70], 0
	s_clause 0x7
	buffer_load_dword v78, off, s[0:3], 0 offset:132
	buffer_load_dword v107, off, s[0:3], 0 offset:152
	buffer_load_dword v109, off, s[0:3], 0 offset:144
	buffer_load_dword v111, off, s[0:3], 0 offset:136
	buffer_load_dword v77, off, s[0:3], 0 offset:128
	buffer_load_dword v112, off, s[0:3], 0 offset:140
	buffer_load_dword v110, off, s[0:3], 0 offset:148
	buffer_load_dword v108, off, s[0:3], 0 offset:156
	s_waitcnt vmcnt(34)
	v_fma_f64 v[69:70], v[79:80], v[71:72], v[69:70]
	s_waitcnt vmcnt(32) lgkmcnt(0)
	v_fma_f64 v[69:70], v[81:82], v[73:74], v[69:70]
	s_waitcnt vmcnt(30)
	v_fma_f64 v[79:80], v[83:84], v[75:76], v[69:70]
	ds_read2_b64 v[69:72], v0 offset0:39 offset1:40
	ds_read2_b64 v[73:76], v0 offset0:41 offset1:42
	s_waitcnt vmcnt(28) lgkmcnt(1)
	v_fma_f64 v[69:70], v[85:86], v[69:70], v[79:80]
	s_clause 0x7
	buffer_load_dword v80, off, s[0:3], 0 offset:164
	buffer_load_dword v81, off, s[0:3], 0 offset:184
	buffer_load_dword v83, off, s[0:3], 0 offset:176
	buffer_load_dword v85, off, s[0:3], 0 offset:168
	buffer_load_dword v79, off, s[0:3], 0 offset:160
	buffer_load_dword v86, off, s[0:3], 0 offset:172
	buffer_load_dword v84, off, s[0:3], 0 offset:180
	buffer_load_dword v82, off, s[0:3], 0 offset:188
	s_waitcnt vmcnt(34)
	v_fma_f64 v[69:70], v[87:88], v[71:72], v[69:70]
	s_waitcnt vmcnt(32) lgkmcnt(0)
	v_fma_f64 v[69:70], v[89:90], v[73:74], v[69:70]
	s_waitcnt vmcnt(27)
	v_fma_f64 v[87:88], v[91:92], v[75:76], v[69:70]
	;; [unrolled: 19-line block ×4, first 2 shown]
	ds_read2_b64 v[69:72], v0 offset0:51 offset1:52
	ds_read2_b64 v[73:76], v0 offset0:53 offset1:54
	s_waitcnt vmcnt(26) lgkmcnt(1)
	v_fma_f64 v[77:78], v[111:112], v[69:70], v[77:78]
	s_clause 0x5
	buffer_load_dword v70, off, s[0:3], 0 offset:260
	buffer_load_dword v101, off, s[0:3], 0 offset:264
	;; [unrolled: 1-line block ×4, first 2 shown]
	buffer_load_dword v103, off, s[0:3], 0
	buffer_load_dword v104, off, s[0:3], 0 offset:4
	s_waitcnt vmcnt(31)
	v_fma_f64 v[71:72], v[109:110], v[71:72], v[77:78]
	s_waitcnt vmcnt(30) lgkmcnt(0)
	v_fma_f64 v[71:72], v[107:108], v[73:74], v[71:72]
	s_waitcnt vmcnt(25)
	v_fma_f64 v[79:80], v[79:80], v[75:76], v[71:72]
	ds_read2_b64 v[71:74], v0 offset0:55 offset1:56
	ds_read2_b64 v[75:78], v0 offset0:57 offset1:58
	s_waitcnt vmcnt(24) lgkmcnt(1)
	v_fma_f64 v[71:72], v[85:86], v[71:72], v[79:80]
	s_waitcnt vmcnt(23)
	v_fma_f64 v[71:72], v[83:84], v[73:74], v[71:72]
	s_waitcnt vmcnt(22) lgkmcnt(0)
	v_fma_f64 v[71:72], v[81:82], v[75:76], v[71:72]
	s_waitcnt vmcnt(17)
	v_fma_f64 v[79:80], v[87:88], v[77:78], v[71:72]
	ds_read2_b64 v[71:74], v0 offset0:59 offset1:60
	ds_read2_b64 v[75:78], v0 offset0:61 offset1:62
	s_waitcnt vmcnt(16) lgkmcnt(1)
	v_fma_f64 v[71:72], v[97:98], v[71:72], v[79:80]
	;; [unrolled: 10-line block ×3, first 2 shown]
	s_waitcnt vmcnt(7)
	v_fma_f64 v[71:72], v[99:100], v[73:74], v[71:72]
	ds_read_b64 v[73:74], v0 offset:536
	s_waitcnt vmcnt(6) lgkmcnt(1)
	v_fma_f64 v[71:72], v[95:96], v[75:76], v[71:72]
	s_waitcnt vmcnt(3)
	v_fma_f64 v[71:72], v[69:70], v[77:78], v[71:72]
	s_waitcnt vmcnt(2) lgkmcnt(0)
	v_fma_f64 v[71:72], v[101:102], v[73:74], v[71:72]
	s_waitcnt vmcnt(0)
	v_add_f64 v[71:72], v[103:104], -v[71:72]
	buffer_store_dword v72, off, s[0:3], 0 offset:4
	buffer_store_dword v71, off, s[0:3], 0
	s_cbranch_vccz .LBB33_280
; %bb.214:
	global_load_dword v0, v0, s[20:21] offset:128
	s_waitcnt vmcnt(0)
	v_add_nc_u32_e32 v0, -1, v0
	v_cmp_ne_u32_e32 vcc_lo, 32, v0
	s_cbranch_vccz .LBB33_216
; %bb.215:
	v_lshlrev_b32_e32 v0, 3, v0
	s_clause 0x1
	buffer_load_dword v71, v0, s[0:3], 0 offen offset:4
	buffer_load_dword v72, v0, s[0:3], 0 offen
	s_waitcnt vmcnt(1)
	buffer_store_dword v71, off, s[0:3], 0 offset:260
	s_waitcnt vmcnt(0)
	buffer_store_dword v72, off, s[0:3], 0 offset:256
	buffer_store_dword v70, v0, s[0:3], 0 offen offset:4
	buffer_store_dword v69, v0, s[0:3], 0 offen
.LBB33_216:
	v_mov_b32_e32 v0, 0
	global_load_dword v69, v0, s[20:21] offset:124
	s_waitcnt vmcnt(0)
	v_add_nc_u32_e32 v69, -1, v69
	v_cmp_eq_u32_e32 vcc_lo, 31, v69
	s_cbranch_vccnz .LBB33_218
; %bb.217:
	v_lshlrev_b32_e32 v69, 3, v69
	s_clause 0x3
	buffer_load_dword v70, v69, s[0:3], 0 offen
	buffer_load_dword v71, v69, s[0:3], 0 offen offset:4
	buffer_load_dword v72, off, s[0:3], 0 offset:248
	buffer_load_dword v73, off, s[0:3], 0 offset:252
	s_waitcnt vmcnt(3)
	buffer_store_dword v70, off, s[0:3], 0 offset:248
	s_waitcnt vmcnt(2)
	buffer_store_dword v71, off, s[0:3], 0 offset:252
	s_waitcnt vmcnt(1)
	buffer_store_dword v72, v69, s[0:3], 0 offen
	s_waitcnt vmcnt(0)
	buffer_store_dword v73, v69, s[0:3], 0 offen offset:4
.LBB33_218:
	global_load_dword v0, v0, s[20:21] offset:120
	s_waitcnt vmcnt(0)
	v_add_nc_u32_e32 v0, -1, v0
	v_cmp_eq_u32_e32 vcc_lo, 30, v0
	s_cbranch_vccnz .LBB33_220
; %bb.219:
	v_lshlrev_b32_e32 v0, 3, v0
	s_clause 0x3
	buffer_load_dword v69, v0, s[0:3], 0 offen
	buffer_load_dword v70, v0, s[0:3], 0 offen offset:4
	buffer_load_dword v71, off, s[0:3], 0 offset:244
	buffer_load_dword v72, off, s[0:3], 0 offset:240
	s_waitcnt vmcnt(3)
	buffer_store_dword v69, off, s[0:3], 0 offset:240
	s_waitcnt vmcnt(2)
	buffer_store_dword v70, off, s[0:3], 0 offset:244
	s_waitcnt vmcnt(1)
	buffer_store_dword v71, v0, s[0:3], 0 offen offset:4
	s_waitcnt vmcnt(0)
	buffer_store_dword v72, v0, s[0:3], 0 offen
.LBB33_220:
	v_mov_b32_e32 v0, 0
	global_load_dword v69, v0, s[20:21] offset:116
	s_waitcnt vmcnt(0)
	v_add_nc_u32_e32 v69, -1, v69
	v_cmp_eq_u32_e32 vcc_lo, 29, v69
	s_cbranch_vccnz .LBB33_222
; %bb.221:
	v_lshlrev_b32_e32 v69, 3, v69
	s_clause 0x3
	buffer_load_dword v70, v69, s[0:3], 0 offen
	buffer_load_dword v71, v69, s[0:3], 0 offen offset:4
	buffer_load_dword v72, off, s[0:3], 0 offset:232
	buffer_load_dword v73, off, s[0:3], 0 offset:236
	s_waitcnt vmcnt(3)
	buffer_store_dword v70, off, s[0:3], 0 offset:232
	s_waitcnt vmcnt(2)
	buffer_store_dword v71, off, s[0:3], 0 offset:236
	s_waitcnt vmcnt(1)
	buffer_store_dword v72, v69, s[0:3], 0 offen
	s_waitcnt vmcnt(0)
	buffer_store_dword v73, v69, s[0:3], 0 offen offset:4
.LBB33_222:
	global_load_dword v0, v0, s[20:21] offset:112
	s_waitcnt vmcnt(0)
	v_add_nc_u32_e32 v0, -1, v0
	v_cmp_eq_u32_e32 vcc_lo, 28, v0
	s_cbranch_vccnz .LBB33_224
; %bb.223:
	v_lshlrev_b32_e32 v0, 3, v0
	s_clause 0x3
	buffer_load_dword v69, v0, s[0:3], 0 offen
	buffer_load_dword v70, v0, s[0:3], 0 offen offset:4
	buffer_load_dword v71, off, s[0:3], 0 offset:228
	buffer_load_dword v72, off, s[0:3], 0 offset:224
	s_waitcnt vmcnt(3)
	buffer_store_dword v69, off, s[0:3], 0 offset:224
	s_waitcnt vmcnt(2)
	buffer_store_dword v70, off, s[0:3], 0 offset:228
	s_waitcnt vmcnt(1)
	buffer_store_dword v71, v0, s[0:3], 0 offen offset:4
	s_waitcnt vmcnt(0)
	buffer_store_dword v72, v0, s[0:3], 0 offen
.LBB33_224:
	;; [unrolled: 43-line block ×15, first 2 shown]
	v_mov_b32_e32 v0, 0
	global_load_dword v69, v0, s[20:21] offset:4
	s_waitcnt vmcnt(0)
	v_add_nc_u32_e32 v69, -1, v69
	v_cmp_eq_u32_e32 vcc_lo, 1, v69
	s_cbranch_vccnz .LBB33_278
; %bb.277:
	v_lshlrev_b32_e32 v69, 3, v69
	s_clause 0x3
	buffer_load_dword v70, v69, s[0:3], 0 offen
	buffer_load_dword v71, v69, s[0:3], 0 offen offset:4
	buffer_load_dword v72, off, s[0:3], 0 offset:8
	buffer_load_dword v73, off, s[0:3], 0 offset:12
	s_waitcnt vmcnt(3)
	buffer_store_dword v70, off, s[0:3], 0 offset:8
	s_waitcnt vmcnt(2)
	buffer_store_dword v71, off, s[0:3], 0 offset:12
	s_waitcnt vmcnt(1)
	buffer_store_dword v72, v69, s[0:3], 0 offen
	s_waitcnt vmcnt(0)
	buffer_store_dword v73, v69, s[0:3], 0 offen offset:4
.LBB33_278:
	global_load_dword v0, v0, s[20:21]
	s_clause 0x1
	buffer_load_dword v71, off, s[0:3], 0
	buffer_load_dword v72, off, s[0:3], 0 offset:4
	s_waitcnt vmcnt(2)
	v_add_nc_u32_e32 v0, -1, v0
	v_cmp_eq_u32_e32 vcc_lo, 0, v0
	s_cbranch_vccnz .LBB33_280
; %bb.279:
	v_lshlrev_b32_e32 v0, 3, v0
	s_clause 0x1
	buffer_load_dword v69, v0, s[0:3], 0 offen offset:4
	buffer_load_dword v70, v0, s[0:3], 0 offen
	s_waitcnt vmcnt(1)
	buffer_store_dword v69, off, s[0:3], 0 offset:4
	s_waitcnt vmcnt(0)
	buffer_store_dword v70, off, s[0:3], 0
	buffer_store_dword v72, v0, s[0:3], 0 offen offset:4
	buffer_store_dword v71, v0, s[0:3], 0 offen
	s_clause 0x1
	buffer_load_dword v71, off, s[0:3], 0
	buffer_load_dword v72, off, s[0:3], 0 offset:4
.LBB33_280:
	s_clause 0xf
	buffer_load_dword v69, off, s[0:3], 0 offset:8
	buffer_load_dword v70, off, s[0:3], 0 offset:12
	;; [unrolled: 1-line block ×16, first 2 shown]
	s_waitcnt vmcnt(16)
	global_store_dwordx2 v[67:68], v[71:72], off
	s_clause 0x17
	buffer_load_dword v67, off, s[0:3], 0 offset:72
	buffer_load_dword v68, off, s[0:3], 0 offset:76
	;; [unrolled: 1-line block ×24, first 2 shown]
	s_waitcnt vmcnt(38)
	global_store_dwordx2 v[29:30], v[69:70], off
	s_waitcnt vmcnt(36)
	global_store_dwordx2 v[7:8], v[73:74], off
	s_clause 0x7
	buffer_load_dword v7, off, s[0:3], 0 offset:168
	buffer_load_dword v8, off, s[0:3], 0 offset:172
	buffer_load_dword v29, off, s[0:3], 0 offset:176
	buffer_load_dword v30, off, s[0:3], 0 offset:180
	buffer_load_dword v69, off, s[0:3], 0 offset:184
	buffer_load_dword v70, off, s[0:3], 0 offset:188
	buffer_load_dword v73, off, s[0:3], 0 offset:192
	buffer_load_dword v74, off, s[0:3], 0 offset:196
	s_waitcnt vmcnt(42)
	global_store_dwordx2 v[1:2], v[75:76], off
	s_waitcnt vmcnt(40)
	global_store_dwordx2 v[3:4], v[77:78], off
	s_clause 0x7
	buffer_load_dword v0, off, s[0:3], 0 offset:200
	buffer_load_dword v1, off, s[0:3], 0 offset:204
	buffer_load_dword v2, off, s[0:3], 0 offset:208
	buffer_load_dword v3, off, s[0:3], 0 offset:212
	buffer_load_dword v75, off, s[0:3], 0 offset:216
	buffer_load_dword v76, off, s[0:3], 0 offset:220
	buffer_load_dword v77, off, s[0:3], 0 offset:224
	buffer_load_dword v78, off, s[0:3], 0 offset:228
	;; [unrolled: 13-line block ×3, first 2 shown]
	buffer_load_dword v107, off, s[0:3], 0 offset:264
	buffer_load_dword v108, off, s[0:3], 0 offset:268
	s_waitcnt vmcnt(52)
	global_store_dwordx2 v[11:12], v[83:84], off
	s_waitcnt vmcnt(50)
	global_store_dwordx2 v[13:14], v[85:86], off
	;; [unrolled: 2-line block ×27, first 2 shown]
	s_endpgm
	.section	.rodata,"a",@progbits
	.p2align	6, 0x0
	.amdhsa_kernel _ZN9rocsolver6v33100L18getri_kernel_smallILi34EdPdEEvT1_iilPiilS4_bb
		.amdhsa_group_segment_fixed_size 552
		.amdhsa_private_segment_fixed_size 288
		.amdhsa_kernarg_size 60
		.amdhsa_user_sgpr_count 6
		.amdhsa_user_sgpr_private_segment_buffer 1
		.amdhsa_user_sgpr_dispatch_ptr 0
		.amdhsa_user_sgpr_queue_ptr 0
		.amdhsa_user_sgpr_kernarg_segment_ptr 1
		.amdhsa_user_sgpr_dispatch_id 0
		.amdhsa_user_sgpr_flat_scratch_init 0
		.amdhsa_user_sgpr_private_segment_size 0
		.amdhsa_wavefront_size32 1
		.amdhsa_uses_dynamic_stack 0
		.amdhsa_system_sgpr_private_segment_wavefront_offset 1
		.amdhsa_system_sgpr_workgroup_id_x 1
		.amdhsa_system_sgpr_workgroup_id_y 0
		.amdhsa_system_sgpr_workgroup_id_z 0
		.amdhsa_system_sgpr_workgroup_info 0
		.amdhsa_system_vgpr_workitem_id 0
		.amdhsa_next_free_vgpr 113
		.amdhsa_next_free_sgpr 23
		.amdhsa_reserve_vcc 1
		.amdhsa_reserve_flat_scratch 0
		.amdhsa_float_round_mode_32 0
		.amdhsa_float_round_mode_16_64 0
		.amdhsa_float_denorm_mode_32 3
		.amdhsa_float_denorm_mode_16_64 3
		.amdhsa_dx10_clamp 1
		.amdhsa_ieee_mode 1
		.amdhsa_fp16_overflow 0
		.amdhsa_workgroup_processor_mode 1
		.amdhsa_memory_ordered 1
		.amdhsa_forward_progress 1
		.amdhsa_shared_vgpr_count 0
		.amdhsa_exception_fp_ieee_invalid_op 0
		.amdhsa_exception_fp_denorm_src 0
		.amdhsa_exception_fp_ieee_div_zero 0
		.amdhsa_exception_fp_ieee_overflow 0
		.amdhsa_exception_fp_ieee_underflow 0
		.amdhsa_exception_fp_ieee_inexact 0
		.amdhsa_exception_int_div_zero 0
	.end_amdhsa_kernel
	.section	.text._ZN9rocsolver6v33100L18getri_kernel_smallILi34EdPdEEvT1_iilPiilS4_bb,"axG",@progbits,_ZN9rocsolver6v33100L18getri_kernel_smallILi34EdPdEEvT1_iilPiilS4_bb,comdat
.Lfunc_end33:
	.size	_ZN9rocsolver6v33100L18getri_kernel_smallILi34EdPdEEvT1_iilPiilS4_bb, .Lfunc_end33-_ZN9rocsolver6v33100L18getri_kernel_smallILi34EdPdEEvT1_iilPiilS4_bb
                                        ; -- End function
	.set _ZN9rocsolver6v33100L18getri_kernel_smallILi34EdPdEEvT1_iilPiilS4_bb.num_vgpr, 113
	.set _ZN9rocsolver6v33100L18getri_kernel_smallILi34EdPdEEvT1_iilPiilS4_bb.num_agpr, 0
	.set _ZN9rocsolver6v33100L18getri_kernel_smallILi34EdPdEEvT1_iilPiilS4_bb.numbered_sgpr, 23
	.set _ZN9rocsolver6v33100L18getri_kernel_smallILi34EdPdEEvT1_iilPiilS4_bb.num_named_barrier, 0
	.set _ZN9rocsolver6v33100L18getri_kernel_smallILi34EdPdEEvT1_iilPiilS4_bb.private_seg_size, 288
	.set _ZN9rocsolver6v33100L18getri_kernel_smallILi34EdPdEEvT1_iilPiilS4_bb.uses_vcc, 1
	.set _ZN9rocsolver6v33100L18getri_kernel_smallILi34EdPdEEvT1_iilPiilS4_bb.uses_flat_scratch, 0
	.set _ZN9rocsolver6v33100L18getri_kernel_smallILi34EdPdEEvT1_iilPiilS4_bb.has_dyn_sized_stack, 0
	.set _ZN9rocsolver6v33100L18getri_kernel_smallILi34EdPdEEvT1_iilPiilS4_bb.has_recursion, 0
	.set _ZN9rocsolver6v33100L18getri_kernel_smallILi34EdPdEEvT1_iilPiilS4_bb.has_indirect_call, 0
	.section	.AMDGPU.csdata,"",@progbits
; Kernel info:
; codeLenInByte = 37952
; TotalNumSgprs: 25
; NumVgprs: 113
; ScratchSize: 288
; MemoryBound: 1
; FloatMode: 240
; IeeeMode: 1
; LDSByteSize: 552 bytes/workgroup (compile time only)
; SGPRBlocks: 0
; VGPRBlocks: 14
; NumSGPRsForWavesPerEU: 25
; NumVGPRsForWavesPerEU: 113
; Occupancy: 8
; WaveLimiterHint : 1
; COMPUTE_PGM_RSRC2:SCRATCH_EN: 1
; COMPUTE_PGM_RSRC2:USER_SGPR: 6
; COMPUTE_PGM_RSRC2:TRAP_HANDLER: 0
; COMPUTE_PGM_RSRC2:TGID_X_EN: 1
; COMPUTE_PGM_RSRC2:TGID_Y_EN: 0
; COMPUTE_PGM_RSRC2:TGID_Z_EN: 0
; COMPUTE_PGM_RSRC2:TIDIG_COMP_CNT: 0
	.section	.text._ZN9rocsolver6v33100L18getri_kernel_smallILi35EdPdEEvT1_iilPiilS4_bb,"axG",@progbits,_ZN9rocsolver6v33100L18getri_kernel_smallILi35EdPdEEvT1_iilPiilS4_bb,comdat
	.globl	_ZN9rocsolver6v33100L18getri_kernel_smallILi35EdPdEEvT1_iilPiilS4_bb ; -- Begin function _ZN9rocsolver6v33100L18getri_kernel_smallILi35EdPdEEvT1_iilPiilS4_bb
	.p2align	8
	.type	_ZN9rocsolver6v33100L18getri_kernel_smallILi35EdPdEEvT1_iilPiilS4_bb,@function
_ZN9rocsolver6v33100L18getri_kernel_smallILi35EdPdEEvT1_iilPiilS4_bb: ; @_ZN9rocsolver6v33100L18getri_kernel_smallILi35EdPdEEvT1_iilPiilS4_bb
; %bb.0:
	s_add_u32 s0, s0, s7
	s_addc_u32 s1, s1, 0
	s_mov_b32 s7, exec_lo
	v_cmpx_gt_u32_e32 35, v0
	s_cbranch_execz .LBB34_150
; %bb.1:
	s_clause 0x2
	s_load_dword s7, s[4:5], 0x38
	s_load_dwordx4 s[16:19], s[4:5], 0x10
	s_load_dwordx4 s[8:11], s[4:5], 0x28
                                        ; implicit-def: $sgpr20_sgpr21
	s_waitcnt lgkmcnt(0)
	s_bitcmp1_b32 s7, 8
	s_cselect_b32 s22, -1, 0
	s_bfe_u32 s12, s7, 0x10008
	s_ashr_i32 s7, s6, 31
	s_cmp_eq_u32 s12, 0
	s_cbranch_scc1 .LBB34_3
; %bb.2:
	s_load_dword s12, s[4:5], 0x20
	s_mul_i32 s13, s8, s7
	s_mul_hi_u32 s14, s8, s6
	s_mul_i32 s9, s9, s6
	s_add_i32 s13, s14, s13
	s_mul_i32 s8, s8, s6
	s_add_i32 s9, s13, s9
	s_lshl_b64 s[8:9], s[8:9], 2
	s_waitcnt lgkmcnt(0)
	s_ashr_i32 s13, s12, 31
	s_add_u32 s14, s18, s8
	s_addc_u32 s15, s19, s9
	s_lshl_b64 s[8:9], s[12:13], 2
	s_add_u32 s20, s14, s8
	s_addc_u32 s21, s15, s9
.LBB34_3:
	s_clause 0x1
	s_load_dwordx4 s[12:15], s[4:5], 0x0
	s_load_dword s8, s[4:5], 0x38
	s_mul_i32 s4, s16, s7
	s_mul_hi_u32 s5, s16, s6
	s_mul_i32 s9, s17, s6
	s_add_i32 s5, s5, s4
	s_mul_i32 s4, s16, s6
	s_add_i32 s5, s5, s9
	v_lshlrev_b32_e32 v73, 3, v0
	s_lshl_b64 s[4:5], s[4:5], 3
	s_waitcnt lgkmcnt(0)
	v_add3_u32 v1, s15, s15, v0
	s_ashr_i32 s17, s14, 31
	s_mov_b32 s16, s14
	s_add_u32 s9, s12, s4
	s_addc_u32 s12, s13, s5
	v_add_nc_u32_e32 v3, s15, v1
	v_ashrrev_i32_e32 v2, 31, v1
	s_lshl_b64 s[4:5], s[16:17], 3
	s_add_u32 s4, s9, s4
	v_add_nc_u32_e32 v5, s15, v3
	v_ashrrev_i32_e32 v4, 31, v3
	v_lshlrev_b64 v[1:2], 3, v[1:2]
	s_addc_u32 s5, s12, s5
	v_add_co_u32 v69, s9, s4, v73
	v_add_nc_u32_e32 v9, s15, v5
	v_ashrrev_i32_e32 v6, 31, v5
	v_lshlrev_b64 v[3:4], 3, v[3:4]
	v_add_co_u32 v7, vcc_lo, s4, v1
	v_add_nc_u32_e32 v11, s15, v9
	v_ashrrev_i32_e32 v10, 31, v9
	v_lshlrev_b64 v[5:6], 3, v[5:6]
	v_add_co_ci_u32_e64 v8, null, s5, v2, vcc_lo
	v_add_nc_u32_e32 v13, s15, v11
	v_ashrrev_i32_e32 v12, 31, v11
	v_lshlrev_b64 v[9:10], 3, v[9:10]
	v_add_co_u32 v1, vcc_lo, s4, v3
	v_add_nc_u32_e32 v15, s15, v13
	v_ashrrev_i32_e32 v14, 31, v13
	v_lshlrev_b64 v[11:12], 3, v[11:12]
	v_add_co_ci_u32_e64 v2, null, s5, v4, vcc_lo
	v_add_nc_u32_e32 v17, s15, v15
	v_ashrrev_i32_e32 v16, 31, v15
	v_add_co_u32 v3, vcc_lo, s4, v5
	v_lshlrev_b64 v[13:14], 3, v[13:14]
	v_add_nc_u32_e32 v19, s15, v17
	v_ashrrev_i32_e32 v18, 31, v17
	v_add_co_ci_u32_e64 v4, null, s5, v6, vcc_lo
	v_add_co_u32 v5, vcc_lo, s4, v9
	v_add_nc_u32_e32 v21, s15, v19
	v_ashrrev_i32_e32 v20, 31, v19
	v_lshlrev_b64 v[15:16], 3, v[15:16]
	v_add_co_ci_u32_e64 v6, null, s5, v10, vcc_lo
	v_add_nc_u32_e32 v23, s15, v21
	v_add_co_u32 v9, vcc_lo, s4, v11
	v_lshlrev_b64 v[17:18], 3, v[17:18]
	v_ashrrev_i32_e32 v22, 31, v21
	v_add_nc_u32_e32 v25, s15, v23
	v_add_co_ci_u32_e64 v10, null, s5, v12, vcc_lo
	v_add_co_u32 v11, vcc_lo, s4, v13
	v_lshlrev_b64 v[19:20], 3, v[19:20]
	v_add_nc_u32_e32 v27, s15, v25
	v_ashrrev_i32_e32 v24, 31, v23
	v_add_co_ci_u32_e64 v12, null, s5, v14, vcc_lo
	v_add_co_u32 v13, vcc_lo, s4, v15
	v_ashrrev_i32_e32 v26, 31, v25
	v_add_co_ci_u32_e64 v14, null, s5, v16, vcc_lo
	v_add_co_u32 v15, vcc_lo, s4, v17
	v_lshlrev_b64 v[21:22], 3, v[21:22]
	s_mov_b32 s12, s15
	s_ashr_i32 s13, s15, 31
	v_add_co_ci_u32_e64 v70, null, s5, 0, s9
	v_ashrrev_i32_e32 v28, 31, v27
	v_add_co_ci_u32_e64 v16, null, s5, v18, vcc_lo
	v_add_co_u32 v17, vcc_lo, s4, v19
	v_lshlrev_b64 v[23:24], 3, v[23:24]
	s_lshl_b64 s[12:13], s[12:13], 3
	v_add_co_ci_u32_e64 v18, null, s5, v20, vcc_lo
	v_add_co_u32 v37, vcc_lo, v69, s12
	v_lshlrev_b64 v[25:26], 3, v[25:26]
	v_add_co_ci_u32_e64 v38, null, s13, v70, vcc_lo
	v_add_co_u32 v19, vcc_lo, s4, v21
	v_add_nc_u32_e32 v29, s15, v27
	v_lshlrev_b64 v[27:28], 3, v[27:28]
	v_add_co_ci_u32_e64 v20, null, s5, v22, vcc_lo
	v_add_co_u32 v21, vcc_lo, s4, v23
	v_add_co_ci_u32_e64 v22, null, s5, v24, vcc_lo
	v_add_co_u32 v23, vcc_lo, s4, v25
	;; [unrolled: 2-line block ×3, first 2 shown]
	s_clause 0x3
	global_load_dwordx2 v[71:72], v73, s[4:5]
	global_load_dwordx2 v[78:79], v[1:2], off
	global_load_dwordx2 v[80:81], v[3:4], off
	;; [unrolled: 1-line block ×3, first 2 shown]
	v_add_co_ci_u32_e64 v26, null, s5, v28, vcc_lo
	s_clause 0xa
	global_load_dwordx2 v[74:75], v[37:38], off
	global_load_dwordx2 v[76:77], v[7:8], off
	;; [unrolled: 1-line block ×11, first 2 shown]
	v_add_nc_u32_e32 v31, s15, v29
	v_ashrrev_i32_e32 v30, 31, v29
	s_bitcmp0_b32 s8, 0
	v_ashrrev_i32_e32 v32, 31, v31
	v_lshlrev_b64 v[29:30], 3, v[29:30]
	v_lshlrev_b64 v[32:33], 3, v[31:32]
	v_add_nc_u32_e32 v31, s15, v31
	v_add_co_u32 v27, vcc_lo, s4, v29
	v_add_co_ci_u32_e64 v28, null, s5, v30, vcc_lo
	v_add_co_u32 v29, vcc_lo, s4, v32
	v_add_co_ci_u32_e64 v30, null, s5, v33, vcc_lo
	s_clause 0x1
	global_load_dwordx2 v[102:103], v[27:28], off
	global_load_dwordx2 v[104:105], v[29:30], off
	v_add_nc_u32_e32 v33, s15, v31
	v_ashrrev_i32_e32 v32, 31, v31
	s_waitcnt vmcnt(16)
	buffer_store_dword v72, off, s[0:3], 0 offset:4
	buffer_store_dword v71, off, s[0:3], 0
	s_waitcnt vmcnt(12)
	buffer_store_dword v75, off, s[0:3], 0 offset:12
	buffer_store_dword v74, off, s[0:3], 0 offset:8
	s_waitcnt vmcnt(11)
	buffer_store_dword v77, off, s[0:3], 0 offset:20
	buffer_store_dword v76, off, s[0:3], 0 offset:16
	v_add_nc_u32_e32 v35, s15, v33
	v_ashrrev_i32_e32 v34, 31, v33
	v_lshlrev_b64 v[31:32], 3, v[31:32]
	v_add_nc_u32_e32 v39, s15, v35
	v_ashrrev_i32_e32 v36, 31, v35
	v_lshlrev_b64 v[33:34], 3, v[33:34]
	v_add_co_u32 v31, vcc_lo, s4, v31
	v_add_nc_u32_e32 v41, s15, v39
	v_ashrrev_i32_e32 v40, 31, v39
	v_lshlrev_b64 v[35:36], 3, v[35:36]
	v_add_co_ci_u32_e64 v32, null, s5, v32, vcc_lo
	v_add_nc_u32_e32 v43, s15, v41
	v_ashrrev_i32_e32 v42, 31, v41
	v_lshlrev_b64 v[39:40], 3, v[39:40]
	v_add_co_u32 v33, vcc_lo, s4, v33
	v_add_nc_u32_e32 v45, s15, v43
	v_ashrrev_i32_e32 v44, 31, v43
	v_lshlrev_b64 v[41:42], 3, v[41:42]
	v_add_co_ci_u32_e64 v34, null, s5, v34, vcc_lo
	v_add_nc_u32_e32 v47, s15, v45
	v_ashrrev_i32_e32 v46, 31, v45
	v_add_co_u32 v35, vcc_lo, s4, v35
	v_lshlrev_b64 v[43:44], 3, v[43:44]
	v_add_nc_u32_e32 v49, s15, v47
	v_ashrrev_i32_e32 v48, 31, v47
	v_add_co_ci_u32_e64 v36, null, s5, v36, vcc_lo
	v_add_co_u32 v39, vcc_lo, s4, v39
	v_add_nc_u32_e32 v51, s15, v49
	v_ashrrev_i32_e32 v50, 31, v49
	v_lshlrev_b64 v[45:46], 3, v[45:46]
	v_add_co_ci_u32_e64 v40, null, s5, v40, vcc_lo
	v_add_nc_u32_e32 v53, s15, v51
	v_ashrrev_i32_e32 v52, 31, v51
	v_add_co_u32 v41, vcc_lo, s4, v41
	v_lshlrev_b64 v[47:48], 3, v[47:48]
	v_add_nc_u32_e32 v55, s15, v53
	v_ashrrev_i32_e32 v54, 31, v53
	v_add_co_ci_u32_e64 v42, null, s5, v42, vcc_lo
	v_add_co_u32 v43, vcc_lo, s4, v43
	v_add_nc_u32_e32 v57, s15, v55
	v_lshlrev_b64 v[49:50], 3, v[49:50]
	v_ashrrev_i32_e32 v56, 31, v55
	v_add_co_ci_u32_e64 v44, null, s5, v44, vcc_lo
	v_add_nc_u32_e32 v59, s15, v57
	v_add_co_u32 v45, vcc_lo, s4, v45
	v_lshlrev_b64 v[51:52], 3, v[51:52]
	v_ashrrev_i32_e32 v58, 31, v57
	v_add_nc_u32_e32 v61, s15, v59
	v_add_co_ci_u32_e64 v46, null, s5, v46, vcc_lo
	v_add_co_u32 v47, vcc_lo, s4, v47
	v_add_nc_u32_e32 v63, s15, v61
	v_lshlrev_b64 v[53:54], 3, v[53:54]
	v_ashrrev_i32_e32 v60, 31, v59
	v_add_co_ci_u32_e64 v48, null, s5, v48, vcc_lo
	v_add_nc_u32_e32 v65, s15, v63
	v_add_co_u32 v49, vcc_lo, s4, v49
	v_lshlrev_b64 v[55:56], 3, v[55:56]
	v_ashrrev_i32_e32 v62, 31, v61
	v_add_co_ci_u32_e64 v50, null, s5, v50, vcc_lo
	v_add_co_u32 v51, vcc_lo, s4, v51
	v_lshlrev_b64 v[57:58], 3, v[57:58]
	v_add_nc_u32_e32 v67, s15, v65
	v_ashrrev_i32_e32 v64, 31, v63
	v_add_co_ci_u32_e64 v52, null, s5, v52, vcc_lo
	v_add_co_u32 v53, vcc_lo, s4, v53
	v_lshlrev_b64 v[59:60], 3, v[59:60]
	v_ashrrev_i32_e32 v66, 31, v65
	v_add_co_ci_u32_e64 v54, null, s5, v54, vcc_lo
	v_add_co_u32 v55, vcc_lo, s4, v55
	v_lshlrev_b64 v[61:62], 3, v[61:62]
	;; [unrolled: 4-line block ×3, first 2 shown]
	v_add_co_ci_u32_e64 v58, null, s5, v58, vcc_lo
	v_add_co_u32 v59, vcc_lo, s4, v59
	v_lshlrev_b64 v[65:66], 3, v[65:66]
	v_add_co_ci_u32_e64 v60, null, s5, v60, vcc_lo
	v_add_co_u32 v61, vcc_lo, s4, v61
	v_lshlrev_b64 v[106:107], 3, v[67:68]
	v_add_co_ci_u32_e64 v62, null, s5, v62, vcc_lo
	v_add_co_u32 v63, vcc_lo, s4, v63
	v_add_co_ci_u32_e64 v64, null, s5, v64, vcc_lo
	v_add_co_u32 v67, vcc_lo, s4, v65
	;; [unrolled: 2-line block ×3, first 2 shown]
	v_add_co_ci_u32_e64 v66, null, s5, v107, vcc_lo
	s_clause 0x3
	global_load_dwordx2 v[71:72], v[31:32], off
	global_load_dwordx2 v[74:75], v[33:34], off
	;; [unrolled: 1-line block ×4, first 2 shown]
	buffer_store_dword v79, off, s[0:3], 0 offset:28
	buffer_store_dword v78, off, s[0:3], 0 offset:24
	;; [unrolled: 1-line block ×6, first 2 shown]
	s_waitcnt vmcnt(14)
	buffer_store_dword v85, off, s[0:3], 0 offset:52
	buffer_store_dword v84, off, s[0:3], 0 offset:48
	s_clause 0x3
	global_load_dwordx2 v[78:79], v[41:42], off
	global_load_dwordx2 v[80:81], v[43:44], off
	;; [unrolled: 1-line block ×4, first 2 shown]
	s_waitcnt vmcnt(17)
	buffer_store_dword v87, off, s[0:3], 0 offset:60
	buffer_store_dword v86, off, s[0:3], 0 offset:56
	s_waitcnt vmcnt(16)
	buffer_store_dword v89, off, s[0:3], 0 offset:68
	buffer_store_dword v88, off, s[0:3], 0 offset:64
	;; [unrolled: 3-line block ×4, first 2 shown]
	s_clause 0x3
	global_load_dwordx2 v[86:87], v[49:50], off
	global_load_dwordx2 v[88:89], v[51:52], off
	;; [unrolled: 1-line block ×4, first 2 shown]
	s_waitcnt vmcnt(17)
	buffer_store_dword v94, off, s[0:3], 0 offset:88
	buffer_store_dword v95, off, s[0:3], 0 offset:92
	global_load_dwordx2 v[94:95], v[57:58], off
	s_waitcnt vmcnt(17)
	buffer_store_dword v96, off, s[0:3], 0 offset:96
	buffer_store_dword v97, off, s[0:3], 0 offset:100
	s_waitcnt vmcnt(16)
	buffer_store_dword v98, off, s[0:3], 0 offset:104
	buffer_store_dword v99, off, s[0:3], 0 offset:108
	;; [unrolled: 3-line block ×3, first 2 shown]
	s_clause 0x2
	global_load_dwordx2 v[96:97], v[59:60], off
	global_load_dwordx2 v[98:99], v[61:62], off
	global_load_dwordx2 v[100:101], v[63:64], off
	s_waitcnt vmcnt(17)
	buffer_store_dword v102, off, s[0:3], 0 offset:120
	buffer_store_dword v103, off, s[0:3], 0 offset:124
	global_load_dwordx2 v[102:103], v[67:68], off
	s_waitcnt vmcnt(17)
	buffer_store_dword v104, off, s[0:3], 0 offset:128
	buffer_store_dword v105, off, s[0:3], 0 offset:132
	global_load_dwordx2 v[104:105], v[65:66], off
	s_mov_b32 s5, -1
	s_waitcnt vmcnt(17)
	buffer_store_dword v71, off, s[0:3], 0 offset:136
	buffer_store_dword v72, off, s[0:3], 0 offset:140
	s_waitcnt vmcnt(16)
	buffer_store_dword v74, off, s[0:3], 0 offset:144
	buffer_store_dword v75, off, s[0:3], 0 offset:148
	;; [unrolled: 3-line block ×18, first 2 shown]
	s_cbranch_scc1 .LBB34_148
; %bb.4:
	v_cmp_eq_u32_e64 s4, 0, v0
	s_and_saveexec_b32 s5, s4
; %bb.5:
	v_mov_b32_e32 v71, 0
	ds_write_b32 v71, v71 offset:280
; %bb.6:
	s_or_b32 exec_lo, exec_lo, s5
	v_lshl_add_u32 v71, v0, 3, 0
	s_waitcnt lgkmcnt(0)
	s_waitcnt_vscnt null, 0x0
	s_barrier
	buffer_gl0_inv
	s_mov_b32 s8, exec_lo
	s_clause 0x1
	buffer_load_dword v74, v71, s[0:3], 0 offen
	buffer_load_dword v75, v71, s[0:3], 0 offen offset:4
	s_waitcnt vmcnt(0)
	v_cmpx_eq_f64_e32 0, v[74:75]
	s_cbranch_execz .LBB34_10
; %bb.7:
	v_mov_b32_e32 v72, 0
	s_mov_b32 s9, 0
	ds_read_b32 v74, v72 offset:280
	s_waitcnt lgkmcnt(0)
	v_readfirstlane_b32 s5, v74
	v_add_nc_u32_e32 v74, 1, v0
	s_cmp_eq_u32 s5, 0
	v_cmp_gt_i32_e32 vcc_lo, s5, v74
	s_cselect_b32 s12, -1, 0
	s_or_b32 s12, s12, vcc_lo
	s_and_b32 exec_lo, exec_lo, s12
	s_cbranch_execz .LBB34_10
; %bb.8:
	v_mov_b32_e32 v75, s5
.LBB34_9:                               ; =>This Inner Loop Header: Depth=1
	ds_cmpst_rtn_b32 v75, v72, v75, v74 offset:280
	s_waitcnt lgkmcnt(0)
	v_cmp_ne_u32_e32 vcc_lo, 0, v75
	v_cmp_le_i32_e64 s5, v75, v74
	s_and_b32 s5, vcc_lo, s5
	s_and_b32 s5, exec_lo, s5
	s_or_b32 s9, s5, s9
	s_andn2_b32 exec_lo, exec_lo, s9
	s_cbranch_execnz .LBB34_9
.LBB34_10:
	s_or_b32 exec_lo, exec_lo, s8
	v_mov_b32_e32 v72, 0
	s_barrier
	buffer_gl0_inv
	ds_read_b32 v74, v72 offset:280
	s_and_saveexec_b32 s5, s4
	s_cbranch_execz .LBB34_12
; %bb.11:
	s_lshl_b64 s[8:9], s[6:7], 2
	s_add_u32 s8, s10, s8
	s_addc_u32 s9, s11, s9
	s_waitcnt lgkmcnt(0)
	global_store_dword v72, v74, s[8:9]
.LBB34_12:
	s_or_b32 exec_lo, exec_lo, s5
	s_waitcnt lgkmcnt(0)
	v_cmp_ne_u32_e32 vcc_lo, 0, v74
	s_mov_b32 s5, 0
	s_cbranch_vccnz .LBB34_148
; %bb.13:
	s_clause 0x1
	buffer_load_dword v74, v71, s[0:3], 0 offen
	buffer_load_dword v75, v71, s[0:3], 0 offen offset:4
	s_waitcnt vmcnt(0)
	v_div_scale_f64 v[76:77], null, v[74:75], v[74:75], 1.0
	v_div_scale_f64 v[82:83], vcc_lo, 1.0, v[74:75], 1.0
	v_rcp_f64_e32 v[78:79], v[76:77]
	v_fma_f64 v[80:81], -v[76:77], v[78:79], 1.0
	v_fma_f64 v[78:79], v[78:79], v[80:81], v[78:79]
	v_fma_f64 v[80:81], -v[76:77], v[78:79], 1.0
	v_fma_f64 v[78:79], v[78:79], v[80:81], v[78:79]
	v_mul_f64 v[80:81], v[82:83], v[78:79]
	v_fma_f64 v[76:77], -v[76:77], v[80:81], v[82:83]
	v_div_fmas_f64 v[76:77], v[76:77], v[78:79], v[80:81]
	v_div_fixup_f64 v[75:76], v[76:77], v[74:75], 1.0
	v_add_nc_u32_e32 v74, 0x120, v73
	buffer_store_dword v76, v71, s[0:3], 0 offen offset:4
	buffer_store_dword v75, v71, s[0:3], 0 offen
	s_clause 0x1
	buffer_load_dword v78, off, s[0:3], 0 offset:12
	buffer_load_dword v77, off, s[0:3], 0 offset:8
	v_xor_b32_e32 v76, 0x80000000, v76
	s_waitcnt vmcnt(0)
	ds_write2_b64 v73, v[75:76], v[77:78] offset1:36
	s_waitcnt lgkmcnt(0)
	s_waitcnt_vscnt null, 0x0
	s_barrier
	buffer_gl0_inv
	s_and_saveexec_b32 s5, s4
	s_cbranch_execz .LBB34_15
; %bb.14:
	s_clause 0x1
	buffer_load_dword v75, v71, s[0:3], 0 offen
	buffer_load_dword v76, v71, s[0:3], 0 offen offset:4
	ds_read_b64 v[77:78], v74
	v_mov_b32_e32 v72, 0
	ds_read_b64 v[79:80], v72 offset:8
	s_waitcnt vmcnt(0) lgkmcnt(1)
	v_fma_f64 v[75:76], v[75:76], v[77:78], 0
	s_waitcnt lgkmcnt(0)
	v_mul_f64 v[75:76], v[75:76], v[79:80]
	buffer_store_dword v75, off, s[0:3], 0 offset:8
	buffer_store_dword v76, off, s[0:3], 0 offset:12
.LBB34_15:
	s_or_b32 exec_lo, exec_lo, s5
	s_waitcnt_vscnt null, 0x0
	s_barrier
	buffer_gl0_inv
	s_clause 0x1
	buffer_load_dword v75, off, s[0:3], 0 offset:16
	buffer_load_dword v76, off, s[0:3], 0 offset:20
	s_mov_b32 s5, exec_lo
	s_waitcnt vmcnt(0)
	ds_write_b64 v74, v[75:76]
	s_waitcnt lgkmcnt(0)
	s_barrier
	buffer_gl0_inv
	v_cmpx_gt_u32_e32 2, v0
	s_cbranch_execz .LBB34_19
; %bb.16:
	s_clause 0x1
	buffer_load_dword v75, v71, s[0:3], 0 offen
	buffer_load_dword v76, v71, s[0:3], 0 offen offset:4
	ds_read_b64 v[71:72], v74
	s_waitcnt vmcnt(0) lgkmcnt(0)
	v_fma_f64 v[71:72], v[75:76], v[71:72], 0
	s_and_saveexec_b32 s8, s4
	s_cbranch_execz .LBB34_18
; %bb.17:
	s_clause 0x1
	buffer_load_dword v75, off, s[0:3], 0 offset:8
	buffer_load_dword v76, off, s[0:3], 0 offset:12
	v_mov_b32_e32 v77, 0
	ds_read_b64 v[77:78], v77 offset:296
	s_waitcnt vmcnt(0) lgkmcnt(0)
	v_fma_f64 v[71:72], v[75:76], v[77:78], v[71:72]
.LBB34_18:
	s_or_b32 exec_lo, exec_lo, s8
	v_mov_b32_e32 v75, 0
	ds_read_b64 v[75:76], v75 offset:16
	s_waitcnt lgkmcnt(0)
	v_mul_f64 v[71:72], v[71:72], v[75:76]
	buffer_store_dword v72, off, s[0:3], 0 offset:20
	buffer_store_dword v71, off, s[0:3], 0 offset:16
.LBB34_19:
	s_or_b32 exec_lo, exec_lo, s5
	s_waitcnt_vscnt null, 0x0
	s_barrier
	buffer_gl0_inv
	s_clause 0x1
	buffer_load_dword v71, off, s[0:3], 0 offset:24
	buffer_load_dword v72, off, s[0:3], 0 offset:28
	v_add_nc_u32_e32 v75, -1, v0
	s_mov_b32 s4, exec_lo
	s_waitcnt vmcnt(0)
	ds_write_b64 v74, v[71:72]
	s_waitcnt lgkmcnt(0)
	s_barrier
	buffer_gl0_inv
	v_cmpx_gt_u32_e32 3, v0
	s_cbranch_execz .LBB34_23
; %bb.20:
	v_mov_b32_e32 v71, 0
	v_add_nc_u32_e32 v76, -1, v0
	v_add_nc_u32_e32 v77, 0x120, v73
	v_mov_b32_e32 v72, 0
	v_mov_b32_e32 v78, v73
	s_mov_b32 s5, 0
.LBB34_21:                              ; =>This Inner Loop Header: Depth=1
	s_clause 0x1
	buffer_load_dword v79, v78, s[0:3], 0 offen
	buffer_load_dword v80, v78, s[0:3], 0 offen offset:4
	ds_read_b64 v[81:82], v77
	v_add_nc_u32_e32 v76, 1, v76
	v_add_nc_u32_e32 v77, 8, v77
	v_add_nc_u32_e32 v78, 8, v78
	v_cmp_lt_u32_e32 vcc_lo, 1, v76
	s_or_b32 s5, vcc_lo, s5
	s_waitcnt vmcnt(0) lgkmcnt(0)
	v_fma_f64 v[71:72], v[79:80], v[81:82], v[71:72]
	s_andn2_b32 exec_lo, exec_lo, s5
	s_cbranch_execnz .LBB34_21
; %bb.22:
	s_or_b32 exec_lo, exec_lo, s5
	v_mov_b32_e32 v76, 0
	ds_read_b64 v[76:77], v76 offset:24
	s_waitcnt lgkmcnt(0)
	v_mul_f64 v[71:72], v[71:72], v[76:77]
	buffer_store_dword v72, off, s[0:3], 0 offset:28
	buffer_store_dword v71, off, s[0:3], 0 offset:24
.LBB34_23:
	s_or_b32 exec_lo, exec_lo, s4
	s_waitcnt_vscnt null, 0x0
	s_barrier
	buffer_gl0_inv
	s_clause 0x1
	buffer_load_dword v71, off, s[0:3], 0 offset:32
	buffer_load_dword v72, off, s[0:3], 0 offset:36
	s_mov_b32 s4, exec_lo
	s_waitcnt vmcnt(0)
	ds_write_b64 v74, v[71:72]
	s_waitcnt lgkmcnt(0)
	s_barrier
	buffer_gl0_inv
	v_cmpx_gt_u32_e32 4, v0
	s_cbranch_execz .LBB34_27
; %bb.24:
	v_mov_b32_e32 v71, 0
	v_add_nc_u32_e32 v76, -1, v0
	v_add_nc_u32_e32 v77, 0x120, v73
	v_mov_b32_e32 v72, 0
	v_mov_b32_e32 v78, v73
	s_mov_b32 s5, 0
.LBB34_25:                              ; =>This Inner Loop Header: Depth=1
	s_clause 0x1
	buffer_load_dword v79, v78, s[0:3], 0 offen
	buffer_load_dword v80, v78, s[0:3], 0 offen offset:4
	ds_read_b64 v[81:82], v77
	v_add_nc_u32_e32 v76, 1, v76
	v_add_nc_u32_e32 v77, 8, v77
	v_add_nc_u32_e32 v78, 8, v78
	v_cmp_lt_u32_e32 vcc_lo, 2, v76
	s_or_b32 s5, vcc_lo, s5
	s_waitcnt vmcnt(0) lgkmcnt(0)
	v_fma_f64 v[71:72], v[79:80], v[81:82], v[71:72]
	s_andn2_b32 exec_lo, exec_lo, s5
	s_cbranch_execnz .LBB34_25
; %bb.26:
	s_or_b32 exec_lo, exec_lo, s5
	v_mov_b32_e32 v76, 0
	ds_read_b64 v[76:77], v76 offset:32
	s_waitcnt lgkmcnt(0)
	v_mul_f64 v[71:72], v[71:72], v[76:77]
	buffer_store_dword v72, off, s[0:3], 0 offset:36
	buffer_store_dword v71, off, s[0:3], 0 offset:32
.LBB34_27:
	s_or_b32 exec_lo, exec_lo, s4
	s_waitcnt_vscnt null, 0x0
	s_barrier
	buffer_gl0_inv
	s_clause 0x1
	buffer_load_dword v71, off, s[0:3], 0 offset:40
	buffer_load_dword v72, off, s[0:3], 0 offset:44
	;; [unrolled: 45-line block ×20, first 2 shown]
	s_mov_b32 s4, exec_lo
	s_waitcnt vmcnt(0)
	ds_write_b64 v74, v[71:72]
	s_waitcnt lgkmcnt(0)
	s_barrier
	buffer_gl0_inv
	v_cmpx_gt_u32_e32 23, v0
	s_cbranch_execz .LBB34_103
; %bb.100:
	v_mov_b32_e32 v71, 0
	v_add_nc_u32_e32 v76, -1, v0
	v_add_nc_u32_e32 v77, 0x120, v73
	v_mov_b32_e32 v72, 0
	v_mov_b32_e32 v78, v73
	s_mov_b32 s5, 0
.LBB34_101:                             ; =>This Inner Loop Header: Depth=1
	s_clause 0x1
	buffer_load_dword v79, v78, s[0:3], 0 offen
	buffer_load_dword v80, v78, s[0:3], 0 offen offset:4
	ds_read_b64 v[81:82], v77
	v_add_nc_u32_e32 v76, 1, v76
	v_add_nc_u32_e32 v77, 8, v77
	v_add_nc_u32_e32 v78, 8, v78
	v_cmp_lt_u32_e32 vcc_lo, 21, v76
	s_or_b32 s5, vcc_lo, s5
	s_waitcnt vmcnt(0) lgkmcnt(0)
	v_fma_f64 v[71:72], v[79:80], v[81:82], v[71:72]
	s_andn2_b32 exec_lo, exec_lo, s5
	s_cbranch_execnz .LBB34_101
; %bb.102:
	s_or_b32 exec_lo, exec_lo, s5
	v_mov_b32_e32 v76, 0
	ds_read_b64 v[76:77], v76 offset:184
	s_waitcnt lgkmcnt(0)
	v_mul_f64 v[71:72], v[71:72], v[76:77]
	buffer_store_dword v72, off, s[0:3], 0 offset:188
	buffer_store_dword v71, off, s[0:3], 0 offset:184
.LBB34_103:
	s_or_b32 exec_lo, exec_lo, s4
	s_waitcnt_vscnt null, 0x0
	s_barrier
	buffer_gl0_inv
	s_clause 0x1
	buffer_load_dword v71, off, s[0:3], 0 offset:192
	buffer_load_dword v72, off, s[0:3], 0 offset:196
	s_mov_b32 s4, exec_lo
	s_waitcnt vmcnt(0)
	ds_write_b64 v74, v[71:72]
	s_waitcnt lgkmcnt(0)
	s_barrier
	buffer_gl0_inv
	v_cmpx_gt_u32_e32 24, v0
	s_cbranch_execz .LBB34_107
; %bb.104:
	v_mov_b32_e32 v71, 0
	v_add_nc_u32_e32 v76, -1, v0
	v_add_nc_u32_e32 v77, 0x120, v73
	v_mov_b32_e32 v72, 0
	v_mov_b32_e32 v78, v73
	s_mov_b32 s5, 0
.LBB34_105:                             ; =>This Inner Loop Header: Depth=1
	s_clause 0x1
	buffer_load_dword v79, v78, s[0:3], 0 offen
	buffer_load_dword v80, v78, s[0:3], 0 offen offset:4
	ds_read_b64 v[81:82], v77
	v_add_nc_u32_e32 v76, 1, v76
	v_add_nc_u32_e32 v77, 8, v77
	v_add_nc_u32_e32 v78, 8, v78
	v_cmp_lt_u32_e32 vcc_lo, 22, v76
	s_or_b32 s5, vcc_lo, s5
	s_waitcnt vmcnt(0) lgkmcnt(0)
	v_fma_f64 v[71:72], v[79:80], v[81:82], v[71:72]
	s_andn2_b32 exec_lo, exec_lo, s5
	s_cbranch_execnz .LBB34_105
; %bb.106:
	s_or_b32 exec_lo, exec_lo, s5
	v_mov_b32_e32 v76, 0
	ds_read_b64 v[76:77], v76 offset:192
	s_waitcnt lgkmcnt(0)
	v_mul_f64 v[71:72], v[71:72], v[76:77]
	buffer_store_dword v72, off, s[0:3], 0 offset:196
	buffer_store_dword v71, off, s[0:3], 0 offset:192
.LBB34_107:
	s_or_b32 exec_lo, exec_lo, s4
	s_waitcnt_vscnt null, 0x0
	s_barrier
	buffer_gl0_inv
	s_clause 0x1
	buffer_load_dword v71, off, s[0:3], 0 offset:200
	buffer_load_dword v72, off, s[0:3], 0 offset:204
	;; [unrolled: 45-line block ×11, first 2 shown]
	s_mov_b32 s4, exec_lo
	s_waitcnt vmcnt(0)
	ds_write_b64 v74, v[71:72]
	s_waitcnt lgkmcnt(0)
	s_barrier
	buffer_gl0_inv
	v_cmpx_ne_u32_e32 34, v0
	s_cbranch_execz .LBB34_147
; %bb.144:
	v_mov_b32_e32 v71, 0
	v_mov_b32_e32 v72, 0
	s_mov_b32 s5, 0
.LBB34_145:                             ; =>This Inner Loop Header: Depth=1
	s_clause 0x1
	buffer_load_dword v76, v73, s[0:3], 0 offen
	buffer_load_dword v77, v73, s[0:3], 0 offen offset:4
	ds_read_b64 v[78:79], v74
	v_add_nc_u32_e32 v75, 1, v75
	v_add_nc_u32_e32 v74, 8, v74
	;; [unrolled: 1-line block ×3, first 2 shown]
	v_cmp_lt_u32_e32 vcc_lo, 32, v75
	s_or_b32 s5, vcc_lo, s5
	s_waitcnt vmcnt(0) lgkmcnt(0)
	v_fma_f64 v[71:72], v[76:77], v[78:79], v[71:72]
	s_andn2_b32 exec_lo, exec_lo, s5
	s_cbranch_execnz .LBB34_145
; %bb.146:
	s_or_b32 exec_lo, exec_lo, s5
	v_mov_b32_e32 v73, 0
	ds_read_b64 v[73:74], v73 offset:272
	s_waitcnt lgkmcnt(0)
	v_mul_f64 v[71:72], v[71:72], v[73:74]
	buffer_store_dword v72, off, s[0:3], 0 offset:276
	buffer_store_dword v71, off, s[0:3], 0 offset:272
.LBB34_147:
	s_or_b32 exec_lo, exec_lo, s4
	s_mov_b32 s5, -1
	s_waitcnt_vscnt null, 0x0
	s_barrier
	buffer_gl0_inv
.LBB34_148:
	s_and_b32 vcc_lo, exec_lo, s5
	s_cbranch_vccz .LBB34_150
; %bb.149:
	s_lshl_b64 s[4:5], s[6:7], 2
	v_mov_b32_e32 v71, 0
	s_add_u32 s4, s10, s4
	s_addc_u32 s5, s11, s5
	global_load_dword v71, v71, s[4:5]
	s_waitcnt vmcnt(0)
	v_cmp_ne_u32_e32 vcc_lo, 0, v71
	s_cbranch_vccz .LBB34_151
.LBB34_150:
	s_endpgm
.LBB34_151:
	v_lshl_add_u32 v71, v0, 3, 0x120
	s_mov_b32 s4, exec_lo
	v_cmpx_eq_u32_e32 34, v0
	s_cbranch_execz .LBB34_153
; %bb.152:
	s_clause 0x1
	buffer_load_dword v72, off, s[0:3], 0 offset:264
	buffer_load_dword v73, off, s[0:3], 0 offset:268
	v_mov_b32_e32 v74, 0
	buffer_store_dword v74, off, s[0:3], 0 offset:264
	buffer_store_dword v74, off, s[0:3], 0 offset:268
	s_waitcnt vmcnt(0)
	ds_write_b64 v71, v[72:73]
.LBB34_153:
	s_or_b32 exec_lo, exec_lo, s4
	s_waitcnt lgkmcnt(0)
	s_waitcnt_vscnt null, 0x0
	s_barrier
	buffer_gl0_inv
	s_clause 0x3
	buffer_load_dword v73, off, s[0:3], 0 offset:272
	buffer_load_dword v74, off, s[0:3], 0 offset:276
	;; [unrolled: 1-line block ×4, first 2 shown]
	v_mov_b32_e32 v72, 0
	s_mov_b32 s4, exec_lo
	ds_read_b64 v[77:78], v72 offset:560
	s_waitcnt vmcnt(2) lgkmcnt(0)
	v_fma_f64 v[73:74], v[73:74], v[77:78], 0
	s_waitcnt vmcnt(0)
	v_add_f64 v[73:74], v[75:76], -v[73:74]
	buffer_store_dword v73, off, s[0:3], 0 offset:264
	buffer_store_dword v74, off, s[0:3], 0 offset:268
	v_cmpx_lt_u32_e32 32, v0
	s_cbranch_execz .LBB34_155
; %bb.154:
	s_clause 0x1
	buffer_load_dword v73, off, s[0:3], 0 offset:256
	buffer_load_dword v74, off, s[0:3], 0 offset:260
	buffer_store_dword v72, off, s[0:3], 0 offset:256
	buffer_store_dword v72, off, s[0:3], 0 offset:260
	s_waitcnt vmcnt(0)
	ds_write_b64 v71, v[73:74]
.LBB34_155:
	s_or_b32 exec_lo, exec_lo, s4
	s_waitcnt lgkmcnt(0)
	s_waitcnt_vscnt null, 0x0
	s_barrier
	buffer_gl0_inv
	s_clause 0x5
	buffer_load_dword v76, off, s[0:3], 0 offset:264
	buffer_load_dword v77, off, s[0:3], 0 offset:268
	;; [unrolled: 1-line block ×6, first 2 shown]
	ds_read2_b64 v[72:75], v72 offset0:69 offset1:70
	s_mov_b32 s4, exec_lo
	s_waitcnt vmcnt(4) lgkmcnt(0)
	v_fma_f64 v[72:73], v[76:77], v[72:73], 0
	s_waitcnt vmcnt(2)
	v_fma_f64 v[72:73], v[78:79], v[74:75], v[72:73]
	s_waitcnt vmcnt(0)
	v_add_f64 v[72:73], v[80:81], -v[72:73]
	buffer_store_dword v72, off, s[0:3], 0 offset:256
	buffer_store_dword v73, off, s[0:3], 0 offset:260
	v_cmpx_lt_u32_e32 31, v0
	s_cbranch_execz .LBB34_157
; %bb.156:
	s_clause 0x1
	buffer_load_dword v72, off, s[0:3], 0 offset:248
	buffer_load_dword v73, off, s[0:3], 0 offset:252
	v_mov_b32_e32 v74, 0
	buffer_store_dword v74, off, s[0:3], 0 offset:248
	buffer_store_dword v74, off, s[0:3], 0 offset:252
	s_waitcnt vmcnt(0)
	ds_write_b64 v71, v[72:73]
.LBB34_157:
	s_or_b32 exec_lo, exec_lo, s4
	s_waitcnt lgkmcnt(0)
	s_waitcnt_vscnt null, 0x0
	s_barrier
	buffer_gl0_inv
	s_clause 0x7
	buffer_load_dword v77, off, s[0:3], 0 offset:256
	buffer_load_dword v78, off, s[0:3], 0 offset:260
	;; [unrolled: 1-line block ×8, first 2 shown]
	v_mov_b32_e32 v72, 0
	ds_read_b128 v[73:76], v72 offset:544
	ds_read_b64 v[85:86], v72 offset:560
	s_mov_b32 s4, exec_lo
	s_waitcnt vmcnt(6) lgkmcnt(1)
	v_fma_f64 v[73:74], v[77:78], v[73:74], 0
	s_waitcnt vmcnt(4)
	v_fma_f64 v[73:74], v[79:80], v[75:76], v[73:74]
	s_waitcnt vmcnt(2) lgkmcnt(0)
	v_fma_f64 v[73:74], v[81:82], v[85:86], v[73:74]
	s_waitcnt vmcnt(0)
	v_add_f64 v[73:74], v[83:84], -v[73:74]
	buffer_store_dword v73, off, s[0:3], 0 offset:248
	buffer_store_dword v74, off, s[0:3], 0 offset:252
	v_cmpx_lt_u32_e32 30, v0
	s_cbranch_execz .LBB34_159
; %bb.158:
	s_clause 0x1
	buffer_load_dword v73, off, s[0:3], 0 offset:240
	buffer_load_dword v74, off, s[0:3], 0 offset:244
	buffer_store_dword v72, off, s[0:3], 0 offset:240
	buffer_store_dword v72, off, s[0:3], 0 offset:244
	s_waitcnt vmcnt(0)
	ds_write_b64 v71, v[73:74]
.LBB34_159:
	s_or_b32 exec_lo, exec_lo, s4
	s_waitcnt lgkmcnt(0)
	s_waitcnt_vscnt null, 0x0
	s_barrier
	buffer_gl0_inv
	s_clause 0x9
	buffer_load_dword v81, off, s[0:3], 0 offset:248
	buffer_load_dword v82, off, s[0:3], 0 offset:252
	;; [unrolled: 1-line block ×10, first 2 shown]
	ds_read2_b64 v[73:76], v72 offset0:67 offset1:68
	ds_read2_b64 v[77:80], v72 offset0:69 offset1:70
	s_mov_b32 s4, exec_lo
	s_waitcnt vmcnt(8) lgkmcnt(1)
	v_fma_f64 v[72:73], v[81:82], v[73:74], 0
	s_waitcnt vmcnt(6)
	v_fma_f64 v[72:73], v[83:84], v[75:76], v[72:73]
	s_waitcnt vmcnt(4) lgkmcnt(0)
	v_fma_f64 v[72:73], v[85:86], v[77:78], v[72:73]
	s_waitcnt vmcnt(2)
	v_fma_f64 v[72:73], v[87:88], v[79:80], v[72:73]
	s_waitcnt vmcnt(0)
	v_add_f64 v[72:73], v[89:90], -v[72:73]
	buffer_store_dword v72, off, s[0:3], 0 offset:240
	buffer_store_dword v73, off, s[0:3], 0 offset:244
	v_cmpx_lt_u32_e32 29, v0
	s_cbranch_execz .LBB34_161
; %bb.160:
	s_clause 0x1
	buffer_load_dword v72, off, s[0:3], 0 offset:232
	buffer_load_dword v73, off, s[0:3], 0 offset:236
	v_mov_b32_e32 v74, 0
	buffer_store_dword v74, off, s[0:3], 0 offset:232
	buffer_store_dword v74, off, s[0:3], 0 offset:236
	s_waitcnt vmcnt(0)
	ds_write_b64 v71, v[72:73]
.LBB34_161:
	s_or_b32 exec_lo, exec_lo, s4
	s_waitcnt lgkmcnt(0)
	s_waitcnt_vscnt null, 0x0
	s_barrier
	buffer_gl0_inv
	s_clause 0xb
	buffer_load_dword v81, off, s[0:3], 0 offset:240
	buffer_load_dword v82, off, s[0:3], 0 offset:244
	;; [unrolled: 1-line block ×12, first 2 shown]
	v_mov_b32_e32 v72, 0
	ds_read_b128 v[73:76], v72 offset:528
	ds_read_b128 v[77:80], v72 offset:544
	s_mov_b32 s4, exec_lo
	s_waitcnt vmcnt(10) lgkmcnt(1)
	v_fma_f64 v[73:74], v[81:82], v[73:74], 0
	s_waitcnt vmcnt(8)
	v_fma_f64 v[73:74], v[83:84], v[75:76], v[73:74]
	ds_read_b64 v[75:76], v72 offset:560
	s_waitcnt vmcnt(6) lgkmcnt(1)
	v_fma_f64 v[73:74], v[85:86], v[77:78], v[73:74]
	s_waitcnt vmcnt(4)
	v_fma_f64 v[73:74], v[87:88], v[79:80], v[73:74]
	s_waitcnt vmcnt(2) lgkmcnt(0)
	v_fma_f64 v[73:74], v[89:90], v[75:76], v[73:74]
	s_waitcnt vmcnt(0)
	v_add_f64 v[73:74], v[91:92], -v[73:74]
	buffer_store_dword v73, off, s[0:3], 0 offset:232
	buffer_store_dword v74, off, s[0:3], 0 offset:236
	v_cmpx_lt_u32_e32 28, v0
	s_cbranch_execz .LBB34_163
; %bb.162:
	s_clause 0x1
	buffer_load_dword v73, off, s[0:3], 0 offset:224
	buffer_load_dword v74, off, s[0:3], 0 offset:228
	buffer_store_dword v72, off, s[0:3], 0 offset:224
	buffer_store_dword v72, off, s[0:3], 0 offset:228
	s_waitcnt vmcnt(0)
	ds_write_b64 v71, v[73:74]
.LBB34_163:
	s_or_b32 exec_lo, exec_lo, s4
	s_waitcnt lgkmcnt(0)
	s_waitcnt_vscnt null, 0x0
	s_barrier
	buffer_gl0_inv
	s_clause 0xd
	buffer_load_dword v81, off, s[0:3], 0 offset:232
	buffer_load_dword v82, off, s[0:3], 0 offset:236
	;; [unrolled: 1-line block ×14, first 2 shown]
	ds_read2_b64 v[73:76], v72 offset0:65 offset1:66
	ds_read2_b64 v[77:80], v72 offset0:67 offset1:68
	s_mov_b32 s4, exec_lo
	s_waitcnt vmcnt(12) lgkmcnt(1)
	v_fma_f64 v[73:74], v[81:82], v[73:74], 0
	s_waitcnt vmcnt(10)
	v_fma_f64 v[73:74], v[83:84], v[75:76], v[73:74]
	s_waitcnt vmcnt(8) lgkmcnt(0)
	v_fma_f64 v[73:74], v[85:86], v[77:78], v[73:74]
	s_waitcnt vmcnt(6)
	v_fma_f64 v[76:77], v[87:88], v[79:80], v[73:74]
	ds_read2_b64 v[72:75], v72 offset0:69 offset1:70
	s_waitcnt vmcnt(4) lgkmcnt(0)
	v_fma_f64 v[72:73], v[89:90], v[72:73], v[76:77]
	s_waitcnt vmcnt(2)
	v_fma_f64 v[72:73], v[91:92], v[74:75], v[72:73]
	s_waitcnt vmcnt(0)
	v_add_f64 v[72:73], v[93:94], -v[72:73]
	buffer_store_dword v72, off, s[0:3], 0 offset:224
	buffer_store_dword v73, off, s[0:3], 0 offset:228
	v_cmpx_lt_u32_e32 27, v0
	s_cbranch_execz .LBB34_165
; %bb.164:
	s_clause 0x1
	buffer_load_dword v72, off, s[0:3], 0 offset:216
	buffer_load_dword v73, off, s[0:3], 0 offset:220
	v_mov_b32_e32 v74, 0
	buffer_store_dword v74, off, s[0:3], 0 offset:216
	buffer_store_dword v74, off, s[0:3], 0 offset:220
	s_waitcnt vmcnt(0)
	ds_write_b64 v71, v[72:73]
.LBB34_165:
	s_or_b32 exec_lo, exec_lo, s4
	s_waitcnt lgkmcnt(0)
	s_waitcnt_vscnt null, 0x0
	s_barrier
	buffer_gl0_inv
	s_clause 0xf
	buffer_load_dword v81, off, s[0:3], 0 offset:224
	buffer_load_dword v82, off, s[0:3], 0 offset:228
	;; [unrolled: 1-line block ×16, first 2 shown]
	v_mov_b32_e32 v72, 0
	ds_read_b128 v[73:76], v72 offset:512
	ds_read_b128 v[77:80], v72 offset:528
	s_mov_b32 s4, exec_lo
	s_waitcnt vmcnt(14) lgkmcnt(1)
	v_fma_f64 v[73:74], v[81:82], v[73:74], 0
	s_waitcnt vmcnt(12)
	v_fma_f64 v[73:74], v[83:84], v[75:76], v[73:74]
	s_waitcnt vmcnt(10) lgkmcnt(0)
	v_fma_f64 v[73:74], v[85:86], v[77:78], v[73:74]
	s_waitcnt vmcnt(8)
	v_fma_f64 v[77:78], v[87:88], v[79:80], v[73:74]
	ds_read_b128 v[73:76], v72 offset:544
	ds_read_b64 v[79:80], v72 offset:560
	s_waitcnt vmcnt(6) lgkmcnt(1)
	v_fma_f64 v[73:74], v[89:90], v[73:74], v[77:78]
	s_waitcnt vmcnt(4)
	v_fma_f64 v[73:74], v[91:92], v[75:76], v[73:74]
	s_waitcnt vmcnt(2) lgkmcnt(0)
	v_fma_f64 v[73:74], v[93:94], v[79:80], v[73:74]
	s_waitcnt vmcnt(0)
	v_add_f64 v[73:74], v[95:96], -v[73:74]
	buffer_store_dword v73, off, s[0:3], 0 offset:216
	buffer_store_dword v74, off, s[0:3], 0 offset:220
	v_cmpx_lt_u32_e32 26, v0
	s_cbranch_execz .LBB34_167
; %bb.166:
	s_clause 0x1
	buffer_load_dword v73, off, s[0:3], 0 offset:208
	buffer_load_dword v74, off, s[0:3], 0 offset:212
	buffer_store_dword v72, off, s[0:3], 0 offset:208
	buffer_store_dword v72, off, s[0:3], 0 offset:212
	s_waitcnt vmcnt(0)
	ds_write_b64 v71, v[73:74]
.LBB34_167:
	s_or_b32 exec_lo, exec_lo, s4
	s_waitcnt lgkmcnt(0)
	s_waitcnt_vscnt null, 0x0
	s_barrier
	buffer_gl0_inv
	s_clause 0x11
	buffer_load_dword v81, off, s[0:3], 0 offset:216
	buffer_load_dword v82, off, s[0:3], 0 offset:220
	;; [unrolled: 1-line block ×18, first 2 shown]
	ds_read2_b64 v[73:76], v72 offset0:63 offset1:64
	ds_read2_b64 v[77:80], v72 offset0:65 offset1:66
	s_mov_b32 s4, exec_lo
	s_waitcnt vmcnt(16) lgkmcnt(1)
	v_fma_f64 v[73:74], v[81:82], v[73:74], 0
	s_waitcnt vmcnt(14)
	v_fma_f64 v[73:74], v[83:84], v[75:76], v[73:74]
	s_waitcnt vmcnt(12) lgkmcnt(0)
	v_fma_f64 v[73:74], v[85:86], v[77:78], v[73:74]
	s_waitcnt vmcnt(10)
	v_fma_f64 v[81:82], v[87:88], v[79:80], v[73:74]
	ds_read2_b64 v[73:76], v72 offset0:67 offset1:68
	ds_read2_b64 v[77:80], v72 offset0:69 offset1:70
	s_waitcnt vmcnt(8) lgkmcnt(1)
	v_fma_f64 v[72:73], v[89:90], v[73:74], v[81:82]
	s_waitcnt vmcnt(6)
	v_fma_f64 v[72:73], v[91:92], v[75:76], v[72:73]
	s_waitcnt vmcnt(4) lgkmcnt(0)
	v_fma_f64 v[72:73], v[93:94], v[77:78], v[72:73]
	s_waitcnt vmcnt(2)
	v_fma_f64 v[72:73], v[95:96], v[79:80], v[72:73]
	s_waitcnt vmcnt(0)
	v_add_f64 v[72:73], v[97:98], -v[72:73]
	buffer_store_dword v72, off, s[0:3], 0 offset:208
	buffer_store_dword v73, off, s[0:3], 0 offset:212
	v_cmpx_lt_u32_e32 25, v0
	s_cbranch_execz .LBB34_169
; %bb.168:
	s_clause 0x1
	buffer_load_dword v72, off, s[0:3], 0 offset:200
	buffer_load_dword v73, off, s[0:3], 0 offset:204
	v_mov_b32_e32 v74, 0
	buffer_store_dword v74, off, s[0:3], 0 offset:200
	buffer_store_dword v74, off, s[0:3], 0 offset:204
	s_waitcnt vmcnt(0)
	ds_write_b64 v71, v[72:73]
.LBB34_169:
	s_or_b32 exec_lo, exec_lo, s4
	s_waitcnt lgkmcnt(0)
	s_waitcnt_vscnt null, 0x0
	s_barrier
	buffer_gl0_inv
	s_clause 0x13
	buffer_load_dword v81, off, s[0:3], 0 offset:208
	buffer_load_dword v82, off, s[0:3], 0 offset:212
	;; [unrolled: 1-line block ×20, first 2 shown]
	v_mov_b32_e32 v72, 0
	ds_read_b128 v[73:76], v72 offset:496
	ds_read_b128 v[77:80], v72 offset:512
	s_mov_b32 s4, exec_lo
	s_waitcnt vmcnt(18) lgkmcnt(1)
	v_fma_f64 v[73:74], v[81:82], v[73:74], 0
	s_waitcnt vmcnt(16)
	v_fma_f64 v[73:74], v[83:84], v[75:76], v[73:74]
	s_waitcnt vmcnt(14) lgkmcnt(0)
	v_fma_f64 v[73:74], v[85:86], v[77:78], v[73:74]
	s_waitcnt vmcnt(12)
	v_fma_f64 v[81:82], v[87:88], v[79:80], v[73:74]
	ds_read_b128 v[73:76], v72 offset:528
	ds_read_b128 v[77:80], v72 offset:544
	s_waitcnt vmcnt(10) lgkmcnt(1)
	v_fma_f64 v[73:74], v[89:90], v[73:74], v[81:82]
	s_waitcnt vmcnt(8)
	v_fma_f64 v[73:74], v[91:92], v[75:76], v[73:74]
	ds_read_b64 v[75:76], v72 offset:560
	s_waitcnt vmcnt(6) lgkmcnt(1)
	v_fma_f64 v[73:74], v[93:94], v[77:78], v[73:74]
	s_waitcnt vmcnt(3)
	v_fma_f64 v[73:74], v[95:96], v[79:80], v[73:74]
	s_waitcnt vmcnt(2) lgkmcnt(0)
	v_fma_f64 v[73:74], v[97:98], v[75:76], v[73:74]
	s_waitcnt vmcnt(0)
	v_add_f64 v[73:74], v[99:100], -v[73:74]
	buffer_store_dword v73, off, s[0:3], 0 offset:200
	buffer_store_dword v74, off, s[0:3], 0 offset:204
	v_cmpx_lt_u32_e32 24, v0
	s_cbranch_execz .LBB34_171
; %bb.170:
	s_clause 0x1
	buffer_load_dword v73, off, s[0:3], 0 offset:192
	buffer_load_dword v74, off, s[0:3], 0 offset:196
	buffer_store_dword v72, off, s[0:3], 0 offset:192
	buffer_store_dword v72, off, s[0:3], 0 offset:196
	s_waitcnt vmcnt(0)
	ds_write_b64 v71, v[73:74]
.LBB34_171:
	s_or_b32 exec_lo, exec_lo, s4
	s_waitcnt lgkmcnt(0)
	s_waitcnt_vscnt null, 0x0
	s_barrier
	buffer_gl0_inv
	s_clause 0x15
	buffer_load_dword v81, off, s[0:3], 0 offset:200
	buffer_load_dword v82, off, s[0:3], 0 offset:204
	;; [unrolled: 1-line block ×22, first 2 shown]
	ds_read2_b64 v[73:76], v72 offset0:61 offset1:62
	ds_read2_b64 v[77:80], v72 offset0:63 offset1:64
	s_mov_b32 s4, exec_lo
	s_waitcnt vmcnt(20) lgkmcnt(1)
	v_fma_f64 v[73:74], v[81:82], v[73:74], 0
	s_waitcnt vmcnt(18)
	v_fma_f64 v[73:74], v[83:84], v[75:76], v[73:74]
	s_waitcnt vmcnt(16) lgkmcnt(0)
	v_fma_f64 v[73:74], v[85:86], v[77:78], v[73:74]
	s_waitcnt vmcnt(14)
	v_fma_f64 v[81:82], v[87:88], v[79:80], v[73:74]
	ds_read2_b64 v[73:76], v72 offset0:65 offset1:66
	ds_read2_b64 v[77:80], v72 offset0:67 offset1:68
	s_waitcnt vmcnt(12) lgkmcnt(1)
	v_fma_f64 v[73:74], v[89:90], v[73:74], v[81:82]
	s_waitcnt vmcnt(10)
	v_fma_f64 v[73:74], v[91:92], v[75:76], v[73:74]
	s_waitcnt vmcnt(8) lgkmcnt(0)
	v_fma_f64 v[73:74], v[93:94], v[77:78], v[73:74]
	s_waitcnt vmcnt(4)
	v_fma_f64 v[76:77], v[95:96], v[79:80], v[73:74]
	ds_read2_b64 v[72:75], v72 offset0:69 offset1:70
	s_waitcnt vmcnt(3) lgkmcnt(0)
	v_fma_f64 v[72:73], v[99:100], v[72:73], v[76:77]
	s_waitcnt vmcnt(2)
	v_fma_f64 v[72:73], v[97:98], v[74:75], v[72:73]
	s_waitcnt vmcnt(0)
	v_add_f64 v[72:73], v[101:102], -v[72:73]
	buffer_store_dword v72, off, s[0:3], 0 offset:192
	buffer_store_dword v73, off, s[0:3], 0 offset:196
	v_cmpx_lt_u32_e32 23, v0
	s_cbranch_execz .LBB34_173
; %bb.172:
	s_clause 0x1
	buffer_load_dword v72, off, s[0:3], 0 offset:184
	buffer_load_dword v73, off, s[0:3], 0 offset:188
	v_mov_b32_e32 v74, 0
	buffer_store_dword v74, off, s[0:3], 0 offset:184
	buffer_store_dword v74, off, s[0:3], 0 offset:188
	s_waitcnt vmcnt(0)
	ds_write_b64 v71, v[72:73]
.LBB34_173:
	s_or_b32 exec_lo, exec_lo, s4
	s_waitcnt lgkmcnt(0)
	s_waitcnt_vscnt null, 0x0
	s_barrier
	buffer_gl0_inv
	s_clause 0x17
	buffer_load_dword v81, off, s[0:3], 0 offset:192
	buffer_load_dword v82, off, s[0:3], 0 offset:196
	;; [unrolled: 1-line block ×24, first 2 shown]
	v_mov_b32_e32 v72, 0
	ds_read_b128 v[73:76], v72 offset:480
	ds_read_b128 v[77:80], v72 offset:496
	s_mov_b32 s4, exec_lo
	s_waitcnt vmcnt(22) lgkmcnt(1)
	v_fma_f64 v[73:74], v[81:82], v[73:74], 0
	s_waitcnt vmcnt(20)
	v_fma_f64 v[73:74], v[83:84], v[75:76], v[73:74]
	s_waitcnt vmcnt(18) lgkmcnt(0)
	v_fma_f64 v[73:74], v[85:86], v[77:78], v[73:74]
	s_waitcnt vmcnt(16)
	v_fma_f64 v[81:82], v[87:88], v[79:80], v[73:74]
	ds_read_b128 v[73:76], v72 offset:512
	ds_read_b128 v[77:80], v72 offset:528
	s_waitcnt vmcnt(14) lgkmcnt(1)
	v_fma_f64 v[73:74], v[89:90], v[73:74], v[81:82]
	s_waitcnt vmcnt(12)
	v_fma_f64 v[73:74], v[91:92], v[75:76], v[73:74]
	s_waitcnt vmcnt(10) lgkmcnt(0)
	v_fma_f64 v[73:74], v[93:94], v[77:78], v[73:74]
	s_waitcnt vmcnt(5)
	v_fma_f64 v[77:78], v[95:96], v[79:80], v[73:74]
	ds_read_b128 v[73:76], v72 offset:544
	ds_read_b64 v[79:80], v72 offset:560
	s_waitcnt vmcnt(4) lgkmcnt(1)
	v_fma_f64 v[73:74], v[101:102], v[73:74], v[77:78]
	s_waitcnt vmcnt(3)
	v_fma_f64 v[73:74], v[99:100], v[75:76], v[73:74]
	s_waitcnt vmcnt(2) lgkmcnt(0)
	v_fma_f64 v[73:74], v[97:98], v[79:80], v[73:74]
	s_waitcnt vmcnt(0)
	v_add_f64 v[73:74], v[103:104], -v[73:74]
	buffer_store_dword v74, off, s[0:3], 0 offset:188
	buffer_store_dword v73, off, s[0:3], 0 offset:184
	v_cmpx_lt_u32_e32 22, v0
	s_cbranch_execz .LBB34_175
; %bb.174:
	s_clause 0x1
	buffer_load_dword v73, off, s[0:3], 0 offset:176
	buffer_load_dword v74, off, s[0:3], 0 offset:180
	buffer_store_dword v72, off, s[0:3], 0 offset:176
	buffer_store_dword v72, off, s[0:3], 0 offset:180
	s_waitcnt vmcnt(0)
	ds_write_b64 v71, v[73:74]
.LBB34_175:
	s_or_b32 exec_lo, exec_lo, s4
	s_waitcnt lgkmcnt(0)
	s_waitcnt_vscnt null, 0x0
	s_barrier
	buffer_gl0_inv
	s_clause 0x19
	buffer_load_dword v81, off, s[0:3], 0 offset:184
	buffer_load_dword v82, off, s[0:3], 0 offset:188
	;; [unrolled: 1-line block ×26, first 2 shown]
	ds_read2_b64 v[73:76], v72 offset0:59 offset1:60
	ds_read2_b64 v[77:80], v72 offset0:61 offset1:62
	s_mov_b32 s4, exec_lo
	s_waitcnt vmcnt(24) lgkmcnt(1)
	v_fma_f64 v[73:74], v[81:82], v[73:74], 0
	s_waitcnt vmcnt(22)
	v_fma_f64 v[73:74], v[83:84], v[75:76], v[73:74]
	s_waitcnt vmcnt(20) lgkmcnt(0)
	v_fma_f64 v[73:74], v[85:86], v[77:78], v[73:74]
	s_waitcnt vmcnt(18)
	v_fma_f64 v[81:82], v[87:88], v[79:80], v[73:74]
	ds_read2_b64 v[73:76], v72 offset0:63 offset1:64
	ds_read2_b64 v[77:80], v72 offset0:65 offset1:66
	s_waitcnt vmcnt(16) lgkmcnt(1)
	v_fma_f64 v[73:74], v[89:90], v[73:74], v[81:82]
	s_waitcnt vmcnt(14)
	v_fma_f64 v[73:74], v[91:92], v[75:76], v[73:74]
	s_waitcnt vmcnt(12) lgkmcnt(0)
	v_fma_f64 v[73:74], v[93:94], v[77:78], v[73:74]
	s_waitcnt vmcnt(7)
	v_fma_f64 v[81:82], v[95:96], v[79:80], v[73:74]
	ds_read2_b64 v[73:76], v72 offset0:67 offset1:68
	ds_read2_b64 v[77:80], v72 offset0:69 offset1:70
	s_waitcnt vmcnt(6) lgkmcnt(1)
	v_fma_f64 v[72:73], v[101:102], v[73:74], v[81:82]
	s_waitcnt vmcnt(5)
	v_fma_f64 v[72:73], v[99:100], v[75:76], v[72:73]
	s_waitcnt vmcnt(4) lgkmcnt(0)
	v_fma_f64 v[72:73], v[97:98], v[77:78], v[72:73]
	s_waitcnt vmcnt(2)
	v_fma_f64 v[72:73], v[103:104], v[79:80], v[72:73]
	s_waitcnt vmcnt(0)
	v_add_f64 v[72:73], v[105:106], -v[72:73]
	buffer_store_dword v73, off, s[0:3], 0 offset:180
	buffer_store_dword v72, off, s[0:3], 0 offset:176
	v_cmpx_lt_u32_e32 21, v0
	s_cbranch_execz .LBB34_177
; %bb.176:
	s_clause 0x1
	buffer_load_dword v72, off, s[0:3], 0 offset:168
	buffer_load_dword v73, off, s[0:3], 0 offset:172
	v_mov_b32_e32 v74, 0
	buffer_store_dword v74, off, s[0:3], 0 offset:168
	buffer_store_dword v74, off, s[0:3], 0 offset:172
	s_waitcnt vmcnt(0)
	ds_write_b64 v71, v[72:73]
.LBB34_177:
	s_or_b32 exec_lo, exec_lo, s4
	s_waitcnt lgkmcnt(0)
	s_waitcnt_vscnt null, 0x0
	s_barrier
	buffer_gl0_inv
	s_clause 0x1b
	buffer_load_dword v81, off, s[0:3], 0 offset:176
	buffer_load_dword v82, off, s[0:3], 0 offset:180
	;; [unrolled: 1-line block ×28, first 2 shown]
	v_mov_b32_e32 v72, 0
	ds_read_b128 v[73:76], v72 offset:464
	ds_read_b128 v[77:80], v72 offset:480
	s_mov_b32 s4, exec_lo
	s_waitcnt vmcnt(26) lgkmcnt(1)
	v_fma_f64 v[73:74], v[81:82], v[73:74], 0
	s_waitcnt vmcnt(24)
	v_fma_f64 v[73:74], v[83:84], v[75:76], v[73:74]
	s_waitcnt vmcnt(22) lgkmcnt(0)
	v_fma_f64 v[73:74], v[85:86], v[77:78], v[73:74]
	s_waitcnt vmcnt(20)
	v_fma_f64 v[81:82], v[87:88], v[79:80], v[73:74]
	ds_read_b128 v[73:76], v72 offset:496
	ds_read_b128 v[77:80], v72 offset:512
	s_waitcnt vmcnt(18) lgkmcnt(1)
	v_fma_f64 v[73:74], v[89:90], v[73:74], v[81:82]
	s_waitcnt vmcnt(16)
	v_fma_f64 v[73:74], v[91:92], v[75:76], v[73:74]
	s_waitcnt vmcnt(14) lgkmcnt(0)
	v_fma_f64 v[73:74], v[93:94], v[77:78], v[73:74]
	s_waitcnt vmcnt(9)
	v_fma_f64 v[81:82], v[95:96], v[79:80], v[73:74]
	ds_read_b128 v[73:76], v72 offset:528
	ds_read_b128 v[77:80], v72 offset:544
	s_waitcnt vmcnt(8) lgkmcnt(1)
	v_fma_f64 v[73:74], v[101:102], v[73:74], v[81:82]
	s_waitcnt vmcnt(7)
	v_fma_f64 v[73:74], v[99:100], v[75:76], v[73:74]
	ds_read_b64 v[75:76], v72 offset:560
	s_waitcnt vmcnt(6) lgkmcnt(1)
	v_fma_f64 v[73:74], v[97:98], v[77:78], v[73:74]
	s_waitcnt vmcnt(3)
	v_fma_f64 v[73:74], v[103:104], v[79:80], v[73:74]
	s_waitcnt vmcnt(2) lgkmcnt(0)
	v_fma_f64 v[73:74], v[105:106], v[75:76], v[73:74]
	s_waitcnt vmcnt(0)
	v_add_f64 v[73:74], v[107:108], -v[73:74]
	buffer_store_dword v74, off, s[0:3], 0 offset:172
	buffer_store_dword v73, off, s[0:3], 0 offset:168
	v_cmpx_lt_u32_e32 20, v0
	s_cbranch_execz .LBB34_179
; %bb.178:
	s_clause 0x1
	buffer_load_dword v73, off, s[0:3], 0 offset:160
	buffer_load_dword v74, off, s[0:3], 0 offset:164
	buffer_store_dword v72, off, s[0:3], 0 offset:160
	buffer_store_dword v72, off, s[0:3], 0 offset:164
	s_waitcnt vmcnt(0)
	ds_write_b64 v71, v[73:74]
.LBB34_179:
	s_or_b32 exec_lo, exec_lo, s4
	s_waitcnt lgkmcnt(0)
	s_waitcnt_vscnt null, 0x0
	s_barrier
	buffer_gl0_inv
	s_clause 0x1b
	buffer_load_dword v77, off, s[0:3], 0 offset:168
	buffer_load_dword v78, off, s[0:3], 0 offset:172
	;; [unrolled: 1-line block ×28, first 2 shown]
	ds_read2_b64 v[73:76], v72 offset0:57 offset1:58
	s_clause 0x1
	buffer_load_dword v105, off, s[0:3], 0 offset:160
	buffer_load_dword v106, off, s[0:3], 0 offset:164
	s_mov_b32 s4, exec_lo
	s_waitcnt vmcnt(28) lgkmcnt(0)
	v_fma_f64 v[73:74], v[77:78], v[73:74], 0
	s_waitcnt vmcnt(26)
	v_fma_f64 v[77:78], v[79:80], v[75:76], v[73:74]
	ds_read2_b64 v[73:76], v72 offset0:59 offset1:60
	s_waitcnt vmcnt(24) lgkmcnt(0)
	v_fma_f64 v[73:74], v[81:82], v[73:74], v[77:78]
	s_waitcnt vmcnt(22)
	v_fma_f64 v[77:78], v[83:84], v[75:76], v[73:74]
	ds_read2_b64 v[73:76], v72 offset0:61 offset1:62
	;; [unrolled: 5-line block ×6, first 2 shown]
	s_waitcnt vmcnt(4) lgkmcnt(0)
	v_fma_f64 v[72:73], v[101:102], v[72:73], v[76:77]
	s_waitcnt vmcnt(2)
	v_fma_f64 v[72:73], v[103:104], v[74:75], v[72:73]
	s_waitcnt vmcnt(0)
	v_add_f64 v[72:73], v[105:106], -v[72:73]
	buffer_store_dword v73, off, s[0:3], 0 offset:164
	buffer_store_dword v72, off, s[0:3], 0 offset:160
	v_cmpx_lt_u32_e32 19, v0
	s_cbranch_execz .LBB34_181
; %bb.180:
	s_clause 0x1
	buffer_load_dword v72, off, s[0:3], 0 offset:152
	buffer_load_dword v73, off, s[0:3], 0 offset:156
	v_mov_b32_e32 v74, 0
	buffer_store_dword v74, off, s[0:3], 0 offset:152
	buffer_store_dword v74, off, s[0:3], 0 offset:156
	s_waitcnt vmcnt(0)
	ds_write_b64 v71, v[72:73]
.LBB34_181:
	s_or_b32 exec_lo, exec_lo, s4
	s_waitcnt lgkmcnt(0)
	s_waitcnt_vscnt null, 0x0
	s_barrier
	buffer_gl0_inv
	s_clause 0x1b
	buffer_load_dword v77, off, s[0:3], 0 offset:160
	buffer_load_dword v78, off, s[0:3], 0 offset:164
	;; [unrolled: 1-line block ×28, first 2 shown]
	v_mov_b32_e32 v72, 0
	s_mov_b32 s4, exec_lo
	ds_read_b128 v[73:76], v72 offset:448
	s_clause 0x1
	buffer_load_dword v105, off, s[0:3], 0 offset:272
	buffer_load_dword v106, off, s[0:3], 0 offset:276
	s_waitcnt vmcnt(28) lgkmcnt(0)
	v_fma_f64 v[73:74], v[77:78], v[73:74], 0
	s_clause 0x1
	buffer_load_dword v77, off, s[0:3], 0 offset:152
	buffer_load_dword v78, off, s[0:3], 0 offset:156
	s_waitcnt vmcnt(28)
	v_fma_f64 v[79:80], v[79:80], v[75:76], v[73:74]
	ds_read_b128 v[73:76], v72 offset:464
	s_waitcnt vmcnt(26) lgkmcnt(0)
	v_fma_f64 v[73:74], v[81:82], v[73:74], v[79:80]
	s_waitcnt vmcnt(24)
	v_fma_f64 v[79:80], v[83:84], v[75:76], v[73:74]
	ds_read_b128 v[73:76], v72 offset:480
	s_waitcnt vmcnt(22) lgkmcnt(0)
	v_fma_f64 v[73:74], v[85:86], v[73:74], v[79:80]
	;; [unrolled: 5-line block ×6, first 2 shown]
	s_waitcnt vmcnt(4)
	v_fma_f64 v[73:74], v[103:104], v[75:76], v[73:74]
	ds_read_b64 v[75:76], v72 offset:560
	s_waitcnt vmcnt(2) lgkmcnt(0)
	v_fma_f64 v[73:74], v[105:106], v[75:76], v[73:74]
	s_waitcnt vmcnt(0)
	v_add_f64 v[73:74], v[77:78], -v[73:74]
	buffer_store_dword v74, off, s[0:3], 0 offset:156
	buffer_store_dword v73, off, s[0:3], 0 offset:152
	v_cmpx_lt_u32_e32 18, v0
	s_cbranch_execz .LBB34_183
; %bb.182:
	s_clause 0x1
	buffer_load_dword v73, off, s[0:3], 0 offset:144
	buffer_load_dword v74, off, s[0:3], 0 offset:148
	buffer_store_dword v72, off, s[0:3], 0 offset:144
	buffer_store_dword v72, off, s[0:3], 0 offset:148
	s_waitcnt vmcnt(0)
	ds_write_b64 v71, v[73:74]
.LBB34_183:
	s_or_b32 exec_lo, exec_lo, s4
	s_waitcnt lgkmcnt(0)
	s_waitcnt_vscnt null, 0x0
	s_barrier
	buffer_gl0_inv
	s_clause 0x1b
	buffer_load_dword v77, off, s[0:3], 0 offset:152
	buffer_load_dword v78, off, s[0:3], 0 offset:156
	;; [unrolled: 1-line block ×28, first 2 shown]
	ds_read2_b64 v[73:76], v72 offset0:55 offset1:56
	s_clause 0x1
	buffer_load_dword v105, off, s[0:3], 0 offset:264
	buffer_load_dword v106, off, s[0:3], 0 offset:268
	s_mov_b32 s4, exec_lo
	s_waitcnt vmcnt(28) lgkmcnt(0)
	v_fma_f64 v[73:74], v[77:78], v[73:74], 0
	s_clause 0x1
	buffer_load_dword v78, off, s[0:3], 0 offset:276
	buffer_load_dword v77, off, s[0:3], 0 offset:272
	s_waitcnt vmcnt(28)
	v_fma_f64 v[79:80], v[79:80], v[75:76], v[73:74]
	ds_read2_b64 v[73:76], v72 offset0:57 offset1:58
	s_clause 0x1
	buffer_load_dword v107, off, s[0:3], 0 offset:144
	buffer_load_dword v108, off, s[0:3], 0 offset:148
	s_waitcnt vmcnt(28) lgkmcnt(0)
	v_fma_f64 v[73:74], v[81:82], v[73:74], v[79:80]
	s_waitcnt vmcnt(26)
	v_fma_f64 v[79:80], v[83:84], v[75:76], v[73:74]
	ds_read2_b64 v[73:76], v72 offset0:59 offset1:60
	s_waitcnt vmcnt(24) lgkmcnt(0)
	v_fma_f64 v[73:74], v[85:86], v[73:74], v[79:80]
	s_waitcnt vmcnt(22)
	v_fma_f64 v[79:80], v[87:88], v[75:76], v[73:74]
	ds_read2_b64 v[73:76], v72 offset0:61 offset1:62
	;; [unrolled: 5-line block ×6, first 2 shown]
	s_waitcnt vmcnt(4) lgkmcnt(0)
	v_fma_f64 v[72:73], v[105:106], v[72:73], v[79:80]
	s_waitcnt vmcnt(2)
	v_fma_f64 v[72:73], v[77:78], v[74:75], v[72:73]
	s_waitcnt vmcnt(0)
	v_add_f64 v[72:73], v[107:108], -v[72:73]
	buffer_store_dword v73, off, s[0:3], 0 offset:148
	buffer_store_dword v72, off, s[0:3], 0 offset:144
	v_cmpx_lt_u32_e32 17, v0
	s_cbranch_execz .LBB34_185
; %bb.184:
	s_clause 0x1
	buffer_load_dword v72, off, s[0:3], 0 offset:136
	buffer_load_dword v73, off, s[0:3], 0 offset:140
	v_mov_b32_e32 v74, 0
	buffer_store_dword v74, off, s[0:3], 0 offset:136
	buffer_store_dword v74, off, s[0:3], 0 offset:140
	s_waitcnt vmcnt(0)
	ds_write_b64 v71, v[72:73]
.LBB34_185:
	s_or_b32 exec_lo, exec_lo, s4
	s_waitcnt lgkmcnt(0)
	s_waitcnt_vscnt null, 0x0
	s_barrier
	buffer_gl0_inv
	s_clause 0x1b
	buffer_load_dword v77, off, s[0:3], 0 offset:144
	buffer_load_dword v78, off, s[0:3], 0 offset:148
	;; [unrolled: 1-line block ×28, first 2 shown]
	v_mov_b32_e32 v72, 0
	s_mov_b32 s4, exec_lo
	ds_read_b128 v[73:76], v72 offset:432
	s_clause 0x1
	buffer_load_dword v105, off, s[0:3], 0 offset:256
	buffer_load_dword v106, off, s[0:3], 0 offset:260
	s_waitcnt vmcnt(28) lgkmcnt(0)
	v_fma_f64 v[73:74], v[77:78], v[73:74], 0
	s_clause 0x1
	buffer_load_dword v78, off, s[0:3], 0 offset:268
	buffer_load_dword v77, off, s[0:3], 0 offset:264
	s_waitcnt vmcnt(28)
	v_fma_f64 v[79:80], v[79:80], v[75:76], v[73:74]
	ds_read_b128 v[73:76], v72 offset:448
	s_clause 0x1
	buffer_load_dword v107, off, s[0:3], 0 offset:272
	buffer_load_dword v108, off, s[0:3], 0 offset:276
	s_waitcnt vmcnt(28) lgkmcnt(0)
	v_fma_f64 v[73:74], v[81:82], v[73:74], v[79:80]
	s_clause 0x1
	buffer_load_dword v79, off, s[0:3], 0 offset:136
	buffer_load_dword v80, off, s[0:3], 0 offset:140
	s_waitcnt vmcnt(28)
	v_fma_f64 v[81:82], v[83:84], v[75:76], v[73:74]
	ds_read_b128 v[73:76], v72 offset:464
	s_waitcnt vmcnt(26) lgkmcnt(0)
	v_fma_f64 v[73:74], v[85:86], v[73:74], v[81:82]
	s_waitcnt vmcnt(24)
	v_fma_f64 v[81:82], v[87:88], v[75:76], v[73:74]
	ds_read_b128 v[73:76], v72 offset:480
	s_waitcnt vmcnt(22) lgkmcnt(0)
	v_fma_f64 v[73:74], v[89:90], v[73:74], v[81:82]
	;; [unrolled: 5-line block ×6, first 2 shown]
	s_waitcnt vmcnt(4)
	v_fma_f64 v[73:74], v[77:78], v[75:76], v[73:74]
	ds_read_b64 v[75:76], v72 offset:560
	s_waitcnt vmcnt(2) lgkmcnt(0)
	v_fma_f64 v[73:74], v[107:108], v[75:76], v[73:74]
	s_waitcnt vmcnt(0)
	v_add_f64 v[73:74], v[79:80], -v[73:74]
	buffer_store_dword v74, off, s[0:3], 0 offset:140
	buffer_store_dword v73, off, s[0:3], 0 offset:136
	v_cmpx_lt_u32_e32 16, v0
	s_cbranch_execz .LBB34_187
; %bb.186:
	s_clause 0x1
	buffer_load_dword v73, off, s[0:3], 0 offset:128
	buffer_load_dword v74, off, s[0:3], 0 offset:132
	buffer_store_dword v72, off, s[0:3], 0 offset:128
	buffer_store_dword v72, off, s[0:3], 0 offset:132
	s_waitcnt vmcnt(0)
	ds_write_b64 v71, v[73:74]
.LBB34_187:
	s_or_b32 exec_lo, exec_lo, s4
	s_waitcnt lgkmcnt(0)
	s_waitcnt_vscnt null, 0x0
	s_barrier
	buffer_gl0_inv
	s_clause 0x1b
	buffer_load_dword v77, off, s[0:3], 0 offset:136
	buffer_load_dword v78, off, s[0:3], 0 offset:140
	;; [unrolled: 1-line block ×28, first 2 shown]
	ds_read2_b64 v[73:76], v72 offset0:53 offset1:54
	s_clause 0x1
	buffer_load_dword v105, off, s[0:3], 0 offset:248
	buffer_load_dword v106, off, s[0:3], 0 offset:252
	s_mov_b32 s4, exec_lo
	s_waitcnt vmcnt(28) lgkmcnt(0)
	v_fma_f64 v[73:74], v[77:78], v[73:74], 0
	s_clause 0x1
	buffer_load_dword v78, off, s[0:3], 0 offset:260
	buffer_load_dword v77, off, s[0:3], 0 offset:256
	s_waitcnt vmcnt(28)
	v_fma_f64 v[79:80], v[79:80], v[75:76], v[73:74]
	ds_read2_b64 v[73:76], v72 offset0:55 offset1:56
	s_clause 0x1
	buffer_load_dword v107, off, s[0:3], 0 offset:264
	buffer_load_dword v108, off, s[0:3], 0 offset:268
	s_waitcnt vmcnt(28) lgkmcnt(0)
	v_fma_f64 v[73:74], v[81:82], v[73:74], v[79:80]
	s_clause 0x1
	buffer_load_dword v79, off, s[0:3], 0 offset:272
	buffer_load_dword v80, off, s[0:3], 0 offset:276
	s_waitcnt vmcnt(28)
	v_fma_f64 v[81:82], v[83:84], v[75:76], v[73:74]
	ds_read2_b64 v[73:76], v72 offset0:57 offset1:58
	s_clause 0x1
	buffer_load_dword v83, off, s[0:3], 0 offset:128
	buffer_load_dword v84, off, s[0:3], 0 offset:132
	s_waitcnt vmcnt(28) lgkmcnt(0)
	v_fma_f64 v[73:74], v[85:86], v[73:74], v[81:82]
	s_waitcnt vmcnt(26)
	v_fma_f64 v[81:82], v[87:88], v[75:76], v[73:74]
	ds_read2_b64 v[73:76], v72 offset0:59 offset1:60
	s_waitcnt vmcnt(24) lgkmcnt(0)
	v_fma_f64 v[73:74], v[89:90], v[73:74], v[81:82]
	s_waitcnt vmcnt(22)
	v_fma_f64 v[81:82], v[91:92], v[75:76], v[73:74]
	ds_read2_b64 v[73:76], v72 offset0:61 offset1:62
	;; [unrolled: 5-line block ×6, first 2 shown]
	s_waitcnt vmcnt(4) lgkmcnt(0)
	v_fma_f64 v[72:73], v[107:108], v[72:73], v[76:77]
	s_waitcnt vmcnt(2)
	v_fma_f64 v[72:73], v[79:80], v[74:75], v[72:73]
	s_waitcnt vmcnt(0)
	v_add_f64 v[72:73], v[83:84], -v[72:73]
	buffer_store_dword v73, off, s[0:3], 0 offset:132
	buffer_store_dword v72, off, s[0:3], 0 offset:128
	v_cmpx_lt_u32_e32 15, v0
	s_cbranch_execz .LBB34_189
; %bb.188:
	s_clause 0x1
	buffer_load_dword v72, off, s[0:3], 0 offset:120
	buffer_load_dword v73, off, s[0:3], 0 offset:124
	v_mov_b32_e32 v74, 0
	buffer_store_dword v74, off, s[0:3], 0 offset:120
	buffer_store_dword v74, off, s[0:3], 0 offset:124
	s_waitcnt vmcnt(0)
	ds_write_b64 v71, v[72:73]
.LBB34_189:
	s_or_b32 exec_lo, exec_lo, s4
	s_waitcnt lgkmcnt(0)
	s_waitcnt_vscnt null, 0x0
	s_barrier
	buffer_gl0_inv
	s_clause 0x1b
	buffer_load_dword v77, off, s[0:3], 0 offset:128
	buffer_load_dword v78, off, s[0:3], 0 offset:132
	buffer_load_dword v79, off, s[0:3], 0 offset:136
	buffer_load_dword v80, off, s[0:3], 0 offset:140
	buffer_load_dword v81, off, s[0:3], 0 offset:144
	buffer_load_dword v82, off, s[0:3], 0 offset:148
	buffer_load_dword v83, off, s[0:3], 0 offset:152
	buffer_load_dword v84, off, s[0:3], 0 offset:156
	buffer_load_dword v85, off, s[0:3], 0 offset:160
	buffer_load_dword v86, off, s[0:3], 0 offset:164
	buffer_load_dword v87, off, s[0:3], 0 offset:168
	buffer_load_dword v88, off, s[0:3], 0 offset:172
	buffer_load_dword v89, off, s[0:3], 0 offset:176
	buffer_load_dword v90, off, s[0:3], 0 offset:180
	buffer_load_dword v92, off, s[0:3], 0 offset:188
	buffer_load_dword v91, off, s[0:3], 0 offset:184
	buffer_load_dword v93, off, s[0:3], 0 offset:192
	buffer_load_dword v94, off, s[0:3], 0 offset:196
	buffer_load_dword v95, off, s[0:3], 0 offset:200
	buffer_load_dword v96, off, s[0:3], 0 offset:204
	buffer_load_dword v97, off, s[0:3], 0 offset:208
	buffer_load_dword v98, off, s[0:3], 0 offset:212
	buffer_load_dword v100, off, s[0:3], 0 offset:220
	buffer_load_dword v99, off, s[0:3], 0 offset:216
	buffer_load_dword v101, off, s[0:3], 0 offset:224
	buffer_load_dword v102, off, s[0:3], 0 offset:228
	buffer_load_dword v103, off, s[0:3], 0 offset:232
	buffer_load_dword v104, off, s[0:3], 0 offset:236
	v_mov_b32_e32 v72, 0
	s_mov_b32 s4, exec_lo
	ds_read_b128 v[73:76], v72 offset:416
	s_clause 0x1
	buffer_load_dword v105, off, s[0:3], 0 offset:240
	buffer_load_dword v106, off, s[0:3], 0 offset:244
	s_waitcnt vmcnt(28) lgkmcnt(0)
	v_fma_f64 v[73:74], v[77:78], v[73:74], 0
	s_clause 0x1
	buffer_load_dword v78, off, s[0:3], 0 offset:252
	buffer_load_dword v77, off, s[0:3], 0 offset:248
	s_waitcnt vmcnt(28)
	v_fma_f64 v[79:80], v[79:80], v[75:76], v[73:74]
	ds_read_b128 v[73:76], v72 offset:432
	s_clause 0x1
	buffer_load_dword v107, off, s[0:3], 0 offset:256
	buffer_load_dword v108, off, s[0:3], 0 offset:260
	s_waitcnt vmcnt(28) lgkmcnt(0)
	v_fma_f64 v[73:74], v[81:82], v[73:74], v[79:80]
	s_clause 0x1
	buffer_load_dword v79, off, s[0:3], 0 offset:264
	buffer_load_dword v80, off, s[0:3], 0 offset:268
	s_waitcnt vmcnt(28)
	v_fma_f64 v[81:82], v[83:84], v[75:76], v[73:74]
	;; [unrolled: 11-line block ×3, first 2 shown]
	ds_read_b128 v[73:76], v72 offset:464
	s_waitcnt vmcnt(26) lgkmcnt(0)
	v_fma_f64 v[73:74], v[89:90], v[73:74], v[85:86]
	s_waitcnt vmcnt(24)
	v_fma_f64 v[85:86], v[91:92], v[75:76], v[73:74]
	ds_read_b128 v[73:76], v72 offset:480
	s_waitcnt vmcnt(22) lgkmcnt(0)
	v_fma_f64 v[73:74], v[93:94], v[73:74], v[85:86]
	s_waitcnt vmcnt(20)
	v_fma_f64 v[85:86], v[95:96], v[75:76], v[73:74]
	;; [unrolled: 5-line block ×6, first 2 shown]
	ds_read_b64 v[75:76], v72 offset:560
	s_waitcnt vmcnt(2) lgkmcnt(0)
	v_fma_f64 v[73:74], v[83:84], v[75:76], v[73:74]
	s_waitcnt vmcnt(0)
	v_add_f64 v[73:74], v[81:82], -v[73:74]
	buffer_store_dword v74, off, s[0:3], 0 offset:124
	buffer_store_dword v73, off, s[0:3], 0 offset:120
	v_cmpx_lt_u32_e32 14, v0
	s_cbranch_execz .LBB34_191
; %bb.190:
	s_clause 0x1
	buffer_load_dword v73, off, s[0:3], 0 offset:112
	buffer_load_dword v74, off, s[0:3], 0 offset:116
	buffer_store_dword v72, off, s[0:3], 0 offset:112
	buffer_store_dword v72, off, s[0:3], 0 offset:116
	s_waitcnt vmcnt(0)
	ds_write_b64 v71, v[73:74]
.LBB34_191:
	s_or_b32 exec_lo, exec_lo, s4
	s_waitcnt lgkmcnt(0)
	s_waitcnt_vscnt null, 0x0
	s_barrier
	buffer_gl0_inv
	s_clause 0x1b
	buffer_load_dword v77, off, s[0:3], 0 offset:120
	buffer_load_dword v78, off, s[0:3], 0 offset:124
	;; [unrolled: 1-line block ×28, first 2 shown]
	ds_read2_b64 v[73:76], v72 offset0:51 offset1:52
	s_clause 0x1
	buffer_load_dword v105, off, s[0:3], 0 offset:232
	buffer_load_dword v106, off, s[0:3], 0 offset:236
	s_mov_b32 s4, exec_lo
	s_waitcnt vmcnt(28) lgkmcnt(0)
	v_fma_f64 v[73:74], v[77:78], v[73:74], 0
	s_clause 0x1
	buffer_load_dword v78, off, s[0:3], 0 offset:244
	buffer_load_dword v77, off, s[0:3], 0 offset:240
	s_waitcnt vmcnt(28)
	v_fma_f64 v[79:80], v[79:80], v[75:76], v[73:74]
	ds_read2_b64 v[73:76], v72 offset0:53 offset1:54
	s_clause 0x1
	buffer_load_dword v107, off, s[0:3], 0 offset:248
	buffer_load_dword v108, off, s[0:3], 0 offset:252
	s_waitcnt vmcnt(28) lgkmcnt(0)
	v_fma_f64 v[73:74], v[81:82], v[73:74], v[79:80]
	s_clause 0x1
	buffer_load_dword v79, off, s[0:3], 0 offset:256
	buffer_load_dword v80, off, s[0:3], 0 offset:260
	s_waitcnt vmcnt(28)
	v_fma_f64 v[81:82], v[83:84], v[75:76], v[73:74]
	ds_read2_b64 v[73:76], v72 offset0:55 offset1:56
	s_clause 0x1
	buffer_load_dword v83, off, s[0:3], 0 offset:264
	buffer_load_dword v84, off, s[0:3], 0 offset:268
	;; [unrolled: 11-line block ×3, first 2 shown]
	s_waitcnt vmcnt(28) lgkmcnt(0)
	v_fma_f64 v[73:74], v[89:90], v[73:74], v[85:86]
	s_waitcnt vmcnt(26)
	v_fma_f64 v[85:86], v[91:92], v[75:76], v[73:74]
	ds_read2_b64 v[73:76], v72 offset0:59 offset1:60
	s_waitcnt vmcnt(24) lgkmcnt(0)
	v_fma_f64 v[73:74], v[93:94], v[73:74], v[85:86]
	s_waitcnt vmcnt(22)
	v_fma_f64 v[85:86], v[95:96], v[75:76], v[73:74]
	ds_read2_b64 v[73:76], v72 offset0:61 offset1:62
	;; [unrolled: 5-line block ×6, first 2 shown]
	s_waitcnt vmcnt(4) lgkmcnt(0)
	v_fma_f64 v[72:73], v[83:84], v[72:73], v[76:77]
	s_waitcnt vmcnt(2)
	v_fma_f64 v[72:73], v[81:82], v[74:75], v[72:73]
	s_waitcnt vmcnt(0)
	v_add_f64 v[72:73], v[87:88], -v[72:73]
	buffer_store_dword v73, off, s[0:3], 0 offset:116
	buffer_store_dword v72, off, s[0:3], 0 offset:112
	v_cmpx_lt_u32_e32 13, v0
	s_cbranch_execz .LBB34_193
; %bb.192:
	s_clause 0x1
	buffer_load_dword v72, off, s[0:3], 0 offset:104
	buffer_load_dword v73, off, s[0:3], 0 offset:108
	v_mov_b32_e32 v74, 0
	buffer_store_dword v74, off, s[0:3], 0 offset:104
	buffer_store_dword v74, off, s[0:3], 0 offset:108
	s_waitcnt vmcnt(0)
	ds_write_b64 v71, v[72:73]
.LBB34_193:
	s_or_b32 exec_lo, exec_lo, s4
	s_waitcnt lgkmcnt(0)
	s_waitcnt_vscnt null, 0x0
	s_barrier
	buffer_gl0_inv
	s_clause 0x1b
	buffer_load_dword v77, off, s[0:3], 0 offset:112
	buffer_load_dword v78, off, s[0:3], 0 offset:116
	;; [unrolled: 1-line block ×28, first 2 shown]
	v_mov_b32_e32 v72, 0
	s_mov_b32 s4, exec_lo
	ds_read_b128 v[73:76], v72 offset:400
	s_clause 0x1
	buffer_load_dword v105, off, s[0:3], 0 offset:224
	buffer_load_dword v106, off, s[0:3], 0 offset:228
	s_waitcnt vmcnt(28) lgkmcnt(0)
	v_fma_f64 v[73:74], v[77:78], v[73:74], 0
	s_clause 0x1
	buffer_load_dword v78, off, s[0:3], 0 offset:236
	buffer_load_dword v77, off, s[0:3], 0 offset:232
	s_waitcnt vmcnt(28)
	v_fma_f64 v[79:80], v[79:80], v[75:76], v[73:74]
	ds_read_b128 v[73:76], v72 offset:416
	s_clause 0x1
	buffer_load_dword v107, off, s[0:3], 0 offset:240
	buffer_load_dword v108, off, s[0:3], 0 offset:244
	s_waitcnt vmcnt(28) lgkmcnt(0)
	v_fma_f64 v[73:74], v[81:82], v[73:74], v[79:80]
	s_clause 0x1
	buffer_load_dword v79, off, s[0:3], 0 offset:248
	buffer_load_dword v80, off, s[0:3], 0 offset:252
	s_waitcnt vmcnt(28)
	v_fma_f64 v[81:82], v[83:84], v[75:76], v[73:74]
	ds_read_b128 v[73:76], v72 offset:432
	s_clause 0x1
	buffer_load_dword v83, off, s[0:3], 0 offset:256
	buffer_load_dword v84, off, s[0:3], 0 offset:260
	s_waitcnt vmcnt(28) lgkmcnt(0)
	v_fma_f64 v[73:74], v[85:86], v[73:74], v[81:82]
	s_clause 0x1
	buffer_load_dword v82, off, s[0:3], 0 offset:268
	buffer_load_dword v81, off, s[0:3], 0 offset:264
	s_waitcnt vmcnt(28)
	v_fma_f64 v[85:86], v[87:88], v[75:76], v[73:74]
	ds_read_b128 v[73:76], v72 offset:448
	s_clause 0x1
	buffer_load_dword v87, off, s[0:3], 0 offset:272
	buffer_load_dword v88, off, s[0:3], 0 offset:276
	s_waitcnt vmcnt(28) lgkmcnt(0)
	v_fma_f64 v[73:74], v[89:90], v[73:74], v[85:86]
	s_clause 0x1
	buffer_load_dword v85, off, s[0:3], 0 offset:104
	buffer_load_dword v86, off, s[0:3], 0 offset:108
	s_waitcnt vmcnt(28)
	v_fma_f64 v[89:90], v[91:92], v[75:76], v[73:74]
	ds_read_b128 v[73:76], v72 offset:464
	s_waitcnt vmcnt(26) lgkmcnt(0)
	v_fma_f64 v[73:74], v[93:94], v[73:74], v[89:90]
	s_waitcnt vmcnt(24)
	v_fma_f64 v[89:90], v[95:96], v[75:76], v[73:74]
	ds_read_b128 v[73:76], v72 offset:480
	s_waitcnt vmcnt(22) lgkmcnt(0)
	v_fma_f64 v[73:74], v[97:98], v[73:74], v[89:90]
	s_waitcnt vmcnt(20)
	v_fma_f64 v[89:90], v[99:100], v[75:76], v[73:74]
	;; [unrolled: 5-line block ×6, first 2 shown]
	ds_read_b64 v[75:76], v72 offset:560
	s_waitcnt vmcnt(2) lgkmcnt(0)
	v_fma_f64 v[73:74], v[87:88], v[75:76], v[73:74]
	s_waitcnt vmcnt(0)
	v_add_f64 v[73:74], v[85:86], -v[73:74]
	buffer_store_dword v74, off, s[0:3], 0 offset:108
	buffer_store_dword v73, off, s[0:3], 0 offset:104
	v_cmpx_lt_u32_e32 12, v0
	s_cbranch_execz .LBB34_195
; %bb.194:
	s_clause 0x1
	buffer_load_dword v73, off, s[0:3], 0 offset:96
	buffer_load_dword v74, off, s[0:3], 0 offset:100
	buffer_store_dword v72, off, s[0:3], 0 offset:96
	buffer_store_dword v72, off, s[0:3], 0 offset:100
	s_waitcnt vmcnt(0)
	ds_write_b64 v71, v[73:74]
.LBB34_195:
	s_or_b32 exec_lo, exec_lo, s4
	s_waitcnt lgkmcnt(0)
	s_waitcnt_vscnt null, 0x0
	s_barrier
	buffer_gl0_inv
	s_clause 0x1b
	buffer_load_dword v77, off, s[0:3], 0 offset:104
	buffer_load_dword v78, off, s[0:3], 0 offset:108
	buffer_load_dword v79, off, s[0:3], 0 offset:112
	buffer_load_dword v80, off, s[0:3], 0 offset:116
	buffer_load_dword v81, off, s[0:3], 0 offset:120
	buffer_load_dword v82, off, s[0:3], 0 offset:124
	buffer_load_dword v83, off, s[0:3], 0 offset:128
	buffer_load_dword v84, off, s[0:3], 0 offset:132
	buffer_load_dword v85, off, s[0:3], 0 offset:136
	buffer_load_dword v86, off, s[0:3], 0 offset:140
	buffer_load_dword v87, off, s[0:3], 0 offset:144
	buffer_load_dword v88, off, s[0:3], 0 offset:148
	buffer_load_dword v89, off, s[0:3], 0 offset:152
	buffer_load_dword v90, off, s[0:3], 0 offset:156
	buffer_load_dword v92, off, s[0:3], 0 offset:164
	buffer_load_dword v91, off, s[0:3], 0 offset:160
	buffer_load_dword v93, off, s[0:3], 0 offset:168
	buffer_load_dword v94, off, s[0:3], 0 offset:172
	buffer_load_dword v95, off, s[0:3], 0 offset:176
	buffer_load_dword v96, off, s[0:3], 0 offset:180
	buffer_load_dword v97, off, s[0:3], 0 offset:184
	buffer_load_dword v98, off, s[0:3], 0 offset:188
	buffer_load_dword v100, off, s[0:3], 0 offset:196
	buffer_load_dword v99, off, s[0:3], 0 offset:192
	buffer_load_dword v101, off, s[0:3], 0 offset:200
	buffer_load_dword v102, off, s[0:3], 0 offset:204
	buffer_load_dword v103, off, s[0:3], 0 offset:208
	buffer_load_dword v104, off, s[0:3], 0 offset:212
	ds_read2_b64 v[73:76], v72 offset0:49 offset1:50
	s_clause 0x1
	buffer_load_dword v105, off, s[0:3], 0 offset:216
	buffer_load_dword v106, off, s[0:3], 0 offset:220
	s_mov_b32 s4, exec_lo
	s_waitcnt vmcnt(28) lgkmcnt(0)
	v_fma_f64 v[73:74], v[77:78], v[73:74], 0
	s_clause 0x1
	buffer_load_dword v78, off, s[0:3], 0 offset:228
	buffer_load_dword v77, off, s[0:3], 0 offset:224
	s_waitcnt vmcnt(28)
	v_fma_f64 v[79:80], v[79:80], v[75:76], v[73:74]
	ds_read2_b64 v[73:76], v72 offset0:51 offset1:52
	s_clause 0x1
	buffer_load_dword v107, off, s[0:3], 0 offset:232
	buffer_load_dword v108, off, s[0:3], 0 offset:236
	s_waitcnt vmcnt(28) lgkmcnt(0)
	v_fma_f64 v[73:74], v[81:82], v[73:74], v[79:80]
	s_clause 0x1
	buffer_load_dword v79, off, s[0:3], 0 offset:240
	buffer_load_dword v80, off, s[0:3], 0 offset:244
	s_waitcnt vmcnt(28)
	v_fma_f64 v[81:82], v[83:84], v[75:76], v[73:74]
	ds_read2_b64 v[73:76], v72 offset0:53 offset1:54
	s_clause 0x1
	buffer_load_dword v83, off, s[0:3], 0 offset:248
	buffer_load_dword v84, off, s[0:3], 0 offset:252
	;; [unrolled: 11-line block ×4, first 2 shown]
	s_waitcnt vmcnt(28) lgkmcnt(0)
	v_fma_f64 v[73:74], v[93:94], v[73:74], v[89:90]
	s_waitcnt vmcnt(26)
	v_fma_f64 v[89:90], v[95:96], v[75:76], v[73:74]
	ds_read2_b64 v[73:76], v72 offset0:59 offset1:60
	s_waitcnt vmcnt(24) lgkmcnt(0)
	v_fma_f64 v[73:74], v[97:98], v[73:74], v[89:90]
	s_waitcnt vmcnt(22)
	v_fma_f64 v[89:90], v[99:100], v[75:76], v[73:74]
	ds_read2_b64 v[73:76], v72 offset0:61 offset1:62
	;; [unrolled: 5-line block ×6, first 2 shown]
	s_waitcnt vmcnt(4) lgkmcnt(0)
	v_fma_f64 v[72:73], v[87:88], v[72:73], v[76:77]
	s_waitcnt vmcnt(2)
	v_fma_f64 v[72:73], v[85:86], v[74:75], v[72:73]
	s_waitcnt vmcnt(0)
	v_add_f64 v[72:73], v[91:92], -v[72:73]
	buffer_store_dword v73, off, s[0:3], 0 offset:100
	buffer_store_dword v72, off, s[0:3], 0 offset:96
	v_cmpx_lt_u32_e32 11, v0
	s_cbranch_execz .LBB34_197
; %bb.196:
	s_clause 0x1
	buffer_load_dword v72, off, s[0:3], 0 offset:88
	buffer_load_dword v73, off, s[0:3], 0 offset:92
	v_mov_b32_e32 v74, 0
	buffer_store_dword v74, off, s[0:3], 0 offset:88
	buffer_store_dword v74, off, s[0:3], 0 offset:92
	s_waitcnt vmcnt(0)
	ds_write_b64 v71, v[72:73]
.LBB34_197:
	s_or_b32 exec_lo, exec_lo, s4
	s_waitcnt lgkmcnt(0)
	s_waitcnt_vscnt null, 0x0
	s_barrier
	buffer_gl0_inv
	s_clause 0x1b
	buffer_load_dword v77, off, s[0:3], 0 offset:96
	buffer_load_dword v78, off, s[0:3], 0 offset:100
	;; [unrolled: 1-line block ×28, first 2 shown]
	v_mov_b32_e32 v72, 0
	s_mov_b32 s4, exec_lo
	ds_read_b128 v[73:76], v72 offset:384
	s_clause 0x1
	buffer_load_dword v105, off, s[0:3], 0 offset:208
	buffer_load_dword v106, off, s[0:3], 0 offset:212
	s_waitcnt vmcnt(28) lgkmcnt(0)
	v_fma_f64 v[73:74], v[77:78], v[73:74], 0
	s_clause 0x1
	buffer_load_dword v78, off, s[0:3], 0 offset:220
	buffer_load_dword v77, off, s[0:3], 0 offset:216
	s_waitcnt vmcnt(28)
	v_fma_f64 v[79:80], v[79:80], v[75:76], v[73:74]
	ds_read_b128 v[73:76], v72 offset:400
	s_clause 0x1
	buffer_load_dword v107, off, s[0:3], 0 offset:224
	buffer_load_dword v108, off, s[0:3], 0 offset:228
	s_waitcnt vmcnt(28) lgkmcnt(0)
	v_fma_f64 v[73:74], v[81:82], v[73:74], v[79:80]
	s_clause 0x1
	buffer_load_dword v79, off, s[0:3], 0 offset:232
	buffer_load_dword v80, off, s[0:3], 0 offset:236
	s_waitcnt vmcnt(28)
	v_fma_f64 v[81:82], v[83:84], v[75:76], v[73:74]
	;; [unrolled: 11-line block ×5, first 2 shown]
	ds_read_b128 v[73:76], v72 offset:464
	s_waitcnt vmcnt(26) lgkmcnt(0)
	v_fma_f64 v[73:74], v[97:98], v[73:74], v[93:94]
	s_waitcnt vmcnt(24)
	v_fma_f64 v[93:94], v[99:100], v[75:76], v[73:74]
	ds_read_b128 v[73:76], v72 offset:480
	s_waitcnt vmcnt(22) lgkmcnt(0)
	v_fma_f64 v[73:74], v[101:102], v[73:74], v[93:94]
	s_waitcnt vmcnt(20)
	v_fma_f64 v[93:94], v[103:104], v[75:76], v[73:74]
	;; [unrolled: 5-line block ×6, first 2 shown]
	ds_read_b64 v[75:76], v72 offset:560
	s_waitcnt vmcnt(2) lgkmcnt(0)
	v_fma_f64 v[73:74], v[91:92], v[75:76], v[73:74]
	s_waitcnt vmcnt(0)
	v_add_f64 v[73:74], v[89:90], -v[73:74]
	buffer_store_dword v74, off, s[0:3], 0 offset:92
	buffer_store_dword v73, off, s[0:3], 0 offset:88
	v_cmpx_lt_u32_e32 10, v0
	s_cbranch_execz .LBB34_199
; %bb.198:
	s_clause 0x1
	buffer_load_dword v73, off, s[0:3], 0 offset:80
	buffer_load_dword v74, off, s[0:3], 0 offset:84
	buffer_store_dword v72, off, s[0:3], 0 offset:80
	buffer_store_dword v72, off, s[0:3], 0 offset:84
	s_waitcnt vmcnt(0)
	ds_write_b64 v71, v[73:74]
.LBB34_199:
	s_or_b32 exec_lo, exec_lo, s4
	s_waitcnt lgkmcnt(0)
	s_waitcnt_vscnt null, 0x0
	s_barrier
	buffer_gl0_inv
	s_clause 0x1b
	buffer_load_dword v77, off, s[0:3], 0 offset:88
	buffer_load_dword v78, off, s[0:3], 0 offset:92
	;; [unrolled: 1-line block ×28, first 2 shown]
	ds_read2_b64 v[73:76], v72 offset0:47 offset1:48
	s_clause 0x1
	buffer_load_dword v105, off, s[0:3], 0 offset:200
	buffer_load_dword v106, off, s[0:3], 0 offset:204
	s_mov_b32 s4, exec_lo
	s_waitcnt vmcnt(28) lgkmcnt(0)
	v_fma_f64 v[73:74], v[77:78], v[73:74], 0
	s_clause 0x1
	buffer_load_dword v78, off, s[0:3], 0 offset:212
	buffer_load_dword v77, off, s[0:3], 0 offset:208
	s_waitcnt vmcnt(28)
	v_fma_f64 v[79:80], v[79:80], v[75:76], v[73:74]
	ds_read2_b64 v[73:76], v72 offset0:49 offset1:50
	s_clause 0x1
	buffer_load_dword v107, off, s[0:3], 0 offset:216
	buffer_load_dword v108, off, s[0:3], 0 offset:220
	s_waitcnt vmcnt(28) lgkmcnt(0)
	v_fma_f64 v[73:74], v[81:82], v[73:74], v[79:80]
	s_clause 0x1
	buffer_load_dword v79, off, s[0:3], 0 offset:224
	buffer_load_dword v80, off, s[0:3], 0 offset:228
	s_waitcnt vmcnt(28)
	v_fma_f64 v[81:82], v[83:84], v[75:76], v[73:74]
	ds_read2_b64 v[73:76], v72 offset0:51 offset1:52
	s_clause 0x1
	buffer_load_dword v83, off, s[0:3], 0 offset:232
	buffer_load_dword v84, off, s[0:3], 0 offset:236
	;; [unrolled: 11-line block ×5, first 2 shown]
	s_waitcnt vmcnt(28) lgkmcnt(0)
	v_fma_f64 v[73:74], v[97:98], v[73:74], v[93:94]
	s_waitcnt vmcnt(26)
	v_fma_f64 v[93:94], v[99:100], v[75:76], v[73:74]
	ds_read2_b64 v[73:76], v72 offset0:59 offset1:60
	s_waitcnt vmcnt(24) lgkmcnt(0)
	v_fma_f64 v[73:74], v[101:102], v[73:74], v[93:94]
	s_waitcnt vmcnt(22)
	v_fma_f64 v[93:94], v[103:104], v[75:76], v[73:74]
	ds_read2_b64 v[73:76], v72 offset0:61 offset1:62
	;; [unrolled: 5-line block ×6, first 2 shown]
	s_waitcnt vmcnt(4) lgkmcnt(0)
	v_fma_f64 v[72:73], v[91:92], v[72:73], v[76:77]
	s_waitcnt vmcnt(2)
	v_fma_f64 v[72:73], v[89:90], v[74:75], v[72:73]
	s_waitcnt vmcnt(0)
	v_add_f64 v[72:73], v[95:96], -v[72:73]
	buffer_store_dword v73, off, s[0:3], 0 offset:84
	buffer_store_dword v72, off, s[0:3], 0 offset:80
	v_cmpx_lt_u32_e32 9, v0
	s_cbranch_execz .LBB34_201
; %bb.200:
	s_clause 0x1
	buffer_load_dword v72, off, s[0:3], 0 offset:72
	buffer_load_dword v73, off, s[0:3], 0 offset:76
	v_mov_b32_e32 v74, 0
	buffer_store_dword v74, off, s[0:3], 0 offset:72
	buffer_store_dword v74, off, s[0:3], 0 offset:76
	s_waitcnt vmcnt(0)
	ds_write_b64 v71, v[72:73]
.LBB34_201:
	s_or_b32 exec_lo, exec_lo, s4
	s_waitcnt lgkmcnt(0)
	s_waitcnt_vscnt null, 0x0
	s_barrier
	buffer_gl0_inv
	s_clause 0x1b
	buffer_load_dword v77, off, s[0:3], 0 offset:80
	buffer_load_dword v78, off, s[0:3], 0 offset:84
	;; [unrolled: 1-line block ×28, first 2 shown]
	v_mov_b32_e32 v72, 0
	s_mov_b32 s4, exec_lo
	ds_read_b128 v[73:76], v72 offset:368
	s_clause 0x1
	buffer_load_dword v105, off, s[0:3], 0 offset:192
	buffer_load_dword v106, off, s[0:3], 0 offset:196
	s_waitcnt vmcnt(28) lgkmcnt(0)
	v_fma_f64 v[73:74], v[77:78], v[73:74], 0
	s_clause 0x1
	buffer_load_dword v78, off, s[0:3], 0 offset:204
	buffer_load_dword v77, off, s[0:3], 0 offset:200
	s_waitcnt vmcnt(28)
	v_fma_f64 v[79:80], v[79:80], v[75:76], v[73:74]
	ds_read_b128 v[73:76], v72 offset:384
	s_clause 0x1
	buffer_load_dword v107, off, s[0:3], 0 offset:208
	buffer_load_dword v108, off, s[0:3], 0 offset:212
	s_waitcnt vmcnt(28) lgkmcnt(0)
	v_fma_f64 v[73:74], v[81:82], v[73:74], v[79:80]
	s_clause 0x1
	buffer_load_dword v79, off, s[0:3], 0 offset:216
	buffer_load_dword v80, off, s[0:3], 0 offset:220
	s_waitcnt vmcnt(28)
	v_fma_f64 v[81:82], v[83:84], v[75:76], v[73:74]
	ds_read_b128 v[73:76], v72 offset:400
	s_clause 0x1
	buffer_load_dword v83, off, s[0:3], 0 offset:224
	buffer_load_dword v84, off, s[0:3], 0 offset:228
	s_waitcnt vmcnt(28) lgkmcnt(0)
	v_fma_f64 v[73:74], v[85:86], v[73:74], v[81:82]
	s_clause 0x1
	buffer_load_dword v82, off, s[0:3], 0 offset:236
	buffer_load_dword v81, off, s[0:3], 0 offset:232
	s_waitcnt vmcnt(28)
	v_fma_f64 v[85:86], v[87:88], v[75:76], v[73:74]
	ds_read_b128 v[73:76], v72 offset:416
	s_clause 0x1
	buffer_load_dword v87, off, s[0:3], 0 offset:240
	buffer_load_dword v88, off, s[0:3], 0 offset:244
	s_waitcnt vmcnt(28) lgkmcnt(0)
	v_fma_f64 v[73:74], v[89:90], v[73:74], v[85:86]
	s_clause 0x1
	buffer_load_dword v85, off, s[0:3], 0 offset:248
	buffer_load_dword v86, off, s[0:3], 0 offset:252
	s_waitcnt vmcnt(28)
	v_fma_f64 v[89:90], v[91:92], v[75:76], v[73:74]
	ds_read_b128 v[73:76], v72 offset:432
	s_clause 0x1
	buffer_load_dword v91, off, s[0:3], 0 offset:256
	buffer_load_dword v92, off, s[0:3], 0 offset:260
	s_waitcnt vmcnt(28) lgkmcnt(0)
	v_fma_f64 v[73:74], v[93:94], v[73:74], v[89:90]
	s_clause 0x1
	buffer_load_dword v90, off, s[0:3], 0 offset:268
	buffer_load_dword v89, off, s[0:3], 0 offset:264
	s_waitcnt vmcnt(28)
	v_fma_f64 v[93:94], v[95:96], v[75:76], v[73:74]
	ds_read_b128 v[73:76], v72 offset:448
	s_clause 0x1
	buffer_load_dword v95, off, s[0:3], 0 offset:272
	buffer_load_dword v96, off, s[0:3], 0 offset:276
	s_waitcnt vmcnt(28) lgkmcnt(0)
	v_fma_f64 v[73:74], v[97:98], v[73:74], v[93:94]
	s_clause 0x1
	buffer_load_dword v93, off, s[0:3], 0 offset:72
	buffer_load_dword v94, off, s[0:3], 0 offset:76
	s_waitcnt vmcnt(28)
	v_fma_f64 v[97:98], v[99:100], v[75:76], v[73:74]
	ds_read_b128 v[73:76], v72 offset:464
	s_waitcnt vmcnt(26) lgkmcnt(0)
	v_fma_f64 v[73:74], v[101:102], v[73:74], v[97:98]
	s_waitcnt vmcnt(24)
	v_fma_f64 v[97:98], v[103:104], v[75:76], v[73:74]
	ds_read_b128 v[73:76], v72 offset:480
	s_waitcnt vmcnt(22) lgkmcnt(0)
	v_fma_f64 v[73:74], v[105:106], v[73:74], v[97:98]
	s_waitcnt vmcnt(20)
	v_fma_f64 v[77:78], v[77:78], v[75:76], v[73:74]
	;; [unrolled: 5-line block ×6, first 2 shown]
	ds_read_b64 v[75:76], v72 offset:560
	s_waitcnt vmcnt(2) lgkmcnt(0)
	v_fma_f64 v[73:74], v[95:96], v[75:76], v[73:74]
	s_waitcnt vmcnt(0)
	v_add_f64 v[73:74], v[93:94], -v[73:74]
	buffer_store_dword v74, off, s[0:3], 0 offset:76
	buffer_store_dword v73, off, s[0:3], 0 offset:72
	v_cmpx_lt_u32_e32 8, v0
	s_cbranch_execz .LBB34_203
; %bb.202:
	s_clause 0x1
	buffer_load_dword v73, off, s[0:3], 0 offset:64
	buffer_load_dword v74, off, s[0:3], 0 offset:68
	buffer_store_dword v72, off, s[0:3], 0 offset:64
	buffer_store_dword v72, off, s[0:3], 0 offset:68
	s_waitcnt vmcnt(0)
	ds_write_b64 v71, v[73:74]
.LBB34_203:
	s_or_b32 exec_lo, exec_lo, s4
	s_waitcnt lgkmcnt(0)
	s_waitcnt_vscnt null, 0x0
	s_barrier
	buffer_gl0_inv
	s_clause 0x1b
	buffer_load_dword v77, off, s[0:3], 0 offset:72
	buffer_load_dword v78, off, s[0:3], 0 offset:76
	;; [unrolled: 1-line block ×28, first 2 shown]
	ds_read2_b64 v[73:76], v72 offset0:45 offset1:46
	s_clause 0x1
	buffer_load_dword v105, off, s[0:3], 0 offset:184
	buffer_load_dword v106, off, s[0:3], 0 offset:188
	s_mov_b32 s4, exec_lo
	s_waitcnt vmcnt(28) lgkmcnt(0)
	v_fma_f64 v[73:74], v[77:78], v[73:74], 0
	s_clause 0x1
	buffer_load_dword v78, off, s[0:3], 0 offset:196
	buffer_load_dword v77, off, s[0:3], 0 offset:192
	s_waitcnt vmcnt(28)
	v_fma_f64 v[79:80], v[79:80], v[75:76], v[73:74]
	ds_read2_b64 v[73:76], v72 offset0:47 offset1:48
	s_clause 0x1
	buffer_load_dword v107, off, s[0:3], 0 offset:200
	buffer_load_dword v108, off, s[0:3], 0 offset:204
	s_waitcnt vmcnt(28) lgkmcnt(0)
	v_fma_f64 v[73:74], v[81:82], v[73:74], v[79:80]
	s_clause 0x1
	buffer_load_dword v79, off, s[0:3], 0 offset:208
	buffer_load_dword v80, off, s[0:3], 0 offset:212
	s_waitcnt vmcnt(28)
	v_fma_f64 v[81:82], v[83:84], v[75:76], v[73:74]
	ds_read2_b64 v[73:76], v72 offset0:49 offset1:50
	s_clause 0x1
	buffer_load_dword v83, off, s[0:3], 0 offset:216
	buffer_load_dword v84, off, s[0:3], 0 offset:220
	;; [unrolled: 11-line block ×6, first 2 shown]
	s_waitcnt vmcnt(28) lgkmcnt(0)
	v_fma_f64 v[73:74], v[101:102], v[73:74], v[97:98]
	s_waitcnt vmcnt(26)
	v_fma_f64 v[97:98], v[103:104], v[75:76], v[73:74]
	ds_read2_b64 v[73:76], v72 offset0:59 offset1:60
	s_waitcnt vmcnt(24) lgkmcnt(0)
	v_fma_f64 v[73:74], v[105:106], v[73:74], v[97:98]
	s_waitcnt vmcnt(22)
	v_fma_f64 v[77:78], v[77:78], v[75:76], v[73:74]
	ds_read2_b64 v[73:76], v72 offset0:61 offset1:62
	;; [unrolled: 5-line block ×6, first 2 shown]
	s_waitcnt vmcnt(4) lgkmcnt(0)
	v_fma_f64 v[72:73], v[95:96], v[72:73], v[76:77]
	s_waitcnt vmcnt(2)
	v_fma_f64 v[72:73], v[93:94], v[74:75], v[72:73]
	s_waitcnt vmcnt(0)
	v_add_f64 v[72:73], v[99:100], -v[72:73]
	buffer_store_dword v73, off, s[0:3], 0 offset:68
	buffer_store_dword v72, off, s[0:3], 0 offset:64
	v_cmpx_lt_u32_e32 7, v0
	s_cbranch_execz .LBB34_205
; %bb.204:
	s_clause 0x1
	buffer_load_dword v72, off, s[0:3], 0 offset:56
	buffer_load_dword v73, off, s[0:3], 0 offset:60
	v_mov_b32_e32 v74, 0
	buffer_store_dword v74, off, s[0:3], 0 offset:56
	buffer_store_dword v74, off, s[0:3], 0 offset:60
	s_waitcnt vmcnt(0)
	ds_write_b64 v71, v[72:73]
.LBB34_205:
	s_or_b32 exec_lo, exec_lo, s4
	s_waitcnt lgkmcnt(0)
	s_waitcnt_vscnt null, 0x0
	s_barrier
	buffer_gl0_inv
	s_clause 0x1b
	buffer_load_dword v77, off, s[0:3], 0 offset:64
	buffer_load_dword v78, off, s[0:3], 0 offset:68
	;; [unrolled: 1-line block ×28, first 2 shown]
	v_mov_b32_e32 v72, 0
	s_mov_b32 s4, exec_lo
	ds_read_b128 v[73:76], v72 offset:352
	s_clause 0x1
	buffer_load_dword v105, off, s[0:3], 0 offset:176
	buffer_load_dword v106, off, s[0:3], 0 offset:180
	s_waitcnt vmcnt(28) lgkmcnt(0)
	v_fma_f64 v[73:74], v[77:78], v[73:74], 0
	s_clause 0x1
	buffer_load_dword v78, off, s[0:3], 0 offset:188
	buffer_load_dword v77, off, s[0:3], 0 offset:184
	s_waitcnt vmcnt(28)
	v_fma_f64 v[79:80], v[79:80], v[75:76], v[73:74]
	ds_read_b128 v[73:76], v72 offset:368
	s_clause 0x1
	buffer_load_dword v107, off, s[0:3], 0 offset:192
	buffer_load_dword v108, off, s[0:3], 0 offset:196
	s_waitcnt vmcnt(28) lgkmcnt(0)
	v_fma_f64 v[73:74], v[81:82], v[73:74], v[79:80]
	s_clause 0x1
	buffer_load_dword v79, off, s[0:3], 0 offset:200
	buffer_load_dword v80, off, s[0:3], 0 offset:204
	s_waitcnt vmcnt(28)
	v_fma_f64 v[81:82], v[83:84], v[75:76], v[73:74]
	;; [unrolled: 11-line block ×7, first 2 shown]
	ds_read_b128 v[73:76], v72 offset:464
	s_waitcnt vmcnt(26) lgkmcnt(0)
	v_fma_f64 v[73:74], v[105:106], v[73:74], v[101:102]
	s_waitcnt vmcnt(24)
	v_fma_f64 v[77:78], v[77:78], v[75:76], v[73:74]
	ds_read_b128 v[73:76], v72 offset:480
	s_waitcnt vmcnt(22) lgkmcnt(0)
	v_fma_f64 v[73:74], v[107:108], v[73:74], v[77:78]
	s_waitcnt vmcnt(20)
	v_fma_f64 v[77:78], v[79:80], v[75:76], v[73:74]
	;; [unrolled: 5-line block ×6, first 2 shown]
	ds_read_b64 v[75:76], v72 offset:560
	s_waitcnt vmcnt(2) lgkmcnt(0)
	v_fma_f64 v[73:74], v[99:100], v[75:76], v[73:74]
	s_waitcnt vmcnt(0)
	v_add_f64 v[73:74], v[97:98], -v[73:74]
	buffer_store_dword v74, off, s[0:3], 0 offset:60
	buffer_store_dword v73, off, s[0:3], 0 offset:56
	v_cmpx_lt_u32_e32 6, v0
	s_cbranch_execz .LBB34_207
; %bb.206:
	s_clause 0x1
	buffer_load_dword v73, off, s[0:3], 0 offset:48
	buffer_load_dword v74, off, s[0:3], 0 offset:52
	buffer_store_dword v72, off, s[0:3], 0 offset:48
	buffer_store_dword v72, off, s[0:3], 0 offset:52
	s_waitcnt vmcnt(0)
	ds_write_b64 v71, v[73:74]
.LBB34_207:
	s_or_b32 exec_lo, exec_lo, s4
	s_waitcnt lgkmcnt(0)
	s_waitcnt_vscnt null, 0x0
	s_barrier
	buffer_gl0_inv
	s_clause 0x1b
	buffer_load_dword v77, off, s[0:3], 0 offset:56
	buffer_load_dword v78, off, s[0:3], 0 offset:60
	;; [unrolled: 1-line block ×28, first 2 shown]
	ds_read2_b64 v[73:76], v72 offset0:43 offset1:44
	s_clause 0x1
	buffer_load_dword v105, off, s[0:3], 0 offset:168
	buffer_load_dword v106, off, s[0:3], 0 offset:172
	s_mov_b32 s4, exec_lo
	s_waitcnt vmcnt(28) lgkmcnt(0)
	v_fma_f64 v[73:74], v[77:78], v[73:74], 0
	s_clause 0x1
	buffer_load_dword v78, off, s[0:3], 0 offset:180
	buffer_load_dword v77, off, s[0:3], 0 offset:176
	s_waitcnt vmcnt(28)
	v_fma_f64 v[79:80], v[79:80], v[75:76], v[73:74]
	ds_read2_b64 v[73:76], v72 offset0:45 offset1:46
	s_clause 0x1
	buffer_load_dword v107, off, s[0:3], 0 offset:184
	buffer_load_dword v108, off, s[0:3], 0 offset:188
	s_waitcnt vmcnt(28) lgkmcnt(0)
	v_fma_f64 v[73:74], v[81:82], v[73:74], v[79:80]
	s_clause 0x1
	buffer_load_dword v79, off, s[0:3], 0 offset:192
	buffer_load_dword v80, off, s[0:3], 0 offset:196
	s_waitcnt vmcnt(28)
	v_fma_f64 v[81:82], v[83:84], v[75:76], v[73:74]
	ds_read2_b64 v[73:76], v72 offset0:47 offset1:48
	s_clause 0x1
	buffer_load_dword v83, off, s[0:3], 0 offset:200
	buffer_load_dword v84, off, s[0:3], 0 offset:204
	;; [unrolled: 11-line block ×7, first 2 shown]
	s_waitcnt vmcnt(28) lgkmcnt(0)
	v_fma_f64 v[73:74], v[105:106], v[73:74], v[101:102]
	s_waitcnt vmcnt(26)
	v_fma_f64 v[77:78], v[77:78], v[75:76], v[73:74]
	ds_read2_b64 v[73:76], v72 offset0:59 offset1:60
	s_waitcnt vmcnt(24) lgkmcnt(0)
	v_fma_f64 v[73:74], v[107:108], v[73:74], v[77:78]
	s_waitcnt vmcnt(22)
	v_fma_f64 v[77:78], v[79:80], v[75:76], v[73:74]
	ds_read2_b64 v[73:76], v72 offset0:61 offset1:62
	;; [unrolled: 5-line block ×6, first 2 shown]
	s_waitcnt vmcnt(4) lgkmcnt(0)
	v_fma_f64 v[72:73], v[99:100], v[72:73], v[76:77]
	s_waitcnt vmcnt(2)
	v_fma_f64 v[72:73], v[97:98], v[74:75], v[72:73]
	s_waitcnt vmcnt(0)
	v_add_f64 v[72:73], v[103:104], -v[72:73]
	buffer_store_dword v73, off, s[0:3], 0 offset:52
	buffer_store_dword v72, off, s[0:3], 0 offset:48
	v_cmpx_lt_u32_e32 5, v0
	s_cbranch_execz .LBB34_209
; %bb.208:
	s_clause 0x1
	buffer_load_dword v72, off, s[0:3], 0 offset:40
	buffer_load_dword v73, off, s[0:3], 0 offset:44
	v_mov_b32_e32 v74, 0
	buffer_store_dword v74, off, s[0:3], 0 offset:40
	buffer_store_dword v74, off, s[0:3], 0 offset:44
	s_waitcnt vmcnt(0)
	ds_write_b64 v71, v[72:73]
.LBB34_209:
	s_or_b32 exec_lo, exec_lo, s4
	s_waitcnt lgkmcnt(0)
	s_waitcnt_vscnt null, 0x0
	s_barrier
	buffer_gl0_inv
	s_clause 0x1b
	buffer_load_dword v77, off, s[0:3], 0 offset:48
	buffer_load_dword v78, off, s[0:3], 0 offset:52
	;; [unrolled: 1-line block ×28, first 2 shown]
	v_mov_b32_e32 v72, 0
	s_mov_b32 s4, exec_lo
	ds_read_b128 v[73:76], v72 offset:336
	s_clause 0x1
	buffer_load_dword v105, off, s[0:3], 0 offset:160
	buffer_load_dword v106, off, s[0:3], 0 offset:164
	s_waitcnt vmcnt(28) lgkmcnt(0)
	v_fma_f64 v[73:74], v[77:78], v[73:74], 0
	s_clause 0x1
	buffer_load_dword v78, off, s[0:3], 0 offset:172
	buffer_load_dword v77, off, s[0:3], 0 offset:168
	s_waitcnt vmcnt(28)
	v_fma_f64 v[79:80], v[79:80], v[75:76], v[73:74]
	ds_read_b128 v[73:76], v72 offset:352
	s_clause 0x1
	buffer_load_dword v107, off, s[0:3], 0 offset:176
	buffer_load_dword v108, off, s[0:3], 0 offset:180
	s_waitcnt vmcnt(28) lgkmcnt(0)
	v_fma_f64 v[73:74], v[81:82], v[73:74], v[79:80]
	s_clause 0x1
	buffer_load_dword v79, off, s[0:3], 0 offset:184
	buffer_load_dword v80, off, s[0:3], 0 offset:188
	s_waitcnt vmcnt(28)
	v_fma_f64 v[81:82], v[83:84], v[75:76], v[73:74]
	;; [unrolled: 11-line block ×8, first 2 shown]
	ds_read_b128 v[73:76], v72 offset:464
	s_waitcnt vmcnt(26) lgkmcnt(0)
	v_fma_f64 v[73:74], v[107:108], v[73:74], v[77:78]
	s_waitcnt vmcnt(24)
	v_fma_f64 v[77:78], v[79:80], v[75:76], v[73:74]
	ds_read_b128 v[73:76], v72 offset:480
	s_waitcnt vmcnt(22) lgkmcnt(0)
	v_fma_f64 v[73:74], v[83:84], v[73:74], v[77:78]
	s_waitcnt vmcnt(20)
	v_fma_f64 v[77:78], v[81:82], v[75:76], v[73:74]
	;; [unrolled: 5-line block ×6, first 2 shown]
	ds_read_b64 v[75:76], v72 offset:560
	s_waitcnt vmcnt(2) lgkmcnt(0)
	v_fma_f64 v[73:74], v[103:104], v[75:76], v[73:74]
	s_waitcnt vmcnt(0)
	v_add_f64 v[73:74], v[101:102], -v[73:74]
	buffer_store_dword v74, off, s[0:3], 0 offset:44
	buffer_store_dword v73, off, s[0:3], 0 offset:40
	v_cmpx_lt_u32_e32 4, v0
	s_cbranch_execz .LBB34_211
; %bb.210:
	s_clause 0x1
	buffer_load_dword v73, off, s[0:3], 0 offset:32
	buffer_load_dword v74, off, s[0:3], 0 offset:36
	buffer_store_dword v72, off, s[0:3], 0 offset:32
	buffer_store_dword v72, off, s[0:3], 0 offset:36
	s_waitcnt vmcnt(0)
	ds_write_b64 v71, v[73:74]
.LBB34_211:
	s_or_b32 exec_lo, exec_lo, s4
	s_waitcnt lgkmcnt(0)
	s_waitcnt_vscnt null, 0x0
	s_barrier
	buffer_gl0_inv
	s_clause 0x1b
	buffer_load_dword v77, off, s[0:3], 0 offset:40
	buffer_load_dword v78, off, s[0:3], 0 offset:44
	;; [unrolled: 1-line block ×28, first 2 shown]
	ds_read2_b64 v[73:76], v72 offset0:41 offset1:42
	s_clause 0x1
	buffer_load_dword v105, off, s[0:3], 0 offset:152
	buffer_load_dword v106, off, s[0:3], 0 offset:156
	s_mov_b32 s4, exec_lo
	s_waitcnt vmcnt(28) lgkmcnt(0)
	v_fma_f64 v[73:74], v[77:78], v[73:74], 0
	s_clause 0x1
	buffer_load_dword v78, off, s[0:3], 0 offset:164
	buffer_load_dword v77, off, s[0:3], 0 offset:160
	s_waitcnt vmcnt(28)
	v_fma_f64 v[79:80], v[79:80], v[75:76], v[73:74]
	ds_read2_b64 v[73:76], v72 offset0:43 offset1:44
	s_clause 0x1
	buffer_load_dword v107, off, s[0:3], 0 offset:168
	buffer_load_dword v108, off, s[0:3], 0 offset:172
	s_waitcnt vmcnt(28) lgkmcnt(0)
	v_fma_f64 v[73:74], v[81:82], v[73:74], v[79:80]
	s_clause 0x1
	buffer_load_dword v79, off, s[0:3], 0 offset:176
	buffer_load_dword v80, off, s[0:3], 0 offset:180
	s_waitcnt vmcnt(28)
	v_fma_f64 v[81:82], v[83:84], v[75:76], v[73:74]
	ds_read2_b64 v[73:76], v72 offset0:45 offset1:46
	s_clause 0x1
	buffer_load_dword v83, off, s[0:3], 0 offset:184
	buffer_load_dword v84, off, s[0:3], 0 offset:188
	;; [unrolled: 11-line block ×8, first 2 shown]
	s_waitcnt vmcnt(28) lgkmcnt(0)
	v_fma_f64 v[73:74], v[107:108], v[73:74], v[77:78]
	s_waitcnt vmcnt(26)
	v_fma_f64 v[77:78], v[79:80], v[75:76], v[73:74]
	ds_read2_b64 v[73:76], v72 offset0:59 offset1:60
	s_waitcnt vmcnt(24) lgkmcnt(0)
	v_fma_f64 v[73:74], v[83:84], v[73:74], v[77:78]
	s_waitcnt vmcnt(22)
	v_fma_f64 v[77:78], v[81:82], v[75:76], v[73:74]
	ds_read2_b64 v[73:76], v72 offset0:61 offset1:62
	;; [unrolled: 5-line block ×6, first 2 shown]
	s_waitcnt vmcnt(4) lgkmcnt(0)
	v_fma_f64 v[72:73], v[103:104], v[72:73], v[76:77]
	s_waitcnt vmcnt(2)
	v_fma_f64 v[72:73], v[101:102], v[74:75], v[72:73]
	s_waitcnt vmcnt(0)
	v_add_f64 v[72:73], v[105:106], -v[72:73]
	buffer_store_dword v73, off, s[0:3], 0 offset:36
	buffer_store_dword v72, off, s[0:3], 0 offset:32
	v_cmpx_lt_u32_e32 3, v0
	s_cbranch_execz .LBB34_213
; %bb.212:
	s_clause 0x1
	buffer_load_dword v72, off, s[0:3], 0 offset:24
	buffer_load_dword v73, off, s[0:3], 0 offset:28
	v_mov_b32_e32 v74, 0
	buffer_store_dword v74, off, s[0:3], 0 offset:24
	buffer_store_dword v74, off, s[0:3], 0 offset:28
	s_waitcnt vmcnt(0)
	ds_write_b64 v71, v[72:73]
.LBB34_213:
	s_or_b32 exec_lo, exec_lo, s4
	s_waitcnt lgkmcnt(0)
	s_waitcnt_vscnt null, 0x0
	s_barrier
	buffer_gl0_inv
	s_clause 0x1b
	buffer_load_dword v77, off, s[0:3], 0 offset:32
	buffer_load_dword v78, off, s[0:3], 0 offset:36
	;; [unrolled: 1-line block ×28, first 2 shown]
	v_mov_b32_e32 v72, 0
	s_mov_b32 s4, exec_lo
	ds_read_b128 v[73:76], v72 offset:320
	s_clause 0x1
	buffer_load_dword v105, off, s[0:3], 0 offset:144
	buffer_load_dword v106, off, s[0:3], 0 offset:148
	s_waitcnt vmcnt(28) lgkmcnt(0)
	v_fma_f64 v[73:74], v[77:78], v[73:74], 0
	s_clause 0x1
	buffer_load_dword v78, off, s[0:3], 0 offset:156
	buffer_load_dword v77, off, s[0:3], 0 offset:152
	s_waitcnt vmcnt(28)
	v_fma_f64 v[79:80], v[79:80], v[75:76], v[73:74]
	ds_read_b128 v[73:76], v72 offset:336
	s_clause 0x1
	buffer_load_dword v107, off, s[0:3], 0 offset:160
	buffer_load_dword v108, off, s[0:3], 0 offset:164
	s_waitcnt vmcnt(28) lgkmcnt(0)
	v_fma_f64 v[73:74], v[81:82], v[73:74], v[79:80]
	s_clause 0x1
	buffer_load_dword v79, off, s[0:3], 0 offset:168
	buffer_load_dword v80, off, s[0:3], 0 offset:172
	s_waitcnt vmcnt(28)
	v_fma_f64 v[81:82], v[83:84], v[75:76], v[73:74]
	;; [unrolled: 11-line block ×9, first 2 shown]
	ds_read_b128 v[73:76], v72 offset:464
	s_waitcnt vmcnt(26) lgkmcnt(0)
	v_fma_f64 v[73:74], v[83:84], v[73:74], v[79:80]
	s_waitcnt vmcnt(24)
	v_fma_f64 v[79:80], v[81:82], v[75:76], v[73:74]
	ds_read_b128 v[73:76], v72 offset:480
	s_waitcnt vmcnt(22) lgkmcnt(0)
	v_fma_f64 v[73:74], v[87:88], v[73:74], v[79:80]
	s_waitcnt vmcnt(20)
	v_fma_f64 v[79:80], v[85:86], v[75:76], v[73:74]
	;; [unrolled: 5-line block ×6, first 2 shown]
	ds_read_b64 v[75:76], v72 offset:560
	s_waitcnt vmcnt(2) lgkmcnt(0)
	v_fma_f64 v[73:74], v[105:106], v[75:76], v[73:74]
	s_waitcnt vmcnt(0)
	v_add_f64 v[73:74], v[77:78], -v[73:74]
	buffer_store_dword v74, off, s[0:3], 0 offset:28
	buffer_store_dword v73, off, s[0:3], 0 offset:24
	v_cmpx_lt_u32_e32 2, v0
	s_cbranch_execz .LBB34_215
; %bb.214:
	s_clause 0x1
	buffer_load_dword v73, off, s[0:3], 0 offset:16
	buffer_load_dword v74, off, s[0:3], 0 offset:20
	buffer_store_dword v72, off, s[0:3], 0 offset:16
	buffer_store_dword v72, off, s[0:3], 0 offset:20
	s_waitcnt vmcnt(0)
	ds_write_b64 v71, v[73:74]
.LBB34_215:
	s_or_b32 exec_lo, exec_lo, s4
	s_waitcnt lgkmcnt(0)
	s_waitcnt_vscnt null, 0x0
	s_barrier
	buffer_gl0_inv
	s_clause 0x1b
	buffer_load_dword v77, off, s[0:3], 0 offset:24
	buffer_load_dword v78, off, s[0:3], 0 offset:28
	;; [unrolled: 1-line block ×28, first 2 shown]
	ds_read2_b64 v[73:76], v72 offset0:39 offset1:40
	s_clause 0x1
	buffer_load_dword v105, off, s[0:3], 0 offset:136
	buffer_load_dword v106, off, s[0:3], 0 offset:140
	s_mov_b32 s4, exec_lo
	s_waitcnt vmcnt(28) lgkmcnt(0)
	v_fma_f64 v[73:74], v[77:78], v[73:74], 0
	s_clause 0x1
	buffer_load_dword v78, off, s[0:3], 0 offset:148
	buffer_load_dword v77, off, s[0:3], 0 offset:144
	s_waitcnt vmcnt(28)
	v_fma_f64 v[79:80], v[79:80], v[75:76], v[73:74]
	ds_read2_b64 v[73:76], v72 offset0:41 offset1:42
	s_clause 0x1
	buffer_load_dword v107, off, s[0:3], 0 offset:152
	buffer_load_dword v108, off, s[0:3], 0 offset:156
	s_waitcnt vmcnt(28) lgkmcnt(0)
	v_fma_f64 v[73:74], v[81:82], v[73:74], v[79:80]
	s_clause 0x1
	buffer_load_dword v79, off, s[0:3], 0 offset:160
	buffer_load_dword v80, off, s[0:3], 0 offset:164
	s_waitcnt vmcnt(28)
	v_fma_f64 v[81:82], v[83:84], v[75:76], v[73:74]
	ds_read2_b64 v[73:76], v72 offset0:43 offset1:44
	s_clause 0x1
	buffer_load_dword v83, off, s[0:3], 0 offset:168
	buffer_load_dword v84, off, s[0:3], 0 offset:172
	;; [unrolled: 11-line block ×9, first 2 shown]
	s_waitcnt vmcnt(28) lgkmcnt(0)
	v_fma_f64 v[73:74], v[83:84], v[73:74], v[79:80]
	s_waitcnt vmcnt(26)
	v_fma_f64 v[79:80], v[81:82], v[75:76], v[73:74]
	ds_read2_b64 v[73:76], v72 offset0:59 offset1:60
	s_waitcnt vmcnt(24) lgkmcnt(0)
	v_fma_f64 v[73:74], v[87:88], v[73:74], v[79:80]
	s_waitcnt vmcnt(22)
	v_fma_f64 v[79:80], v[85:86], v[75:76], v[73:74]
	ds_read2_b64 v[73:76], v72 offset0:61 offset1:62
	;; [unrolled: 5-line block ×6, first 2 shown]
	s_waitcnt vmcnt(4) lgkmcnt(0)
	v_fma_f64 v[72:73], v[105:106], v[72:73], v[79:80]
	s_waitcnt vmcnt(2)
	v_fma_f64 v[72:73], v[77:78], v[74:75], v[72:73]
	s_waitcnt vmcnt(0)
	v_add_f64 v[72:73], v[107:108], -v[72:73]
	buffer_store_dword v73, off, s[0:3], 0 offset:20
	buffer_store_dword v72, off, s[0:3], 0 offset:16
	v_cmpx_lt_u32_e32 1, v0
	s_cbranch_execz .LBB34_217
; %bb.216:
	s_clause 0x1
	buffer_load_dword v72, off, s[0:3], 0 offset:8
	buffer_load_dword v73, off, s[0:3], 0 offset:12
	v_mov_b32_e32 v74, 0
	buffer_store_dword v74, off, s[0:3], 0 offset:8
	buffer_store_dword v74, off, s[0:3], 0 offset:12
	s_waitcnt vmcnt(0)
	ds_write_b64 v71, v[72:73]
.LBB34_217:
	s_or_b32 exec_lo, exec_lo, s4
	s_waitcnt lgkmcnt(0)
	s_waitcnt_vscnt null, 0x0
	s_barrier
	buffer_gl0_inv
	s_clause 0x1b
	buffer_load_dword v77, off, s[0:3], 0 offset:16
	buffer_load_dword v78, off, s[0:3], 0 offset:20
	;; [unrolled: 1-line block ×28, first 2 shown]
	v_mov_b32_e32 v72, 0
	s_mov_b32 s4, exec_lo
	ds_read_b128 v[73:76], v72 offset:304
	s_clause 0x1
	buffer_load_dword v105, off, s[0:3], 0 offset:128
	buffer_load_dword v106, off, s[0:3], 0 offset:132
	s_waitcnt vmcnt(28) lgkmcnt(0)
	v_fma_f64 v[73:74], v[77:78], v[73:74], 0
	s_clause 0x1
	buffer_load_dword v78, off, s[0:3], 0 offset:140
	buffer_load_dword v77, off, s[0:3], 0 offset:136
	s_waitcnt vmcnt(28)
	v_fma_f64 v[79:80], v[79:80], v[75:76], v[73:74]
	ds_read_b128 v[73:76], v72 offset:320
	s_clause 0x1
	buffer_load_dword v107, off, s[0:3], 0 offset:144
	buffer_load_dword v108, off, s[0:3], 0 offset:148
	s_waitcnt vmcnt(28) lgkmcnt(0)
	v_fma_f64 v[73:74], v[81:82], v[73:74], v[79:80]
	s_clause 0x1
	buffer_load_dword v79, off, s[0:3], 0 offset:152
	buffer_load_dword v80, off, s[0:3], 0 offset:156
	s_waitcnt vmcnt(28)
	v_fma_f64 v[81:82], v[83:84], v[75:76], v[73:74]
	;; [unrolled: 11-line block ×10, first 2 shown]
	ds_read_b128 v[73:76], v72 offset:464
	s_waitcnt vmcnt(26) lgkmcnt(0)
	v_fma_f64 v[73:74], v[87:88], v[73:74], v[81:82]
	s_waitcnt vmcnt(24)
	v_fma_f64 v[81:82], v[85:86], v[75:76], v[73:74]
	ds_read_b128 v[73:76], v72 offset:480
	s_waitcnt vmcnt(22) lgkmcnt(0)
	v_fma_f64 v[73:74], v[91:92], v[73:74], v[81:82]
	s_waitcnt vmcnt(20)
	v_fma_f64 v[81:82], v[89:90], v[75:76], v[73:74]
	;; [unrolled: 5-line block ×6, first 2 shown]
	ds_read_b64 v[75:76], v72 offset:560
	s_waitcnt vmcnt(2) lgkmcnt(0)
	v_fma_f64 v[73:74], v[107:108], v[75:76], v[73:74]
	s_waitcnt vmcnt(0)
	v_add_f64 v[73:74], v[79:80], -v[73:74]
	buffer_store_dword v74, off, s[0:3], 0 offset:12
	buffer_store_dword v73, off, s[0:3], 0 offset:8
	v_cmpx_ne_u32_e32 0, v0
	s_cbranch_execz .LBB34_219
; %bb.218:
	s_clause 0x1
	buffer_load_dword v73, off, s[0:3], 0
	buffer_load_dword v74, off, s[0:3], 0 offset:4
	buffer_store_dword v72, off, s[0:3], 0
	buffer_store_dword v72, off, s[0:3], 0 offset:4
	s_waitcnt vmcnt(0)
	ds_write_b64 v71, v[73:74]
.LBB34_219:
	s_or_b32 exec_lo, exec_lo, s4
	s_waitcnt lgkmcnt(0)
	s_waitcnt_vscnt null, 0x0
	s_barrier
	buffer_gl0_inv
	s_clause 0x1b
	buffer_load_dword v77, off, s[0:3], 0 offset:8
	buffer_load_dword v78, off, s[0:3], 0 offset:12
	buffer_load_dword v79, off, s[0:3], 0 offset:16
	buffer_load_dword v80, off, s[0:3], 0 offset:20
	buffer_load_dword v81, off, s[0:3], 0 offset:24
	buffer_load_dword v82, off, s[0:3], 0 offset:28
	buffer_load_dword v83, off, s[0:3], 0 offset:32
	buffer_load_dword v84, off, s[0:3], 0 offset:36
	buffer_load_dword v85, off, s[0:3], 0 offset:40
	buffer_load_dword v86, off, s[0:3], 0 offset:44
	buffer_load_dword v87, off, s[0:3], 0 offset:48
	buffer_load_dword v88, off, s[0:3], 0 offset:52
	buffer_load_dword v89, off, s[0:3], 0 offset:56
	buffer_load_dword v90, off, s[0:3], 0 offset:60
	buffer_load_dword v92, off, s[0:3], 0 offset:68
	buffer_load_dword v91, off, s[0:3], 0 offset:64
	buffer_load_dword v93, off, s[0:3], 0 offset:72
	buffer_load_dword v94, off, s[0:3], 0 offset:76
	buffer_load_dword v95, off, s[0:3], 0 offset:80
	buffer_load_dword v96, off, s[0:3], 0 offset:84
	buffer_load_dword v97, off, s[0:3], 0 offset:88
	buffer_load_dword v98, off, s[0:3], 0 offset:92
	buffer_load_dword v100, off, s[0:3], 0 offset:100
	buffer_load_dword v99, off, s[0:3], 0 offset:96
	buffer_load_dword v101, off, s[0:3], 0 offset:104
	buffer_load_dword v102, off, s[0:3], 0 offset:108
	buffer_load_dword v103, off, s[0:3], 0 offset:112
	buffer_load_dword v104, off, s[0:3], 0 offset:116
	ds_read2_b64 v[73:76], v72 offset0:37 offset1:38
	s_clause 0x1
	buffer_load_dword v105, off, s[0:3], 0 offset:120
	buffer_load_dword v106, off, s[0:3], 0 offset:124
	s_and_b32 vcc_lo, exec_lo, s22
	s_waitcnt vmcnt(28) lgkmcnt(0)
	v_fma_f64 v[73:74], v[77:78], v[73:74], 0
	s_clause 0x1
	buffer_load_dword v78, off, s[0:3], 0 offset:132
	buffer_load_dword v77, off, s[0:3], 0 offset:128
	s_waitcnt vmcnt(28)
	v_fma_f64 v[79:80], v[79:80], v[75:76], v[73:74]
	ds_read2_b64 v[73:76], v72 offset0:39 offset1:40
	s_clause 0x1
	buffer_load_dword v107, off, s[0:3], 0 offset:136
	buffer_load_dword v108, off, s[0:3], 0 offset:140
	s_waitcnt vmcnt(28) lgkmcnt(0)
	v_fma_f64 v[73:74], v[81:82], v[73:74], v[79:80]
	s_clause 0x1
	buffer_load_dword v79, off, s[0:3], 0 offset:144
	buffer_load_dword v80, off, s[0:3], 0 offset:148
	s_waitcnt vmcnt(28)
	v_fma_f64 v[81:82], v[83:84], v[75:76], v[73:74]
	ds_read2_b64 v[73:76], v72 offset0:41 offset1:42
	s_clause 0x1
	buffer_load_dword v83, off, s[0:3], 0 offset:152
	buffer_load_dword v84, off, s[0:3], 0 offset:156
	;; [unrolled: 11-line block ×9, first 2 shown]
	s_waitcnt vmcnt(28) lgkmcnt(0)
	v_fma_f64 v[75:76], v[83:84], v[75:76], v[79:80]
	s_clause 0x1
	buffer_load_dword v79, off, s[0:3], 0 offset:272
	buffer_load_dword v80, off, s[0:3], 0 offset:276
	s_waitcnt vmcnt(28)
	v_fma_f64 v[81:82], v[81:82], v[77:78], v[75:76]
	ds_read2_b64 v[75:78], v72 offset0:57 offset1:58
	s_clause 0x1
	buffer_load_dword v83, off, s[0:3], 0
	buffer_load_dword v84, off, s[0:3], 0 offset:4
	s_waitcnt vmcnt(28) lgkmcnt(0)
	v_fma_f64 v[75:76], v[87:88], v[75:76], v[81:82]
	s_waitcnt vmcnt(26)
	v_fma_f64 v[81:82], v[85:86], v[77:78], v[75:76]
	ds_read2_b64 v[75:78], v72 offset0:59 offset1:60
	s_waitcnt vmcnt(24) lgkmcnt(0)
	v_fma_f64 v[75:76], v[91:92], v[75:76], v[81:82]
	s_waitcnt vmcnt(22)
	v_fma_f64 v[81:82], v[89:90], v[77:78], v[75:76]
	ds_read2_b64 v[75:78], v72 offset0:61 offset1:62
	;; [unrolled: 5-line block ×6, first 2 shown]
	s_waitcnt vmcnt(4) lgkmcnt(0)
	v_fma_f64 v[71:72], v[73:74], v[75:76], v[81:82]
	s_waitcnt vmcnt(2)
	v_fma_f64 v[71:72], v[79:80], v[77:78], v[71:72]
	s_waitcnt vmcnt(0)
	v_add_f64 v[71:72], v[83:84], -v[71:72]
	buffer_store_dword v72, off, s[0:3], 0 offset:4
	buffer_store_dword v71, off, s[0:3], 0
	s_cbranch_vccz .LBB34_288
; %bb.220:
	v_mov_b32_e32 v0, 0
	global_load_dword v71, v0, s[20:21] offset:132
	s_waitcnt vmcnt(0)
	v_add_nc_u32_e32 v71, -1, v71
	v_cmp_ne_u32_e32 vcc_lo, 33, v71
	s_cbranch_vccz .LBB34_222
; %bb.221:
	v_lshlrev_b32_e32 v71, 3, v71
	s_clause 0x1
	buffer_load_dword v72, v71, s[0:3], 0 offen
	buffer_load_dword v75, v71, s[0:3], 0 offen offset:4
	s_waitcnt vmcnt(1)
	buffer_store_dword v72, off, s[0:3], 0 offset:264
	s_waitcnt vmcnt(0)
	buffer_store_dword v75, off, s[0:3], 0 offset:268
	buffer_store_dword v73, v71, s[0:3], 0 offen
	buffer_store_dword v74, v71, s[0:3], 0 offen offset:4
.LBB34_222:
	global_load_dword v0, v0, s[20:21] offset:128
	s_waitcnt vmcnt(0)
	v_add_nc_u32_e32 v0, -1, v0
	v_cmp_eq_u32_e32 vcc_lo, 32, v0
	s_cbranch_vccnz .LBB34_224
; %bb.223:
	v_lshlrev_b32_e32 v0, 3, v0
	s_clause 0x3
	buffer_load_dword v71, v0, s[0:3], 0 offen
	buffer_load_dword v72, v0, s[0:3], 0 offen offset:4
	buffer_load_dword v73, off, s[0:3], 0 offset:260
	buffer_load_dword v74, off, s[0:3], 0 offset:256
	s_waitcnt vmcnt(3)
	buffer_store_dword v71, off, s[0:3], 0 offset:256
	s_waitcnt vmcnt(2)
	buffer_store_dword v72, off, s[0:3], 0 offset:260
	s_waitcnt vmcnt(1)
	buffer_store_dword v73, v0, s[0:3], 0 offen offset:4
	s_waitcnt vmcnt(0)
	buffer_store_dword v74, v0, s[0:3], 0 offen
.LBB34_224:
	v_mov_b32_e32 v0, 0
	global_load_dword v71, v0, s[20:21] offset:124
	s_waitcnt vmcnt(0)
	v_add_nc_u32_e32 v71, -1, v71
	v_cmp_eq_u32_e32 vcc_lo, 31, v71
	s_cbranch_vccnz .LBB34_226
; %bb.225:
	v_lshlrev_b32_e32 v71, 3, v71
	s_clause 0x3
	buffer_load_dword v72, v71, s[0:3], 0 offen
	buffer_load_dword v73, v71, s[0:3], 0 offen offset:4
	buffer_load_dword v74, off, s[0:3], 0 offset:248
	buffer_load_dword v75, off, s[0:3], 0 offset:252
	s_waitcnt vmcnt(3)
	buffer_store_dword v72, off, s[0:3], 0 offset:248
	s_waitcnt vmcnt(2)
	buffer_store_dword v73, off, s[0:3], 0 offset:252
	s_waitcnt vmcnt(1)
	buffer_store_dword v74, v71, s[0:3], 0 offen
	s_waitcnt vmcnt(0)
	buffer_store_dword v75, v71, s[0:3], 0 offen offset:4
.LBB34_226:
	global_load_dword v0, v0, s[20:21] offset:120
	s_waitcnt vmcnt(0)
	v_add_nc_u32_e32 v0, -1, v0
	v_cmp_eq_u32_e32 vcc_lo, 30, v0
	s_cbranch_vccnz .LBB34_228
; %bb.227:
	v_lshlrev_b32_e32 v0, 3, v0
	s_clause 0x3
	buffer_load_dword v71, v0, s[0:3], 0 offen
	buffer_load_dword v72, v0, s[0:3], 0 offen offset:4
	buffer_load_dword v73, off, s[0:3], 0 offset:244
	buffer_load_dword v74, off, s[0:3], 0 offset:240
	s_waitcnt vmcnt(3)
	buffer_store_dword v71, off, s[0:3], 0 offset:240
	s_waitcnt vmcnt(2)
	buffer_store_dword v72, off, s[0:3], 0 offset:244
	s_waitcnt vmcnt(1)
	buffer_store_dword v73, v0, s[0:3], 0 offen offset:4
	s_waitcnt vmcnt(0)
	buffer_store_dword v74, v0, s[0:3], 0 offen
.LBB34_228:
	v_mov_b32_e32 v0, 0
	global_load_dword v71, v0, s[20:21] offset:116
	s_waitcnt vmcnt(0)
	v_add_nc_u32_e32 v71, -1, v71
	v_cmp_eq_u32_e32 vcc_lo, 29, v71
	s_cbranch_vccnz .LBB34_230
; %bb.229:
	v_lshlrev_b32_e32 v71, 3, v71
	s_clause 0x3
	buffer_load_dword v72, v71, s[0:3], 0 offen
	buffer_load_dword v73, v71, s[0:3], 0 offen offset:4
	buffer_load_dword v74, off, s[0:3], 0 offset:232
	buffer_load_dword v75, off, s[0:3], 0 offset:236
	s_waitcnt vmcnt(3)
	buffer_store_dword v72, off, s[0:3], 0 offset:232
	s_waitcnt vmcnt(2)
	buffer_store_dword v73, off, s[0:3], 0 offset:236
	s_waitcnt vmcnt(1)
	buffer_store_dword v74, v71, s[0:3], 0 offen
	s_waitcnt vmcnt(0)
	buffer_store_dword v75, v71, s[0:3], 0 offen offset:4
.LBB34_230:
	;; [unrolled: 43-line block ×16, first 2 shown]
	global_load_dword v0, v0, s[20:21]
	s_clause 0x1
	buffer_load_dword v71, off, s[0:3], 0
	buffer_load_dword v72, off, s[0:3], 0 offset:4
	s_waitcnt vmcnt(2)
	v_add_nc_u32_e32 v0, -1, v0
	v_cmp_eq_u32_e32 vcc_lo, 0, v0
	s_cbranch_vccnz .LBB34_288
; %bb.287:
	v_lshlrev_b32_e32 v0, 3, v0
	s_clause 0x1
	buffer_load_dword v73, v0, s[0:3], 0 offen offset:4
	buffer_load_dword v74, v0, s[0:3], 0 offen
	s_waitcnt vmcnt(1)
	buffer_store_dword v73, off, s[0:3], 0 offset:4
	s_waitcnt vmcnt(0)
	buffer_store_dword v74, off, s[0:3], 0
	buffer_store_dword v72, v0, s[0:3], 0 offen offset:4
	buffer_store_dword v71, v0, s[0:3], 0 offen
	s_clause 0x1
	buffer_load_dword v71, off, s[0:3], 0
	buffer_load_dword v72, off, s[0:3], 0 offset:4
.LBB34_288:
	s_clause 0xf
	buffer_load_dword v73, off, s[0:3], 0 offset:8
	buffer_load_dword v74, off, s[0:3], 0 offset:12
	;; [unrolled: 1-line block ×16, first 2 shown]
	s_waitcnt vmcnt(16)
	global_store_dwordx2 v[69:70], v[71:72], off
	s_clause 0x17
	buffer_load_dword v69, off, s[0:3], 0 offset:72
	buffer_load_dword v70, off, s[0:3], 0 offset:76
	buffer_load_dword v71, off, s[0:3], 0 offset:80
	buffer_load_dword v72, off, s[0:3], 0 offset:84
	buffer_load_dword v89, off, s[0:3], 0 offset:88
	buffer_load_dword v90, off, s[0:3], 0 offset:92
	buffer_load_dword v91, off, s[0:3], 0 offset:96
	buffer_load_dword v92, off, s[0:3], 0 offset:100
	buffer_load_dword v93, off, s[0:3], 0 offset:104
	buffer_load_dword v94, off, s[0:3], 0 offset:108
	buffer_load_dword v95, off, s[0:3], 0 offset:112
	buffer_load_dword v96, off, s[0:3], 0 offset:116
	buffer_load_dword v97, off, s[0:3], 0 offset:120
	buffer_load_dword v98, off, s[0:3], 0 offset:124
	buffer_load_dword v99, off, s[0:3], 0 offset:128
	buffer_load_dword v100, off, s[0:3], 0 offset:132
	buffer_load_dword v101, off, s[0:3], 0 offset:136
	buffer_load_dword v102, off, s[0:3], 0 offset:140
	buffer_load_dword v103, off, s[0:3], 0 offset:144
	buffer_load_dword v104, off, s[0:3], 0 offset:148
	buffer_load_dword v105, off, s[0:3], 0 offset:152
	buffer_load_dword v106, off, s[0:3], 0 offset:156
	buffer_load_dword v107, off, s[0:3], 0 offset:160
	buffer_load_dword v108, off, s[0:3], 0 offset:164
	s_waitcnt vmcnt(38)
	global_store_dwordx2 v[37:38], v[73:74], off
	s_waitcnt vmcnt(36)
	global_store_dwordx2 v[7:8], v[75:76], off
	s_clause 0x7
	buffer_load_dword v7, off, s[0:3], 0 offset:168
	buffer_load_dword v8, off, s[0:3], 0 offset:172
	buffer_load_dword v37, off, s[0:3], 0 offset:176
	buffer_load_dword v38, off, s[0:3], 0 offset:180
	buffer_load_dword v73, off, s[0:3], 0 offset:184
	buffer_load_dword v74, off, s[0:3], 0 offset:188
	buffer_load_dword v75, off, s[0:3], 0 offset:192
	buffer_load_dword v76, off, s[0:3], 0 offset:196
	s_waitcnt vmcnt(42)
	global_store_dwordx2 v[1:2], v[77:78], off
	s_waitcnt vmcnt(40)
	global_store_dwordx2 v[3:4], v[79:80], off
	s_clause 0x7
	buffer_load_dword v0, off, s[0:3], 0 offset:200
	buffer_load_dword v1, off, s[0:3], 0 offset:204
	buffer_load_dword v2, off, s[0:3], 0 offset:208
	buffer_load_dword v3, off, s[0:3], 0 offset:212
	buffer_load_dword v77, off, s[0:3], 0 offset:216
	buffer_load_dword v78, off, s[0:3], 0 offset:220
	buffer_load_dword v79, off, s[0:3], 0 offset:224
	buffer_load_dword v80, off, s[0:3], 0 offset:228
	;; [unrolled: 13-line block ×3, first 2 shown]
	s_waitcnt vmcnt(50)
	global_store_dwordx2 v[11:12], v[85:86], off
	s_clause 0x3
	buffer_load_dword v11, off, s[0:3], 0 offset:264
	buffer_load_dword v12, off, s[0:3], 0 offset:268
	;; [unrolled: 1-line block ×4, first 2 shown]
	s_waitcnt vmcnt(52)
	global_store_dwordx2 v[13:14], v[87:88], off
	s_waitcnt vmcnt(50)
	global_store_dwordx2 v[15:16], v[69:70], off
	;; [unrolled: 2-line block ×27, first 2 shown]
	s_endpgm
	.section	.rodata,"a",@progbits
	.p2align	6, 0x0
	.amdhsa_kernel _ZN9rocsolver6v33100L18getri_kernel_smallILi35EdPdEEvT1_iilPiilS4_bb
		.amdhsa_group_segment_fixed_size 568
		.amdhsa_private_segment_fixed_size 288
		.amdhsa_kernarg_size 60
		.amdhsa_user_sgpr_count 6
		.amdhsa_user_sgpr_private_segment_buffer 1
		.amdhsa_user_sgpr_dispatch_ptr 0
		.amdhsa_user_sgpr_queue_ptr 0
		.amdhsa_user_sgpr_kernarg_segment_ptr 1
		.amdhsa_user_sgpr_dispatch_id 0
		.amdhsa_user_sgpr_flat_scratch_init 0
		.amdhsa_user_sgpr_private_segment_size 0
		.amdhsa_wavefront_size32 1
		.amdhsa_uses_dynamic_stack 0
		.amdhsa_system_sgpr_private_segment_wavefront_offset 1
		.amdhsa_system_sgpr_workgroup_id_x 1
		.amdhsa_system_sgpr_workgroup_id_y 0
		.amdhsa_system_sgpr_workgroup_id_z 0
		.amdhsa_system_sgpr_workgroup_info 0
		.amdhsa_system_vgpr_workitem_id 0
		.amdhsa_next_free_vgpr 109
		.amdhsa_next_free_sgpr 23
		.amdhsa_reserve_vcc 1
		.amdhsa_reserve_flat_scratch 0
		.amdhsa_float_round_mode_32 0
		.amdhsa_float_round_mode_16_64 0
		.amdhsa_float_denorm_mode_32 3
		.amdhsa_float_denorm_mode_16_64 3
		.amdhsa_dx10_clamp 1
		.amdhsa_ieee_mode 1
		.amdhsa_fp16_overflow 0
		.amdhsa_workgroup_processor_mode 1
		.amdhsa_memory_ordered 1
		.amdhsa_forward_progress 1
		.amdhsa_shared_vgpr_count 0
		.amdhsa_exception_fp_ieee_invalid_op 0
		.amdhsa_exception_fp_denorm_src 0
		.amdhsa_exception_fp_ieee_div_zero 0
		.amdhsa_exception_fp_ieee_overflow 0
		.amdhsa_exception_fp_ieee_underflow 0
		.amdhsa_exception_fp_ieee_inexact 0
		.amdhsa_exception_int_div_zero 0
	.end_amdhsa_kernel
	.section	.text._ZN9rocsolver6v33100L18getri_kernel_smallILi35EdPdEEvT1_iilPiilS4_bb,"axG",@progbits,_ZN9rocsolver6v33100L18getri_kernel_smallILi35EdPdEEvT1_iilPiilS4_bb,comdat
.Lfunc_end34:
	.size	_ZN9rocsolver6v33100L18getri_kernel_smallILi35EdPdEEvT1_iilPiilS4_bb, .Lfunc_end34-_ZN9rocsolver6v33100L18getri_kernel_smallILi35EdPdEEvT1_iilPiilS4_bb
                                        ; -- End function
	.set _ZN9rocsolver6v33100L18getri_kernel_smallILi35EdPdEEvT1_iilPiilS4_bb.num_vgpr, 109
	.set _ZN9rocsolver6v33100L18getri_kernel_smallILi35EdPdEEvT1_iilPiilS4_bb.num_agpr, 0
	.set _ZN9rocsolver6v33100L18getri_kernel_smallILi35EdPdEEvT1_iilPiilS4_bb.numbered_sgpr, 23
	.set _ZN9rocsolver6v33100L18getri_kernel_smallILi35EdPdEEvT1_iilPiilS4_bb.num_named_barrier, 0
	.set _ZN9rocsolver6v33100L18getri_kernel_smallILi35EdPdEEvT1_iilPiilS4_bb.private_seg_size, 288
	.set _ZN9rocsolver6v33100L18getri_kernel_smallILi35EdPdEEvT1_iilPiilS4_bb.uses_vcc, 1
	.set _ZN9rocsolver6v33100L18getri_kernel_smallILi35EdPdEEvT1_iilPiilS4_bb.uses_flat_scratch, 0
	.set _ZN9rocsolver6v33100L18getri_kernel_smallILi35EdPdEEvT1_iilPiilS4_bb.has_dyn_sized_stack, 0
	.set _ZN9rocsolver6v33100L18getri_kernel_smallILi35EdPdEEvT1_iilPiilS4_bb.has_recursion, 0
	.set _ZN9rocsolver6v33100L18getri_kernel_smallILi35EdPdEEvT1_iilPiilS4_bb.has_indirect_call, 0
	.section	.AMDGPU.csdata,"",@progbits
; Kernel info:
; codeLenInByte = 39744
; TotalNumSgprs: 25
; NumVgprs: 109
; ScratchSize: 288
; MemoryBound: 1
; FloatMode: 240
; IeeeMode: 1
; LDSByteSize: 568 bytes/workgroup (compile time only)
; SGPRBlocks: 0
; VGPRBlocks: 13
; NumSGPRsForWavesPerEU: 25
; NumVGPRsForWavesPerEU: 109
; Occupancy: 9
; WaveLimiterHint : 1
; COMPUTE_PGM_RSRC2:SCRATCH_EN: 1
; COMPUTE_PGM_RSRC2:USER_SGPR: 6
; COMPUTE_PGM_RSRC2:TRAP_HANDLER: 0
; COMPUTE_PGM_RSRC2:TGID_X_EN: 1
; COMPUTE_PGM_RSRC2:TGID_Y_EN: 0
; COMPUTE_PGM_RSRC2:TGID_Z_EN: 0
; COMPUTE_PGM_RSRC2:TIDIG_COMP_CNT: 0
	.section	.text._ZN9rocsolver6v33100L18getri_kernel_smallILi36EdPdEEvT1_iilPiilS4_bb,"axG",@progbits,_ZN9rocsolver6v33100L18getri_kernel_smallILi36EdPdEEvT1_iilPiilS4_bb,comdat
	.globl	_ZN9rocsolver6v33100L18getri_kernel_smallILi36EdPdEEvT1_iilPiilS4_bb ; -- Begin function _ZN9rocsolver6v33100L18getri_kernel_smallILi36EdPdEEvT1_iilPiilS4_bb
	.p2align	8
	.type	_ZN9rocsolver6v33100L18getri_kernel_smallILi36EdPdEEvT1_iilPiilS4_bb,@function
_ZN9rocsolver6v33100L18getri_kernel_smallILi36EdPdEEvT1_iilPiilS4_bb: ; @_ZN9rocsolver6v33100L18getri_kernel_smallILi36EdPdEEvT1_iilPiilS4_bb
; %bb.0:
	s_add_u32 s0, s0, s7
	s_addc_u32 s1, s1, 0
	s_mov_b32 s7, exec_lo
	v_cmpx_gt_u32_e32 36, v0
	s_cbranch_execz .LBB35_154
; %bb.1:
	s_clause 0x2
	s_load_dword s7, s[4:5], 0x38
	s_load_dwordx4 s[16:19], s[4:5], 0x10
	s_load_dwordx4 s[8:11], s[4:5], 0x28
                                        ; implicit-def: $sgpr20_sgpr21
	s_waitcnt lgkmcnt(0)
	s_bitcmp1_b32 s7, 8
	s_cselect_b32 s22, -1, 0
	s_bfe_u32 s12, s7, 0x10008
	s_ashr_i32 s7, s6, 31
	s_cmp_eq_u32 s12, 0
	s_cbranch_scc1 .LBB35_3
; %bb.2:
	s_load_dword s12, s[4:5], 0x20
	s_mul_i32 s13, s8, s7
	s_mul_hi_u32 s14, s8, s6
	s_mul_i32 s9, s9, s6
	s_add_i32 s13, s14, s13
	s_mul_i32 s8, s8, s6
	s_add_i32 s9, s13, s9
	s_lshl_b64 s[8:9], s[8:9], 2
	s_waitcnt lgkmcnt(0)
	s_ashr_i32 s13, s12, 31
	s_add_u32 s14, s18, s8
	s_addc_u32 s15, s19, s9
	s_lshl_b64 s[8:9], s[12:13], 2
	s_add_u32 s20, s14, s8
	s_addc_u32 s21, s15, s9
.LBB35_3:
	s_clause 0x1
	s_load_dwordx4 s[12:15], s[4:5], 0x0
	s_load_dword s8, s[4:5], 0x38
	s_mul_i32 s4, s16, s7
	s_mul_hi_u32 s5, s16, s6
	s_mul_i32 s9, s17, s6
	s_add_i32 s5, s5, s4
	s_mul_i32 s4, s16, s6
	s_add_i32 s5, s5, s9
	v_lshlrev_b32_e32 v75, 3, v0
	s_lshl_b64 s[4:5], s[4:5], 3
	s_waitcnt lgkmcnt(0)
	v_add3_u32 v1, s15, s15, v0
	s_ashr_i32 s17, s14, 31
	s_mov_b32 s16, s14
	s_add_u32 s9, s12, s4
	s_addc_u32 s12, s13, s5
	v_add_nc_u32_e32 v3, s15, v1
	v_ashrrev_i32_e32 v2, 31, v1
	s_lshl_b64 s[4:5], s[16:17], 3
	s_add_u32 s4, s9, s4
	v_add_nc_u32_e32 v5, s15, v3
	v_ashrrev_i32_e32 v4, 31, v3
	v_lshlrev_b64 v[1:2], 3, v[1:2]
	s_addc_u32 s5, s12, s5
	v_add_co_u32 v71, s9, s4, v75
	v_add_nc_u32_e32 v7, s15, v5
	v_lshlrev_b64 v[3:4], 3, v[3:4]
	v_add_co_u32 v9, vcc_lo, s4, v1
	v_add_co_ci_u32_e64 v10, null, s5, v2, vcc_lo
	v_ashrrev_i32_e32 v8, 31, v7
	v_add_nc_u32_e32 v11, s15, v7
	v_add_co_u32 v13, vcc_lo, s4, v3
	v_add_co_ci_u32_e64 v14, null, s5, v4, vcc_lo
	v_lshlrev_b64 v[3:4], 3, v[7:8]
	v_add_nc_u32_e32 v7, s15, v11
	v_ashrrev_i32_e32 v6, 31, v5
	v_ashrrev_i32_e32 v12, 31, v11
	s_mov_b32 s12, s15
	s_ashr_i32 s13, s15, 31
	v_add_nc_u32_e32 v15, s15, v7
	v_lshlrev_b64 v[1:2], 3, v[5:6]
	v_lshlrev_b64 v[11:12], 3, v[11:12]
	v_ashrrev_i32_e32 v8, 31, v7
	v_add_co_ci_u32_e64 v72, null, s5, 0, s9
	v_add_nc_u32_e32 v17, s15, v15
	v_add_co_u32 v5, vcc_lo, s4, v1
	v_ashrrev_i32_e32 v16, 31, v15
	v_add_co_ci_u32_e64 v6, null, s5, v2, vcc_lo
	v_add_nc_u32_e32 v19, s15, v17
	v_add_co_u32 v1, vcc_lo, s4, v3
	v_ashrrev_i32_e32 v18, 31, v17
	v_add_co_ci_u32_e64 v2, null, s5, v4, vcc_lo
	v_lshlrev_b64 v[7:8], 3, v[7:8]
	v_add_co_u32 v3, vcc_lo, s4, v11
	v_ashrrev_i32_e32 v20, 31, v19
	v_add_co_ci_u32_e64 v4, null, s5, v12, vcc_lo
	s_lshl_b64 s[12:13], s[12:13], 3
	v_lshlrev_b64 v[11:12], 3, v[15:16]
	v_add_co_u32 v25, vcc_lo, v71, s12
	v_lshlrev_b64 v[15:16], 3, v[17:18]
	v_add_co_ci_u32_e64 v26, null, s13, v72, vcc_lo
	v_add_co_u32 v7, vcc_lo, s4, v7
	v_lshlrev_b64 v[17:18], 3, v[19:20]
	v_add_co_ci_u32_e64 v8, null, s5, v8, vcc_lo
	v_add_co_u32 v11, vcc_lo, s4, v11
	v_add_co_ci_u32_e64 v12, null, s5, v12, vcc_lo
	v_add_co_u32 v15, vcc_lo, s4, v15
	;; [unrolled: 2-line block ×3, first 2 shown]
	v_add_co_ci_u32_e64 v18, null, s5, v18, vcc_lo
	s_clause 0xa
	global_load_dwordx2 v[73:74], v75, s[4:5]
	global_load_dwordx2 v[76:77], v[25:26], off
	global_load_dwordx2 v[78:79], v[9:10], off
	;; [unrolled: 1-line block ×10, first 2 shown]
	v_add_nc_u32_e32 v19, s15, v19
	s_bitcmp0_b32 s8, 0
	v_add_nc_u32_e32 v21, s15, v19
	v_ashrrev_i32_e32 v20, 31, v19
	v_add_nc_u32_e32 v23, s15, v21
	v_ashrrev_i32_e32 v22, 31, v21
	v_lshlrev_b64 v[19:20], 3, v[19:20]
	v_add_nc_u32_e32 v27, s15, v23
	v_ashrrev_i32_e32 v24, 31, v23
	v_lshlrev_b64 v[21:22], 3, v[21:22]
	v_add_co_u32 v19, vcc_lo, s4, v19
	v_add_nc_u32_e32 v29, s15, v27
	v_ashrrev_i32_e32 v28, 31, v27
	v_lshlrev_b64 v[23:24], 3, v[23:24]
	v_add_co_ci_u32_e64 v20, null, s5, v20, vcc_lo
	v_add_nc_u32_e32 v31, s15, v29
	v_ashrrev_i32_e32 v30, 31, v29
	v_lshlrev_b64 v[27:28], 3, v[27:28]
	v_add_co_u32 v21, vcc_lo, s4, v21
	v_add_nc_u32_e32 v33, s15, v31
	v_ashrrev_i32_e32 v32, 31, v31
	v_lshlrev_b64 v[29:30], 3, v[29:30]
	v_add_co_ci_u32_e64 v22, null, s5, v22, vcc_lo
	v_add_nc_u32_e32 v35, s15, v33
	v_ashrrev_i32_e32 v34, 31, v33
	v_add_co_u32 v23, vcc_lo, s4, v23
	v_lshlrev_b64 v[31:32], 3, v[31:32]
	v_add_nc_u32_e32 v37, s15, v35
	v_ashrrev_i32_e32 v36, 31, v35
	v_add_co_ci_u32_e64 v24, null, s5, v24, vcc_lo
	v_add_co_u32 v27, vcc_lo, s4, v27
	v_add_nc_u32_e32 v39, s15, v37
	v_ashrrev_i32_e32 v38, 31, v37
	v_lshlrev_b64 v[33:34], 3, v[33:34]
	v_add_co_ci_u32_e64 v28, null, s5, v28, vcc_lo
	v_add_nc_u32_e32 v41, s15, v39
	v_ashrrev_i32_e32 v40, 31, v39
	v_add_co_u32 v29, vcc_lo, s4, v29
	v_lshlrev_b64 v[35:36], 3, v[35:36]
	v_add_nc_u32_e32 v43, s15, v41
	v_ashrrev_i32_e32 v42, 31, v41
	v_add_co_ci_u32_e64 v30, null, s5, v30, vcc_lo
	v_add_co_u32 v31, vcc_lo, s4, v31
	v_add_nc_u32_e32 v45, s15, v43
	v_lshlrev_b64 v[37:38], 3, v[37:38]
	v_ashrrev_i32_e32 v44, 31, v43
	v_add_co_ci_u32_e64 v32, null, s5, v32, vcc_lo
	v_add_nc_u32_e32 v47, s15, v45
	v_add_co_u32 v33, vcc_lo, s4, v33
	v_lshlrev_b64 v[39:40], 3, v[39:40]
	v_ashrrev_i32_e32 v46, 31, v45
	v_add_nc_u32_e32 v49, s15, v47
	v_add_co_ci_u32_e64 v34, null, s5, v34, vcc_lo
	v_add_co_u32 v35, vcc_lo, s4, v35
	v_add_nc_u32_e32 v51, s15, v49
	v_lshlrev_b64 v[41:42], 3, v[41:42]
	v_ashrrev_i32_e32 v48, 31, v47
	v_add_co_ci_u32_e64 v36, null, s5, v36, vcc_lo
	v_add_nc_u32_e32 v53, s15, v51
	v_add_co_u32 v37, vcc_lo, s4, v37
	v_lshlrev_b64 v[43:44], 3, v[43:44]
	v_ashrrev_i32_e32 v50, 31, v49
	v_add_nc_u32_e32 v55, s15, v53
	;; [unrolled: 11-line block ×3, first 2 shown]
	v_add_co_ci_u32_e64 v42, null, s5, v42, vcc_lo
	v_add_co_u32 v43, vcc_lo, s4, v43
	v_add_nc_u32_e32 v63, s15, v61
	v_lshlrev_b64 v[49:50], 3, v[49:50]
	v_ashrrev_i32_e32 v56, 31, v55
	v_add_co_ci_u32_e64 v44, null, s5, v44, vcc_lo
	v_add_nc_u32_e32 v65, s15, v63
	v_add_co_u32 v45, vcc_lo, s4, v45
	v_lshlrev_b64 v[51:52], 3, v[51:52]
	v_ashrrev_i32_e32 v58, 31, v57
	v_add_co_ci_u32_e64 v46, null, s5, v46, vcc_lo
	v_add_co_u32 v47, vcc_lo, s4, v47
	v_lshlrev_b64 v[53:54], 3, v[53:54]
	v_ashrrev_i32_e32 v60, 31, v59
	v_add_nc_u32_e32 v67, s15, v65
	v_add_co_ci_u32_e64 v48, null, s5, v48, vcc_lo
	v_add_co_u32 v49, vcc_lo, s4, v49
	v_lshlrev_b64 v[55:56], 3, v[55:56]
	v_ashrrev_i32_e32 v62, 31, v61
	v_add_co_ci_u32_e64 v50, null, s5, v50, vcc_lo
	v_add_co_u32 v51, vcc_lo, s4, v51
	v_lshlrev_b64 v[57:58], 3, v[57:58]
	v_ashrrev_i32_e32 v64, 31, v63
	v_add_co_ci_u32_e64 v52, null, s5, v52, vcc_lo
	v_add_co_u32 v53, vcc_lo, s4, v53
	v_lshlrev_b64 v[59:60], 3, v[59:60]
	v_add_nc_u32_e32 v69, s15, v67
	v_ashrrev_i32_e32 v66, 31, v65
	v_add_co_ci_u32_e64 v54, null, s5, v54, vcc_lo
	v_add_co_u32 v55, vcc_lo, s4, v55
	v_lshlrev_b64 v[61:62], 3, v[61:62]
	v_ashrrev_i32_e32 v68, 31, v67
	v_add_co_ci_u32_e64 v56, null, s5, v56, vcc_lo
	v_add_co_u32 v57, vcc_lo, s4, v57
	v_lshlrev_b64 v[63:64], 3, v[63:64]
	;; [unrolled: 4-line block ×3, first 2 shown]
	v_add_co_ci_u32_e64 v60, null, s5, v60, vcc_lo
	v_add_co_u32 v61, vcc_lo, s4, v61
	v_lshlrev_b64 v[67:68], 3, v[67:68]
	v_add_co_ci_u32_e64 v62, null, s5, v62, vcc_lo
	v_add_co_u32 v63, vcc_lo, s4, v63
	v_lshlrev_b64 v[116:117], 3, v[69:70]
	v_add_co_ci_u32_e64 v64, null, s5, v64, vcc_lo
	v_add_co_u32 v65, vcc_lo, s4, v65
	v_add_co_ci_u32_e64 v66, null, s5, v66, vcc_lo
	v_add_co_u32 v69, vcc_lo, s4, v67
	;; [unrolled: 2-line block ×3, first 2 shown]
	s_clause 0x9
	global_load_dwordx2 v[96:97], v[19:20], off
	global_load_dwordx2 v[98:99], v[21:22], off
	global_load_dwordx2 v[100:101], v[23:24], off
	global_load_dwordx2 v[102:103], v[27:28], off
	global_load_dwordx2 v[104:105], v[29:30], off
	global_load_dwordx2 v[106:107], v[31:32], off
	global_load_dwordx2 v[108:109], v[33:34], off
	global_load_dwordx2 v[110:111], v[35:36], off
	global_load_dwordx2 v[112:113], v[37:38], off
	global_load_dwordx2 v[114:115], v[39:40], off
	v_add_co_ci_u32_e64 v68, null, s5, v117, vcc_lo
	s_clause 0x3
	global_load_dwordx2 v[116:117], v[41:42], off
	global_load_dwordx2 v[118:119], v[43:44], off
	global_load_dwordx2 v[120:121], v[45:46], off
	global_load_dwordx2 v[122:123], v[47:48], off
	s_mov_b32 s5, -1
	s_waitcnt vmcnt(24)
	buffer_store_dword v74, off, s[0:3], 0 offset:4
	buffer_store_dword v73, off, s[0:3], 0
	s_waitcnt vmcnt(23)
	buffer_store_dword v77, off, s[0:3], 0 offset:12
	buffer_store_dword v76, off, s[0:3], 0 offset:8
	s_waitcnt vmcnt(22)
	buffer_store_dword v79, off, s[0:3], 0 offset:20
	buffer_store_dword v78, off, s[0:3], 0 offset:16
	;; [unrolled: 3-line block ×3, first 2 shown]
	s_clause 0x3
	global_load_dwordx2 v[73:74], v[49:50], off
	global_load_dwordx2 v[76:77], v[51:52], off
	;; [unrolled: 1-line block ×4, first 2 shown]
	s_waitcnt vmcnt(24)
	buffer_store_dword v83, off, s[0:3], 0 offset:36
	buffer_store_dword v82, off, s[0:3], 0 offset:32
	s_waitcnt vmcnt(23)
	buffer_store_dword v85, off, s[0:3], 0 offset:44
	buffer_store_dword v84, off, s[0:3], 0 offset:40
	;; [unrolled: 3-line block ×4, first 2 shown]
	s_clause 0x3
	global_load_dwordx2 v[82:83], v[57:58], off
	global_load_dwordx2 v[84:85], v[59:60], off
	;; [unrolled: 1-line block ×4, first 2 shown]
	s_waitcnt vmcnt(24)
	buffer_store_dword v91, off, s[0:3], 0 offset:68
	buffer_store_dword v90, off, s[0:3], 0 offset:64
	s_waitcnt vmcnt(23)
	buffer_store_dword v92, off, s[0:3], 0 offset:72
	buffer_store_dword v93, off, s[0:3], 0 offset:76
	s_clause 0x1
	global_load_dwordx2 v[90:91], v[65:66], off
	global_load_dwordx2 v[92:93], v[69:70], off
	s_waitcnt vmcnt(24)
	buffer_store_dword v94, off, s[0:3], 0 offset:80
	buffer_store_dword v95, off, s[0:3], 0 offset:84
	global_load_dwordx2 v[94:95], v[67:68], off
	s_waitcnt vmcnt(24)
	buffer_store_dword v96, off, s[0:3], 0 offset:88
	buffer_store_dword v97, off, s[0:3], 0 offset:92
	s_waitcnt vmcnt(23)
	buffer_store_dword v98, off, s[0:3], 0 offset:96
	buffer_store_dword v99, off, s[0:3], 0 offset:100
	;; [unrolled: 3-line block ×25, first 2 shown]
	s_cbranch_scc1 .LBB35_152
; %bb.4:
	v_cmp_eq_u32_e64 s4, 0, v0
	s_and_saveexec_b32 s5, s4
; %bb.5:
	v_mov_b32_e32 v73, 0
	ds_write_b32 v73, v73 offset:576
; %bb.6:
	s_or_b32 exec_lo, exec_lo, s5
	v_lshl_add_u32 v73, v0, 3, 0
	s_waitcnt lgkmcnt(0)
	s_waitcnt_vscnt null, 0x0
	s_barrier
	buffer_gl0_inv
	s_mov_b32 s8, exec_lo
	s_clause 0x1
	buffer_load_dword v76, v73, s[0:3], 0 offen
	buffer_load_dword v77, v73, s[0:3], 0 offen offset:4
	s_waitcnt vmcnt(0)
	v_cmpx_eq_f64_e32 0, v[76:77]
	s_cbranch_execz .LBB35_10
; %bb.7:
	v_mov_b32_e32 v74, 0
	s_mov_b32 s9, 0
	ds_read_b32 v76, v74 offset:576
	s_waitcnt lgkmcnt(0)
	v_readfirstlane_b32 s5, v76
	v_add_nc_u32_e32 v76, 1, v0
	s_cmp_eq_u32 s5, 0
	v_cmp_gt_i32_e32 vcc_lo, s5, v76
	s_cselect_b32 s12, -1, 0
	s_or_b32 s12, s12, vcc_lo
	s_and_b32 exec_lo, exec_lo, s12
	s_cbranch_execz .LBB35_10
; %bb.8:
	v_mov_b32_e32 v77, s5
.LBB35_9:                               ; =>This Inner Loop Header: Depth=1
	ds_cmpst_rtn_b32 v77, v74, v77, v76 offset:576
	s_waitcnt lgkmcnt(0)
	v_cmp_ne_u32_e32 vcc_lo, 0, v77
	v_cmp_le_i32_e64 s5, v77, v76
	s_and_b32 s5, vcc_lo, s5
	s_and_b32 s5, exec_lo, s5
	s_or_b32 s9, s5, s9
	s_andn2_b32 exec_lo, exec_lo, s9
	s_cbranch_execnz .LBB35_9
.LBB35_10:
	s_or_b32 exec_lo, exec_lo, s8
	v_mov_b32_e32 v74, 0
	s_barrier
	buffer_gl0_inv
	ds_read_b32 v76, v74 offset:576
	s_and_saveexec_b32 s5, s4
	s_cbranch_execz .LBB35_12
; %bb.11:
	s_lshl_b64 s[8:9], s[6:7], 2
	s_add_u32 s8, s10, s8
	s_addc_u32 s9, s11, s9
	s_waitcnt lgkmcnt(0)
	global_store_dword v74, v76, s[8:9]
.LBB35_12:
	s_or_b32 exec_lo, exec_lo, s5
	s_waitcnt lgkmcnt(0)
	v_cmp_ne_u32_e32 vcc_lo, 0, v76
	s_mov_b32 s5, 0
	s_cbranch_vccnz .LBB35_152
; %bb.13:
	s_clause 0x1
	buffer_load_dword v76, v73, s[0:3], 0 offen
	buffer_load_dword v77, v73, s[0:3], 0 offen offset:4
	s_waitcnt vmcnt(0)
	v_div_scale_f64 v[78:79], null, v[76:77], v[76:77], 1.0
	v_div_scale_f64 v[84:85], vcc_lo, 1.0, v[76:77], 1.0
	v_rcp_f64_e32 v[80:81], v[78:79]
	v_fma_f64 v[82:83], -v[78:79], v[80:81], 1.0
	v_fma_f64 v[80:81], v[80:81], v[82:83], v[80:81]
	v_fma_f64 v[82:83], -v[78:79], v[80:81], 1.0
	v_fma_f64 v[80:81], v[80:81], v[82:83], v[80:81]
	v_mul_f64 v[82:83], v[84:85], v[80:81]
	v_fma_f64 v[78:79], -v[78:79], v[82:83], v[84:85]
	v_div_fmas_f64 v[78:79], v[78:79], v[80:81], v[82:83]
	v_div_fixup_f64 v[77:78], v[78:79], v[76:77], 1.0
	v_add_nc_u32_e32 v76, 0x120, v75
	buffer_store_dword v78, v73, s[0:3], 0 offen offset:4
	buffer_store_dword v77, v73, s[0:3], 0 offen
	s_clause 0x1
	buffer_load_dword v80, off, s[0:3], 0 offset:12
	buffer_load_dword v79, off, s[0:3], 0 offset:8
	v_xor_b32_e32 v78, 0x80000000, v78
	s_waitcnt vmcnt(0)
	ds_write2_b64 v75, v[77:78], v[79:80] offset1:36
	s_waitcnt lgkmcnt(0)
	s_waitcnt_vscnt null, 0x0
	s_barrier
	buffer_gl0_inv
	s_and_saveexec_b32 s5, s4
	s_cbranch_execz .LBB35_15
; %bb.14:
	s_clause 0x1
	buffer_load_dword v77, v73, s[0:3], 0 offen
	buffer_load_dword v78, v73, s[0:3], 0 offen offset:4
	ds_read_b64 v[79:80], v76
	v_mov_b32_e32 v74, 0
	ds_read_b64 v[81:82], v74 offset:8
	s_waitcnt vmcnt(0) lgkmcnt(1)
	v_fma_f64 v[77:78], v[77:78], v[79:80], 0
	s_waitcnt lgkmcnt(0)
	v_mul_f64 v[77:78], v[77:78], v[81:82]
	buffer_store_dword v77, off, s[0:3], 0 offset:8
	buffer_store_dword v78, off, s[0:3], 0 offset:12
.LBB35_15:
	s_or_b32 exec_lo, exec_lo, s5
	s_waitcnt_vscnt null, 0x0
	s_barrier
	buffer_gl0_inv
	s_clause 0x1
	buffer_load_dword v77, off, s[0:3], 0 offset:16
	buffer_load_dword v78, off, s[0:3], 0 offset:20
	s_mov_b32 s5, exec_lo
	s_waitcnt vmcnt(0)
	ds_write_b64 v76, v[77:78]
	s_waitcnt lgkmcnt(0)
	s_barrier
	buffer_gl0_inv
	v_cmpx_gt_u32_e32 2, v0
	s_cbranch_execz .LBB35_19
; %bb.16:
	s_clause 0x1
	buffer_load_dword v77, v73, s[0:3], 0 offen
	buffer_load_dword v78, v73, s[0:3], 0 offen offset:4
	ds_read_b64 v[73:74], v76
	s_waitcnt vmcnt(0) lgkmcnt(0)
	v_fma_f64 v[73:74], v[77:78], v[73:74], 0
	s_and_saveexec_b32 s8, s4
	s_cbranch_execz .LBB35_18
; %bb.17:
	s_clause 0x1
	buffer_load_dword v77, off, s[0:3], 0 offset:8
	buffer_load_dword v78, off, s[0:3], 0 offset:12
	v_mov_b32_e32 v79, 0
	ds_read_b64 v[79:80], v79 offset:296
	s_waitcnt vmcnt(0) lgkmcnt(0)
	v_fma_f64 v[73:74], v[77:78], v[79:80], v[73:74]
.LBB35_18:
	s_or_b32 exec_lo, exec_lo, s8
	v_mov_b32_e32 v77, 0
	ds_read_b64 v[77:78], v77 offset:16
	s_waitcnt lgkmcnt(0)
	v_mul_f64 v[73:74], v[73:74], v[77:78]
	buffer_store_dword v74, off, s[0:3], 0 offset:20
	buffer_store_dword v73, off, s[0:3], 0 offset:16
.LBB35_19:
	s_or_b32 exec_lo, exec_lo, s5
	s_waitcnt_vscnt null, 0x0
	s_barrier
	buffer_gl0_inv
	s_clause 0x1
	buffer_load_dword v73, off, s[0:3], 0 offset:24
	buffer_load_dword v74, off, s[0:3], 0 offset:28
	v_add_nc_u32_e32 v77, -1, v0
	s_mov_b32 s4, exec_lo
	s_waitcnt vmcnt(0)
	ds_write_b64 v76, v[73:74]
	s_waitcnt lgkmcnt(0)
	s_barrier
	buffer_gl0_inv
	v_cmpx_gt_u32_e32 3, v0
	s_cbranch_execz .LBB35_23
; %bb.20:
	v_mov_b32_e32 v73, 0
	v_add_nc_u32_e32 v78, -1, v0
	v_add_nc_u32_e32 v79, 0x120, v75
	v_mov_b32_e32 v74, 0
	v_mov_b32_e32 v80, v75
	s_mov_b32 s5, 0
.LBB35_21:                              ; =>This Inner Loop Header: Depth=1
	s_clause 0x1
	buffer_load_dword v81, v80, s[0:3], 0 offen
	buffer_load_dword v82, v80, s[0:3], 0 offen offset:4
	ds_read_b64 v[83:84], v79
	v_add_nc_u32_e32 v78, 1, v78
	v_add_nc_u32_e32 v79, 8, v79
	v_add_nc_u32_e32 v80, 8, v80
	v_cmp_lt_u32_e32 vcc_lo, 1, v78
	s_or_b32 s5, vcc_lo, s5
	s_waitcnt vmcnt(0) lgkmcnt(0)
	v_fma_f64 v[73:74], v[81:82], v[83:84], v[73:74]
	s_andn2_b32 exec_lo, exec_lo, s5
	s_cbranch_execnz .LBB35_21
; %bb.22:
	s_or_b32 exec_lo, exec_lo, s5
	v_mov_b32_e32 v78, 0
	ds_read_b64 v[78:79], v78 offset:24
	s_waitcnt lgkmcnt(0)
	v_mul_f64 v[73:74], v[73:74], v[78:79]
	buffer_store_dword v74, off, s[0:3], 0 offset:28
	buffer_store_dword v73, off, s[0:3], 0 offset:24
.LBB35_23:
	s_or_b32 exec_lo, exec_lo, s4
	s_waitcnt_vscnt null, 0x0
	s_barrier
	buffer_gl0_inv
	s_clause 0x1
	buffer_load_dword v73, off, s[0:3], 0 offset:32
	buffer_load_dword v74, off, s[0:3], 0 offset:36
	s_mov_b32 s4, exec_lo
	s_waitcnt vmcnt(0)
	ds_write_b64 v76, v[73:74]
	s_waitcnt lgkmcnt(0)
	s_barrier
	buffer_gl0_inv
	v_cmpx_gt_u32_e32 4, v0
	s_cbranch_execz .LBB35_27
; %bb.24:
	v_mov_b32_e32 v73, 0
	v_add_nc_u32_e32 v78, -1, v0
	v_add_nc_u32_e32 v79, 0x120, v75
	v_mov_b32_e32 v74, 0
	v_mov_b32_e32 v80, v75
	s_mov_b32 s5, 0
.LBB35_25:                              ; =>This Inner Loop Header: Depth=1
	s_clause 0x1
	buffer_load_dword v81, v80, s[0:3], 0 offen
	buffer_load_dword v82, v80, s[0:3], 0 offen offset:4
	ds_read_b64 v[83:84], v79
	v_add_nc_u32_e32 v78, 1, v78
	v_add_nc_u32_e32 v79, 8, v79
	v_add_nc_u32_e32 v80, 8, v80
	v_cmp_lt_u32_e32 vcc_lo, 2, v78
	s_or_b32 s5, vcc_lo, s5
	s_waitcnt vmcnt(0) lgkmcnt(0)
	v_fma_f64 v[73:74], v[81:82], v[83:84], v[73:74]
	s_andn2_b32 exec_lo, exec_lo, s5
	s_cbranch_execnz .LBB35_25
; %bb.26:
	s_or_b32 exec_lo, exec_lo, s5
	v_mov_b32_e32 v78, 0
	ds_read_b64 v[78:79], v78 offset:32
	s_waitcnt lgkmcnt(0)
	v_mul_f64 v[73:74], v[73:74], v[78:79]
	buffer_store_dword v74, off, s[0:3], 0 offset:36
	buffer_store_dword v73, off, s[0:3], 0 offset:32
.LBB35_27:
	s_or_b32 exec_lo, exec_lo, s4
	s_waitcnt_vscnt null, 0x0
	s_barrier
	buffer_gl0_inv
	s_clause 0x1
	buffer_load_dword v73, off, s[0:3], 0 offset:40
	buffer_load_dword v74, off, s[0:3], 0 offset:44
	;; [unrolled: 45-line block ×20, first 2 shown]
	s_mov_b32 s4, exec_lo
	s_waitcnt vmcnt(0)
	ds_write_b64 v76, v[73:74]
	s_waitcnt lgkmcnt(0)
	s_barrier
	buffer_gl0_inv
	v_cmpx_gt_u32_e32 23, v0
	s_cbranch_execz .LBB35_103
; %bb.100:
	v_mov_b32_e32 v73, 0
	v_add_nc_u32_e32 v78, -1, v0
	v_add_nc_u32_e32 v79, 0x120, v75
	v_mov_b32_e32 v74, 0
	v_mov_b32_e32 v80, v75
	s_mov_b32 s5, 0
.LBB35_101:                             ; =>This Inner Loop Header: Depth=1
	s_clause 0x1
	buffer_load_dword v81, v80, s[0:3], 0 offen
	buffer_load_dword v82, v80, s[0:3], 0 offen offset:4
	ds_read_b64 v[83:84], v79
	v_add_nc_u32_e32 v78, 1, v78
	v_add_nc_u32_e32 v79, 8, v79
	v_add_nc_u32_e32 v80, 8, v80
	v_cmp_lt_u32_e32 vcc_lo, 21, v78
	s_or_b32 s5, vcc_lo, s5
	s_waitcnt vmcnt(0) lgkmcnt(0)
	v_fma_f64 v[73:74], v[81:82], v[83:84], v[73:74]
	s_andn2_b32 exec_lo, exec_lo, s5
	s_cbranch_execnz .LBB35_101
; %bb.102:
	s_or_b32 exec_lo, exec_lo, s5
	v_mov_b32_e32 v78, 0
	ds_read_b64 v[78:79], v78 offset:184
	s_waitcnt lgkmcnt(0)
	v_mul_f64 v[73:74], v[73:74], v[78:79]
	buffer_store_dword v74, off, s[0:3], 0 offset:188
	buffer_store_dword v73, off, s[0:3], 0 offset:184
.LBB35_103:
	s_or_b32 exec_lo, exec_lo, s4
	s_waitcnt_vscnt null, 0x0
	s_barrier
	buffer_gl0_inv
	s_clause 0x1
	buffer_load_dword v73, off, s[0:3], 0 offset:192
	buffer_load_dword v74, off, s[0:3], 0 offset:196
	s_mov_b32 s4, exec_lo
	s_waitcnt vmcnt(0)
	ds_write_b64 v76, v[73:74]
	s_waitcnt lgkmcnt(0)
	s_barrier
	buffer_gl0_inv
	v_cmpx_gt_u32_e32 24, v0
	s_cbranch_execz .LBB35_107
; %bb.104:
	v_mov_b32_e32 v73, 0
	v_add_nc_u32_e32 v78, -1, v0
	v_add_nc_u32_e32 v79, 0x120, v75
	v_mov_b32_e32 v74, 0
	v_mov_b32_e32 v80, v75
	s_mov_b32 s5, 0
.LBB35_105:                             ; =>This Inner Loop Header: Depth=1
	s_clause 0x1
	buffer_load_dword v81, v80, s[0:3], 0 offen
	buffer_load_dword v82, v80, s[0:3], 0 offen offset:4
	ds_read_b64 v[83:84], v79
	v_add_nc_u32_e32 v78, 1, v78
	v_add_nc_u32_e32 v79, 8, v79
	v_add_nc_u32_e32 v80, 8, v80
	v_cmp_lt_u32_e32 vcc_lo, 22, v78
	s_or_b32 s5, vcc_lo, s5
	s_waitcnt vmcnt(0) lgkmcnt(0)
	v_fma_f64 v[73:74], v[81:82], v[83:84], v[73:74]
	s_andn2_b32 exec_lo, exec_lo, s5
	s_cbranch_execnz .LBB35_105
; %bb.106:
	s_or_b32 exec_lo, exec_lo, s5
	v_mov_b32_e32 v78, 0
	ds_read_b64 v[78:79], v78 offset:192
	s_waitcnt lgkmcnt(0)
	v_mul_f64 v[73:74], v[73:74], v[78:79]
	buffer_store_dword v74, off, s[0:3], 0 offset:196
	buffer_store_dword v73, off, s[0:3], 0 offset:192
.LBB35_107:
	s_or_b32 exec_lo, exec_lo, s4
	s_waitcnt_vscnt null, 0x0
	s_barrier
	buffer_gl0_inv
	s_clause 0x1
	buffer_load_dword v73, off, s[0:3], 0 offset:200
	buffer_load_dword v74, off, s[0:3], 0 offset:204
	;; [unrolled: 45-line block ×12, first 2 shown]
	s_mov_b32 s4, exec_lo
	s_waitcnt vmcnt(0)
	ds_write_b64 v76, v[73:74]
	s_waitcnt lgkmcnt(0)
	s_barrier
	buffer_gl0_inv
	v_cmpx_ne_u32_e32 35, v0
	s_cbranch_execz .LBB35_151
; %bb.148:
	v_mov_b32_e32 v73, 0
	v_mov_b32_e32 v74, 0
	s_mov_b32 s5, 0
.LBB35_149:                             ; =>This Inner Loop Header: Depth=1
	s_clause 0x1
	buffer_load_dword v78, v75, s[0:3], 0 offen
	buffer_load_dword v79, v75, s[0:3], 0 offen offset:4
	ds_read_b64 v[80:81], v76
	v_add_nc_u32_e32 v77, 1, v77
	v_add_nc_u32_e32 v76, 8, v76
	;; [unrolled: 1-line block ×3, first 2 shown]
	v_cmp_lt_u32_e32 vcc_lo, 33, v77
	s_or_b32 s5, vcc_lo, s5
	s_waitcnt vmcnt(0) lgkmcnt(0)
	v_fma_f64 v[73:74], v[78:79], v[80:81], v[73:74]
	s_andn2_b32 exec_lo, exec_lo, s5
	s_cbranch_execnz .LBB35_149
; %bb.150:
	s_or_b32 exec_lo, exec_lo, s5
	v_mov_b32_e32 v75, 0
	ds_read_b64 v[75:76], v75 offset:280
	s_waitcnt lgkmcnt(0)
	v_mul_f64 v[73:74], v[73:74], v[75:76]
	buffer_store_dword v74, off, s[0:3], 0 offset:284
	buffer_store_dword v73, off, s[0:3], 0 offset:280
.LBB35_151:
	s_or_b32 exec_lo, exec_lo, s4
	s_mov_b32 s5, -1
	s_waitcnt_vscnt null, 0x0
	s_barrier
	buffer_gl0_inv
.LBB35_152:
	s_and_b32 vcc_lo, exec_lo, s5
	s_cbranch_vccz .LBB35_154
; %bb.153:
	s_lshl_b64 s[4:5], s[6:7], 2
	v_mov_b32_e32 v73, 0
	s_add_u32 s4, s10, s4
	s_addc_u32 s5, s11, s5
	global_load_dword v73, v73, s[4:5]
	s_waitcnt vmcnt(0)
	v_cmp_ne_u32_e32 vcc_lo, 0, v73
	s_cbranch_vccz .LBB35_155
.LBB35_154:
	s_endpgm
.LBB35_155:
	v_lshl_add_u32 v73, v0, 3, 0x120
	s_mov_b32 s4, exec_lo
	v_cmpx_eq_u32_e32 35, v0
	s_cbranch_execz .LBB35_157
; %bb.156:
	s_clause 0x1
	buffer_load_dword v74, off, s[0:3], 0 offset:272
	buffer_load_dword v75, off, s[0:3], 0 offset:276
	v_mov_b32_e32 v76, 0
	buffer_store_dword v76, off, s[0:3], 0 offset:272
	buffer_store_dword v76, off, s[0:3], 0 offset:276
	s_waitcnt vmcnt(0)
	ds_write_b64 v73, v[74:75]
.LBB35_157:
	s_or_b32 exec_lo, exec_lo, s4
	s_waitcnt lgkmcnt(0)
	s_waitcnt_vscnt null, 0x0
	s_barrier
	buffer_gl0_inv
	s_clause 0x3
	buffer_load_dword v75, off, s[0:3], 0 offset:280
	buffer_load_dword v76, off, s[0:3], 0 offset:284
	;; [unrolled: 1-line block ×4, first 2 shown]
	v_mov_b32_e32 v74, 0
	s_mov_b32 s4, exec_lo
	ds_read_b64 v[79:80], v74 offset:568
	s_waitcnt vmcnt(2) lgkmcnt(0)
	v_fma_f64 v[75:76], v[75:76], v[79:80], 0
	s_waitcnt vmcnt(0)
	v_add_f64 v[75:76], v[77:78], -v[75:76]
	buffer_store_dword v75, off, s[0:3], 0 offset:272
	buffer_store_dword v76, off, s[0:3], 0 offset:276
	v_cmpx_lt_u32_e32 33, v0
	s_cbranch_execz .LBB35_159
; %bb.158:
	s_clause 0x1
	buffer_load_dword v75, off, s[0:3], 0 offset:264
	buffer_load_dword v76, off, s[0:3], 0 offset:268
	buffer_store_dword v74, off, s[0:3], 0 offset:264
	buffer_store_dword v74, off, s[0:3], 0 offset:268
	s_waitcnt vmcnt(0)
	ds_write_b64 v73, v[75:76]
.LBB35_159:
	s_or_b32 exec_lo, exec_lo, s4
	s_waitcnt lgkmcnt(0)
	s_waitcnt_vscnt null, 0x0
	s_barrier
	buffer_gl0_inv
	s_clause 0x5
	buffer_load_dword v78, off, s[0:3], 0 offset:272
	buffer_load_dword v79, off, s[0:3], 0 offset:276
	;; [unrolled: 1-line block ×6, first 2 shown]
	ds_read_b128 v[74:77], v74 offset:560
	s_mov_b32 s4, exec_lo
	s_waitcnt vmcnt(4) lgkmcnt(0)
	v_fma_f64 v[74:75], v[78:79], v[74:75], 0
	s_waitcnt vmcnt(2)
	v_fma_f64 v[74:75], v[80:81], v[76:77], v[74:75]
	s_waitcnt vmcnt(0)
	v_add_f64 v[74:75], v[82:83], -v[74:75]
	buffer_store_dword v74, off, s[0:3], 0 offset:264
	buffer_store_dword v75, off, s[0:3], 0 offset:268
	v_cmpx_lt_u32_e32 32, v0
	s_cbranch_execz .LBB35_161
; %bb.160:
	s_clause 0x1
	buffer_load_dword v74, off, s[0:3], 0 offset:256
	buffer_load_dword v75, off, s[0:3], 0 offset:260
	v_mov_b32_e32 v76, 0
	buffer_store_dword v76, off, s[0:3], 0 offset:256
	buffer_store_dword v76, off, s[0:3], 0 offset:260
	s_waitcnt vmcnt(0)
	ds_write_b64 v73, v[74:75]
.LBB35_161:
	s_or_b32 exec_lo, exec_lo, s4
	s_waitcnt lgkmcnt(0)
	s_waitcnt_vscnt null, 0x0
	s_barrier
	buffer_gl0_inv
	s_clause 0x7
	buffer_load_dword v79, off, s[0:3], 0 offset:264
	buffer_load_dword v80, off, s[0:3], 0 offset:268
	;; [unrolled: 1-line block ×8, first 2 shown]
	v_mov_b32_e32 v74, 0
	ds_read2_b64 v[75:78], v74 offset0:69 offset1:70
	ds_read_b64 v[87:88], v74 offset:568
	s_mov_b32 s4, exec_lo
	s_waitcnt vmcnt(6) lgkmcnt(1)
	v_fma_f64 v[75:76], v[79:80], v[75:76], 0
	s_waitcnt vmcnt(4)
	v_fma_f64 v[75:76], v[81:82], v[77:78], v[75:76]
	s_waitcnt vmcnt(2) lgkmcnt(0)
	v_fma_f64 v[75:76], v[83:84], v[87:88], v[75:76]
	s_waitcnt vmcnt(0)
	v_add_f64 v[75:76], v[85:86], -v[75:76]
	buffer_store_dword v75, off, s[0:3], 0 offset:256
	buffer_store_dword v76, off, s[0:3], 0 offset:260
	v_cmpx_lt_u32_e32 31, v0
	s_cbranch_execz .LBB35_163
; %bb.162:
	s_clause 0x1
	buffer_load_dword v75, off, s[0:3], 0 offset:248
	buffer_load_dword v76, off, s[0:3], 0 offset:252
	buffer_store_dword v74, off, s[0:3], 0 offset:248
	buffer_store_dword v74, off, s[0:3], 0 offset:252
	s_waitcnt vmcnt(0)
	ds_write_b64 v73, v[75:76]
.LBB35_163:
	s_or_b32 exec_lo, exec_lo, s4
	s_waitcnt lgkmcnt(0)
	s_waitcnt_vscnt null, 0x0
	s_barrier
	buffer_gl0_inv
	s_clause 0x9
	buffer_load_dword v83, off, s[0:3], 0 offset:256
	buffer_load_dword v84, off, s[0:3], 0 offset:260
	;; [unrolled: 1-line block ×10, first 2 shown]
	ds_read_b128 v[75:78], v74 offset:544
	ds_read_b128 v[79:82], v74 offset:560
	s_mov_b32 s4, exec_lo
	s_waitcnt vmcnt(8) lgkmcnt(1)
	v_fma_f64 v[74:75], v[83:84], v[75:76], 0
	s_waitcnt vmcnt(6)
	v_fma_f64 v[74:75], v[85:86], v[77:78], v[74:75]
	s_waitcnt vmcnt(4) lgkmcnt(0)
	v_fma_f64 v[74:75], v[87:88], v[79:80], v[74:75]
	s_waitcnt vmcnt(2)
	v_fma_f64 v[74:75], v[89:90], v[81:82], v[74:75]
	s_waitcnt vmcnt(0)
	v_add_f64 v[74:75], v[91:92], -v[74:75]
	buffer_store_dword v74, off, s[0:3], 0 offset:248
	buffer_store_dword v75, off, s[0:3], 0 offset:252
	v_cmpx_lt_u32_e32 30, v0
	s_cbranch_execz .LBB35_165
; %bb.164:
	s_clause 0x1
	buffer_load_dword v74, off, s[0:3], 0 offset:240
	buffer_load_dword v75, off, s[0:3], 0 offset:244
	v_mov_b32_e32 v76, 0
	buffer_store_dword v76, off, s[0:3], 0 offset:240
	buffer_store_dword v76, off, s[0:3], 0 offset:244
	s_waitcnt vmcnt(0)
	ds_write_b64 v73, v[74:75]
.LBB35_165:
	s_or_b32 exec_lo, exec_lo, s4
	s_waitcnt lgkmcnt(0)
	s_waitcnt_vscnt null, 0x0
	s_barrier
	buffer_gl0_inv
	s_clause 0xb
	buffer_load_dword v83, off, s[0:3], 0 offset:248
	buffer_load_dword v84, off, s[0:3], 0 offset:252
	;; [unrolled: 1-line block ×12, first 2 shown]
	v_mov_b32_e32 v74, 0
	ds_read2_b64 v[75:78], v74 offset0:67 offset1:68
	ds_read2_b64 v[79:82], v74 offset0:69 offset1:70
	s_mov_b32 s4, exec_lo
	s_waitcnt vmcnt(10) lgkmcnt(1)
	v_fma_f64 v[75:76], v[83:84], v[75:76], 0
	s_waitcnt vmcnt(8)
	v_fma_f64 v[75:76], v[85:86], v[77:78], v[75:76]
	ds_read_b64 v[77:78], v74 offset:568
	s_waitcnt vmcnt(6) lgkmcnt(1)
	v_fma_f64 v[75:76], v[87:88], v[79:80], v[75:76]
	s_waitcnt vmcnt(4)
	v_fma_f64 v[75:76], v[89:90], v[81:82], v[75:76]
	s_waitcnt vmcnt(2) lgkmcnt(0)
	v_fma_f64 v[75:76], v[91:92], v[77:78], v[75:76]
	s_waitcnt vmcnt(0)
	v_add_f64 v[75:76], v[93:94], -v[75:76]
	buffer_store_dword v75, off, s[0:3], 0 offset:240
	buffer_store_dword v76, off, s[0:3], 0 offset:244
	v_cmpx_lt_u32_e32 29, v0
	s_cbranch_execz .LBB35_167
; %bb.166:
	s_clause 0x1
	buffer_load_dword v75, off, s[0:3], 0 offset:232
	buffer_load_dword v76, off, s[0:3], 0 offset:236
	buffer_store_dword v74, off, s[0:3], 0 offset:232
	buffer_store_dword v74, off, s[0:3], 0 offset:236
	s_waitcnt vmcnt(0)
	ds_write_b64 v73, v[75:76]
.LBB35_167:
	s_or_b32 exec_lo, exec_lo, s4
	s_waitcnt lgkmcnt(0)
	s_waitcnt_vscnt null, 0x0
	s_barrier
	buffer_gl0_inv
	s_clause 0xd
	buffer_load_dword v83, off, s[0:3], 0 offset:240
	buffer_load_dword v84, off, s[0:3], 0 offset:244
	buffer_load_dword v85, off, s[0:3], 0 offset:248
	buffer_load_dword v86, off, s[0:3], 0 offset:252
	buffer_load_dword v87, off, s[0:3], 0 offset:256
	buffer_load_dword v88, off, s[0:3], 0 offset:260
	buffer_load_dword v89, off, s[0:3], 0 offset:264
	buffer_load_dword v90, off, s[0:3], 0 offset:268
	buffer_load_dword v91, off, s[0:3], 0 offset:272
	buffer_load_dword v92, off, s[0:3], 0 offset:276
	buffer_load_dword v93, off, s[0:3], 0 offset:280
	buffer_load_dword v94, off, s[0:3], 0 offset:284
	buffer_load_dword v95, off, s[0:3], 0 offset:232
	buffer_load_dword v96, off, s[0:3], 0 offset:236
	ds_read_b128 v[75:78], v74 offset:528
	ds_read_b128 v[79:82], v74 offset:544
	s_mov_b32 s4, exec_lo
	s_waitcnt vmcnt(12) lgkmcnt(1)
	v_fma_f64 v[75:76], v[83:84], v[75:76], 0
	s_waitcnt vmcnt(10)
	v_fma_f64 v[75:76], v[85:86], v[77:78], v[75:76]
	s_waitcnt vmcnt(8) lgkmcnt(0)
	v_fma_f64 v[75:76], v[87:88], v[79:80], v[75:76]
	s_waitcnt vmcnt(6)
	v_fma_f64 v[78:79], v[89:90], v[81:82], v[75:76]
	ds_read_b128 v[74:77], v74 offset:560
	s_waitcnt vmcnt(4) lgkmcnt(0)
	v_fma_f64 v[74:75], v[91:92], v[74:75], v[78:79]
	s_waitcnt vmcnt(2)
	v_fma_f64 v[74:75], v[93:94], v[76:77], v[74:75]
	s_waitcnt vmcnt(0)
	v_add_f64 v[74:75], v[95:96], -v[74:75]
	buffer_store_dword v74, off, s[0:3], 0 offset:232
	buffer_store_dword v75, off, s[0:3], 0 offset:236
	v_cmpx_lt_u32_e32 28, v0
	s_cbranch_execz .LBB35_169
; %bb.168:
	s_clause 0x1
	buffer_load_dword v74, off, s[0:3], 0 offset:224
	buffer_load_dword v75, off, s[0:3], 0 offset:228
	v_mov_b32_e32 v76, 0
	buffer_store_dword v76, off, s[0:3], 0 offset:224
	buffer_store_dword v76, off, s[0:3], 0 offset:228
	s_waitcnt vmcnt(0)
	ds_write_b64 v73, v[74:75]
.LBB35_169:
	s_or_b32 exec_lo, exec_lo, s4
	s_waitcnt lgkmcnt(0)
	s_waitcnt_vscnt null, 0x0
	s_barrier
	buffer_gl0_inv
	s_clause 0xf
	buffer_load_dword v83, off, s[0:3], 0 offset:232
	buffer_load_dword v84, off, s[0:3], 0 offset:236
	;; [unrolled: 1-line block ×16, first 2 shown]
	v_mov_b32_e32 v74, 0
	ds_read2_b64 v[75:78], v74 offset0:65 offset1:66
	ds_read2_b64 v[79:82], v74 offset0:67 offset1:68
	s_mov_b32 s4, exec_lo
	s_waitcnt vmcnt(14) lgkmcnt(1)
	v_fma_f64 v[75:76], v[83:84], v[75:76], 0
	s_waitcnt vmcnt(12)
	v_fma_f64 v[75:76], v[85:86], v[77:78], v[75:76]
	s_waitcnt vmcnt(10) lgkmcnt(0)
	v_fma_f64 v[75:76], v[87:88], v[79:80], v[75:76]
	s_waitcnt vmcnt(8)
	v_fma_f64 v[79:80], v[89:90], v[81:82], v[75:76]
	ds_read2_b64 v[75:78], v74 offset0:69 offset1:70
	ds_read_b64 v[81:82], v74 offset:568
	s_waitcnt vmcnt(6) lgkmcnt(1)
	v_fma_f64 v[75:76], v[91:92], v[75:76], v[79:80]
	s_waitcnt vmcnt(4)
	v_fma_f64 v[75:76], v[93:94], v[77:78], v[75:76]
	s_waitcnt vmcnt(2) lgkmcnt(0)
	v_fma_f64 v[75:76], v[95:96], v[81:82], v[75:76]
	s_waitcnt vmcnt(0)
	v_add_f64 v[75:76], v[97:98], -v[75:76]
	buffer_store_dword v75, off, s[0:3], 0 offset:224
	buffer_store_dword v76, off, s[0:3], 0 offset:228
	v_cmpx_lt_u32_e32 27, v0
	s_cbranch_execz .LBB35_171
; %bb.170:
	s_clause 0x1
	buffer_load_dword v75, off, s[0:3], 0 offset:216
	buffer_load_dword v76, off, s[0:3], 0 offset:220
	buffer_store_dword v74, off, s[0:3], 0 offset:216
	buffer_store_dword v74, off, s[0:3], 0 offset:220
	s_waitcnt vmcnt(0)
	ds_write_b64 v73, v[75:76]
.LBB35_171:
	s_or_b32 exec_lo, exec_lo, s4
	s_waitcnt lgkmcnt(0)
	s_waitcnt_vscnt null, 0x0
	s_barrier
	buffer_gl0_inv
	s_clause 0x11
	buffer_load_dword v83, off, s[0:3], 0 offset:224
	buffer_load_dword v84, off, s[0:3], 0 offset:228
	buffer_load_dword v85, off, s[0:3], 0 offset:232
	buffer_load_dword v86, off, s[0:3], 0 offset:236
	buffer_load_dword v87, off, s[0:3], 0 offset:240
	buffer_load_dword v88, off, s[0:3], 0 offset:244
	buffer_load_dword v89, off, s[0:3], 0 offset:248
	buffer_load_dword v90, off, s[0:3], 0 offset:252
	buffer_load_dword v91, off, s[0:3], 0 offset:256
	buffer_load_dword v92, off, s[0:3], 0 offset:260
	buffer_load_dword v93, off, s[0:3], 0 offset:264
	buffer_load_dword v94, off, s[0:3], 0 offset:268
	buffer_load_dword v95, off, s[0:3], 0 offset:272
	buffer_load_dword v96, off, s[0:3], 0 offset:276
	buffer_load_dword v98, off, s[0:3], 0 offset:284
	buffer_load_dword v97, off, s[0:3], 0 offset:280
	buffer_load_dword v99, off, s[0:3], 0 offset:216
	buffer_load_dword v100, off, s[0:3], 0 offset:220
	ds_read_b128 v[75:78], v74 offset:512
	ds_read_b128 v[79:82], v74 offset:528
	s_mov_b32 s4, exec_lo
	s_waitcnt vmcnt(16) lgkmcnt(1)
	v_fma_f64 v[75:76], v[83:84], v[75:76], 0
	s_waitcnt vmcnt(14)
	v_fma_f64 v[75:76], v[85:86], v[77:78], v[75:76]
	s_waitcnt vmcnt(12) lgkmcnt(0)
	v_fma_f64 v[75:76], v[87:88], v[79:80], v[75:76]
	s_waitcnt vmcnt(10)
	v_fma_f64 v[83:84], v[89:90], v[81:82], v[75:76]
	ds_read_b128 v[75:78], v74 offset:544
	ds_read_b128 v[79:82], v74 offset:560
	s_waitcnt vmcnt(8) lgkmcnt(1)
	v_fma_f64 v[74:75], v[91:92], v[75:76], v[83:84]
	s_waitcnt vmcnt(6)
	v_fma_f64 v[74:75], v[93:94], v[77:78], v[74:75]
	s_waitcnt vmcnt(4) lgkmcnt(0)
	v_fma_f64 v[74:75], v[95:96], v[79:80], v[74:75]
	s_waitcnt vmcnt(2)
	v_fma_f64 v[74:75], v[97:98], v[81:82], v[74:75]
	s_waitcnt vmcnt(0)
	v_add_f64 v[74:75], v[99:100], -v[74:75]
	buffer_store_dword v74, off, s[0:3], 0 offset:216
	buffer_store_dword v75, off, s[0:3], 0 offset:220
	v_cmpx_lt_u32_e32 26, v0
	s_cbranch_execz .LBB35_173
; %bb.172:
	s_clause 0x1
	buffer_load_dword v74, off, s[0:3], 0 offset:208
	buffer_load_dword v75, off, s[0:3], 0 offset:212
	v_mov_b32_e32 v76, 0
	buffer_store_dword v76, off, s[0:3], 0 offset:208
	buffer_store_dword v76, off, s[0:3], 0 offset:212
	s_waitcnt vmcnt(0)
	ds_write_b64 v73, v[74:75]
.LBB35_173:
	s_or_b32 exec_lo, exec_lo, s4
	s_waitcnt lgkmcnt(0)
	s_waitcnt_vscnt null, 0x0
	s_barrier
	buffer_gl0_inv
	s_clause 0x13
	buffer_load_dword v83, off, s[0:3], 0 offset:216
	buffer_load_dword v84, off, s[0:3], 0 offset:220
	;; [unrolled: 1-line block ×20, first 2 shown]
	v_mov_b32_e32 v74, 0
	ds_read2_b64 v[75:78], v74 offset0:63 offset1:64
	ds_read2_b64 v[79:82], v74 offset0:65 offset1:66
	s_mov_b32 s4, exec_lo
	s_waitcnt vmcnt(18) lgkmcnt(1)
	v_fma_f64 v[75:76], v[83:84], v[75:76], 0
	s_waitcnt vmcnt(16)
	v_fma_f64 v[75:76], v[85:86], v[77:78], v[75:76]
	s_waitcnt vmcnt(14) lgkmcnt(0)
	v_fma_f64 v[75:76], v[87:88], v[79:80], v[75:76]
	s_waitcnt vmcnt(12)
	v_fma_f64 v[83:84], v[89:90], v[81:82], v[75:76]
	ds_read2_b64 v[75:78], v74 offset0:67 offset1:68
	ds_read2_b64 v[79:82], v74 offset0:69 offset1:70
	s_waitcnt vmcnt(10) lgkmcnt(1)
	v_fma_f64 v[75:76], v[91:92], v[75:76], v[83:84]
	s_waitcnt vmcnt(8)
	v_fma_f64 v[75:76], v[93:94], v[77:78], v[75:76]
	ds_read_b64 v[77:78], v74 offset:568
	s_waitcnt vmcnt(6) lgkmcnt(1)
	v_fma_f64 v[75:76], v[95:96], v[79:80], v[75:76]
	s_waitcnt vmcnt(3)
	v_fma_f64 v[75:76], v[97:98], v[81:82], v[75:76]
	s_waitcnt vmcnt(2) lgkmcnt(0)
	v_fma_f64 v[75:76], v[99:100], v[77:78], v[75:76]
	s_waitcnt vmcnt(0)
	v_add_f64 v[75:76], v[101:102], -v[75:76]
	buffer_store_dword v75, off, s[0:3], 0 offset:208
	buffer_store_dword v76, off, s[0:3], 0 offset:212
	v_cmpx_lt_u32_e32 25, v0
	s_cbranch_execz .LBB35_175
; %bb.174:
	s_clause 0x1
	buffer_load_dword v75, off, s[0:3], 0 offset:200
	buffer_load_dword v76, off, s[0:3], 0 offset:204
	buffer_store_dword v74, off, s[0:3], 0 offset:200
	buffer_store_dword v74, off, s[0:3], 0 offset:204
	s_waitcnt vmcnt(0)
	ds_write_b64 v73, v[75:76]
.LBB35_175:
	s_or_b32 exec_lo, exec_lo, s4
	s_waitcnt lgkmcnt(0)
	s_waitcnt_vscnt null, 0x0
	s_barrier
	buffer_gl0_inv
	s_clause 0x15
	buffer_load_dword v83, off, s[0:3], 0 offset:208
	buffer_load_dword v84, off, s[0:3], 0 offset:212
	;; [unrolled: 1-line block ×22, first 2 shown]
	ds_read_b128 v[75:78], v74 offset:496
	ds_read_b128 v[79:82], v74 offset:512
	s_mov_b32 s4, exec_lo
	s_waitcnt vmcnt(20) lgkmcnt(1)
	v_fma_f64 v[75:76], v[83:84], v[75:76], 0
	s_waitcnt vmcnt(18)
	v_fma_f64 v[75:76], v[85:86], v[77:78], v[75:76]
	s_waitcnt vmcnt(16) lgkmcnt(0)
	v_fma_f64 v[75:76], v[87:88], v[79:80], v[75:76]
	s_waitcnt vmcnt(14)
	v_fma_f64 v[83:84], v[89:90], v[81:82], v[75:76]
	ds_read_b128 v[75:78], v74 offset:528
	ds_read_b128 v[79:82], v74 offset:544
	s_waitcnt vmcnt(12) lgkmcnt(1)
	v_fma_f64 v[75:76], v[91:92], v[75:76], v[83:84]
	s_waitcnt vmcnt(10)
	v_fma_f64 v[75:76], v[93:94], v[77:78], v[75:76]
	s_waitcnt vmcnt(8) lgkmcnt(0)
	v_fma_f64 v[75:76], v[95:96], v[79:80], v[75:76]
	s_waitcnt vmcnt(4)
	v_fma_f64 v[78:79], v[97:98], v[81:82], v[75:76]
	ds_read_b128 v[74:77], v74 offset:560
	s_waitcnt vmcnt(3) lgkmcnt(0)
	v_fma_f64 v[74:75], v[101:102], v[74:75], v[78:79]
	s_waitcnt vmcnt(2)
	v_fma_f64 v[74:75], v[99:100], v[76:77], v[74:75]
	s_waitcnt vmcnt(0)
	v_add_f64 v[74:75], v[103:104], -v[74:75]
	buffer_store_dword v74, off, s[0:3], 0 offset:200
	buffer_store_dword v75, off, s[0:3], 0 offset:204
	v_cmpx_lt_u32_e32 24, v0
	s_cbranch_execz .LBB35_177
; %bb.176:
	s_clause 0x1
	buffer_load_dword v74, off, s[0:3], 0 offset:192
	buffer_load_dword v75, off, s[0:3], 0 offset:196
	v_mov_b32_e32 v76, 0
	buffer_store_dword v76, off, s[0:3], 0 offset:192
	buffer_store_dword v76, off, s[0:3], 0 offset:196
	s_waitcnt vmcnt(0)
	ds_write_b64 v73, v[74:75]
.LBB35_177:
	s_or_b32 exec_lo, exec_lo, s4
	s_waitcnt lgkmcnt(0)
	s_waitcnt_vscnt null, 0x0
	s_barrier
	buffer_gl0_inv
	s_clause 0x17
	buffer_load_dword v83, off, s[0:3], 0 offset:200
	buffer_load_dword v84, off, s[0:3], 0 offset:204
	;; [unrolled: 1-line block ×24, first 2 shown]
	v_mov_b32_e32 v74, 0
	ds_read2_b64 v[75:78], v74 offset0:61 offset1:62
	ds_read2_b64 v[79:82], v74 offset0:63 offset1:64
	s_mov_b32 s4, exec_lo
	s_waitcnt vmcnt(22) lgkmcnt(1)
	v_fma_f64 v[75:76], v[83:84], v[75:76], 0
	s_waitcnt vmcnt(20)
	v_fma_f64 v[75:76], v[85:86], v[77:78], v[75:76]
	s_waitcnt vmcnt(18) lgkmcnt(0)
	v_fma_f64 v[75:76], v[87:88], v[79:80], v[75:76]
	s_waitcnt vmcnt(16)
	v_fma_f64 v[83:84], v[89:90], v[81:82], v[75:76]
	ds_read2_b64 v[75:78], v74 offset0:65 offset1:66
	ds_read2_b64 v[79:82], v74 offset0:67 offset1:68
	s_waitcnt vmcnt(14) lgkmcnt(1)
	v_fma_f64 v[75:76], v[91:92], v[75:76], v[83:84]
	s_waitcnt vmcnt(12)
	v_fma_f64 v[75:76], v[93:94], v[77:78], v[75:76]
	s_waitcnt vmcnt(10) lgkmcnt(0)
	v_fma_f64 v[75:76], v[95:96], v[79:80], v[75:76]
	s_waitcnt vmcnt(5)
	v_fma_f64 v[79:80], v[97:98], v[81:82], v[75:76]
	ds_read2_b64 v[75:78], v74 offset0:69 offset1:70
	ds_read_b64 v[81:82], v74 offset:568
	s_waitcnt vmcnt(4) lgkmcnt(1)
	v_fma_f64 v[75:76], v[103:104], v[75:76], v[79:80]
	s_waitcnt vmcnt(3)
	v_fma_f64 v[75:76], v[101:102], v[77:78], v[75:76]
	s_waitcnt vmcnt(2) lgkmcnt(0)
	v_fma_f64 v[75:76], v[99:100], v[81:82], v[75:76]
	s_waitcnt vmcnt(0)
	v_add_f64 v[75:76], v[105:106], -v[75:76]
	buffer_store_dword v76, off, s[0:3], 0 offset:196
	buffer_store_dword v75, off, s[0:3], 0 offset:192
	v_cmpx_lt_u32_e32 23, v0
	s_cbranch_execz .LBB35_179
; %bb.178:
	s_clause 0x1
	buffer_load_dword v75, off, s[0:3], 0 offset:184
	buffer_load_dword v76, off, s[0:3], 0 offset:188
	buffer_store_dword v74, off, s[0:3], 0 offset:184
	buffer_store_dword v74, off, s[0:3], 0 offset:188
	s_waitcnt vmcnt(0)
	ds_write_b64 v73, v[75:76]
.LBB35_179:
	s_or_b32 exec_lo, exec_lo, s4
	s_waitcnt lgkmcnt(0)
	s_waitcnt_vscnt null, 0x0
	s_barrier
	buffer_gl0_inv
	s_clause 0x19
	buffer_load_dword v83, off, s[0:3], 0 offset:192
	buffer_load_dword v84, off, s[0:3], 0 offset:196
	buffer_load_dword v85, off, s[0:3], 0 offset:200
	buffer_load_dword v86, off, s[0:3], 0 offset:204
	buffer_load_dword v87, off, s[0:3], 0 offset:208
	buffer_load_dword v88, off, s[0:3], 0 offset:212
	buffer_load_dword v89, off, s[0:3], 0 offset:216
	buffer_load_dword v90, off, s[0:3], 0 offset:220
	buffer_load_dword v91, off, s[0:3], 0 offset:224
	buffer_load_dword v92, off, s[0:3], 0 offset:228
	buffer_load_dword v93, off, s[0:3], 0 offset:232
	buffer_load_dword v94, off, s[0:3], 0 offset:236
	buffer_load_dword v95, off, s[0:3], 0 offset:240
	buffer_load_dword v96, off, s[0:3], 0 offset:244
	buffer_load_dword v98, off, s[0:3], 0 offset:252
	buffer_load_dword v99, off, s[0:3], 0 offset:272
	buffer_load_dword v101, off, s[0:3], 0 offset:264
	buffer_load_dword v103, off, s[0:3], 0 offset:256
	buffer_load_dword v97, off, s[0:3], 0 offset:248
	buffer_load_dword v104, off, s[0:3], 0 offset:260
	buffer_load_dword v102, off, s[0:3], 0 offset:268
	buffer_load_dword v100, off, s[0:3], 0 offset:276
	buffer_load_dword v106, off, s[0:3], 0 offset:284
	buffer_load_dword v105, off, s[0:3], 0 offset:280
	buffer_load_dword v107, off, s[0:3], 0 offset:184
	buffer_load_dword v108, off, s[0:3], 0 offset:188
	ds_read_b128 v[75:78], v74 offset:480
	ds_read_b128 v[79:82], v74 offset:496
	s_mov_b32 s4, exec_lo
	s_waitcnt vmcnt(24) lgkmcnt(1)
	v_fma_f64 v[75:76], v[83:84], v[75:76], 0
	s_waitcnt vmcnt(22)
	v_fma_f64 v[75:76], v[85:86], v[77:78], v[75:76]
	s_waitcnt vmcnt(20) lgkmcnt(0)
	v_fma_f64 v[75:76], v[87:88], v[79:80], v[75:76]
	s_waitcnt vmcnt(18)
	v_fma_f64 v[83:84], v[89:90], v[81:82], v[75:76]
	ds_read_b128 v[75:78], v74 offset:512
	ds_read_b128 v[79:82], v74 offset:528
	s_waitcnt vmcnt(16) lgkmcnt(1)
	v_fma_f64 v[75:76], v[91:92], v[75:76], v[83:84]
	s_waitcnt vmcnt(14)
	v_fma_f64 v[75:76], v[93:94], v[77:78], v[75:76]
	s_waitcnt vmcnt(12) lgkmcnt(0)
	v_fma_f64 v[75:76], v[95:96], v[79:80], v[75:76]
	s_waitcnt vmcnt(7)
	v_fma_f64 v[83:84], v[97:98], v[81:82], v[75:76]
	ds_read_b128 v[75:78], v74 offset:544
	ds_read_b128 v[79:82], v74 offset:560
	s_waitcnt vmcnt(6) lgkmcnt(1)
	v_fma_f64 v[74:75], v[103:104], v[75:76], v[83:84]
	s_waitcnt vmcnt(5)
	v_fma_f64 v[74:75], v[101:102], v[77:78], v[74:75]
	s_waitcnt vmcnt(4) lgkmcnt(0)
	v_fma_f64 v[74:75], v[99:100], v[79:80], v[74:75]
	s_waitcnt vmcnt(2)
	v_fma_f64 v[74:75], v[105:106], v[81:82], v[74:75]
	s_waitcnt vmcnt(0)
	v_add_f64 v[74:75], v[107:108], -v[74:75]
	buffer_store_dword v75, off, s[0:3], 0 offset:188
	buffer_store_dword v74, off, s[0:3], 0 offset:184
	v_cmpx_lt_u32_e32 22, v0
	s_cbranch_execz .LBB35_181
; %bb.180:
	s_clause 0x1
	buffer_load_dword v74, off, s[0:3], 0 offset:176
	buffer_load_dword v75, off, s[0:3], 0 offset:180
	v_mov_b32_e32 v76, 0
	buffer_store_dword v76, off, s[0:3], 0 offset:176
	buffer_store_dword v76, off, s[0:3], 0 offset:180
	s_waitcnt vmcnt(0)
	ds_write_b64 v73, v[74:75]
.LBB35_181:
	s_or_b32 exec_lo, exec_lo, s4
	s_waitcnt lgkmcnt(0)
	s_waitcnt_vscnt null, 0x0
	s_barrier
	buffer_gl0_inv
	s_clause 0x1b
	buffer_load_dword v79, off, s[0:3], 0 offset:184
	buffer_load_dword v80, off, s[0:3], 0 offset:188
	;; [unrolled: 1-line block ×28, first 2 shown]
	v_mov_b32_e32 v74, 0
	s_mov_b32 s4, exec_lo
	ds_read2_b64 v[75:78], v74 offset0:59 offset1:60
	s_waitcnt vmcnt(26) lgkmcnt(0)
	v_fma_f64 v[75:76], v[79:80], v[75:76], 0
	s_waitcnt vmcnt(24)
	v_fma_f64 v[79:80], v[81:82], v[77:78], v[75:76]
	ds_read2_b64 v[75:78], v74 offset0:61 offset1:62
	s_waitcnt vmcnt(22) lgkmcnt(0)
	v_fma_f64 v[75:76], v[83:84], v[75:76], v[79:80]
	s_waitcnt vmcnt(20)
	v_fma_f64 v[79:80], v[85:86], v[77:78], v[75:76]
	ds_read2_b64 v[75:78], v74 offset0:63 offset1:64
	s_waitcnt vmcnt(18) lgkmcnt(0)
	v_fma_f64 v[75:76], v[87:88], v[75:76], v[79:80]
	s_waitcnt vmcnt(16)
	v_fma_f64 v[79:80], v[89:90], v[77:78], v[75:76]
	ds_read2_b64 v[75:78], v74 offset0:65 offset1:66
	s_waitcnt vmcnt(14) lgkmcnt(0)
	v_fma_f64 v[75:76], v[91:92], v[75:76], v[79:80]
	s_waitcnt vmcnt(12)
	v_fma_f64 v[79:80], v[93:94], v[77:78], v[75:76]
	ds_read2_b64 v[75:78], v74 offset0:67 offset1:68
	s_waitcnt vmcnt(10) lgkmcnt(0)
	v_fma_f64 v[75:76], v[95:96], v[75:76], v[79:80]
	s_waitcnt vmcnt(8)
	v_fma_f64 v[79:80], v[97:98], v[77:78], v[75:76]
	ds_read2_b64 v[75:78], v74 offset0:69 offset1:70
	s_waitcnt vmcnt(6) lgkmcnt(0)
	v_fma_f64 v[75:76], v[99:100], v[75:76], v[79:80]
	s_waitcnt vmcnt(4)
	v_fma_f64 v[75:76], v[101:102], v[77:78], v[75:76]
	ds_read_b64 v[77:78], v74 offset:568
	s_waitcnt vmcnt(2) lgkmcnt(0)
	v_fma_f64 v[75:76], v[103:104], v[77:78], v[75:76]
	s_waitcnt vmcnt(0)
	v_add_f64 v[75:76], v[105:106], -v[75:76]
	buffer_store_dword v76, off, s[0:3], 0 offset:180
	buffer_store_dword v75, off, s[0:3], 0 offset:176
	v_cmpx_lt_u32_e32 21, v0
	s_cbranch_execz .LBB35_183
; %bb.182:
	s_clause 0x1
	buffer_load_dword v75, off, s[0:3], 0 offset:168
	buffer_load_dword v76, off, s[0:3], 0 offset:172
	buffer_store_dword v74, off, s[0:3], 0 offset:168
	buffer_store_dword v74, off, s[0:3], 0 offset:172
	s_waitcnt vmcnt(0)
	ds_write_b64 v73, v[75:76]
.LBB35_183:
	s_or_b32 exec_lo, exec_lo, s4
	s_waitcnt lgkmcnt(0)
	s_waitcnt_vscnt null, 0x0
	s_barrier
	buffer_gl0_inv
	s_clause 0x1b
	buffer_load_dword v79, off, s[0:3], 0 offset:176
	buffer_load_dword v80, off, s[0:3], 0 offset:180
	;; [unrolled: 1-line block ×28, first 2 shown]
	ds_read_b128 v[75:78], v74 offset:464
	s_clause 0x1
	buffer_load_dword v107, off, s[0:3], 0 offset:168
	buffer_load_dword v108, off, s[0:3], 0 offset:172
	s_mov_b32 s4, exec_lo
	s_waitcnt vmcnt(28) lgkmcnt(0)
	v_fma_f64 v[75:76], v[79:80], v[75:76], 0
	s_waitcnt vmcnt(26)
	v_fma_f64 v[79:80], v[81:82], v[77:78], v[75:76]
	ds_read_b128 v[75:78], v74 offset:480
	s_waitcnt vmcnt(24) lgkmcnt(0)
	v_fma_f64 v[75:76], v[83:84], v[75:76], v[79:80]
	s_waitcnt vmcnt(22)
	v_fma_f64 v[79:80], v[85:86], v[77:78], v[75:76]
	ds_read_b128 v[75:78], v74 offset:496
	;; [unrolled: 5-line block ×6, first 2 shown]
	s_waitcnt vmcnt(4) lgkmcnt(0)
	v_fma_f64 v[74:75], v[103:104], v[74:75], v[78:79]
	s_waitcnt vmcnt(2)
	v_fma_f64 v[74:75], v[105:106], v[76:77], v[74:75]
	s_waitcnt vmcnt(0)
	v_add_f64 v[74:75], v[107:108], -v[74:75]
	buffer_store_dword v75, off, s[0:3], 0 offset:172
	buffer_store_dword v74, off, s[0:3], 0 offset:168
	v_cmpx_lt_u32_e32 20, v0
	s_cbranch_execz .LBB35_185
; %bb.184:
	s_clause 0x1
	buffer_load_dword v74, off, s[0:3], 0 offset:160
	buffer_load_dword v75, off, s[0:3], 0 offset:164
	v_mov_b32_e32 v76, 0
	buffer_store_dword v76, off, s[0:3], 0 offset:160
	buffer_store_dword v76, off, s[0:3], 0 offset:164
	s_waitcnt vmcnt(0)
	ds_write_b64 v73, v[74:75]
.LBB35_185:
	s_or_b32 exec_lo, exec_lo, s4
	s_waitcnt lgkmcnt(0)
	s_waitcnt_vscnt null, 0x0
	s_barrier
	buffer_gl0_inv
	s_clause 0x1b
	buffer_load_dword v79, off, s[0:3], 0 offset:168
	buffer_load_dword v80, off, s[0:3], 0 offset:172
	;; [unrolled: 1-line block ×28, first 2 shown]
	v_mov_b32_e32 v74, 0
	s_mov_b32 s4, exec_lo
	ds_read2_b64 v[75:78], v74 offset0:57 offset1:58
	s_clause 0x1
	buffer_load_dword v107, off, s[0:3], 0 offset:280
	buffer_load_dword v108, off, s[0:3], 0 offset:284
	s_waitcnt vmcnt(28) lgkmcnt(0)
	v_fma_f64 v[75:76], v[79:80], v[75:76], 0
	s_clause 0x1
	buffer_load_dword v79, off, s[0:3], 0 offset:160
	buffer_load_dword v80, off, s[0:3], 0 offset:164
	s_waitcnt vmcnt(28)
	v_fma_f64 v[81:82], v[81:82], v[77:78], v[75:76]
	ds_read2_b64 v[75:78], v74 offset0:59 offset1:60
	s_waitcnt vmcnt(26) lgkmcnt(0)
	v_fma_f64 v[75:76], v[83:84], v[75:76], v[81:82]
	s_waitcnt vmcnt(24)
	v_fma_f64 v[81:82], v[85:86], v[77:78], v[75:76]
	ds_read2_b64 v[75:78], v74 offset0:61 offset1:62
	s_waitcnt vmcnt(22) lgkmcnt(0)
	v_fma_f64 v[75:76], v[87:88], v[75:76], v[81:82]
	;; [unrolled: 5-line block ×6, first 2 shown]
	s_waitcnt vmcnt(4)
	v_fma_f64 v[75:76], v[105:106], v[77:78], v[75:76]
	ds_read_b64 v[77:78], v74 offset:568
	s_waitcnt vmcnt(2) lgkmcnt(0)
	v_fma_f64 v[75:76], v[107:108], v[77:78], v[75:76]
	s_waitcnt vmcnt(0)
	v_add_f64 v[75:76], v[79:80], -v[75:76]
	buffer_store_dword v76, off, s[0:3], 0 offset:164
	buffer_store_dword v75, off, s[0:3], 0 offset:160
	v_cmpx_lt_u32_e32 19, v0
	s_cbranch_execz .LBB35_187
; %bb.186:
	s_clause 0x1
	buffer_load_dword v75, off, s[0:3], 0 offset:152
	buffer_load_dword v76, off, s[0:3], 0 offset:156
	buffer_store_dword v74, off, s[0:3], 0 offset:152
	buffer_store_dword v74, off, s[0:3], 0 offset:156
	s_waitcnt vmcnt(0)
	ds_write_b64 v73, v[75:76]
.LBB35_187:
	s_or_b32 exec_lo, exec_lo, s4
	s_waitcnt lgkmcnt(0)
	s_waitcnt_vscnt null, 0x0
	s_barrier
	buffer_gl0_inv
	s_clause 0x1b
	buffer_load_dword v79, off, s[0:3], 0 offset:160
	buffer_load_dword v80, off, s[0:3], 0 offset:164
	;; [unrolled: 1-line block ×28, first 2 shown]
	ds_read_b128 v[75:78], v74 offset:448
	s_clause 0x1
	buffer_load_dword v107, off, s[0:3], 0 offset:272
	buffer_load_dword v108, off, s[0:3], 0 offset:276
	s_mov_b32 s4, exec_lo
	s_waitcnt vmcnt(28) lgkmcnt(0)
	v_fma_f64 v[75:76], v[79:80], v[75:76], 0
	s_clause 0x1
	buffer_load_dword v80, off, s[0:3], 0 offset:284
	buffer_load_dword v79, off, s[0:3], 0 offset:280
	s_waitcnt vmcnt(28)
	v_fma_f64 v[81:82], v[81:82], v[77:78], v[75:76]
	ds_read_b128 v[75:78], v74 offset:464
	s_clause 0x1
	buffer_load_dword v109, off, s[0:3], 0 offset:152
	buffer_load_dword v110, off, s[0:3], 0 offset:156
	s_waitcnt vmcnt(28) lgkmcnt(0)
	v_fma_f64 v[75:76], v[83:84], v[75:76], v[81:82]
	s_waitcnt vmcnt(26)
	v_fma_f64 v[81:82], v[85:86], v[77:78], v[75:76]
	ds_read_b128 v[75:78], v74 offset:480
	s_waitcnt vmcnt(24) lgkmcnt(0)
	v_fma_f64 v[75:76], v[87:88], v[75:76], v[81:82]
	s_waitcnt vmcnt(22)
	v_fma_f64 v[81:82], v[89:90], v[77:78], v[75:76]
	ds_read_b128 v[75:78], v74 offset:496
	;; [unrolled: 5-line block ×6, first 2 shown]
	s_waitcnt vmcnt(4) lgkmcnt(0)
	v_fma_f64 v[74:75], v[107:108], v[74:75], v[81:82]
	s_waitcnt vmcnt(2)
	v_fma_f64 v[74:75], v[79:80], v[76:77], v[74:75]
	s_waitcnt vmcnt(0)
	v_add_f64 v[74:75], v[109:110], -v[74:75]
	buffer_store_dword v75, off, s[0:3], 0 offset:156
	buffer_store_dword v74, off, s[0:3], 0 offset:152
	v_cmpx_lt_u32_e32 18, v0
	s_cbranch_execz .LBB35_189
; %bb.188:
	s_clause 0x1
	buffer_load_dword v74, off, s[0:3], 0 offset:144
	buffer_load_dword v75, off, s[0:3], 0 offset:148
	v_mov_b32_e32 v76, 0
	buffer_store_dword v76, off, s[0:3], 0 offset:144
	buffer_store_dword v76, off, s[0:3], 0 offset:148
	s_waitcnt vmcnt(0)
	ds_write_b64 v73, v[74:75]
.LBB35_189:
	s_or_b32 exec_lo, exec_lo, s4
	s_waitcnt lgkmcnt(0)
	s_waitcnt_vscnt null, 0x0
	s_barrier
	buffer_gl0_inv
	s_clause 0x1c
	buffer_load_dword v83, off, s[0:3], 0 offset:152
	buffer_load_dword v84, off, s[0:3], 0 offset:156
	;; [unrolled: 1-line block ×29, first 2 shown]
	v_mov_b32_e32 v74, 0
	buffer_load_dword v108, off, s[0:3], 0 offset:268
	s_mov_b32 s4, exec_lo
	ds_read2_b64 v[75:78], v74 offset0:55 offset1:56
	ds_read2_b64 v[79:82], v74 offset0:57 offset1:58
	s_waitcnt vmcnt(28) lgkmcnt(1)
	v_fma_f64 v[75:76], v[83:84], v[75:76], 0
	s_clause 0x3
	buffer_load_dword v84, off, s[0:3], 0 offset:276
	buffer_load_dword v113, off, s[0:3], 0 offset:280
	;; [unrolled: 1-line block ×4, first 2 shown]
	s_waitcnt vmcnt(30)
	v_fma_f64 v[75:76], v[85:86], v[77:78], v[75:76]
	s_clause 0x1
	buffer_load_dword v85, off, s[0:3], 0 offset:144
	buffer_load_dword v86, off, s[0:3], 0 offset:148
	s_waitcnt vmcnt(30) lgkmcnt(0)
	v_fma_f64 v[75:76], v[87:88], v[79:80], v[75:76]
	s_waitcnt vmcnt(28)
	v_fma_f64 v[87:88], v[89:90], v[81:82], v[75:76]
	ds_read2_b64 v[75:78], v74 offset0:59 offset1:60
	ds_read2_b64 v[79:82], v74 offset0:61 offset1:62
	s_waitcnt vmcnt(26) lgkmcnt(1)
	v_fma_f64 v[75:76], v[91:92], v[75:76], v[87:88]
	s_waitcnt vmcnt(24)
	v_fma_f64 v[75:76], v[93:94], v[77:78], v[75:76]
	s_waitcnt vmcnt(22) lgkmcnt(0)
	v_fma_f64 v[75:76], v[95:96], v[79:80], v[75:76]
	s_waitcnt vmcnt(17)
	v_fma_f64 v[87:88], v[97:98], v[81:82], v[75:76]
	ds_read2_b64 v[75:78], v74 offset0:63 offset1:64
	ds_read2_b64 v[79:82], v74 offset0:65 offset1:66
	s_waitcnt vmcnt(16) lgkmcnt(1)
	v_fma_f64 v[75:76], v[103:104], v[75:76], v[87:88]
	s_waitcnt vmcnt(15)
	v_fma_f64 v[75:76], v[101:102], v[77:78], v[75:76]
	;; [unrolled: 10-line block ×3, first 2 shown]
	ds_read_b64 v[77:78], v74 offset:568
	s_waitcnt vmcnt(6) lgkmcnt(1)
	v_fma_f64 v[75:76], v[107:108], v[79:80], v[75:76]
	s_waitcnt vmcnt(3)
	v_fma_f64 v[75:76], v[83:84], v[81:82], v[75:76]
	s_waitcnt vmcnt(2) lgkmcnt(0)
	v_fma_f64 v[75:76], v[113:114], v[77:78], v[75:76]
	s_waitcnt vmcnt(0)
	v_add_f64 v[75:76], v[85:86], -v[75:76]
	buffer_store_dword v76, off, s[0:3], 0 offset:148
	buffer_store_dword v75, off, s[0:3], 0 offset:144
	v_cmpx_lt_u32_e32 17, v0
	s_cbranch_execz .LBB35_191
; %bb.190:
	s_clause 0x1
	buffer_load_dword v75, off, s[0:3], 0 offset:136
	buffer_load_dword v76, off, s[0:3], 0 offset:140
	buffer_store_dword v74, off, s[0:3], 0 offset:136
	buffer_store_dword v74, off, s[0:3], 0 offset:140
	s_waitcnt vmcnt(0)
	ds_write_b64 v73, v[75:76]
.LBB35_191:
	s_or_b32 exec_lo, exec_lo, s4
	s_waitcnt lgkmcnt(0)
	s_waitcnt_vscnt null, 0x0
	s_barrier
	buffer_gl0_inv
	s_clause 0x1c
	buffer_load_dword v83, off, s[0:3], 0 offset:144
	buffer_load_dword v84, off, s[0:3], 0 offset:148
	;; [unrolled: 1-line block ×29, first 2 shown]
	ds_read_b128 v[75:78], v74 offset:432
	ds_read_b128 v[79:82], v74 offset:448
	buffer_load_dword v108, off, s[0:3], 0 offset:260
	s_mov_b32 s4, exec_lo
	s_waitcnt vmcnt(28) lgkmcnt(1)
	v_fma_f64 v[75:76], v[83:84], v[75:76], 0
	s_clause 0x5
	buffer_load_dword v84, off, s[0:3], 0 offset:268
	buffer_load_dword v113, off, s[0:3], 0 offset:280
	;; [unrolled: 1-line block ×6, first 2 shown]
	s_waitcnt vmcnt(32)
	v_fma_f64 v[75:76], v[85:86], v[77:78], v[75:76]
	s_waitcnt vmcnt(30) lgkmcnt(0)
	v_fma_f64 v[75:76], v[87:88], v[79:80], v[75:76]
	s_waitcnt vmcnt(28)
	v_fma_f64 v[85:86], v[89:90], v[81:82], v[75:76]
	ds_read_b128 v[75:78], v74 offset:464
	s_clause 0x1
	buffer_load_dword v87, off, s[0:3], 0 offset:136
	buffer_load_dword v88, off, s[0:3], 0 offset:140
	ds_read_b128 v[79:82], v74 offset:480
	s_waitcnt vmcnt(28) lgkmcnt(1)
	v_fma_f64 v[75:76], v[91:92], v[75:76], v[85:86]
	s_waitcnt vmcnt(26)
	v_fma_f64 v[75:76], v[93:94], v[77:78], v[75:76]
	s_waitcnt vmcnt(24) lgkmcnt(0)
	v_fma_f64 v[75:76], v[95:96], v[79:80], v[75:76]
	s_waitcnt vmcnt(19)
	v_fma_f64 v[85:86], v[97:98], v[81:82], v[75:76]
	ds_read_b128 v[75:78], v74 offset:496
	ds_read_b128 v[79:82], v74 offset:512
	s_waitcnt vmcnt(18) lgkmcnt(1)
	v_fma_f64 v[75:76], v[103:104], v[75:76], v[85:86]
	s_waitcnt vmcnt(17)
	v_fma_f64 v[75:76], v[101:102], v[77:78], v[75:76]
	s_waitcnt vmcnt(16) lgkmcnt(0)
	v_fma_f64 v[75:76], v[99:100], v[79:80], v[75:76]
	s_waitcnt vmcnt(11)
	v_fma_f64 v[85:86], v[105:106], v[81:82], v[75:76]
	ds_read_b128 v[75:78], v74 offset:528
	;; [unrolled: 10-line block ×3, first 2 shown]
	s_waitcnt vmcnt(3) lgkmcnt(0)
	v_fma_f64 v[74:75], v[115:116], v[74:75], v[78:79]
	s_waitcnt vmcnt(2)
	v_fma_f64 v[74:75], v[113:114], v[76:77], v[74:75]
	s_waitcnt vmcnt(0)
	v_add_f64 v[74:75], v[87:88], -v[74:75]
	buffer_store_dword v75, off, s[0:3], 0 offset:140
	buffer_store_dword v74, off, s[0:3], 0 offset:136
	v_cmpx_lt_u32_e32 16, v0
	s_cbranch_execz .LBB35_193
; %bb.192:
	s_clause 0x1
	buffer_load_dword v74, off, s[0:3], 0 offset:128
	buffer_load_dword v75, off, s[0:3], 0 offset:132
	v_mov_b32_e32 v76, 0
	buffer_store_dword v76, off, s[0:3], 0 offset:128
	buffer_store_dword v76, off, s[0:3], 0 offset:132
	s_waitcnt vmcnt(0)
	ds_write_b64 v73, v[74:75]
.LBB35_193:
	s_or_b32 exec_lo, exec_lo, s4
	s_waitcnt lgkmcnt(0)
	s_waitcnt_vscnt null, 0x0
	s_barrier
	buffer_gl0_inv
	s_clause 0x1c
	buffer_load_dword v83, off, s[0:3], 0 offset:136
	buffer_load_dword v84, off, s[0:3], 0 offset:140
	;; [unrolled: 1-line block ×29, first 2 shown]
	v_mov_b32_e32 v74, 0
	buffer_load_dword v108, off, s[0:3], 0 offset:252
	s_mov_b32 s4, exec_lo
	ds_read2_b64 v[75:78], v74 offset0:53 offset1:54
	ds_read2_b64 v[79:82], v74 offset0:55 offset1:56
	s_waitcnt vmcnt(28) lgkmcnt(1)
	v_fma_f64 v[75:76], v[83:84], v[75:76], 0
	s_clause 0x7
	buffer_load_dword v84, off, s[0:3], 0 offset:260
	buffer_load_dword v113, off, s[0:3], 0 offset:280
	;; [unrolled: 1-line block ×8, first 2 shown]
	s_waitcnt vmcnt(34)
	v_fma_f64 v[75:76], v[85:86], v[77:78], v[75:76]
	s_waitcnt vmcnt(32) lgkmcnt(0)
	v_fma_f64 v[75:76], v[87:88], v[79:80], v[75:76]
	s_waitcnt vmcnt(30)
	v_fma_f64 v[85:86], v[89:90], v[81:82], v[75:76]
	ds_read2_b64 v[75:78], v74 offset0:57 offset1:58
	ds_read2_b64 v[79:82], v74 offset0:59 offset1:60
	s_waitcnt vmcnt(28) lgkmcnt(1)
	v_fma_f64 v[75:76], v[91:92], v[75:76], v[85:86]
	s_clause 0x1
	buffer_load_dword v85, off, s[0:3], 0 offset:128
	buffer_load_dword v86, off, s[0:3], 0 offset:132
	s_waitcnt vmcnt(28)
	v_fma_f64 v[75:76], v[93:94], v[77:78], v[75:76]
	s_waitcnt vmcnt(26) lgkmcnt(0)
	v_fma_f64 v[75:76], v[95:96], v[79:80], v[75:76]
	s_waitcnt vmcnt(21)
	v_fma_f64 v[87:88], v[97:98], v[81:82], v[75:76]
	ds_read2_b64 v[75:78], v74 offset0:61 offset1:62
	ds_read2_b64 v[79:82], v74 offset0:63 offset1:64
	s_waitcnt vmcnt(20) lgkmcnt(1)
	v_fma_f64 v[75:76], v[103:104], v[75:76], v[87:88]
	s_waitcnt vmcnt(19)
	v_fma_f64 v[75:76], v[101:102], v[77:78], v[75:76]
	s_waitcnt vmcnt(18) lgkmcnt(0)
	v_fma_f64 v[75:76], v[99:100], v[79:80], v[75:76]
	s_waitcnt vmcnt(13)
	v_fma_f64 v[87:88], v[105:106], v[81:82], v[75:76]
	ds_read2_b64 v[75:78], v74 offset0:65 offset1:66
	ds_read2_b64 v[79:82], v74 offset0:67 offset1:68
	s_waitcnt vmcnt(12) lgkmcnt(1)
	v_fma_f64 v[75:76], v[111:112], v[75:76], v[87:88]
	s_waitcnt vmcnt(11)
	v_fma_f64 v[75:76], v[109:110], v[77:78], v[75:76]
	s_waitcnt vmcnt(10) lgkmcnt(0)
	v_fma_f64 v[75:76], v[107:108], v[79:80], v[75:76]
	s_waitcnt vmcnt(5)
	v_fma_f64 v[79:80], v[83:84], v[81:82], v[75:76]
	ds_read2_b64 v[75:78], v74 offset0:69 offset1:70
	ds_read_b64 v[81:82], v74 offset:568
	s_waitcnt vmcnt(4) lgkmcnt(1)
	v_fma_f64 v[75:76], v[117:118], v[75:76], v[79:80]
	s_waitcnt vmcnt(3)
	v_fma_f64 v[75:76], v[115:116], v[77:78], v[75:76]
	s_waitcnt vmcnt(2) lgkmcnt(0)
	v_fma_f64 v[75:76], v[113:114], v[81:82], v[75:76]
	s_waitcnt vmcnt(0)
	v_add_f64 v[75:76], v[85:86], -v[75:76]
	buffer_store_dword v76, off, s[0:3], 0 offset:132
	buffer_store_dword v75, off, s[0:3], 0 offset:128
	v_cmpx_lt_u32_e32 15, v0
	s_cbranch_execz .LBB35_195
; %bb.194:
	s_clause 0x1
	buffer_load_dword v75, off, s[0:3], 0 offset:120
	buffer_load_dword v76, off, s[0:3], 0 offset:124
	buffer_store_dword v74, off, s[0:3], 0 offset:120
	buffer_store_dword v74, off, s[0:3], 0 offset:124
	s_waitcnt vmcnt(0)
	ds_write_b64 v73, v[75:76]
.LBB35_195:
	s_or_b32 exec_lo, exec_lo, s4
	s_waitcnt lgkmcnt(0)
	s_waitcnt_vscnt null, 0x0
	s_barrier
	buffer_gl0_inv
	s_clause 0x1c
	buffer_load_dword v83, off, s[0:3], 0 offset:128
	buffer_load_dword v84, off, s[0:3], 0 offset:132
	;; [unrolled: 1-line block ×29, first 2 shown]
	ds_read_b128 v[75:78], v74 offset:416
	ds_read_b128 v[79:82], v74 offset:432
	buffer_load_dword v108, off, s[0:3], 0 offset:244
	s_mov_b32 s4, exec_lo
	s_waitcnt vmcnt(28) lgkmcnt(1)
	v_fma_f64 v[75:76], v[83:84], v[75:76], 0
	s_clause 0x7
	buffer_load_dword v84, off, s[0:3], 0 offset:252
	buffer_load_dword v113, off, s[0:3], 0 offset:272
	;; [unrolled: 1-line block ×8, first 2 shown]
	s_waitcnt vmcnt(34)
	v_fma_f64 v[75:76], v[85:86], v[77:78], v[75:76]
	s_waitcnt vmcnt(32) lgkmcnt(0)
	v_fma_f64 v[75:76], v[87:88], v[79:80], v[75:76]
	s_waitcnt vmcnt(30)
	v_fma_f64 v[85:86], v[89:90], v[81:82], v[75:76]
	ds_read_b128 v[75:78], v74 offset:448
	ds_read_b128 v[79:82], v74 offset:464
	s_waitcnt vmcnt(28) lgkmcnt(1)
	v_fma_f64 v[75:76], v[91:92], v[75:76], v[85:86]
	s_clause 0x3
	buffer_load_dword v86, off, s[0:3], 0 offset:284
	buffer_load_dword v85, off, s[0:3], 0 offset:280
	;; [unrolled: 1-line block ×4, first 2 shown]
	s_waitcnt vmcnt(30)
	v_fma_f64 v[75:76], v[93:94], v[77:78], v[75:76]
	s_waitcnt vmcnt(28) lgkmcnt(0)
	v_fma_f64 v[75:76], v[95:96], v[79:80], v[75:76]
	s_waitcnt vmcnt(23)
	v_fma_f64 v[89:90], v[97:98], v[81:82], v[75:76]
	ds_read_b128 v[75:78], v74 offset:480
	ds_read_b128 v[79:82], v74 offset:496
	s_waitcnt vmcnt(22) lgkmcnt(1)
	v_fma_f64 v[75:76], v[103:104], v[75:76], v[89:90]
	s_waitcnt vmcnt(21)
	v_fma_f64 v[75:76], v[101:102], v[77:78], v[75:76]
	s_waitcnt vmcnt(20) lgkmcnt(0)
	v_fma_f64 v[75:76], v[99:100], v[79:80], v[75:76]
	s_waitcnt vmcnt(15)
	v_fma_f64 v[89:90], v[105:106], v[81:82], v[75:76]
	ds_read_b128 v[75:78], v74 offset:512
	ds_read_b128 v[79:82], v74 offset:528
	s_waitcnt vmcnt(14) lgkmcnt(1)
	v_fma_f64 v[75:76], v[111:112], v[75:76], v[89:90]
	;; [unrolled: 10-line block ×3, first 2 shown]
	s_waitcnt vmcnt(5)
	v_fma_f64 v[74:75], v[115:116], v[77:78], v[74:75]
	s_waitcnt vmcnt(4) lgkmcnt(0)
	v_fma_f64 v[74:75], v[113:114], v[79:80], v[74:75]
	s_waitcnt vmcnt(2)
	v_fma_f64 v[74:75], v[85:86], v[81:82], v[74:75]
	s_waitcnt vmcnt(0)
	v_add_f64 v[74:75], v[87:88], -v[74:75]
	buffer_store_dword v75, off, s[0:3], 0 offset:124
	buffer_store_dword v74, off, s[0:3], 0 offset:120
	v_cmpx_lt_u32_e32 14, v0
	s_cbranch_execz .LBB35_197
; %bb.196:
	s_clause 0x1
	buffer_load_dword v74, off, s[0:3], 0 offset:112
	buffer_load_dword v75, off, s[0:3], 0 offset:116
	v_mov_b32_e32 v76, 0
	buffer_store_dword v76, off, s[0:3], 0 offset:112
	buffer_store_dword v76, off, s[0:3], 0 offset:116
	s_waitcnt vmcnt(0)
	ds_write_b64 v73, v[74:75]
.LBB35_197:
	s_or_b32 exec_lo, exec_lo, s4
	s_waitcnt lgkmcnt(0)
	s_waitcnt_vscnt null, 0x0
	s_barrier
	buffer_gl0_inv
	s_clause 0x1c
	buffer_load_dword v83, off, s[0:3], 0 offset:120
	buffer_load_dword v84, off, s[0:3], 0 offset:124
	;; [unrolled: 1-line block ×29, first 2 shown]
	v_mov_b32_e32 v74, 0
	buffer_load_dword v108, off, s[0:3], 0 offset:236
	s_mov_b32 s4, exec_lo
	ds_read2_b64 v[75:78], v74 offset0:51 offset1:52
	ds_read2_b64 v[79:82], v74 offset0:53 offset1:54
	s_waitcnt vmcnt(28) lgkmcnt(1)
	v_fma_f64 v[75:76], v[83:84], v[75:76], 0
	s_clause 0x7
	buffer_load_dword v84, off, s[0:3], 0 offset:244
	buffer_load_dword v113, off, s[0:3], 0 offset:264
	;; [unrolled: 1-line block ×8, first 2 shown]
	s_waitcnt vmcnt(34)
	v_fma_f64 v[75:76], v[85:86], v[77:78], v[75:76]
	s_waitcnt vmcnt(32) lgkmcnt(0)
	v_fma_f64 v[75:76], v[87:88], v[79:80], v[75:76]
	s_waitcnt vmcnt(30)
	v_fma_f64 v[85:86], v[89:90], v[81:82], v[75:76]
	ds_read2_b64 v[75:78], v74 offset0:55 offset1:56
	ds_read2_b64 v[79:82], v74 offset0:57 offset1:58
	s_waitcnt vmcnt(28) lgkmcnt(1)
	v_fma_f64 v[75:76], v[91:92], v[75:76], v[85:86]
	s_clause 0x5
	buffer_load_dword v86, off, s[0:3], 0 offset:276
	buffer_load_dword v87, off, s[0:3], 0 offset:280
	;; [unrolled: 1-line block ×6, first 2 shown]
	s_waitcnt vmcnt(32)
	v_fma_f64 v[75:76], v[93:94], v[77:78], v[75:76]
	s_waitcnt vmcnt(30) lgkmcnt(0)
	v_fma_f64 v[75:76], v[95:96], v[79:80], v[75:76]
	s_waitcnt vmcnt(25)
	v_fma_f64 v[91:92], v[97:98], v[81:82], v[75:76]
	ds_read2_b64 v[75:78], v74 offset0:59 offset1:60
	ds_read2_b64 v[79:82], v74 offset0:61 offset1:62
	s_waitcnt vmcnt(24) lgkmcnt(1)
	v_fma_f64 v[75:76], v[103:104], v[75:76], v[91:92]
	s_waitcnt vmcnt(23)
	v_fma_f64 v[75:76], v[101:102], v[77:78], v[75:76]
	s_waitcnt vmcnt(22) lgkmcnt(0)
	v_fma_f64 v[75:76], v[99:100], v[79:80], v[75:76]
	s_waitcnt vmcnt(17)
	v_fma_f64 v[91:92], v[105:106], v[81:82], v[75:76]
	ds_read2_b64 v[75:78], v74 offset0:63 offset1:64
	ds_read2_b64 v[79:82], v74 offset0:65 offset1:66
	s_waitcnt vmcnt(16) lgkmcnt(1)
	v_fma_f64 v[75:76], v[111:112], v[75:76], v[91:92]
	;; [unrolled: 10-line block ×3, first 2 shown]
	s_waitcnt vmcnt(7)
	v_fma_f64 v[75:76], v[115:116], v[77:78], v[75:76]
	ds_read_b64 v[77:78], v74 offset:568
	s_waitcnt vmcnt(6) lgkmcnt(1)
	v_fma_f64 v[75:76], v[113:114], v[79:80], v[75:76]
	s_waitcnt vmcnt(3)
	v_fma_f64 v[75:76], v[85:86], v[81:82], v[75:76]
	s_waitcnt vmcnt(2) lgkmcnt(0)
	v_fma_f64 v[75:76], v[87:88], v[77:78], v[75:76]
	s_waitcnt vmcnt(0)
	v_add_f64 v[75:76], v[89:90], -v[75:76]
	buffer_store_dword v76, off, s[0:3], 0 offset:116
	buffer_store_dword v75, off, s[0:3], 0 offset:112
	v_cmpx_lt_u32_e32 13, v0
	s_cbranch_execz .LBB35_199
; %bb.198:
	s_clause 0x1
	buffer_load_dword v75, off, s[0:3], 0 offset:104
	buffer_load_dword v76, off, s[0:3], 0 offset:108
	buffer_store_dword v74, off, s[0:3], 0 offset:104
	buffer_store_dword v74, off, s[0:3], 0 offset:108
	s_waitcnt vmcnt(0)
	ds_write_b64 v73, v[75:76]
.LBB35_199:
	s_or_b32 exec_lo, exec_lo, s4
	s_waitcnt lgkmcnt(0)
	s_waitcnt_vscnt null, 0x0
	s_barrier
	buffer_gl0_inv
	s_clause 0x1c
	buffer_load_dword v83, off, s[0:3], 0 offset:112
	buffer_load_dword v84, off, s[0:3], 0 offset:116
	buffer_load_dword v85, off, s[0:3], 0 offset:120
	buffer_load_dword v86, off, s[0:3], 0 offset:124
	buffer_load_dword v87, off, s[0:3], 0 offset:128
	buffer_load_dword v88, off, s[0:3], 0 offset:132
	buffer_load_dword v89, off, s[0:3], 0 offset:136
	buffer_load_dword v90, off, s[0:3], 0 offset:140
	buffer_load_dword v91, off, s[0:3], 0 offset:144
	buffer_load_dword v92, off, s[0:3], 0 offset:148
	buffer_load_dword v93, off, s[0:3], 0 offset:152
	buffer_load_dword v94, off, s[0:3], 0 offset:156
	buffer_load_dword v95, off, s[0:3], 0 offset:160
	buffer_load_dword v96, off, s[0:3], 0 offset:164
	buffer_load_dword v98, off, s[0:3], 0 offset:172
	buffer_load_dword v99, off, s[0:3], 0 offset:192
	buffer_load_dword v101, off, s[0:3], 0 offset:184
	buffer_load_dword v103, off, s[0:3], 0 offset:176
	buffer_load_dword v97, off, s[0:3], 0 offset:168
	buffer_load_dword v104, off, s[0:3], 0 offset:180
	buffer_load_dword v102, off, s[0:3], 0 offset:188
	buffer_load_dword v100, off, s[0:3], 0 offset:196
	buffer_load_dword v106, off, s[0:3], 0 offset:204
	buffer_load_dword v107, off, s[0:3], 0 offset:224
	buffer_load_dword v109, off, s[0:3], 0 offset:216
	buffer_load_dword v111, off, s[0:3], 0 offset:208
	buffer_load_dword v105, off, s[0:3], 0 offset:200
	buffer_load_dword v112, off, s[0:3], 0 offset:212
	buffer_load_dword v110, off, s[0:3], 0 offset:220
	ds_read_b128 v[75:78], v74 offset:400
	ds_read_b128 v[79:82], v74 offset:416
	buffer_load_dword v108, off, s[0:3], 0 offset:228
	s_mov_b32 s4, exec_lo
	s_waitcnt vmcnt(28) lgkmcnt(1)
	v_fma_f64 v[75:76], v[83:84], v[75:76], 0
	s_clause 0x7
	buffer_load_dword v84, off, s[0:3], 0 offset:236
	buffer_load_dword v113, off, s[0:3], 0 offset:256
	;; [unrolled: 1-line block ×8, first 2 shown]
	s_waitcnt vmcnt(34)
	v_fma_f64 v[75:76], v[85:86], v[77:78], v[75:76]
	s_waitcnt vmcnt(32) lgkmcnt(0)
	v_fma_f64 v[75:76], v[87:88], v[79:80], v[75:76]
	s_waitcnt vmcnt(30)
	v_fma_f64 v[85:86], v[89:90], v[81:82], v[75:76]
	ds_read_b128 v[75:78], v74 offset:432
	ds_read_b128 v[79:82], v74 offset:448
	s_waitcnt vmcnt(28) lgkmcnt(1)
	v_fma_f64 v[75:76], v[91:92], v[75:76], v[85:86]
	s_clause 0x5
	buffer_load_dword v86, off, s[0:3], 0 offset:268
	buffer_load_dword v87, off, s[0:3], 0 offset:280
	;; [unrolled: 1-line block ×6, first 2 shown]
	s_waitcnt vmcnt(32)
	v_fma_f64 v[75:76], v[93:94], v[77:78], v[75:76]
	s_waitcnt vmcnt(30) lgkmcnt(0)
	v_fma_f64 v[75:76], v[95:96], v[79:80], v[75:76]
	s_waitcnt vmcnt(25)
	v_fma_f64 v[91:92], v[97:98], v[81:82], v[75:76]
	ds_read_b128 v[75:78], v74 offset:464
	s_clause 0x1
	buffer_load_dword v93, off, s[0:3], 0 offset:104
	buffer_load_dword v94, off, s[0:3], 0 offset:108
	ds_read_b128 v[79:82], v74 offset:480
	s_waitcnt vmcnt(26) lgkmcnt(1)
	v_fma_f64 v[75:76], v[103:104], v[75:76], v[91:92]
	s_waitcnt vmcnt(25)
	v_fma_f64 v[75:76], v[101:102], v[77:78], v[75:76]
	s_waitcnt vmcnt(24) lgkmcnt(0)
	v_fma_f64 v[75:76], v[99:100], v[79:80], v[75:76]
	s_waitcnt vmcnt(19)
	v_fma_f64 v[91:92], v[105:106], v[81:82], v[75:76]
	ds_read_b128 v[75:78], v74 offset:496
	ds_read_b128 v[79:82], v74 offset:512
	s_waitcnt vmcnt(18) lgkmcnt(1)
	v_fma_f64 v[75:76], v[111:112], v[75:76], v[91:92]
	s_waitcnt vmcnt(17)
	v_fma_f64 v[75:76], v[109:110], v[77:78], v[75:76]
	s_waitcnt vmcnt(16) lgkmcnt(0)
	v_fma_f64 v[75:76], v[107:108], v[79:80], v[75:76]
	s_waitcnt vmcnt(11)
	v_fma_f64 v[83:84], v[83:84], v[81:82], v[75:76]
	ds_read_b128 v[75:78], v74 offset:528
	;; [unrolled: 10-line block ×3, first 2 shown]
	s_waitcnt vmcnt(3) lgkmcnt(0)
	v_fma_f64 v[74:75], v[89:90], v[74:75], v[78:79]
	s_waitcnt vmcnt(2)
	v_fma_f64 v[74:75], v[87:88], v[76:77], v[74:75]
	s_waitcnt vmcnt(0)
	v_add_f64 v[74:75], v[93:94], -v[74:75]
	buffer_store_dword v75, off, s[0:3], 0 offset:108
	buffer_store_dword v74, off, s[0:3], 0 offset:104
	v_cmpx_lt_u32_e32 12, v0
	s_cbranch_execz .LBB35_201
; %bb.200:
	s_clause 0x1
	buffer_load_dword v74, off, s[0:3], 0 offset:96
	buffer_load_dword v75, off, s[0:3], 0 offset:100
	v_mov_b32_e32 v76, 0
	buffer_store_dword v76, off, s[0:3], 0 offset:96
	buffer_store_dword v76, off, s[0:3], 0 offset:100
	s_waitcnt vmcnt(0)
	ds_write_b64 v73, v[74:75]
.LBB35_201:
	s_or_b32 exec_lo, exec_lo, s4
	s_waitcnt lgkmcnt(0)
	s_waitcnt_vscnt null, 0x0
	s_barrier
	buffer_gl0_inv
	s_clause 0x1c
	buffer_load_dword v83, off, s[0:3], 0 offset:104
	buffer_load_dword v84, off, s[0:3], 0 offset:108
	;; [unrolled: 1-line block ×29, first 2 shown]
	v_mov_b32_e32 v74, 0
	buffer_load_dword v108, off, s[0:3], 0 offset:220
	s_mov_b32 s4, exec_lo
	ds_read2_b64 v[75:78], v74 offset0:49 offset1:50
	ds_read2_b64 v[79:82], v74 offset0:51 offset1:52
	s_waitcnt vmcnt(28) lgkmcnt(1)
	v_fma_f64 v[75:76], v[83:84], v[75:76], 0
	s_clause 0x7
	buffer_load_dword v84, off, s[0:3], 0 offset:228
	buffer_load_dword v113, off, s[0:3], 0 offset:248
	;; [unrolled: 1-line block ×8, first 2 shown]
	s_waitcnt vmcnt(34)
	v_fma_f64 v[75:76], v[85:86], v[77:78], v[75:76]
	s_waitcnt vmcnt(32) lgkmcnt(0)
	v_fma_f64 v[75:76], v[87:88], v[79:80], v[75:76]
	s_waitcnt vmcnt(30)
	v_fma_f64 v[85:86], v[89:90], v[81:82], v[75:76]
	ds_read2_b64 v[75:78], v74 offset0:53 offset1:54
	ds_read2_b64 v[79:82], v74 offset0:55 offset1:56
	s_waitcnt vmcnt(28) lgkmcnt(1)
	v_fma_f64 v[75:76], v[91:92], v[75:76], v[85:86]
	s_clause 0x7
	buffer_load_dword v86, off, s[0:3], 0 offset:260
	buffer_load_dword v87, off, s[0:3], 0 offset:280
	;; [unrolled: 1-line block ×8, first 2 shown]
	s_waitcnt vmcnt(34)
	v_fma_f64 v[75:76], v[93:94], v[77:78], v[75:76]
	s_waitcnt vmcnt(32) lgkmcnt(0)
	v_fma_f64 v[75:76], v[95:96], v[79:80], v[75:76]
	s_waitcnt vmcnt(27)
	v_fma_f64 v[93:94], v[97:98], v[81:82], v[75:76]
	ds_read2_b64 v[75:78], v74 offset0:57 offset1:58
	ds_read2_b64 v[79:82], v74 offset0:59 offset1:60
	s_waitcnt vmcnt(26) lgkmcnt(1)
	v_fma_f64 v[75:76], v[103:104], v[75:76], v[93:94]
	s_clause 0x1
	buffer_load_dword v93, off, s[0:3], 0 offset:96
	buffer_load_dword v94, off, s[0:3], 0 offset:100
	s_waitcnt vmcnt(27)
	v_fma_f64 v[75:76], v[101:102], v[77:78], v[75:76]
	s_waitcnt vmcnt(26) lgkmcnt(0)
	v_fma_f64 v[75:76], v[99:100], v[79:80], v[75:76]
	s_waitcnt vmcnt(21)
	v_fma_f64 v[95:96], v[105:106], v[81:82], v[75:76]
	ds_read2_b64 v[75:78], v74 offset0:61 offset1:62
	ds_read2_b64 v[79:82], v74 offset0:63 offset1:64
	s_waitcnt vmcnt(20) lgkmcnt(1)
	v_fma_f64 v[75:76], v[111:112], v[75:76], v[95:96]
	s_waitcnt vmcnt(19)
	v_fma_f64 v[75:76], v[109:110], v[77:78], v[75:76]
	s_waitcnt vmcnt(18) lgkmcnt(0)
	v_fma_f64 v[75:76], v[107:108], v[79:80], v[75:76]
	s_waitcnt vmcnt(13)
	v_fma_f64 v[83:84], v[83:84], v[81:82], v[75:76]
	ds_read2_b64 v[75:78], v74 offset0:65 offset1:66
	ds_read2_b64 v[79:82], v74 offset0:67 offset1:68
	s_waitcnt vmcnt(12) lgkmcnt(1)
	v_fma_f64 v[75:76], v[117:118], v[75:76], v[83:84]
	s_waitcnt vmcnt(11)
	v_fma_f64 v[75:76], v[115:116], v[77:78], v[75:76]
	s_waitcnt vmcnt(10) lgkmcnt(0)
	v_fma_f64 v[75:76], v[113:114], v[79:80], v[75:76]
	s_waitcnt vmcnt(5)
	v_fma_f64 v[79:80], v[85:86], v[81:82], v[75:76]
	ds_read2_b64 v[75:78], v74 offset0:69 offset1:70
	ds_read_b64 v[81:82], v74 offset:568
	s_waitcnt vmcnt(4) lgkmcnt(1)
	v_fma_f64 v[75:76], v[91:92], v[75:76], v[79:80]
	s_waitcnt vmcnt(3)
	v_fma_f64 v[75:76], v[89:90], v[77:78], v[75:76]
	s_waitcnt vmcnt(2) lgkmcnt(0)
	v_fma_f64 v[75:76], v[87:88], v[81:82], v[75:76]
	s_waitcnt vmcnt(0)
	v_add_f64 v[75:76], v[93:94], -v[75:76]
	buffer_store_dword v76, off, s[0:3], 0 offset:100
	buffer_store_dword v75, off, s[0:3], 0 offset:96
	v_cmpx_lt_u32_e32 11, v0
	s_cbranch_execz .LBB35_203
; %bb.202:
	s_clause 0x1
	buffer_load_dword v75, off, s[0:3], 0 offset:88
	buffer_load_dword v76, off, s[0:3], 0 offset:92
	buffer_store_dword v74, off, s[0:3], 0 offset:88
	buffer_store_dword v74, off, s[0:3], 0 offset:92
	s_waitcnt vmcnt(0)
	ds_write_b64 v73, v[75:76]
.LBB35_203:
	s_or_b32 exec_lo, exec_lo, s4
	s_waitcnt lgkmcnt(0)
	s_waitcnt_vscnt null, 0x0
	s_barrier
	buffer_gl0_inv
	s_clause 0x1c
	buffer_load_dword v83, off, s[0:3], 0 offset:96
	buffer_load_dword v84, off, s[0:3], 0 offset:100
	;; [unrolled: 1-line block ×29, first 2 shown]
	ds_read_b128 v[75:78], v74 offset:384
	ds_read_b128 v[79:82], v74 offset:400
	buffer_load_dword v108, off, s[0:3], 0 offset:212
	s_mov_b32 s4, exec_lo
	s_waitcnt vmcnt(28) lgkmcnt(1)
	v_fma_f64 v[75:76], v[83:84], v[75:76], 0
	s_clause 0x7
	buffer_load_dword v84, off, s[0:3], 0 offset:220
	buffer_load_dword v113, off, s[0:3], 0 offset:240
	;; [unrolled: 1-line block ×8, first 2 shown]
	s_waitcnt vmcnt(34)
	v_fma_f64 v[75:76], v[85:86], v[77:78], v[75:76]
	s_waitcnt vmcnt(32) lgkmcnt(0)
	v_fma_f64 v[75:76], v[87:88], v[79:80], v[75:76]
	s_waitcnt vmcnt(30)
	v_fma_f64 v[85:86], v[89:90], v[81:82], v[75:76]
	ds_read_b128 v[75:78], v74 offset:416
	ds_read_b128 v[79:82], v74 offset:432
	s_waitcnt vmcnt(28) lgkmcnt(1)
	v_fma_f64 v[75:76], v[91:92], v[75:76], v[85:86]
	s_clause 0x7
	buffer_load_dword v86, off, s[0:3], 0 offset:252
	buffer_load_dword v87, off, s[0:3], 0 offset:272
	;; [unrolled: 1-line block ×8, first 2 shown]
	s_waitcnt vmcnt(34)
	v_fma_f64 v[75:76], v[93:94], v[77:78], v[75:76]
	s_waitcnt vmcnt(32) lgkmcnt(0)
	v_fma_f64 v[75:76], v[95:96], v[79:80], v[75:76]
	s_waitcnt vmcnt(27)
	v_fma_f64 v[93:94], v[97:98], v[81:82], v[75:76]
	ds_read_b128 v[75:78], v74 offset:448
	ds_read_b128 v[79:82], v74 offset:464
	s_waitcnt vmcnt(26) lgkmcnt(1)
	v_fma_f64 v[75:76], v[103:104], v[75:76], v[93:94]
	s_clause 0x3
	buffer_load_dword v94, off, s[0:3], 0 offset:284
	buffer_load_dword v93, off, s[0:3], 0 offset:280
	;; [unrolled: 1-line block ×4, first 2 shown]
	s_waitcnt vmcnt(29)
	v_fma_f64 v[75:76], v[101:102], v[77:78], v[75:76]
	s_waitcnt vmcnt(28) lgkmcnt(0)
	v_fma_f64 v[75:76], v[99:100], v[79:80], v[75:76]
	s_waitcnt vmcnt(23)
	v_fma_f64 v[97:98], v[105:106], v[81:82], v[75:76]
	ds_read_b128 v[75:78], v74 offset:480
	ds_read_b128 v[79:82], v74 offset:496
	s_waitcnt vmcnt(22) lgkmcnt(1)
	v_fma_f64 v[75:76], v[111:112], v[75:76], v[97:98]
	s_waitcnt vmcnt(21)
	v_fma_f64 v[75:76], v[109:110], v[77:78], v[75:76]
	s_waitcnt vmcnt(20) lgkmcnt(0)
	v_fma_f64 v[75:76], v[107:108], v[79:80], v[75:76]
	s_waitcnt vmcnt(15)
	v_fma_f64 v[83:84], v[83:84], v[81:82], v[75:76]
	ds_read_b128 v[75:78], v74 offset:512
	ds_read_b128 v[79:82], v74 offset:528
	s_waitcnt vmcnt(14) lgkmcnt(1)
	v_fma_f64 v[75:76], v[117:118], v[75:76], v[83:84]
	;; [unrolled: 10-line block ×3, first 2 shown]
	s_waitcnt vmcnt(5)
	v_fma_f64 v[74:75], v[89:90], v[77:78], v[74:75]
	s_waitcnt vmcnt(4) lgkmcnt(0)
	v_fma_f64 v[74:75], v[87:88], v[79:80], v[74:75]
	s_waitcnt vmcnt(2)
	v_fma_f64 v[74:75], v[93:94], v[81:82], v[74:75]
	s_waitcnt vmcnt(0)
	v_add_f64 v[74:75], v[95:96], -v[74:75]
	buffer_store_dword v75, off, s[0:3], 0 offset:92
	buffer_store_dword v74, off, s[0:3], 0 offset:88
	v_cmpx_lt_u32_e32 10, v0
	s_cbranch_execz .LBB35_205
; %bb.204:
	s_clause 0x1
	buffer_load_dword v74, off, s[0:3], 0 offset:80
	buffer_load_dword v75, off, s[0:3], 0 offset:84
	v_mov_b32_e32 v76, 0
	buffer_store_dword v76, off, s[0:3], 0 offset:80
	buffer_store_dword v76, off, s[0:3], 0 offset:84
	s_waitcnt vmcnt(0)
	ds_write_b64 v73, v[74:75]
.LBB35_205:
	s_or_b32 exec_lo, exec_lo, s4
	s_waitcnt lgkmcnt(0)
	s_waitcnt_vscnt null, 0x0
	s_barrier
	buffer_gl0_inv
	s_clause 0x1c
	buffer_load_dword v83, off, s[0:3], 0 offset:88
	buffer_load_dword v84, off, s[0:3], 0 offset:92
	;; [unrolled: 1-line block ×29, first 2 shown]
	v_mov_b32_e32 v74, 0
	buffer_load_dword v108, off, s[0:3], 0 offset:204
	s_mov_b32 s4, exec_lo
	ds_read2_b64 v[75:78], v74 offset0:47 offset1:48
	ds_read2_b64 v[79:82], v74 offset0:49 offset1:50
	s_waitcnt vmcnt(28) lgkmcnt(1)
	v_fma_f64 v[75:76], v[83:84], v[75:76], 0
	s_clause 0x7
	buffer_load_dword v84, off, s[0:3], 0 offset:212
	buffer_load_dword v113, off, s[0:3], 0 offset:232
	;; [unrolled: 1-line block ×8, first 2 shown]
	s_waitcnt vmcnt(34)
	v_fma_f64 v[75:76], v[85:86], v[77:78], v[75:76]
	s_waitcnt vmcnt(32) lgkmcnt(0)
	v_fma_f64 v[75:76], v[87:88], v[79:80], v[75:76]
	s_waitcnt vmcnt(30)
	v_fma_f64 v[85:86], v[89:90], v[81:82], v[75:76]
	ds_read2_b64 v[75:78], v74 offset0:51 offset1:52
	ds_read2_b64 v[79:82], v74 offset0:53 offset1:54
	s_waitcnt vmcnt(28) lgkmcnt(1)
	v_fma_f64 v[75:76], v[91:92], v[75:76], v[85:86]
	s_clause 0x7
	buffer_load_dword v86, off, s[0:3], 0 offset:244
	buffer_load_dword v87, off, s[0:3], 0 offset:264
	;; [unrolled: 1-line block ×8, first 2 shown]
	s_waitcnt vmcnt(34)
	v_fma_f64 v[75:76], v[93:94], v[77:78], v[75:76]
	s_waitcnt vmcnt(32) lgkmcnt(0)
	v_fma_f64 v[75:76], v[95:96], v[79:80], v[75:76]
	s_waitcnt vmcnt(27)
	v_fma_f64 v[93:94], v[97:98], v[81:82], v[75:76]
	ds_read2_b64 v[75:78], v74 offset0:55 offset1:56
	ds_read2_b64 v[79:82], v74 offset0:57 offset1:58
	s_waitcnt vmcnt(26) lgkmcnt(1)
	v_fma_f64 v[75:76], v[103:104], v[75:76], v[93:94]
	s_clause 0x5
	buffer_load_dword v94, off, s[0:3], 0 offset:276
	buffer_load_dword v95, off, s[0:3], 0 offset:280
	;; [unrolled: 1-line block ×6, first 2 shown]
	s_waitcnt vmcnt(31)
	v_fma_f64 v[75:76], v[101:102], v[77:78], v[75:76]
	s_waitcnt vmcnt(30) lgkmcnt(0)
	v_fma_f64 v[75:76], v[99:100], v[79:80], v[75:76]
	s_waitcnt vmcnt(25)
	v_fma_f64 v[99:100], v[105:106], v[81:82], v[75:76]
	ds_read2_b64 v[75:78], v74 offset0:59 offset1:60
	ds_read2_b64 v[79:82], v74 offset0:61 offset1:62
	s_waitcnt vmcnt(24) lgkmcnt(1)
	v_fma_f64 v[75:76], v[111:112], v[75:76], v[99:100]
	s_waitcnt vmcnt(23)
	v_fma_f64 v[75:76], v[109:110], v[77:78], v[75:76]
	s_waitcnt vmcnt(22) lgkmcnt(0)
	v_fma_f64 v[75:76], v[107:108], v[79:80], v[75:76]
	s_waitcnt vmcnt(17)
	v_fma_f64 v[83:84], v[83:84], v[81:82], v[75:76]
	ds_read2_b64 v[75:78], v74 offset0:63 offset1:64
	ds_read2_b64 v[79:82], v74 offset0:65 offset1:66
	s_waitcnt vmcnt(16) lgkmcnt(1)
	v_fma_f64 v[75:76], v[117:118], v[75:76], v[83:84]
	;; [unrolled: 10-line block ×3, first 2 shown]
	s_waitcnt vmcnt(7)
	v_fma_f64 v[75:76], v[89:90], v[77:78], v[75:76]
	ds_read_b64 v[77:78], v74 offset:568
	s_waitcnt vmcnt(6) lgkmcnt(1)
	v_fma_f64 v[75:76], v[87:88], v[79:80], v[75:76]
	s_waitcnt vmcnt(3)
	v_fma_f64 v[75:76], v[93:94], v[81:82], v[75:76]
	s_waitcnt vmcnt(2) lgkmcnt(0)
	v_fma_f64 v[75:76], v[95:96], v[77:78], v[75:76]
	s_waitcnt vmcnt(0)
	v_add_f64 v[75:76], v[97:98], -v[75:76]
	buffer_store_dword v76, off, s[0:3], 0 offset:84
	buffer_store_dword v75, off, s[0:3], 0 offset:80
	v_cmpx_lt_u32_e32 9, v0
	s_cbranch_execz .LBB35_207
; %bb.206:
	s_clause 0x1
	buffer_load_dword v75, off, s[0:3], 0 offset:72
	buffer_load_dword v76, off, s[0:3], 0 offset:76
	buffer_store_dword v74, off, s[0:3], 0 offset:72
	buffer_store_dword v74, off, s[0:3], 0 offset:76
	s_waitcnt vmcnt(0)
	ds_write_b64 v73, v[75:76]
.LBB35_207:
	s_or_b32 exec_lo, exec_lo, s4
	s_waitcnt lgkmcnt(0)
	s_waitcnt_vscnt null, 0x0
	s_barrier
	buffer_gl0_inv
	s_clause 0x1c
	buffer_load_dword v83, off, s[0:3], 0 offset:80
	buffer_load_dword v84, off, s[0:3], 0 offset:84
	buffer_load_dword v85, off, s[0:3], 0 offset:88
	buffer_load_dword v86, off, s[0:3], 0 offset:92
	buffer_load_dword v87, off, s[0:3], 0 offset:96
	buffer_load_dword v88, off, s[0:3], 0 offset:100
	buffer_load_dword v89, off, s[0:3], 0 offset:104
	buffer_load_dword v90, off, s[0:3], 0 offset:108
	buffer_load_dword v91, off, s[0:3], 0 offset:112
	buffer_load_dword v92, off, s[0:3], 0 offset:116
	buffer_load_dword v93, off, s[0:3], 0 offset:120
	buffer_load_dword v94, off, s[0:3], 0 offset:124
	buffer_load_dword v95, off, s[0:3], 0 offset:128
	buffer_load_dword v96, off, s[0:3], 0 offset:132
	buffer_load_dword v98, off, s[0:3], 0 offset:140
	buffer_load_dword v99, off, s[0:3], 0 offset:160
	buffer_load_dword v101, off, s[0:3], 0 offset:152
	buffer_load_dword v103, off, s[0:3], 0 offset:144
	buffer_load_dword v97, off, s[0:3], 0 offset:136
	buffer_load_dword v104, off, s[0:3], 0 offset:148
	buffer_load_dword v102, off, s[0:3], 0 offset:156
	buffer_load_dword v100, off, s[0:3], 0 offset:164
	buffer_load_dword v106, off, s[0:3], 0 offset:172
	buffer_load_dword v107, off, s[0:3], 0 offset:192
	buffer_load_dword v109, off, s[0:3], 0 offset:184
	buffer_load_dword v111, off, s[0:3], 0 offset:176
	buffer_load_dword v105, off, s[0:3], 0 offset:168
	buffer_load_dword v112, off, s[0:3], 0 offset:180
	buffer_load_dword v110, off, s[0:3], 0 offset:188
	ds_read_b128 v[75:78], v74 offset:368
	ds_read_b128 v[79:82], v74 offset:384
	buffer_load_dword v108, off, s[0:3], 0 offset:196
	s_mov_b32 s4, exec_lo
	s_waitcnt vmcnt(28) lgkmcnt(1)
	v_fma_f64 v[75:76], v[83:84], v[75:76], 0
	s_clause 0x7
	buffer_load_dword v84, off, s[0:3], 0 offset:204
	buffer_load_dword v113, off, s[0:3], 0 offset:224
	;; [unrolled: 1-line block ×8, first 2 shown]
	s_waitcnt vmcnt(34)
	v_fma_f64 v[75:76], v[85:86], v[77:78], v[75:76]
	s_waitcnt vmcnt(32) lgkmcnt(0)
	v_fma_f64 v[75:76], v[87:88], v[79:80], v[75:76]
	s_waitcnt vmcnt(30)
	v_fma_f64 v[85:86], v[89:90], v[81:82], v[75:76]
	ds_read_b128 v[75:78], v74 offset:400
	ds_read_b128 v[79:82], v74 offset:416
	s_waitcnt vmcnt(28) lgkmcnt(1)
	v_fma_f64 v[75:76], v[91:92], v[75:76], v[85:86]
	s_clause 0x7
	buffer_load_dword v86, off, s[0:3], 0 offset:236
	buffer_load_dword v87, off, s[0:3], 0 offset:256
	buffer_load_dword v89, off, s[0:3], 0 offset:248
	buffer_load_dword v91, off, s[0:3], 0 offset:240
	buffer_load_dword v85, off, s[0:3], 0 offset:232
	buffer_load_dword v92, off, s[0:3], 0 offset:244
	buffer_load_dword v90, off, s[0:3], 0 offset:252
	buffer_load_dword v88, off, s[0:3], 0 offset:260
	s_waitcnt vmcnt(34)
	v_fma_f64 v[75:76], v[93:94], v[77:78], v[75:76]
	s_waitcnt vmcnt(32) lgkmcnt(0)
	v_fma_f64 v[75:76], v[95:96], v[79:80], v[75:76]
	s_waitcnt vmcnt(27)
	v_fma_f64 v[93:94], v[97:98], v[81:82], v[75:76]
	ds_read_b128 v[75:78], v74 offset:432
	ds_read_b128 v[79:82], v74 offset:448
	s_waitcnt vmcnt(26) lgkmcnt(1)
	v_fma_f64 v[75:76], v[103:104], v[75:76], v[93:94]
	s_clause 0x5
	buffer_load_dword v94, off, s[0:3], 0 offset:268
	buffer_load_dword v95, off, s[0:3], 0 offset:280
	;; [unrolled: 1-line block ×6, first 2 shown]
	s_waitcnt vmcnt(31)
	v_fma_f64 v[75:76], v[101:102], v[77:78], v[75:76]
	s_waitcnt vmcnt(30) lgkmcnt(0)
	v_fma_f64 v[75:76], v[99:100], v[79:80], v[75:76]
	s_waitcnt vmcnt(25)
	v_fma_f64 v[99:100], v[105:106], v[81:82], v[75:76]
	ds_read_b128 v[75:78], v74 offset:464
	s_clause 0x1
	buffer_load_dword v101, off, s[0:3], 0 offset:72
	buffer_load_dword v102, off, s[0:3], 0 offset:76
	ds_read_b128 v[79:82], v74 offset:480
	s_waitcnt vmcnt(26) lgkmcnt(1)
	v_fma_f64 v[75:76], v[111:112], v[75:76], v[99:100]
	s_waitcnt vmcnt(25)
	v_fma_f64 v[75:76], v[109:110], v[77:78], v[75:76]
	s_waitcnt vmcnt(24) lgkmcnt(0)
	v_fma_f64 v[75:76], v[107:108], v[79:80], v[75:76]
	s_waitcnt vmcnt(19)
	v_fma_f64 v[83:84], v[83:84], v[81:82], v[75:76]
	ds_read_b128 v[75:78], v74 offset:496
	ds_read_b128 v[79:82], v74 offset:512
	s_waitcnt vmcnt(18) lgkmcnt(1)
	v_fma_f64 v[75:76], v[117:118], v[75:76], v[83:84]
	s_waitcnt vmcnt(17)
	v_fma_f64 v[75:76], v[115:116], v[77:78], v[75:76]
	s_waitcnt vmcnt(16) lgkmcnt(0)
	v_fma_f64 v[75:76], v[113:114], v[79:80], v[75:76]
	s_waitcnt vmcnt(11)
	v_fma_f64 v[83:84], v[85:86], v[81:82], v[75:76]
	ds_read_b128 v[75:78], v74 offset:528
	;; [unrolled: 10-line block ×3, first 2 shown]
	s_waitcnt vmcnt(3) lgkmcnt(0)
	v_fma_f64 v[74:75], v[97:98], v[74:75], v[78:79]
	s_waitcnt vmcnt(2)
	v_fma_f64 v[74:75], v[95:96], v[76:77], v[74:75]
	s_waitcnt vmcnt(0)
	v_add_f64 v[74:75], v[101:102], -v[74:75]
	buffer_store_dword v75, off, s[0:3], 0 offset:76
	buffer_store_dword v74, off, s[0:3], 0 offset:72
	v_cmpx_lt_u32_e32 8, v0
	s_cbranch_execz .LBB35_209
; %bb.208:
	s_clause 0x1
	buffer_load_dword v74, off, s[0:3], 0 offset:64
	buffer_load_dword v75, off, s[0:3], 0 offset:68
	v_mov_b32_e32 v76, 0
	buffer_store_dword v76, off, s[0:3], 0 offset:64
	buffer_store_dword v76, off, s[0:3], 0 offset:68
	s_waitcnt vmcnt(0)
	ds_write_b64 v73, v[74:75]
.LBB35_209:
	s_or_b32 exec_lo, exec_lo, s4
	s_waitcnt lgkmcnt(0)
	s_waitcnt_vscnt null, 0x0
	s_barrier
	buffer_gl0_inv
	s_clause 0x1c
	buffer_load_dword v83, off, s[0:3], 0 offset:72
	buffer_load_dword v84, off, s[0:3], 0 offset:76
	;; [unrolled: 1-line block ×29, first 2 shown]
	v_mov_b32_e32 v74, 0
	buffer_load_dword v108, off, s[0:3], 0 offset:188
	s_mov_b32 s4, exec_lo
	ds_read2_b64 v[75:78], v74 offset0:45 offset1:46
	ds_read2_b64 v[79:82], v74 offset0:47 offset1:48
	s_waitcnt vmcnt(28) lgkmcnt(1)
	v_fma_f64 v[75:76], v[83:84], v[75:76], 0
	s_clause 0x7
	buffer_load_dword v84, off, s[0:3], 0 offset:196
	buffer_load_dword v113, off, s[0:3], 0 offset:216
	buffer_load_dword v115, off, s[0:3], 0 offset:208
	buffer_load_dword v117, off, s[0:3], 0 offset:200
	buffer_load_dword v83, off, s[0:3], 0 offset:192
	buffer_load_dword v118, off, s[0:3], 0 offset:204
	buffer_load_dword v116, off, s[0:3], 0 offset:212
	buffer_load_dword v114, off, s[0:3], 0 offset:220
	s_waitcnt vmcnt(34)
	v_fma_f64 v[75:76], v[85:86], v[77:78], v[75:76]
	s_waitcnt vmcnt(32) lgkmcnt(0)
	v_fma_f64 v[75:76], v[87:88], v[79:80], v[75:76]
	s_waitcnt vmcnt(30)
	v_fma_f64 v[85:86], v[89:90], v[81:82], v[75:76]
	ds_read2_b64 v[75:78], v74 offset0:49 offset1:50
	ds_read2_b64 v[79:82], v74 offset0:51 offset1:52
	s_waitcnt vmcnt(28) lgkmcnt(1)
	v_fma_f64 v[75:76], v[91:92], v[75:76], v[85:86]
	s_clause 0x7
	buffer_load_dword v86, off, s[0:3], 0 offset:228
	buffer_load_dword v87, off, s[0:3], 0 offset:248
	buffer_load_dword v89, off, s[0:3], 0 offset:240
	buffer_load_dword v91, off, s[0:3], 0 offset:232
	buffer_load_dword v85, off, s[0:3], 0 offset:224
	buffer_load_dword v92, off, s[0:3], 0 offset:236
	buffer_load_dword v90, off, s[0:3], 0 offset:244
	buffer_load_dword v88, off, s[0:3], 0 offset:252
	s_waitcnt vmcnt(34)
	v_fma_f64 v[75:76], v[93:94], v[77:78], v[75:76]
	s_waitcnt vmcnt(32) lgkmcnt(0)
	v_fma_f64 v[75:76], v[95:96], v[79:80], v[75:76]
	s_waitcnt vmcnt(27)
	v_fma_f64 v[93:94], v[97:98], v[81:82], v[75:76]
	;; [unrolled: 19-line block ×3, first 2 shown]
	ds_read2_b64 v[75:78], v74 offset0:57 offset1:58
	ds_read2_b64 v[79:82], v74 offset0:59 offset1:60
	s_waitcnt vmcnt(26) lgkmcnt(1)
	v_fma_f64 v[75:76], v[111:112], v[75:76], v[99:100]
	s_clause 0x1
	buffer_load_dword v99, off, s[0:3], 0 offset:64
	buffer_load_dword v100, off, s[0:3], 0 offset:68
	s_waitcnt vmcnt(27)
	v_fma_f64 v[75:76], v[109:110], v[77:78], v[75:76]
	s_waitcnt vmcnt(26) lgkmcnt(0)
	v_fma_f64 v[75:76], v[107:108], v[79:80], v[75:76]
	s_waitcnt vmcnt(21)
	v_fma_f64 v[83:84], v[83:84], v[81:82], v[75:76]
	ds_read2_b64 v[75:78], v74 offset0:61 offset1:62
	ds_read2_b64 v[79:82], v74 offset0:63 offset1:64
	s_waitcnt vmcnt(20) lgkmcnt(1)
	v_fma_f64 v[75:76], v[117:118], v[75:76], v[83:84]
	s_waitcnt vmcnt(19)
	v_fma_f64 v[75:76], v[115:116], v[77:78], v[75:76]
	s_waitcnt vmcnt(18) lgkmcnt(0)
	v_fma_f64 v[75:76], v[113:114], v[79:80], v[75:76]
	s_waitcnt vmcnt(13)
	v_fma_f64 v[83:84], v[85:86], v[81:82], v[75:76]
	ds_read2_b64 v[75:78], v74 offset0:65 offset1:66
	ds_read2_b64 v[79:82], v74 offset0:67 offset1:68
	s_waitcnt vmcnt(12) lgkmcnt(1)
	v_fma_f64 v[75:76], v[91:92], v[75:76], v[83:84]
	s_waitcnt vmcnt(11)
	v_fma_f64 v[75:76], v[89:90], v[77:78], v[75:76]
	s_waitcnt vmcnt(10) lgkmcnt(0)
	v_fma_f64 v[75:76], v[87:88], v[79:80], v[75:76]
	s_waitcnt vmcnt(5)
	v_fma_f64 v[79:80], v[93:94], v[81:82], v[75:76]
	ds_read2_b64 v[75:78], v74 offset0:69 offset1:70
	ds_read_b64 v[81:82], v74 offset:568
	s_waitcnt vmcnt(4) lgkmcnt(1)
	v_fma_f64 v[75:76], v[103:104], v[75:76], v[79:80]
	s_waitcnt vmcnt(3)
	v_fma_f64 v[75:76], v[97:98], v[77:78], v[75:76]
	s_waitcnt vmcnt(2) lgkmcnt(0)
	v_fma_f64 v[75:76], v[95:96], v[81:82], v[75:76]
	s_waitcnt vmcnt(0)
	v_add_f64 v[75:76], v[99:100], -v[75:76]
	buffer_store_dword v76, off, s[0:3], 0 offset:68
	buffer_store_dword v75, off, s[0:3], 0 offset:64
	v_cmpx_lt_u32_e32 7, v0
	s_cbranch_execz .LBB35_211
; %bb.210:
	s_clause 0x1
	buffer_load_dword v75, off, s[0:3], 0 offset:56
	buffer_load_dword v76, off, s[0:3], 0 offset:60
	buffer_store_dword v74, off, s[0:3], 0 offset:56
	buffer_store_dword v74, off, s[0:3], 0 offset:60
	s_waitcnt vmcnt(0)
	ds_write_b64 v73, v[75:76]
.LBB35_211:
	s_or_b32 exec_lo, exec_lo, s4
	s_waitcnt lgkmcnt(0)
	s_waitcnt_vscnt null, 0x0
	s_barrier
	buffer_gl0_inv
	s_clause 0x1c
	buffer_load_dword v83, off, s[0:3], 0 offset:64
	buffer_load_dword v84, off, s[0:3], 0 offset:68
	;; [unrolled: 1-line block ×29, first 2 shown]
	ds_read_b128 v[75:78], v74 offset:352
	ds_read_b128 v[79:82], v74 offset:368
	buffer_load_dword v108, off, s[0:3], 0 offset:180
	s_mov_b32 s4, exec_lo
	s_waitcnt vmcnt(28) lgkmcnt(1)
	v_fma_f64 v[75:76], v[83:84], v[75:76], 0
	s_clause 0x7
	buffer_load_dword v84, off, s[0:3], 0 offset:188
	buffer_load_dword v113, off, s[0:3], 0 offset:208
	buffer_load_dword v115, off, s[0:3], 0 offset:200
	buffer_load_dword v117, off, s[0:3], 0 offset:192
	buffer_load_dword v83, off, s[0:3], 0 offset:184
	buffer_load_dword v118, off, s[0:3], 0 offset:196
	buffer_load_dword v116, off, s[0:3], 0 offset:204
	buffer_load_dword v114, off, s[0:3], 0 offset:212
	s_waitcnt vmcnt(34)
	v_fma_f64 v[75:76], v[85:86], v[77:78], v[75:76]
	s_waitcnt vmcnt(32) lgkmcnt(0)
	v_fma_f64 v[75:76], v[87:88], v[79:80], v[75:76]
	s_waitcnt vmcnt(30)
	v_fma_f64 v[85:86], v[89:90], v[81:82], v[75:76]
	ds_read_b128 v[75:78], v74 offset:384
	ds_read_b128 v[79:82], v74 offset:400
	s_waitcnt vmcnt(28) lgkmcnt(1)
	v_fma_f64 v[75:76], v[91:92], v[75:76], v[85:86]
	s_clause 0x7
	buffer_load_dword v86, off, s[0:3], 0 offset:220
	buffer_load_dword v87, off, s[0:3], 0 offset:240
	buffer_load_dword v89, off, s[0:3], 0 offset:232
	buffer_load_dword v91, off, s[0:3], 0 offset:224
	buffer_load_dword v85, off, s[0:3], 0 offset:216
	buffer_load_dword v92, off, s[0:3], 0 offset:228
	buffer_load_dword v90, off, s[0:3], 0 offset:236
	buffer_load_dword v88, off, s[0:3], 0 offset:244
	s_waitcnt vmcnt(34)
	v_fma_f64 v[75:76], v[93:94], v[77:78], v[75:76]
	s_waitcnt vmcnt(32) lgkmcnt(0)
	v_fma_f64 v[75:76], v[95:96], v[79:80], v[75:76]
	s_waitcnt vmcnt(27)
	v_fma_f64 v[93:94], v[97:98], v[81:82], v[75:76]
	ds_read_b128 v[75:78], v74 offset:416
	ds_read_b128 v[79:82], v74 offset:432
	;; [unrolled: 19-line block ×3, first 2 shown]
	s_waitcnt vmcnt(26) lgkmcnt(1)
	v_fma_f64 v[75:76], v[111:112], v[75:76], v[99:100]
	s_clause 0x3
	buffer_load_dword v100, off, s[0:3], 0 offset:284
	buffer_load_dword v99, off, s[0:3], 0 offset:280
	;; [unrolled: 1-line block ×4, first 2 shown]
	s_waitcnt vmcnt(29)
	v_fma_f64 v[75:76], v[109:110], v[77:78], v[75:76]
	s_waitcnt vmcnt(28) lgkmcnt(0)
	v_fma_f64 v[75:76], v[107:108], v[79:80], v[75:76]
	s_waitcnt vmcnt(23)
	v_fma_f64 v[83:84], v[83:84], v[81:82], v[75:76]
	ds_read_b128 v[75:78], v74 offset:480
	ds_read_b128 v[79:82], v74 offset:496
	s_waitcnt vmcnt(22) lgkmcnt(1)
	v_fma_f64 v[75:76], v[117:118], v[75:76], v[83:84]
	s_waitcnt vmcnt(21)
	v_fma_f64 v[75:76], v[115:116], v[77:78], v[75:76]
	s_waitcnt vmcnt(20) lgkmcnt(0)
	v_fma_f64 v[75:76], v[113:114], v[79:80], v[75:76]
	s_waitcnt vmcnt(15)
	v_fma_f64 v[83:84], v[85:86], v[81:82], v[75:76]
	ds_read_b128 v[75:78], v74 offset:512
	ds_read_b128 v[79:82], v74 offset:528
	s_waitcnt vmcnt(14) lgkmcnt(1)
	v_fma_f64 v[75:76], v[91:92], v[75:76], v[83:84]
	s_waitcnt vmcnt(13)
	v_fma_f64 v[75:76], v[89:90], v[77:78], v[75:76]
	s_waitcnt vmcnt(12) lgkmcnt(0)
	v_fma_f64 v[75:76], v[87:88], v[79:80], v[75:76]
	s_waitcnt vmcnt(7)
	v_fma_f64 v[83:84], v[93:94], v[81:82], v[75:76]
	ds_read_b128 v[75:78], v74 offset:544
	ds_read_b128 v[79:82], v74 offset:560
	s_waitcnt vmcnt(6) lgkmcnt(1)
	v_fma_f64 v[74:75], v[103:104], v[75:76], v[83:84]
	s_waitcnt vmcnt(5)
	v_fma_f64 v[74:75], v[97:98], v[77:78], v[74:75]
	s_waitcnt vmcnt(4) lgkmcnt(0)
	v_fma_f64 v[74:75], v[95:96], v[79:80], v[74:75]
	s_waitcnt vmcnt(2)
	v_fma_f64 v[74:75], v[99:100], v[81:82], v[74:75]
	s_waitcnt vmcnt(0)
	v_add_f64 v[74:75], v[101:102], -v[74:75]
	buffer_store_dword v75, off, s[0:3], 0 offset:60
	buffer_store_dword v74, off, s[0:3], 0 offset:56
	v_cmpx_lt_u32_e32 6, v0
	s_cbranch_execz .LBB35_213
; %bb.212:
	s_clause 0x1
	buffer_load_dword v74, off, s[0:3], 0 offset:48
	buffer_load_dword v75, off, s[0:3], 0 offset:52
	v_mov_b32_e32 v76, 0
	buffer_store_dword v76, off, s[0:3], 0 offset:48
	buffer_store_dword v76, off, s[0:3], 0 offset:52
	s_waitcnt vmcnt(0)
	ds_write_b64 v73, v[74:75]
.LBB35_213:
	s_or_b32 exec_lo, exec_lo, s4
	s_waitcnt lgkmcnt(0)
	s_waitcnt_vscnt null, 0x0
	s_barrier
	buffer_gl0_inv
	s_clause 0x1c
	buffer_load_dword v83, off, s[0:3], 0 offset:56
	buffer_load_dword v84, off, s[0:3], 0 offset:60
	buffer_load_dword v85, off, s[0:3], 0 offset:64
	buffer_load_dword v86, off, s[0:3], 0 offset:68
	buffer_load_dword v87, off, s[0:3], 0 offset:72
	buffer_load_dword v88, off, s[0:3], 0 offset:76
	buffer_load_dword v89, off, s[0:3], 0 offset:80
	buffer_load_dword v90, off, s[0:3], 0 offset:84
	buffer_load_dword v91, off, s[0:3], 0 offset:88
	buffer_load_dword v92, off, s[0:3], 0 offset:92
	buffer_load_dword v93, off, s[0:3], 0 offset:96
	buffer_load_dword v94, off, s[0:3], 0 offset:100
	buffer_load_dword v95, off, s[0:3], 0 offset:104
	buffer_load_dword v96, off, s[0:3], 0 offset:108
	buffer_load_dword v98, off, s[0:3], 0 offset:116
	buffer_load_dword v99, off, s[0:3], 0 offset:136
	buffer_load_dword v101, off, s[0:3], 0 offset:128
	buffer_load_dword v103, off, s[0:3], 0 offset:120
	buffer_load_dword v97, off, s[0:3], 0 offset:112
	buffer_load_dword v104, off, s[0:3], 0 offset:124
	buffer_load_dword v102, off, s[0:3], 0 offset:132
	buffer_load_dword v100, off, s[0:3], 0 offset:140
	buffer_load_dword v106, off, s[0:3], 0 offset:148
	buffer_load_dword v107, off, s[0:3], 0 offset:168
	buffer_load_dword v109, off, s[0:3], 0 offset:160
	buffer_load_dword v111, off, s[0:3], 0 offset:152
	buffer_load_dword v105, off, s[0:3], 0 offset:144
	buffer_load_dword v112, off, s[0:3], 0 offset:156
	buffer_load_dword v110, off, s[0:3], 0 offset:164
	v_mov_b32_e32 v74, 0
	buffer_load_dword v108, off, s[0:3], 0 offset:172
	s_mov_b32 s4, exec_lo
	ds_read2_b64 v[75:78], v74 offset0:43 offset1:44
	ds_read2_b64 v[79:82], v74 offset0:45 offset1:46
	s_waitcnt vmcnt(28) lgkmcnt(1)
	v_fma_f64 v[75:76], v[83:84], v[75:76], 0
	s_clause 0x7
	buffer_load_dword v84, off, s[0:3], 0 offset:180
	buffer_load_dword v113, off, s[0:3], 0 offset:200
	buffer_load_dword v115, off, s[0:3], 0 offset:192
	buffer_load_dword v117, off, s[0:3], 0 offset:184
	buffer_load_dword v83, off, s[0:3], 0 offset:176
	buffer_load_dword v118, off, s[0:3], 0 offset:188
	buffer_load_dword v116, off, s[0:3], 0 offset:196
	buffer_load_dword v114, off, s[0:3], 0 offset:204
	s_waitcnt vmcnt(34)
	v_fma_f64 v[75:76], v[85:86], v[77:78], v[75:76]
	s_waitcnt vmcnt(32) lgkmcnt(0)
	v_fma_f64 v[75:76], v[87:88], v[79:80], v[75:76]
	s_waitcnt vmcnt(30)
	v_fma_f64 v[85:86], v[89:90], v[81:82], v[75:76]
	ds_read2_b64 v[75:78], v74 offset0:47 offset1:48
	ds_read2_b64 v[79:82], v74 offset0:49 offset1:50
	s_waitcnt vmcnt(28) lgkmcnt(1)
	v_fma_f64 v[75:76], v[91:92], v[75:76], v[85:86]
	s_clause 0x7
	buffer_load_dword v86, off, s[0:3], 0 offset:212
	buffer_load_dword v87, off, s[0:3], 0 offset:232
	buffer_load_dword v89, off, s[0:3], 0 offset:224
	buffer_load_dword v91, off, s[0:3], 0 offset:216
	buffer_load_dword v85, off, s[0:3], 0 offset:208
	buffer_load_dword v92, off, s[0:3], 0 offset:220
	buffer_load_dword v90, off, s[0:3], 0 offset:228
	buffer_load_dword v88, off, s[0:3], 0 offset:236
	s_waitcnt vmcnt(34)
	v_fma_f64 v[75:76], v[93:94], v[77:78], v[75:76]
	s_waitcnt vmcnt(32) lgkmcnt(0)
	v_fma_f64 v[75:76], v[95:96], v[79:80], v[75:76]
	s_waitcnt vmcnt(27)
	v_fma_f64 v[93:94], v[97:98], v[81:82], v[75:76]
	;; [unrolled: 19-line block ×3, first 2 shown]
	ds_read2_b64 v[75:78], v74 offset0:55 offset1:56
	ds_read2_b64 v[79:82], v74 offset0:57 offset1:58
	s_waitcnt vmcnt(26) lgkmcnt(1)
	v_fma_f64 v[75:76], v[111:112], v[75:76], v[99:100]
	s_clause 0x5
	buffer_load_dword v100, off, s[0:3], 0 offset:276
	buffer_load_dword v101, off, s[0:3], 0 offset:280
	;; [unrolled: 1-line block ×6, first 2 shown]
	s_waitcnt vmcnt(31)
	v_fma_f64 v[75:76], v[109:110], v[77:78], v[75:76]
	s_waitcnt vmcnt(30) lgkmcnt(0)
	v_fma_f64 v[75:76], v[107:108], v[79:80], v[75:76]
	s_waitcnt vmcnt(25)
	v_fma_f64 v[83:84], v[83:84], v[81:82], v[75:76]
	ds_read2_b64 v[75:78], v74 offset0:59 offset1:60
	ds_read2_b64 v[79:82], v74 offset0:61 offset1:62
	s_waitcnt vmcnt(24) lgkmcnt(1)
	v_fma_f64 v[75:76], v[117:118], v[75:76], v[83:84]
	s_waitcnt vmcnt(23)
	v_fma_f64 v[75:76], v[115:116], v[77:78], v[75:76]
	s_waitcnt vmcnt(22) lgkmcnt(0)
	v_fma_f64 v[75:76], v[113:114], v[79:80], v[75:76]
	s_waitcnt vmcnt(17)
	v_fma_f64 v[83:84], v[85:86], v[81:82], v[75:76]
	ds_read2_b64 v[75:78], v74 offset0:63 offset1:64
	ds_read2_b64 v[79:82], v74 offset0:65 offset1:66
	s_waitcnt vmcnt(16) lgkmcnt(1)
	v_fma_f64 v[75:76], v[91:92], v[75:76], v[83:84]
	;; [unrolled: 10-line block ×3, first 2 shown]
	s_waitcnt vmcnt(7)
	v_fma_f64 v[75:76], v[97:98], v[77:78], v[75:76]
	ds_read_b64 v[77:78], v74 offset:568
	s_waitcnt vmcnt(6) lgkmcnt(1)
	v_fma_f64 v[75:76], v[95:96], v[79:80], v[75:76]
	s_waitcnt vmcnt(3)
	v_fma_f64 v[75:76], v[99:100], v[81:82], v[75:76]
	s_waitcnt vmcnt(2) lgkmcnt(0)
	v_fma_f64 v[75:76], v[101:102], v[77:78], v[75:76]
	s_waitcnt vmcnt(0)
	v_add_f64 v[75:76], v[105:106], -v[75:76]
	buffer_store_dword v76, off, s[0:3], 0 offset:52
	buffer_store_dword v75, off, s[0:3], 0 offset:48
	v_cmpx_lt_u32_e32 5, v0
	s_cbranch_execz .LBB35_215
; %bb.214:
	s_clause 0x1
	buffer_load_dword v75, off, s[0:3], 0 offset:40
	buffer_load_dword v76, off, s[0:3], 0 offset:44
	buffer_store_dword v74, off, s[0:3], 0 offset:40
	buffer_store_dword v74, off, s[0:3], 0 offset:44
	s_waitcnt vmcnt(0)
	ds_write_b64 v73, v[75:76]
.LBB35_215:
	s_or_b32 exec_lo, exec_lo, s4
	s_waitcnt lgkmcnt(0)
	s_waitcnt_vscnt null, 0x0
	s_barrier
	buffer_gl0_inv
	s_clause 0x1c
	buffer_load_dword v83, off, s[0:3], 0 offset:48
	buffer_load_dword v84, off, s[0:3], 0 offset:52
	;; [unrolled: 1-line block ×29, first 2 shown]
	ds_read_b128 v[75:78], v74 offset:336
	ds_read_b128 v[79:82], v74 offset:352
	buffer_load_dword v108, off, s[0:3], 0 offset:164
	s_mov_b32 s4, exec_lo
	s_waitcnt vmcnt(28) lgkmcnt(1)
	v_fma_f64 v[75:76], v[83:84], v[75:76], 0
	s_clause 0x7
	buffer_load_dword v84, off, s[0:3], 0 offset:172
	buffer_load_dword v113, off, s[0:3], 0 offset:192
	buffer_load_dword v115, off, s[0:3], 0 offset:184
	buffer_load_dword v117, off, s[0:3], 0 offset:176
	buffer_load_dword v83, off, s[0:3], 0 offset:168
	buffer_load_dword v118, off, s[0:3], 0 offset:180
	buffer_load_dword v116, off, s[0:3], 0 offset:188
	buffer_load_dword v114, off, s[0:3], 0 offset:196
	s_waitcnt vmcnt(34)
	v_fma_f64 v[75:76], v[85:86], v[77:78], v[75:76]
	s_waitcnt vmcnt(32) lgkmcnt(0)
	v_fma_f64 v[75:76], v[87:88], v[79:80], v[75:76]
	s_waitcnt vmcnt(30)
	v_fma_f64 v[85:86], v[89:90], v[81:82], v[75:76]
	ds_read_b128 v[75:78], v74 offset:368
	ds_read_b128 v[79:82], v74 offset:384
	s_waitcnt vmcnt(28) lgkmcnt(1)
	v_fma_f64 v[75:76], v[91:92], v[75:76], v[85:86]
	s_clause 0x7
	buffer_load_dword v86, off, s[0:3], 0 offset:204
	buffer_load_dword v87, off, s[0:3], 0 offset:224
	buffer_load_dword v89, off, s[0:3], 0 offset:216
	buffer_load_dword v91, off, s[0:3], 0 offset:208
	buffer_load_dword v85, off, s[0:3], 0 offset:200
	buffer_load_dword v92, off, s[0:3], 0 offset:212
	buffer_load_dword v90, off, s[0:3], 0 offset:220
	buffer_load_dword v88, off, s[0:3], 0 offset:228
	s_waitcnt vmcnt(34)
	v_fma_f64 v[75:76], v[93:94], v[77:78], v[75:76]
	s_waitcnt vmcnt(32) lgkmcnt(0)
	v_fma_f64 v[75:76], v[95:96], v[79:80], v[75:76]
	s_waitcnt vmcnt(27)
	v_fma_f64 v[93:94], v[97:98], v[81:82], v[75:76]
	ds_read_b128 v[75:78], v74 offset:400
	ds_read_b128 v[79:82], v74 offset:416
	;; [unrolled: 19-line block ×3, first 2 shown]
	s_waitcnt vmcnt(26) lgkmcnt(1)
	v_fma_f64 v[75:76], v[111:112], v[75:76], v[99:100]
	s_clause 0x5
	buffer_load_dword v100, off, s[0:3], 0 offset:268
	buffer_load_dword v101, off, s[0:3], 0 offset:280
	;; [unrolled: 1-line block ×6, first 2 shown]
	s_waitcnt vmcnt(31)
	v_fma_f64 v[75:76], v[109:110], v[77:78], v[75:76]
	s_waitcnt vmcnt(30) lgkmcnt(0)
	v_fma_f64 v[75:76], v[107:108], v[79:80], v[75:76]
	s_waitcnt vmcnt(25)
	v_fma_f64 v[83:84], v[83:84], v[81:82], v[75:76]
	ds_read_b128 v[75:78], v74 offset:464
	s_clause 0x1
	buffer_load_dword v107, off, s[0:3], 0 offset:40
	buffer_load_dword v108, off, s[0:3], 0 offset:44
	ds_read_b128 v[79:82], v74 offset:480
	s_waitcnt vmcnt(26) lgkmcnt(1)
	v_fma_f64 v[75:76], v[117:118], v[75:76], v[83:84]
	s_waitcnt vmcnt(25)
	v_fma_f64 v[75:76], v[115:116], v[77:78], v[75:76]
	s_waitcnt vmcnt(24) lgkmcnt(0)
	v_fma_f64 v[75:76], v[113:114], v[79:80], v[75:76]
	s_waitcnt vmcnt(19)
	v_fma_f64 v[83:84], v[85:86], v[81:82], v[75:76]
	ds_read_b128 v[75:78], v74 offset:496
	ds_read_b128 v[79:82], v74 offset:512
	s_waitcnt vmcnt(18) lgkmcnt(1)
	v_fma_f64 v[75:76], v[91:92], v[75:76], v[83:84]
	s_waitcnt vmcnt(17)
	v_fma_f64 v[75:76], v[89:90], v[77:78], v[75:76]
	s_waitcnt vmcnt(16) lgkmcnt(0)
	v_fma_f64 v[75:76], v[87:88], v[79:80], v[75:76]
	s_waitcnt vmcnt(11)
	v_fma_f64 v[83:84], v[93:94], v[81:82], v[75:76]
	ds_read_b128 v[75:78], v74 offset:528
	;; [unrolled: 10-line block ×3, first 2 shown]
	s_waitcnt vmcnt(3) lgkmcnt(0)
	v_fma_f64 v[74:75], v[105:106], v[74:75], v[78:79]
	s_waitcnt vmcnt(2)
	v_fma_f64 v[74:75], v[101:102], v[76:77], v[74:75]
	s_waitcnt vmcnt(0)
	v_add_f64 v[74:75], v[107:108], -v[74:75]
	buffer_store_dword v75, off, s[0:3], 0 offset:44
	buffer_store_dword v74, off, s[0:3], 0 offset:40
	v_cmpx_lt_u32_e32 4, v0
	s_cbranch_execz .LBB35_217
; %bb.216:
	s_clause 0x1
	buffer_load_dword v74, off, s[0:3], 0 offset:32
	buffer_load_dword v75, off, s[0:3], 0 offset:36
	v_mov_b32_e32 v76, 0
	buffer_store_dword v76, off, s[0:3], 0 offset:32
	buffer_store_dword v76, off, s[0:3], 0 offset:36
	s_waitcnt vmcnt(0)
	ds_write_b64 v73, v[74:75]
.LBB35_217:
	s_or_b32 exec_lo, exec_lo, s4
	s_waitcnt lgkmcnt(0)
	s_waitcnt_vscnt null, 0x0
	s_barrier
	buffer_gl0_inv
	s_clause 0x1c
	buffer_load_dword v83, off, s[0:3], 0 offset:40
	buffer_load_dword v84, off, s[0:3], 0 offset:44
	buffer_load_dword v85, off, s[0:3], 0 offset:48
	buffer_load_dword v86, off, s[0:3], 0 offset:52
	buffer_load_dword v87, off, s[0:3], 0 offset:56
	buffer_load_dword v88, off, s[0:3], 0 offset:60
	buffer_load_dword v89, off, s[0:3], 0 offset:64
	buffer_load_dword v90, off, s[0:3], 0 offset:68
	buffer_load_dword v91, off, s[0:3], 0 offset:72
	buffer_load_dword v92, off, s[0:3], 0 offset:76
	buffer_load_dword v93, off, s[0:3], 0 offset:80
	buffer_load_dword v94, off, s[0:3], 0 offset:84
	buffer_load_dword v95, off, s[0:3], 0 offset:88
	buffer_load_dword v96, off, s[0:3], 0 offset:92
	buffer_load_dword v98, off, s[0:3], 0 offset:100
	buffer_load_dword v99, off, s[0:3], 0 offset:120
	buffer_load_dword v101, off, s[0:3], 0 offset:112
	buffer_load_dword v103, off, s[0:3], 0 offset:104
	buffer_load_dword v97, off, s[0:3], 0 offset:96
	buffer_load_dword v104, off, s[0:3], 0 offset:108
	buffer_load_dword v102, off, s[0:3], 0 offset:116
	buffer_load_dword v100, off, s[0:3], 0 offset:124
	buffer_load_dword v106, off, s[0:3], 0 offset:132
	buffer_load_dword v107, off, s[0:3], 0 offset:152
	buffer_load_dword v109, off, s[0:3], 0 offset:144
	buffer_load_dword v111, off, s[0:3], 0 offset:136
	buffer_load_dword v105, off, s[0:3], 0 offset:128
	buffer_load_dword v112, off, s[0:3], 0 offset:140
	buffer_load_dword v110, off, s[0:3], 0 offset:148
	v_mov_b32_e32 v74, 0
	buffer_load_dword v108, off, s[0:3], 0 offset:156
	s_mov_b32 s4, exec_lo
	ds_read2_b64 v[75:78], v74 offset0:41 offset1:42
	ds_read2_b64 v[79:82], v74 offset0:43 offset1:44
	s_waitcnt vmcnt(28) lgkmcnt(1)
	v_fma_f64 v[75:76], v[83:84], v[75:76], 0
	s_clause 0x7
	buffer_load_dword v84, off, s[0:3], 0 offset:164
	buffer_load_dword v113, off, s[0:3], 0 offset:184
	buffer_load_dword v115, off, s[0:3], 0 offset:176
	buffer_load_dword v117, off, s[0:3], 0 offset:168
	buffer_load_dword v83, off, s[0:3], 0 offset:160
	buffer_load_dword v118, off, s[0:3], 0 offset:172
	buffer_load_dword v116, off, s[0:3], 0 offset:180
	buffer_load_dword v114, off, s[0:3], 0 offset:188
	s_waitcnt vmcnt(34)
	v_fma_f64 v[75:76], v[85:86], v[77:78], v[75:76]
	s_waitcnt vmcnt(32) lgkmcnt(0)
	v_fma_f64 v[75:76], v[87:88], v[79:80], v[75:76]
	s_waitcnt vmcnt(30)
	v_fma_f64 v[85:86], v[89:90], v[81:82], v[75:76]
	ds_read2_b64 v[75:78], v74 offset0:45 offset1:46
	ds_read2_b64 v[79:82], v74 offset0:47 offset1:48
	s_waitcnt vmcnt(28) lgkmcnt(1)
	v_fma_f64 v[75:76], v[91:92], v[75:76], v[85:86]
	s_clause 0x7
	buffer_load_dword v86, off, s[0:3], 0 offset:196
	buffer_load_dword v87, off, s[0:3], 0 offset:216
	buffer_load_dword v89, off, s[0:3], 0 offset:208
	buffer_load_dword v91, off, s[0:3], 0 offset:200
	buffer_load_dword v85, off, s[0:3], 0 offset:192
	buffer_load_dword v92, off, s[0:3], 0 offset:204
	buffer_load_dword v90, off, s[0:3], 0 offset:212
	buffer_load_dword v88, off, s[0:3], 0 offset:220
	s_waitcnt vmcnt(34)
	v_fma_f64 v[75:76], v[93:94], v[77:78], v[75:76]
	s_waitcnt vmcnt(32) lgkmcnt(0)
	v_fma_f64 v[75:76], v[95:96], v[79:80], v[75:76]
	s_waitcnt vmcnt(27)
	v_fma_f64 v[93:94], v[97:98], v[81:82], v[75:76]
	;; [unrolled: 19-line block ×4, first 2 shown]
	ds_read2_b64 v[75:78], v74 offset0:57 offset1:58
	ds_read2_b64 v[79:82], v74 offset0:59 offset1:60
	s_waitcnt vmcnt(26) lgkmcnt(1)
	v_fma_f64 v[75:76], v[117:118], v[75:76], v[83:84]
	s_clause 0x1
	buffer_load_dword v83, off, s[0:3], 0 offset:32
	buffer_load_dword v84, off, s[0:3], 0 offset:36
	s_waitcnt vmcnt(27)
	v_fma_f64 v[75:76], v[115:116], v[77:78], v[75:76]
	s_waitcnt vmcnt(26) lgkmcnt(0)
	v_fma_f64 v[75:76], v[113:114], v[79:80], v[75:76]
	s_waitcnt vmcnt(21)
	v_fma_f64 v[85:86], v[85:86], v[81:82], v[75:76]
	ds_read2_b64 v[75:78], v74 offset0:61 offset1:62
	ds_read2_b64 v[79:82], v74 offset0:63 offset1:64
	s_waitcnt vmcnt(20) lgkmcnt(1)
	v_fma_f64 v[75:76], v[91:92], v[75:76], v[85:86]
	s_waitcnt vmcnt(19)
	v_fma_f64 v[75:76], v[89:90], v[77:78], v[75:76]
	s_waitcnt vmcnt(18) lgkmcnt(0)
	v_fma_f64 v[75:76], v[87:88], v[79:80], v[75:76]
	s_waitcnt vmcnt(13)
	v_fma_f64 v[85:86], v[93:94], v[81:82], v[75:76]
	ds_read2_b64 v[75:78], v74 offset0:65 offset1:66
	ds_read2_b64 v[79:82], v74 offset0:67 offset1:68
	s_waitcnt vmcnt(12) lgkmcnt(1)
	v_fma_f64 v[75:76], v[103:104], v[75:76], v[85:86]
	s_waitcnt vmcnt(11)
	v_fma_f64 v[75:76], v[97:98], v[77:78], v[75:76]
	s_waitcnt vmcnt(10) lgkmcnt(0)
	v_fma_f64 v[75:76], v[95:96], v[79:80], v[75:76]
	s_waitcnt vmcnt(5)
	v_fma_f64 v[79:80], v[99:100], v[81:82], v[75:76]
	ds_read2_b64 v[75:78], v74 offset0:69 offset1:70
	ds_read_b64 v[81:82], v74 offset:568
	s_waitcnt vmcnt(4) lgkmcnt(1)
	v_fma_f64 v[75:76], v[111:112], v[75:76], v[79:80]
	s_waitcnt vmcnt(3)
	v_fma_f64 v[75:76], v[105:106], v[77:78], v[75:76]
	s_waitcnt vmcnt(2) lgkmcnt(0)
	v_fma_f64 v[75:76], v[101:102], v[81:82], v[75:76]
	s_waitcnt vmcnt(0)
	v_add_f64 v[75:76], v[83:84], -v[75:76]
	buffer_store_dword v76, off, s[0:3], 0 offset:36
	buffer_store_dword v75, off, s[0:3], 0 offset:32
	v_cmpx_lt_u32_e32 3, v0
	s_cbranch_execz .LBB35_219
; %bb.218:
	s_clause 0x1
	buffer_load_dword v75, off, s[0:3], 0 offset:24
	buffer_load_dword v76, off, s[0:3], 0 offset:28
	buffer_store_dword v74, off, s[0:3], 0 offset:24
	buffer_store_dword v74, off, s[0:3], 0 offset:28
	s_waitcnt vmcnt(0)
	ds_write_b64 v73, v[75:76]
.LBB35_219:
	s_or_b32 exec_lo, exec_lo, s4
	s_waitcnt lgkmcnt(0)
	s_waitcnt_vscnt null, 0x0
	s_barrier
	buffer_gl0_inv
	s_clause 0x1c
	buffer_load_dword v83, off, s[0:3], 0 offset:32
	buffer_load_dword v84, off, s[0:3], 0 offset:36
	buffer_load_dword v85, off, s[0:3], 0 offset:40
	buffer_load_dword v86, off, s[0:3], 0 offset:44
	buffer_load_dword v87, off, s[0:3], 0 offset:48
	buffer_load_dword v88, off, s[0:3], 0 offset:52
	buffer_load_dword v89, off, s[0:3], 0 offset:56
	buffer_load_dword v90, off, s[0:3], 0 offset:60
	buffer_load_dword v91, off, s[0:3], 0 offset:64
	buffer_load_dword v92, off, s[0:3], 0 offset:68
	buffer_load_dword v93, off, s[0:3], 0 offset:72
	buffer_load_dword v94, off, s[0:3], 0 offset:76
	buffer_load_dword v95, off, s[0:3], 0 offset:80
	buffer_load_dword v96, off, s[0:3], 0 offset:84
	buffer_load_dword v98, off, s[0:3], 0 offset:92
	buffer_load_dword v99, off, s[0:3], 0 offset:112
	buffer_load_dword v101, off, s[0:3], 0 offset:104
	buffer_load_dword v103, off, s[0:3], 0 offset:96
	buffer_load_dword v97, off, s[0:3], 0 offset:88
	buffer_load_dword v104, off, s[0:3], 0 offset:100
	buffer_load_dword v102, off, s[0:3], 0 offset:108
	buffer_load_dword v100, off, s[0:3], 0 offset:116
	buffer_load_dword v106, off, s[0:3], 0 offset:124
	buffer_load_dword v107, off, s[0:3], 0 offset:144
	buffer_load_dword v109, off, s[0:3], 0 offset:136
	buffer_load_dword v111, off, s[0:3], 0 offset:128
	buffer_load_dword v105, off, s[0:3], 0 offset:120
	buffer_load_dword v112, off, s[0:3], 0 offset:132
	buffer_load_dword v110, off, s[0:3], 0 offset:140
	ds_read_b128 v[75:78], v74 offset:320
	ds_read_b128 v[79:82], v74 offset:336
	buffer_load_dword v108, off, s[0:3], 0 offset:148
	s_mov_b32 s4, exec_lo
	s_waitcnt vmcnt(28) lgkmcnt(1)
	v_fma_f64 v[75:76], v[83:84], v[75:76], 0
	s_clause 0x7
	buffer_load_dword v84, off, s[0:3], 0 offset:156
	buffer_load_dword v113, off, s[0:3], 0 offset:176
	buffer_load_dword v115, off, s[0:3], 0 offset:168
	buffer_load_dword v117, off, s[0:3], 0 offset:160
	buffer_load_dword v83, off, s[0:3], 0 offset:152
	buffer_load_dword v118, off, s[0:3], 0 offset:164
	buffer_load_dword v116, off, s[0:3], 0 offset:172
	buffer_load_dword v114, off, s[0:3], 0 offset:180
	s_waitcnt vmcnt(34)
	v_fma_f64 v[75:76], v[85:86], v[77:78], v[75:76]
	s_waitcnt vmcnt(32) lgkmcnt(0)
	v_fma_f64 v[75:76], v[87:88], v[79:80], v[75:76]
	s_waitcnt vmcnt(30)
	v_fma_f64 v[85:86], v[89:90], v[81:82], v[75:76]
	ds_read_b128 v[75:78], v74 offset:352
	ds_read_b128 v[79:82], v74 offset:368
	s_waitcnt vmcnt(28) lgkmcnt(1)
	v_fma_f64 v[75:76], v[91:92], v[75:76], v[85:86]
	s_clause 0x7
	buffer_load_dword v86, off, s[0:3], 0 offset:188
	buffer_load_dword v87, off, s[0:3], 0 offset:208
	buffer_load_dword v89, off, s[0:3], 0 offset:200
	buffer_load_dword v91, off, s[0:3], 0 offset:192
	buffer_load_dword v85, off, s[0:3], 0 offset:184
	buffer_load_dword v92, off, s[0:3], 0 offset:196
	buffer_load_dword v90, off, s[0:3], 0 offset:204
	buffer_load_dword v88, off, s[0:3], 0 offset:212
	s_waitcnt vmcnt(34)
	v_fma_f64 v[75:76], v[93:94], v[77:78], v[75:76]
	s_waitcnt vmcnt(32) lgkmcnt(0)
	v_fma_f64 v[75:76], v[95:96], v[79:80], v[75:76]
	s_waitcnt vmcnt(27)
	v_fma_f64 v[93:94], v[97:98], v[81:82], v[75:76]
	ds_read_b128 v[75:78], v74 offset:384
	ds_read_b128 v[79:82], v74 offset:400
	;; [unrolled: 19-line block ×4, first 2 shown]
	s_waitcnt vmcnt(26) lgkmcnt(1)
	v_fma_f64 v[75:76], v[117:118], v[75:76], v[83:84]
	s_clause 0x3
	buffer_load_dword v84, off, s[0:3], 0 offset:284
	buffer_load_dword v83, off, s[0:3], 0 offset:280
	;; [unrolled: 1-line block ×4, first 2 shown]
	s_waitcnt vmcnt(29)
	v_fma_f64 v[75:76], v[115:116], v[77:78], v[75:76]
	s_waitcnt vmcnt(28) lgkmcnt(0)
	v_fma_f64 v[75:76], v[113:114], v[79:80], v[75:76]
	s_waitcnt vmcnt(23)
	v_fma_f64 v[85:86], v[85:86], v[81:82], v[75:76]
	ds_read_b128 v[75:78], v74 offset:480
	ds_read_b128 v[79:82], v74 offset:496
	s_waitcnt vmcnt(22) lgkmcnt(1)
	v_fma_f64 v[75:76], v[91:92], v[75:76], v[85:86]
	s_waitcnt vmcnt(21)
	v_fma_f64 v[75:76], v[89:90], v[77:78], v[75:76]
	s_waitcnt vmcnt(20) lgkmcnt(0)
	v_fma_f64 v[75:76], v[87:88], v[79:80], v[75:76]
	s_waitcnt vmcnt(15)
	v_fma_f64 v[85:86], v[93:94], v[81:82], v[75:76]
	ds_read_b128 v[75:78], v74 offset:512
	ds_read_b128 v[79:82], v74 offset:528
	s_waitcnt vmcnt(14) lgkmcnt(1)
	v_fma_f64 v[75:76], v[103:104], v[75:76], v[85:86]
	;; [unrolled: 10-line block ×3, first 2 shown]
	s_waitcnt vmcnt(5)
	v_fma_f64 v[74:75], v[105:106], v[77:78], v[74:75]
	s_waitcnt vmcnt(4) lgkmcnt(0)
	v_fma_f64 v[74:75], v[101:102], v[79:80], v[74:75]
	s_waitcnt vmcnt(2)
	v_fma_f64 v[74:75], v[83:84], v[81:82], v[74:75]
	s_waitcnt vmcnt(0)
	v_add_f64 v[74:75], v[107:108], -v[74:75]
	buffer_store_dword v75, off, s[0:3], 0 offset:28
	buffer_store_dword v74, off, s[0:3], 0 offset:24
	v_cmpx_lt_u32_e32 2, v0
	s_cbranch_execz .LBB35_221
; %bb.220:
	s_clause 0x1
	buffer_load_dword v74, off, s[0:3], 0 offset:16
	buffer_load_dword v75, off, s[0:3], 0 offset:20
	v_mov_b32_e32 v76, 0
	buffer_store_dword v76, off, s[0:3], 0 offset:16
	buffer_store_dword v76, off, s[0:3], 0 offset:20
	s_waitcnt vmcnt(0)
	ds_write_b64 v73, v[74:75]
.LBB35_221:
	s_or_b32 exec_lo, exec_lo, s4
	s_waitcnt lgkmcnt(0)
	s_waitcnt_vscnt null, 0x0
	s_barrier
	buffer_gl0_inv
	s_clause 0x1c
	buffer_load_dword v83, off, s[0:3], 0 offset:24
	buffer_load_dword v84, off, s[0:3], 0 offset:28
	;; [unrolled: 1-line block ×29, first 2 shown]
	v_mov_b32_e32 v74, 0
	buffer_load_dword v108, off, s[0:3], 0 offset:140
	s_mov_b32 s4, exec_lo
	ds_read2_b64 v[75:78], v74 offset0:39 offset1:40
	ds_read2_b64 v[79:82], v74 offset0:41 offset1:42
	s_waitcnt vmcnt(28) lgkmcnt(1)
	v_fma_f64 v[75:76], v[83:84], v[75:76], 0
	s_clause 0x7
	buffer_load_dword v84, off, s[0:3], 0 offset:148
	buffer_load_dword v113, off, s[0:3], 0 offset:168
	buffer_load_dword v115, off, s[0:3], 0 offset:160
	buffer_load_dword v117, off, s[0:3], 0 offset:152
	buffer_load_dword v83, off, s[0:3], 0 offset:144
	buffer_load_dword v118, off, s[0:3], 0 offset:156
	buffer_load_dword v116, off, s[0:3], 0 offset:164
	buffer_load_dword v114, off, s[0:3], 0 offset:172
	s_waitcnt vmcnt(34)
	v_fma_f64 v[75:76], v[85:86], v[77:78], v[75:76]
	s_waitcnt vmcnt(32) lgkmcnt(0)
	v_fma_f64 v[75:76], v[87:88], v[79:80], v[75:76]
	s_waitcnt vmcnt(30)
	v_fma_f64 v[85:86], v[89:90], v[81:82], v[75:76]
	ds_read2_b64 v[75:78], v74 offset0:43 offset1:44
	ds_read2_b64 v[79:82], v74 offset0:45 offset1:46
	s_waitcnt vmcnt(28) lgkmcnt(1)
	v_fma_f64 v[75:76], v[91:92], v[75:76], v[85:86]
	s_clause 0x7
	buffer_load_dword v86, off, s[0:3], 0 offset:180
	buffer_load_dword v87, off, s[0:3], 0 offset:200
	buffer_load_dword v89, off, s[0:3], 0 offset:192
	buffer_load_dword v91, off, s[0:3], 0 offset:184
	buffer_load_dword v85, off, s[0:3], 0 offset:176
	buffer_load_dword v92, off, s[0:3], 0 offset:188
	buffer_load_dword v90, off, s[0:3], 0 offset:196
	buffer_load_dword v88, off, s[0:3], 0 offset:204
	s_waitcnt vmcnt(34)
	v_fma_f64 v[75:76], v[93:94], v[77:78], v[75:76]
	s_waitcnt vmcnt(32) lgkmcnt(0)
	v_fma_f64 v[75:76], v[95:96], v[79:80], v[75:76]
	s_waitcnt vmcnt(27)
	v_fma_f64 v[93:94], v[97:98], v[81:82], v[75:76]
	;; [unrolled: 19-line block ×4, first 2 shown]
	ds_read2_b64 v[75:78], v74 offset0:55 offset1:56
	ds_read2_b64 v[79:82], v74 offset0:57 offset1:58
	s_waitcnt vmcnt(26) lgkmcnt(1)
	v_fma_f64 v[75:76], v[117:118], v[75:76], v[83:84]
	s_clause 0x5
	buffer_load_dword v84, off, s[0:3], 0 offset:276
	buffer_load_dword v107, off, s[0:3], 0 offset:280
	;; [unrolled: 1-line block ×6, first 2 shown]
	s_waitcnt vmcnt(31)
	v_fma_f64 v[75:76], v[115:116], v[77:78], v[75:76]
	s_waitcnt vmcnt(30) lgkmcnt(0)
	v_fma_f64 v[75:76], v[113:114], v[79:80], v[75:76]
	s_waitcnt vmcnt(25)
	v_fma_f64 v[85:86], v[85:86], v[81:82], v[75:76]
	ds_read2_b64 v[75:78], v74 offset0:59 offset1:60
	ds_read2_b64 v[79:82], v74 offset0:61 offset1:62
	s_waitcnt vmcnt(24) lgkmcnt(1)
	v_fma_f64 v[75:76], v[91:92], v[75:76], v[85:86]
	s_waitcnt vmcnt(23)
	v_fma_f64 v[75:76], v[89:90], v[77:78], v[75:76]
	s_waitcnt vmcnt(22) lgkmcnt(0)
	v_fma_f64 v[75:76], v[87:88], v[79:80], v[75:76]
	s_waitcnt vmcnt(17)
	v_fma_f64 v[85:86], v[93:94], v[81:82], v[75:76]
	ds_read2_b64 v[75:78], v74 offset0:63 offset1:64
	ds_read2_b64 v[79:82], v74 offset0:65 offset1:66
	s_waitcnt vmcnt(16) lgkmcnt(1)
	v_fma_f64 v[75:76], v[103:104], v[75:76], v[85:86]
	;; [unrolled: 10-line block ×3, first 2 shown]
	s_waitcnt vmcnt(7)
	v_fma_f64 v[75:76], v[105:106], v[77:78], v[75:76]
	ds_read_b64 v[77:78], v74 offset:568
	s_waitcnt vmcnt(6) lgkmcnt(1)
	v_fma_f64 v[75:76], v[101:102], v[79:80], v[75:76]
	s_waitcnt vmcnt(3)
	v_fma_f64 v[75:76], v[83:84], v[81:82], v[75:76]
	s_waitcnt vmcnt(2) lgkmcnt(0)
	v_fma_f64 v[75:76], v[107:108], v[77:78], v[75:76]
	s_waitcnt vmcnt(0)
	v_add_f64 v[75:76], v[109:110], -v[75:76]
	buffer_store_dword v76, off, s[0:3], 0 offset:20
	buffer_store_dword v75, off, s[0:3], 0 offset:16
	v_cmpx_lt_u32_e32 1, v0
	s_cbranch_execz .LBB35_223
; %bb.222:
	s_clause 0x1
	buffer_load_dword v75, off, s[0:3], 0 offset:8
	buffer_load_dword v76, off, s[0:3], 0 offset:12
	buffer_store_dword v74, off, s[0:3], 0 offset:8
	buffer_store_dword v74, off, s[0:3], 0 offset:12
	s_waitcnt vmcnt(0)
	ds_write_b64 v73, v[75:76]
.LBB35_223:
	s_or_b32 exec_lo, exec_lo, s4
	s_waitcnt lgkmcnt(0)
	s_waitcnt_vscnt null, 0x0
	s_barrier
	buffer_gl0_inv
	s_clause 0x1c
	buffer_load_dword v83, off, s[0:3], 0 offset:16
	buffer_load_dword v84, off, s[0:3], 0 offset:20
	;; [unrolled: 1-line block ×29, first 2 shown]
	ds_read_b128 v[75:78], v74 offset:304
	ds_read_b128 v[79:82], v74 offset:320
	buffer_load_dword v108, off, s[0:3], 0 offset:132
	s_mov_b32 s4, exec_lo
	s_waitcnt vmcnt(28) lgkmcnt(1)
	v_fma_f64 v[75:76], v[83:84], v[75:76], 0
	s_clause 0x7
	buffer_load_dword v84, off, s[0:3], 0 offset:140
	buffer_load_dword v113, off, s[0:3], 0 offset:160
	buffer_load_dword v115, off, s[0:3], 0 offset:152
	buffer_load_dword v117, off, s[0:3], 0 offset:144
	buffer_load_dword v83, off, s[0:3], 0 offset:136
	buffer_load_dword v118, off, s[0:3], 0 offset:148
	buffer_load_dword v116, off, s[0:3], 0 offset:156
	buffer_load_dword v114, off, s[0:3], 0 offset:164
	s_waitcnt vmcnt(34)
	v_fma_f64 v[75:76], v[85:86], v[77:78], v[75:76]
	s_waitcnt vmcnt(32) lgkmcnt(0)
	v_fma_f64 v[75:76], v[87:88], v[79:80], v[75:76]
	s_waitcnt vmcnt(30)
	v_fma_f64 v[85:86], v[89:90], v[81:82], v[75:76]
	ds_read_b128 v[75:78], v74 offset:336
	ds_read_b128 v[79:82], v74 offset:352
	s_waitcnt vmcnt(28) lgkmcnt(1)
	v_fma_f64 v[75:76], v[91:92], v[75:76], v[85:86]
	s_clause 0x7
	buffer_load_dword v86, off, s[0:3], 0 offset:172
	buffer_load_dword v87, off, s[0:3], 0 offset:192
	buffer_load_dword v89, off, s[0:3], 0 offset:184
	buffer_load_dword v91, off, s[0:3], 0 offset:176
	buffer_load_dword v85, off, s[0:3], 0 offset:168
	buffer_load_dword v92, off, s[0:3], 0 offset:180
	buffer_load_dword v90, off, s[0:3], 0 offset:188
	buffer_load_dword v88, off, s[0:3], 0 offset:196
	s_waitcnt vmcnt(34)
	v_fma_f64 v[75:76], v[93:94], v[77:78], v[75:76]
	s_waitcnt vmcnt(32) lgkmcnt(0)
	v_fma_f64 v[75:76], v[95:96], v[79:80], v[75:76]
	s_waitcnt vmcnt(27)
	v_fma_f64 v[93:94], v[97:98], v[81:82], v[75:76]
	ds_read_b128 v[75:78], v74 offset:368
	ds_read_b128 v[79:82], v74 offset:384
	s_waitcnt vmcnt(26) lgkmcnt(1)
	v_fma_f64 v[75:76], v[103:104], v[75:76], v[93:94]
	s_clause 0x7
	buffer_load_dword v94, off, s[0:3], 0 offset:204
	buffer_load_dword v95, off, s[0:3], 0 offset:224
	buffer_load_dword v97, off, s[0:3], 0 offset:216
	buffer_load_dword v103, off, s[0:3], 0 offset:208
	buffer_load_dword v93, off, s[0:3], 0 offset:200
	buffer_load_dword v104, off, s[0:3], 0 offset:212
	buffer_load_dword v98, off, s[0:3], 0 offset:220
	buffer_load_dword v96, off, s[0:3], 0 offset:228
	s_waitcnt vmcnt(33)
	v_fma_f64 v[75:76], v[101:102], v[77:78], v[75:76]
	s_waitcnt vmcnt(32) lgkmcnt(0)
	v_fma_f64 v[75:76], v[99:100], v[79:80], v[75:76]
	s_waitcnt vmcnt(27)
	v_fma_f64 v[99:100], v[105:106], v[81:82], v[75:76]
	ds_read_b128 v[75:78], v74 offset:400
	ds_read_b128 v[79:82], v74 offset:416
	s_waitcnt vmcnt(26) lgkmcnt(1)
	v_fma_f64 v[75:76], v[111:112], v[75:76], v[99:100]
	s_clause 0x7
	buffer_load_dword v100, off, s[0:3], 0 offset:236
	buffer_load_dword v101, off, s[0:3], 0 offset:256
	buffer_load_dword v105, off, s[0:3], 0 offset:248
	buffer_load_dword v111, off, s[0:3], 0 offset:240
	buffer_load_dword v99, off, s[0:3], 0 offset:232
	buffer_load_dword v112, off, s[0:3], 0 offset:244
	buffer_load_dword v106, off, s[0:3], 0 offset:252
	buffer_load_dword v102, off, s[0:3], 0 offset:260
	s_waitcnt vmcnt(33)
	v_fma_f64 v[75:76], v[109:110], v[77:78], v[75:76]
	s_waitcnt vmcnt(32) lgkmcnt(0)
	v_fma_f64 v[75:76], v[107:108], v[79:80], v[75:76]
	s_waitcnt vmcnt(27)
	v_fma_f64 v[83:84], v[83:84], v[81:82], v[75:76]
	ds_read_b128 v[75:78], v74 offset:432
	ds_read_b128 v[79:82], v74 offset:448
	s_waitcnt vmcnt(26) lgkmcnt(1)
	v_fma_f64 v[75:76], v[117:118], v[75:76], v[83:84]
	s_clause 0x5
	buffer_load_dword v84, off, s[0:3], 0 offset:268
	buffer_load_dword v107, off, s[0:3], 0 offset:280
	;; [unrolled: 1-line block ×6, first 2 shown]
	s_waitcnt vmcnt(31)
	v_fma_f64 v[75:76], v[115:116], v[77:78], v[75:76]
	s_waitcnt vmcnt(30) lgkmcnt(0)
	v_fma_f64 v[75:76], v[113:114], v[79:80], v[75:76]
	s_waitcnt vmcnt(25)
	v_fma_f64 v[85:86], v[85:86], v[81:82], v[75:76]
	ds_read_b128 v[75:78], v74 offset:464
	s_clause 0x1
	buffer_load_dword v113, off, s[0:3], 0 offset:8
	buffer_load_dword v114, off, s[0:3], 0 offset:12
	ds_read_b128 v[79:82], v74 offset:480
	s_waitcnt vmcnt(26) lgkmcnt(1)
	v_fma_f64 v[75:76], v[91:92], v[75:76], v[85:86]
	s_waitcnt vmcnt(25)
	v_fma_f64 v[75:76], v[89:90], v[77:78], v[75:76]
	s_waitcnt vmcnt(24) lgkmcnt(0)
	v_fma_f64 v[75:76], v[87:88], v[79:80], v[75:76]
	s_waitcnt vmcnt(19)
	v_fma_f64 v[85:86], v[93:94], v[81:82], v[75:76]
	ds_read_b128 v[75:78], v74 offset:496
	ds_read_b128 v[79:82], v74 offset:512
	s_waitcnt vmcnt(18) lgkmcnt(1)
	v_fma_f64 v[75:76], v[103:104], v[75:76], v[85:86]
	s_waitcnt vmcnt(17)
	v_fma_f64 v[75:76], v[97:98], v[77:78], v[75:76]
	s_waitcnt vmcnt(16) lgkmcnt(0)
	v_fma_f64 v[75:76], v[95:96], v[79:80], v[75:76]
	s_waitcnt vmcnt(11)
	v_fma_f64 v[85:86], v[99:100], v[81:82], v[75:76]
	ds_read_b128 v[75:78], v74 offset:528
	ds_read_b128 v[79:82], v74 offset:544
	s_waitcnt vmcnt(10) lgkmcnt(1)
	v_fma_f64 v[75:76], v[111:112], v[75:76], v[85:86]
	s_waitcnt vmcnt(9)
	v_fma_f64 v[75:76], v[105:106], v[77:78], v[75:76]
	s_waitcnt vmcnt(8) lgkmcnt(0)
	v_fma_f64 v[75:76], v[101:102], v[79:80], v[75:76]
	s_waitcnt vmcnt(4)
	v_fma_f64 v[78:79], v[83:84], v[81:82], v[75:76]
	ds_read_b128 v[74:77], v74 offset:560
	s_waitcnt vmcnt(3) lgkmcnt(0)
	v_fma_f64 v[74:75], v[109:110], v[74:75], v[78:79]
	s_waitcnt vmcnt(2)
	v_fma_f64 v[74:75], v[107:108], v[76:77], v[74:75]
	s_waitcnt vmcnt(0)
	v_add_f64 v[74:75], v[113:114], -v[74:75]
	buffer_store_dword v75, off, s[0:3], 0 offset:12
	buffer_store_dword v74, off, s[0:3], 0 offset:8
	v_cmpx_ne_u32_e32 0, v0
	s_cbranch_execz .LBB35_225
; %bb.224:
	s_clause 0x1
	buffer_load_dword v74, off, s[0:3], 0
	buffer_load_dword v75, off, s[0:3], 0 offset:4
	v_mov_b32_e32 v0, 0
	buffer_store_dword v0, off, s[0:3], 0
	buffer_store_dword v0, off, s[0:3], 0 offset:4
	s_waitcnt vmcnt(0)
	ds_write_b64 v73, v[74:75]
.LBB35_225:
	s_or_b32 exec_lo, exec_lo, s4
	s_waitcnt lgkmcnt(0)
	s_waitcnt_vscnt null, 0x0
	s_barrier
	buffer_gl0_inv
	s_clause 0x1c
	buffer_load_dword v81, off, s[0:3], 0 offset:8
	buffer_load_dword v82, off, s[0:3], 0 offset:12
	;; [unrolled: 1-line block ×29, first 2 shown]
	v_mov_b32_e32 v0, 0
	buffer_load_dword v106, off, s[0:3], 0 offset:124
	s_and_b32 vcc_lo, exec_lo, s22
	ds_read2_b64 v[73:76], v0 offset0:37 offset1:38
	ds_read2_b64 v[77:80], v0 offset0:39 offset1:40
	s_waitcnt vmcnt(28) lgkmcnt(1)
	v_fma_f64 v[73:74], v[81:82], v[73:74], 0
	s_clause 0x7
	buffer_load_dword v82, off, s[0:3], 0 offset:132
	buffer_load_dword v111, off, s[0:3], 0 offset:152
	buffer_load_dword v113, off, s[0:3], 0 offset:144
	buffer_load_dword v115, off, s[0:3], 0 offset:136
	buffer_load_dword v81, off, s[0:3], 0 offset:128
	buffer_load_dword v116, off, s[0:3], 0 offset:140
	buffer_load_dword v114, off, s[0:3], 0 offset:148
	buffer_load_dword v112, off, s[0:3], 0 offset:156
	s_waitcnt vmcnt(34)
	v_fma_f64 v[73:74], v[83:84], v[75:76], v[73:74]
	s_waitcnt vmcnt(32) lgkmcnt(0)
	v_fma_f64 v[73:74], v[85:86], v[77:78], v[73:74]
	s_waitcnt vmcnt(30)
	v_fma_f64 v[83:84], v[87:88], v[79:80], v[73:74]
	ds_read2_b64 v[73:76], v0 offset0:41 offset1:42
	ds_read2_b64 v[77:80], v0 offset0:43 offset1:44
	s_waitcnt vmcnt(28) lgkmcnt(1)
	v_fma_f64 v[73:74], v[89:90], v[73:74], v[83:84]
	s_clause 0x7
	buffer_load_dword v84, off, s[0:3], 0 offset:164
	buffer_load_dword v85, off, s[0:3], 0 offset:184
	buffer_load_dword v87, off, s[0:3], 0 offset:176
	buffer_load_dword v89, off, s[0:3], 0 offset:168
	buffer_load_dword v83, off, s[0:3], 0 offset:160
	buffer_load_dword v90, off, s[0:3], 0 offset:172
	buffer_load_dword v88, off, s[0:3], 0 offset:180
	buffer_load_dword v86, off, s[0:3], 0 offset:188
	s_waitcnt vmcnt(34)
	v_fma_f64 v[73:74], v[91:92], v[75:76], v[73:74]
	s_waitcnt vmcnt(32) lgkmcnt(0)
	v_fma_f64 v[73:74], v[93:94], v[77:78], v[73:74]
	s_waitcnt vmcnt(27)
	v_fma_f64 v[91:92], v[95:96], v[79:80], v[73:74]
	;; [unrolled: 19-line block ×4, first 2 shown]
	ds_read2_b64 v[73:76], v0 offset0:53 offset1:54
	ds_read2_b64 v[77:80], v0 offset0:55 offset1:56
	s_waitcnt vmcnt(26) lgkmcnt(1)
	v_fma_f64 v[81:82], v[115:116], v[73:74], v[81:82]
	s_clause 0x6
	buffer_load_dword v106, off, s[0:3], 0 offset:260
	buffer_load_dword v107, off, s[0:3], 0 offset:280
	;; [unrolled: 1-line block ×7, first 2 shown]
	s_waitcnt vmcnt(32)
	v_fma_f64 v[74:75], v[113:114], v[75:76], v[81:82]
	s_waitcnt vmcnt(31) lgkmcnt(0)
	v_fma_f64 v[75:76], v[111:112], v[77:78], v[74:75]
	buffer_load_dword v74, off, s[0:3], 0 offset:276
	s_waitcnt vmcnt(27)
	v_fma_f64 v[83:84], v[83:84], v[79:80], v[75:76]
	ds_read2_b64 v[75:78], v0 offset0:57 offset1:58
	ds_read2_b64 v[79:82], v0 offset0:59 offset1:60
	s_waitcnt vmcnt(26) lgkmcnt(1)
	v_fma_f64 v[75:76], v[89:90], v[75:76], v[83:84]
	s_clause 0x1
	buffer_load_dword v83, off, s[0:3], 0
	buffer_load_dword v84, off, s[0:3], 0 offset:4
	s_waitcnt vmcnt(27)
	v_fma_f64 v[75:76], v[87:88], v[77:78], v[75:76]
	s_waitcnt vmcnt(26) lgkmcnt(0)
	v_fma_f64 v[75:76], v[85:86], v[79:80], v[75:76]
	s_waitcnt vmcnt(21)
	v_fma_f64 v[85:86], v[91:92], v[81:82], v[75:76]
	ds_read2_b64 v[75:78], v0 offset0:61 offset1:62
	ds_read2_b64 v[79:82], v0 offset0:63 offset1:64
	s_waitcnt vmcnt(20) lgkmcnt(1)
	v_fma_f64 v[75:76], v[101:102], v[75:76], v[85:86]
	s_waitcnt vmcnt(19)
	v_fma_f64 v[75:76], v[95:96], v[77:78], v[75:76]
	s_waitcnt vmcnt(18) lgkmcnt(0)
	v_fma_f64 v[75:76], v[93:94], v[79:80], v[75:76]
	s_waitcnt vmcnt(13)
	v_fma_f64 v[85:86], v[97:98], v[81:82], v[75:76]
	ds_read2_b64 v[75:78], v0 offset0:65 offset1:66
	ds_read2_b64 v[79:82], v0 offset0:67 offset1:68
	s_waitcnt vmcnt(12) lgkmcnt(1)
	v_fma_f64 v[75:76], v[109:110], v[75:76], v[85:86]
	s_waitcnt vmcnt(11)
	v_fma_f64 v[75:76], v[103:104], v[77:78], v[75:76]
	s_waitcnt vmcnt(10) lgkmcnt(0)
	v_fma_f64 v[75:76], v[99:100], v[79:80], v[75:76]
	s_waitcnt vmcnt(5)
	v_fma_f64 v[79:80], v[105:106], v[81:82], v[75:76]
	ds_read2_b64 v[75:78], v0 offset0:69 offset1:70
	ds_read_b64 v[81:82], v0 offset:568
	s_waitcnt vmcnt(4) lgkmcnt(1)
	v_fma_f64 v[75:76], v[115:116], v[75:76], v[79:80]
	s_waitcnt vmcnt(2)
	v_fma_f64 v[75:76], v[73:74], v[77:78], v[75:76]
	s_waitcnt lgkmcnt(0)
	v_fma_f64 v[75:76], v[107:108], v[81:82], v[75:76]
	s_waitcnt vmcnt(0)
	v_add_f64 v[75:76], v[83:84], -v[75:76]
	buffer_store_dword v76, off, s[0:3], 0 offset:4
	buffer_store_dword v75, off, s[0:3], 0
	s_cbranch_vccz .LBB35_296
; %bb.226:
	global_load_dword v0, v0, s[20:21] offset:136
	s_waitcnt vmcnt(0)
	v_add_nc_u32_e32 v0, -1, v0
	v_cmp_ne_u32_e32 vcc_lo, 34, v0
	s_cbranch_vccz .LBB35_228
; %bb.227:
	v_lshlrev_b32_e32 v0, 3, v0
	s_clause 0x1
	buffer_load_dword v75, v0, s[0:3], 0 offen offset:4
	buffer_load_dword v76, v0, s[0:3], 0 offen
	s_waitcnt vmcnt(1)
	buffer_store_dword v75, off, s[0:3], 0 offset:276
	s_waitcnt vmcnt(0)
	buffer_store_dword v76, off, s[0:3], 0 offset:272
	buffer_store_dword v74, v0, s[0:3], 0 offen offset:4
	buffer_store_dword v73, v0, s[0:3], 0 offen
.LBB35_228:
	v_mov_b32_e32 v0, 0
	global_load_dword v73, v0, s[20:21] offset:132
	s_waitcnt vmcnt(0)
	v_add_nc_u32_e32 v73, -1, v73
	v_cmp_eq_u32_e32 vcc_lo, 33, v73
	s_cbranch_vccnz .LBB35_230
; %bb.229:
	v_lshlrev_b32_e32 v73, 3, v73
	s_clause 0x3
	buffer_load_dword v74, v73, s[0:3], 0 offen
	buffer_load_dword v75, v73, s[0:3], 0 offen offset:4
	buffer_load_dword v76, off, s[0:3], 0 offset:264
	buffer_load_dword v77, off, s[0:3], 0 offset:268
	s_waitcnt vmcnt(3)
	buffer_store_dword v74, off, s[0:3], 0 offset:264
	s_waitcnt vmcnt(2)
	buffer_store_dword v75, off, s[0:3], 0 offset:268
	s_waitcnt vmcnt(1)
	buffer_store_dword v76, v73, s[0:3], 0 offen
	s_waitcnt vmcnt(0)
	buffer_store_dword v77, v73, s[0:3], 0 offen offset:4
.LBB35_230:
	global_load_dword v0, v0, s[20:21] offset:128
	s_waitcnt vmcnt(0)
	v_add_nc_u32_e32 v0, -1, v0
	v_cmp_eq_u32_e32 vcc_lo, 32, v0
	s_cbranch_vccnz .LBB35_232
; %bb.231:
	v_lshlrev_b32_e32 v0, 3, v0
	s_clause 0x3
	buffer_load_dword v73, v0, s[0:3], 0 offen
	buffer_load_dword v74, v0, s[0:3], 0 offen offset:4
	buffer_load_dword v75, off, s[0:3], 0 offset:260
	buffer_load_dword v76, off, s[0:3], 0 offset:256
	s_waitcnt vmcnt(3)
	buffer_store_dword v73, off, s[0:3], 0 offset:256
	s_waitcnt vmcnt(2)
	buffer_store_dword v74, off, s[0:3], 0 offset:260
	s_waitcnt vmcnt(1)
	buffer_store_dword v75, v0, s[0:3], 0 offen offset:4
	s_waitcnt vmcnt(0)
	buffer_store_dword v76, v0, s[0:3], 0 offen
.LBB35_232:
	v_mov_b32_e32 v0, 0
	global_load_dword v73, v0, s[20:21] offset:124
	s_waitcnt vmcnt(0)
	v_add_nc_u32_e32 v73, -1, v73
	v_cmp_eq_u32_e32 vcc_lo, 31, v73
	s_cbranch_vccnz .LBB35_234
; %bb.233:
	v_lshlrev_b32_e32 v73, 3, v73
	s_clause 0x3
	buffer_load_dword v74, v73, s[0:3], 0 offen
	buffer_load_dword v75, v73, s[0:3], 0 offen offset:4
	buffer_load_dword v76, off, s[0:3], 0 offset:248
	buffer_load_dword v77, off, s[0:3], 0 offset:252
	s_waitcnt vmcnt(3)
	buffer_store_dword v74, off, s[0:3], 0 offset:248
	s_waitcnt vmcnt(2)
	buffer_store_dword v75, off, s[0:3], 0 offset:252
	s_waitcnt vmcnt(1)
	buffer_store_dword v76, v73, s[0:3], 0 offen
	s_waitcnt vmcnt(0)
	buffer_store_dword v77, v73, s[0:3], 0 offen offset:4
.LBB35_234:
	global_load_dword v0, v0, s[20:21] offset:120
	s_waitcnt vmcnt(0)
	v_add_nc_u32_e32 v0, -1, v0
	v_cmp_eq_u32_e32 vcc_lo, 30, v0
	s_cbranch_vccnz .LBB35_236
; %bb.235:
	v_lshlrev_b32_e32 v0, 3, v0
	s_clause 0x3
	buffer_load_dword v73, v0, s[0:3], 0 offen
	buffer_load_dword v74, v0, s[0:3], 0 offen offset:4
	buffer_load_dword v75, off, s[0:3], 0 offset:244
	buffer_load_dword v76, off, s[0:3], 0 offset:240
	s_waitcnt vmcnt(3)
	buffer_store_dword v73, off, s[0:3], 0 offset:240
	s_waitcnt vmcnt(2)
	buffer_store_dword v74, off, s[0:3], 0 offset:244
	s_waitcnt vmcnt(1)
	buffer_store_dword v75, v0, s[0:3], 0 offen offset:4
	s_waitcnt vmcnt(0)
	buffer_store_dword v76, v0, s[0:3], 0 offen
.LBB35_236:
	;; [unrolled: 43-line block ×16, first 2 shown]
	v_mov_b32_e32 v0, 0
	global_load_dword v73, v0, s[20:21] offset:4
	s_waitcnt vmcnt(0)
	v_add_nc_u32_e32 v73, -1, v73
	v_cmp_eq_u32_e32 vcc_lo, 1, v73
	s_cbranch_vccnz .LBB35_294
; %bb.293:
	v_lshlrev_b32_e32 v73, 3, v73
	s_clause 0x3
	buffer_load_dword v74, v73, s[0:3], 0 offen
	buffer_load_dword v75, v73, s[0:3], 0 offen offset:4
	buffer_load_dword v76, off, s[0:3], 0 offset:8
	buffer_load_dword v77, off, s[0:3], 0 offset:12
	s_waitcnt vmcnt(3)
	buffer_store_dword v74, off, s[0:3], 0 offset:8
	s_waitcnt vmcnt(2)
	buffer_store_dword v75, off, s[0:3], 0 offset:12
	s_waitcnt vmcnt(1)
	buffer_store_dword v76, v73, s[0:3], 0 offen
	s_waitcnt vmcnt(0)
	buffer_store_dword v77, v73, s[0:3], 0 offen offset:4
.LBB35_294:
	global_load_dword v0, v0, s[20:21]
	s_clause 0x1
	buffer_load_dword v75, off, s[0:3], 0
	buffer_load_dword v76, off, s[0:3], 0 offset:4
	s_waitcnt vmcnt(2)
	v_add_nc_u32_e32 v0, -1, v0
	v_cmp_eq_u32_e32 vcc_lo, 0, v0
	s_cbranch_vccnz .LBB35_296
; %bb.295:
	v_lshlrev_b32_e32 v0, 3, v0
	s_clause 0x1
	buffer_load_dword v73, v0, s[0:3], 0 offen offset:4
	buffer_load_dword v74, v0, s[0:3], 0 offen
	s_waitcnt vmcnt(1)
	buffer_store_dword v73, off, s[0:3], 0 offset:4
	s_waitcnt vmcnt(0)
	buffer_store_dword v74, off, s[0:3], 0
	buffer_store_dword v76, v0, s[0:3], 0 offen offset:4
	buffer_store_dword v75, v0, s[0:3], 0 offen
	s_clause 0x1
	buffer_load_dword v75, off, s[0:3], 0
	buffer_load_dword v76, off, s[0:3], 0 offset:4
.LBB35_296:
	s_clause 0x7
	buffer_load_dword v73, off, s[0:3], 0 offset:8
	buffer_load_dword v74, off, s[0:3], 0 offset:12
	;; [unrolled: 1-line block ×8, first 2 shown]
	s_waitcnt vmcnt(8)
	global_store_dwordx2 v[71:72], v[75:76], off
	s_clause 0x27
	buffer_load_dword v71, off, s[0:3], 0 offset:40
	buffer_load_dword v72, off, s[0:3], 0 offset:44
	;; [unrolled: 1-line block ×40, first 2 shown]
	s_waitcnt vmcnt(46)
	global_store_dwordx2 v[25:26], v[73:74], off
	s_clause 0x7
	buffer_load_dword v25, off, s[0:3], 0 offset:200
	buffer_load_dword v26, off, s[0:3], 0 offset:204
	;; [unrolled: 1-line block ×8, first 2 shown]
	s_waitcnt vmcnt(52)
	global_store_dwordx2 v[9:10], v[77:78], off
	s_waitcnt vmcnt(50)
	global_store_dwordx2 v[13:14], v[79:80], off
	s_clause 0x7
	buffer_load_dword v9, off, s[0:3], 0 offset:232
	buffer_load_dword v10, off, s[0:3], 0 offset:236
	;; [unrolled: 1-line block ×8, first 2 shown]
	s_waitcnt vmcnt(56)
	global_store_dwordx2 v[5:6], v[81:82], off
	s_clause 0x5
	buffer_load_dword v5, off, s[0:3], 0 offset:264
	buffer_load_dword v6, off, s[0:3], 0 offset:268
	;; [unrolled: 1-line block ×6, first 2 shown]
	s_waitcnt vmcnt(60)
	global_store_dwordx2 v[1:2], v[71:72], off
	s_waitcnt vmcnt(58)
	global_store_dwordx2 v[3:4], v[75:76], off
	s_waitcnt vmcnt(56)
	global_store_dwordx2 v[7:8], v[83:84], off
	s_waitcnt vmcnt(54)
	global_store_dwordx2 v[11:12], v[85:86], off
	s_waitcnt vmcnt(52)
	global_store_dwordx2 v[15:16], v[87:88], off
	s_waitcnt vmcnt(50)
	global_store_dwordx2 v[17:18], v[89:90], off
	s_waitcnt vmcnt(48)
	global_store_dwordx2 v[19:20], v[91:92], off
	s_waitcnt vmcnt(46)
	global_store_dwordx2 v[21:22], v[93:94], off
	s_waitcnt vmcnt(44)
	global_store_dwordx2 v[23:24], v[95:96], off
	s_waitcnt vmcnt(42)
	global_store_dwordx2 v[27:28], v[97:98], off
	s_waitcnt vmcnt(40)
	global_store_dwordx2 v[29:30], v[99:100], off
	s_waitcnt vmcnt(38)
	global_store_dwordx2 v[31:32], v[101:102], off
	s_waitcnt vmcnt(36)
	global_store_dwordx2 v[33:34], v[103:104], off
	s_waitcnt vmcnt(34)
	global_store_dwordx2 v[35:36], v[105:106], off
	s_waitcnt vmcnt(32)
	global_store_dwordx2 v[37:38], v[107:108], off
	s_waitcnt vmcnt(30)
	global_store_dwordx2 v[39:40], v[109:110], off
	s_waitcnt vmcnt(28)
	global_store_dwordx2 v[41:42], v[111:112], off
	s_waitcnt vmcnt(26)
	global_store_dwordx2 v[43:44], v[113:114], off
	s_waitcnt vmcnt(24)
	global_store_dwordx2 v[45:46], v[115:116], off
	s_waitcnt vmcnt(22)
	global_store_dwordx2 v[47:48], v[117:118], off
	s_waitcnt vmcnt(20)
	global_store_dwordx2 v[49:50], v[25:26], off
	s_waitcnt vmcnt(18)
	global_store_dwordx2 v[51:52], v[73:74], off
	s_waitcnt vmcnt(16)
	global_store_dwordx2 v[53:54], v[119:120], off
	s_waitcnt vmcnt(14)
	global_store_dwordx2 v[55:56], v[121:122], off
	s_waitcnt vmcnt(12)
	global_store_dwordx2 v[57:58], v[9:10], off
	s_waitcnt vmcnt(10)
	global_store_dwordx2 v[59:60], v[13:14], off
	s_waitcnt vmcnt(8)
	global_store_dwordx2 v[61:62], v[77:78], off
	s_waitcnt vmcnt(6)
	global_store_dwordx2 v[63:64], v[79:80], off
	s_waitcnt vmcnt(4)
	global_store_dwordx2 v[65:66], v[5:6], off
	s_waitcnt vmcnt(2)
	global_store_dwordx2 v[69:70], v[81:82], off
	s_waitcnt vmcnt(0)
	global_store_dwordx2 v[67:68], v[123:124], off
	s_endpgm
	.section	.rodata,"a",@progbits
	.p2align	6, 0x0
	.amdhsa_kernel _ZN9rocsolver6v33100L18getri_kernel_smallILi36EdPdEEvT1_iilPiilS4_bb
		.amdhsa_group_segment_fixed_size 584
		.amdhsa_private_segment_fixed_size 304
		.amdhsa_kernarg_size 60
		.amdhsa_user_sgpr_count 6
		.amdhsa_user_sgpr_private_segment_buffer 1
		.amdhsa_user_sgpr_dispatch_ptr 0
		.amdhsa_user_sgpr_queue_ptr 0
		.amdhsa_user_sgpr_kernarg_segment_ptr 1
		.amdhsa_user_sgpr_dispatch_id 0
		.amdhsa_user_sgpr_flat_scratch_init 0
		.amdhsa_user_sgpr_private_segment_size 0
		.amdhsa_wavefront_size32 1
		.amdhsa_uses_dynamic_stack 0
		.amdhsa_system_sgpr_private_segment_wavefront_offset 1
		.amdhsa_system_sgpr_workgroup_id_x 1
		.amdhsa_system_sgpr_workgroup_id_y 0
		.amdhsa_system_sgpr_workgroup_id_z 0
		.amdhsa_system_sgpr_workgroup_info 0
		.amdhsa_system_vgpr_workitem_id 0
		.amdhsa_next_free_vgpr 125
		.amdhsa_next_free_sgpr 23
		.amdhsa_reserve_vcc 1
		.amdhsa_reserve_flat_scratch 0
		.amdhsa_float_round_mode_32 0
		.amdhsa_float_round_mode_16_64 0
		.amdhsa_float_denorm_mode_32 3
		.amdhsa_float_denorm_mode_16_64 3
		.amdhsa_dx10_clamp 1
		.amdhsa_ieee_mode 1
		.amdhsa_fp16_overflow 0
		.amdhsa_workgroup_processor_mode 1
		.amdhsa_memory_ordered 1
		.amdhsa_forward_progress 1
		.amdhsa_shared_vgpr_count 0
		.amdhsa_exception_fp_ieee_invalid_op 0
		.amdhsa_exception_fp_denorm_src 0
		.amdhsa_exception_fp_ieee_div_zero 0
		.amdhsa_exception_fp_ieee_overflow 0
		.amdhsa_exception_fp_ieee_underflow 0
		.amdhsa_exception_fp_ieee_inexact 0
		.amdhsa_exception_int_div_zero 0
	.end_amdhsa_kernel
	.section	.text._ZN9rocsolver6v33100L18getri_kernel_smallILi36EdPdEEvT1_iilPiilS4_bb,"axG",@progbits,_ZN9rocsolver6v33100L18getri_kernel_smallILi36EdPdEEvT1_iilPiilS4_bb,comdat
.Lfunc_end35:
	.size	_ZN9rocsolver6v33100L18getri_kernel_smallILi36EdPdEEvT1_iilPiilS4_bb, .Lfunc_end35-_ZN9rocsolver6v33100L18getri_kernel_smallILi36EdPdEEvT1_iilPiilS4_bb
                                        ; -- End function
	.set _ZN9rocsolver6v33100L18getri_kernel_smallILi36EdPdEEvT1_iilPiilS4_bb.num_vgpr, 125
	.set _ZN9rocsolver6v33100L18getri_kernel_smallILi36EdPdEEvT1_iilPiilS4_bb.num_agpr, 0
	.set _ZN9rocsolver6v33100L18getri_kernel_smallILi36EdPdEEvT1_iilPiilS4_bb.numbered_sgpr, 23
	.set _ZN9rocsolver6v33100L18getri_kernel_smallILi36EdPdEEvT1_iilPiilS4_bb.num_named_barrier, 0
	.set _ZN9rocsolver6v33100L18getri_kernel_smallILi36EdPdEEvT1_iilPiilS4_bb.private_seg_size, 304
	.set _ZN9rocsolver6v33100L18getri_kernel_smallILi36EdPdEEvT1_iilPiilS4_bb.uses_vcc, 1
	.set _ZN9rocsolver6v33100L18getri_kernel_smallILi36EdPdEEvT1_iilPiilS4_bb.uses_flat_scratch, 0
	.set _ZN9rocsolver6v33100L18getri_kernel_smallILi36EdPdEEvT1_iilPiilS4_bb.has_dyn_sized_stack, 0
	.set _ZN9rocsolver6v33100L18getri_kernel_smallILi36EdPdEEvT1_iilPiilS4_bb.has_recursion, 0
	.set _ZN9rocsolver6v33100L18getri_kernel_smallILi36EdPdEEvT1_iilPiilS4_bb.has_indirect_call, 0
	.section	.AMDGPU.csdata,"",@progbits
; Kernel info:
; codeLenInByte = 40812
; TotalNumSgprs: 25
; NumVgprs: 125
; ScratchSize: 304
; MemoryBound: 1
; FloatMode: 240
; IeeeMode: 1
; LDSByteSize: 584 bytes/workgroup (compile time only)
; SGPRBlocks: 0
; VGPRBlocks: 15
; NumSGPRsForWavesPerEU: 25
; NumVGPRsForWavesPerEU: 125
; Occupancy: 8
; WaveLimiterHint : 1
; COMPUTE_PGM_RSRC2:SCRATCH_EN: 1
; COMPUTE_PGM_RSRC2:USER_SGPR: 6
; COMPUTE_PGM_RSRC2:TRAP_HANDLER: 0
; COMPUTE_PGM_RSRC2:TGID_X_EN: 1
; COMPUTE_PGM_RSRC2:TGID_Y_EN: 0
; COMPUTE_PGM_RSRC2:TGID_Z_EN: 0
; COMPUTE_PGM_RSRC2:TIDIG_COMP_CNT: 0
	.section	.text._ZN9rocsolver6v33100L18getri_kernel_smallILi37EdPdEEvT1_iilPiilS4_bb,"axG",@progbits,_ZN9rocsolver6v33100L18getri_kernel_smallILi37EdPdEEvT1_iilPiilS4_bb,comdat
	.globl	_ZN9rocsolver6v33100L18getri_kernel_smallILi37EdPdEEvT1_iilPiilS4_bb ; -- Begin function _ZN9rocsolver6v33100L18getri_kernel_smallILi37EdPdEEvT1_iilPiilS4_bb
	.p2align	8
	.type	_ZN9rocsolver6v33100L18getri_kernel_smallILi37EdPdEEvT1_iilPiilS4_bb,@function
_ZN9rocsolver6v33100L18getri_kernel_smallILi37EdPdEEvT1_iilPiilS4_bb: ; @_ZN9rocsolver6v33100L18getri_kernel_smallILi37EdPdEEvT1_iilPiilS4_bb
; %bb.0:
	s_add_u32 s0, s0, s7
	s_addc_u32 s1, s1, 0
	s_mov_b32 s7, exec_lo
	v_cmpx_gt_u32_e32 37, v0
	s_cbranch_execz .LBB36_158
; %bb.1:
	s_clause 0x2
	s_load_dword s7, s[4:5], 0x38
	s_load_dwordx4 s[16:19], s[4:5], 0x10
	s_load_dwordx4 s[8:11], s[4:5], 0x28
                                        ; implicit-def: $sgpr20_sgpr21
	s_waitcnt lgkmcnt(0)
	s_bitcmp1_b32 s7, 8
	s_cselect_b32 s22, -1, 0
	s_bfe_u32 s12, s7, 0x10008
	s_ashr_i32 s7, s6, 31
	s_cmp_eq_u32 s12, 0
	s_cbranch_scc1 .LBB36_3
; %bb.2:
	s_load_dword s12, s[4:5], 0x20
	s_mul_i32 s13, s8, s7
	s_mul_hi_u32 s14, s8, s6
	s_mul_i32 s9, s9, s6
	s_add_i32 s13, s14, s13
	s_mul_i32 s8, s8, s6
	s_add_i32 s9, s13, s9
	s_lshl_b64 s[8:9], s[8:9], 2
	s_waitcnt lgkmcnt(0)
	s_ashr_i32 s13, s12, 31
	s_add_u32 s14, s18, s8
	s_addc_u32 s15, s19, s9
	s_lshl_b64 s[8:9], s[12:13], 2
	s_add_u32 s20, s14, s8
	s_addc_u32 s21, s15, s9
.LBB36_3:
	s_clause 0x1
	s_load_dwordx4 s[12:15], s[4:5], 0x0
	s_load_dword s8, s[4:5], 0x38
	s_mul_i32 s4, s16, s7
	s_mul_hi_u32 s5, s16, s6
	s_mul_i32 s9, s17, s6
	s_add_i32 s5, s5, s4
	s_mul_i32 s4, s16, s6
	s_add_i32 s5, s5, s9
	v_lshlrev_b32_e32 v77, 3, v0
	s_lshl_b64 s[4:5], s[4:5], 3
	s_waitcnt lgkmcnt(0)
	v_add3_u32 v1, s15, s15, v0
	s_ashr_i32 s17, s14, 31
	s_mov_b32 s16, s14
	s_add_u32 s9, s12, s4
	s_addc_u32 s12, s13, s5
	v_add_nc_u32_e32 v3, s15, v1
	v_ashrrev_i32_e32 v2, 31, v1
	s_lshl_b64 s[4:5], s[16:17], 3
	s_add_u32 s4, s9, s4
	v_add_nc_u32_e32 v5, s15, v3
	v_ashrrev_i32_e32 v4, 31, v3
	v_lshlrev_b64 v[1:2], 3, v[1:2]
	s_addc_u32 s5, s12, s5
	v_add_co_u32 v73, s9, s4, v77
	v_add_nc_u32_e32 v7, s15, v5
	v_ashrrev_i32_e32 v6, 31, v5
	v_lshlrev_b64 v[3:4], 3, v[3:4]
	v_add_co_u32 v11, vcc_lo, s4, v1
	v_add_nc_u32_e32 v9, s15, v7
	v_add_co_ci_u32_e64 v12, null, s5, v2, vcc_lo
	v_lshlrev_b64 v[1:2], 3, v[5:6]
	v_ashrrev_i32_e32 v8, 31, v7
	v_add_co_u32 v15, vcc_lo, s4, v3
	v_ashrrev_i32_e32 v10, 31, v9
	v_add_nc_u32_e32 v13, s15, v9
	v_add_co_ci_u32_e64 v16, null, s5, v4, vcc_lo
	v_lshlrev_b64 v[3:4], 3, v[7:8]
	v_add_co_u32 v5, vcc_lo, s4, v1
	v_add_co_ci_u32_e64 v6, null, s5, v2, vcc_lo
	v_lshlrev_b64 v[1:2], 3, v[9:10]
	v_ashrrev_i32_e32 v14, 31, v13
	v_add_nc_u32_e32 v9, s15, v13
	v_add_co_u32 v7, vcc_lo, s4, v3
	v_add_co_ci_u32_e64 v8, null, s5, v4, vcc_lo
	v_lshlrev_b64 v[3:4], 3, v[13:14]
	v_add_nc_u32_e32 v13, s15, v9
	v_ashrrev_i32_e32 v10, 31, v9
	v_add_co_u32 v1, vcc_lo, s4, v1
	s_mov_b32 s12, s15
	v_add_nc_u32_e32 v17, s15, v13
	v_ashrrev_i32_e32 v14, 31, v13
	v_lshlrev_b64 v[9:10], 3, v[9:10]
	s_ashr_i32 s13, s15, 31
	v_add_co_ci_u32_e64 v74, null, s5, 0, s9
	v_add_nc_u32_e32 v19, s15, v17
	v_ashrrev_i32_e32 v18, 31, v17
	v_add_co_ci_u32_e64 v2, null, s5, v2, vcc_lo
	v_add_co_u32 v3, vcc_lo, s4, v3
	v_add_nc_u32_e32 v23, s15, v19
	v_ashrrev_i32_e32 v20, 31, v19
	v_lshlrev_b64 v[13:14], 3, v[13:14]
	s_lshl_b64 s[12:13], s[12:13], 3
	v_add_co_ci_u32_e64 v4, null, s5, v4, vcc_lo
	v_ashrrev_i32_e32 v24, 31, v23
	v_add_co_u32 v33, vcc_lo, v73, s12
	v_lshlrev_b64 v[17:18], 3, v[17:18]
	v_add_co_ci_u32_e64 v34, null, s13, v74, vcc_lo
	v_add_co_u32 v9, vcc_lo, s4, v9
	v_lshlrev_b64 v[19:20], 3, v[19:20]
	v_add_co_ci_u32_e64 v10, null, s5, v10, vcc_lo
	;; [unrolled: 3-line block ×3, first 2 shown]
	v_add_co_u32 v17, vcc_lo, s4, v17
	v_add_co_ci_u32_e64 v18, null, s5, v18, vcc_lo
	v_add_co_u32 v19, vcc_lo, s4, v19
	v_add_co_ci_u32_e64 v20, null, s5, v20, vcc_lo
	v_add_co_u32 v21, vcc_lo, s4, v21
	s_clause 0x4
	global_load_dwordx2 v[75:76], v77, s[4:5]
	global_load_dwordx2 v[78:79], v[33:34], off
	global_load_dwordx2 v[80:81], v[11:12], off
	;; [unrolled: 1-line block ×4, first 2 shown]
	v_add_co_ci_u32_e64 v22, null, s5, v22, vcc_lo
	s_clause 0x7
	global_load_dwordx2 v[86:87], v[7:8], off
	global_load_dwordx2 v[88:89], v[1:2], off
	;; [unrolled: 1-line block ×8, first 2 shown]
	v_add_nc_u32_e32 v23, s15, v23
	s_bitcmp0_b32 s8, 0
	v_add_nc_u32_e32 v25, s15, v23
	v_ashrrev_i32_e32 v24, 31, v23
	v_add_nc_u32_e32 v27, s15, v25
	v_ashrrev_i32_e32 v26, 31, v25
	v_lshlrev_b64 v[23:24], 3, v[23:24]
	v_add_nc_u32_e32 v29, s15, v27
	v_ashrrev_i32_e32 v28, 31, v27
	v_lshlrev_b64 v[25:26], 3, v[25:26]
	v_add_co_u32 v23, vcc_lo, s4, v23
	v_add_nc_u32_e32 v31, s15, v29
	v_ashrrev_i32_e32 v30, 31, v29
	v_lshlrev_b64 v[27:28], 3, v[27:28]
	v_add_co_ci_u32_e64 v24, null, s5, v24, vcc_lo
	v_add_nc_u32_e32 v35, s15, v31
	v_ashrrev_i32_e32 v32, 31, v31
	v_lshlrev_b64 v[29:30], 3, v[29:30]
	v_add_co_u32 v25, vcc_lo, s4, v25
	v_add_nc_u32_e32 v37, s15, v35
	v_ashrrev_i32_e32 v36, 31, v35
	v_lshlrev_b64 v[31:32], 3, v[31:32]
	v_add_co_ci_u32_e64 v26, null, s5, v26, vcc_lo
	v_add_nc_u32_e32 v39, s15, v37
	v_ashrrev_i32_e32 v38, 31, v37
	v_add_co_u32 v27, vcc_lo, s4, v27
	v_lshlrev_b64 v[35:36], 3, v[35:36]
	v_add_nc_u32_e32 v41, s15, v39
	v_ashrrev_i32_e32 v40, 31, v39
	v_add_co_ci_u32_e64 v28, null, s5, v28, vcc_lo
	v_add_co_u32 v29, vcc_lo, s4, v29
	v_add_nc_u32_e32 v43, s15, v41
	v_ashrrev_i32_e32 v42, 31, v41
	v_lshlrev_b64 v[37:38], 3, v[37:38]
	v_add_co_ci_u32_e64 v30, null, s5, v30, vcc_lo
	v_add_nc_u32_e32 v45, s15, v43
	v_ashrrev_i32_e32 v44, 31, v43
	v_add_co_u32 v31, vcc_lo, s4, v31
	v_lshlrev_b64 v[39:40], 3, v[39:40]
	v_add_nc_u32_e32 v47, s15, v45
	v_ashrrev_i32_e32 v46, 31, v45
	v_add_co_ci_u32_e64 v32, null, s5, v32, vcc_lo
	v_add_co_u32 v35, vcc_lo, s4, v35
	v_add_nc_u32_e32 v49, s15, v47
	v_lshlrev_b64 v[41:42], 3, v[41:42]
	v_ashrrev_i32_e32 v48, 31, v47
	v_add_co_ci_u32_e64 v36, null, s5, v36, vcc_lo
	v_add_nc_u32_e32 v51, s15, v49
	v_add_co_u32 v37, vcc_lo, s4, v37
	v_lshlrev_b64 v[43:44], 3, v[43:44]
	v_ashrrev_i32_e32 v50, 31, v49
	v_add_nc_u32_e32 v53, s15, v51
	v_add_co_ci_u32_e64 v38, null, s5, v38, vcc_lo
	v_add_co_u32 v39, vcc_lo, s4, v39
	v_add_nc_u32_e32 v55, s15, v53
	v_lshlrev_b64 v[45:46], 3, v[45:46]
	v_ashrrev_i32_e32 v52, 31, v51
	v_add_co_ci_u32_e64 v40, null, s5, v40, vcc_lo
	v_add_nc_u32_e32 v57, s15, v55
	v_add_co_u32 v41, vcc_lo, s4, v41
	v_lshlrev_b64 v[47:48], 3, v[47:48]
	v_ashrrev_i32_e32 v54, 31, v53
	v_add_nc_u32_e32 v59, s15, v57
	;; [unrolled: 11-line block ×3, first 2 shown]
	v_add_co_ci_u32_e64 v46, null, s5, v46, vcc_lo
	v_add_co_u32 v47, vcc_lo, s4, v47
	v_add_nc_u32_e32 v67, s15, v65
	v_lshlrev_b64 v[53:54], 3, v[53:54]
	v_ashrrev_i32_e32 v60, 31, v59
	v_add_co_ci_u32_e64 v48, null, s5, v48, vcc_lo
	v_add_co_u32 v49, vcc_lo, s4, v49
	v_lshlrev_b64 v[55:56], 3, v[55:56]
	v_ashrrev_i32_e32 v62, 31, v61
	v_add_nc_u32_e32 v69, s15, v67
	v_add_co_ci_u32_e64 v50, null, s5, v50, vcc_lo
	v_add_co_u32 v51, vcc_lo, s4, v51
	v_lshlrev_b64 v[57:58], 3, v[57:58]
	v_ashrrev_i32_e32 v64, 31, v63
	v_add_co_ci_u32_e64 v52, null, s5, v52, vcc_lo
	v_add_co_u32 v53, vcc_lo, s4, v53
	v_lshlrev_b64 v[59:60], 3, v[59:60]
	v_ashrrev_i32_e32 v66, 31, v65
	v_add_co_ci_u32_e64 v54, null, s5, v54, vcc_lo
	v_add_co_u32 v55, vcc_lo, s4, v55
	v_lshlrev_b64 v[61:62], 3, v[61:62]
	v_add_nc_u32_e32 v71, s15, v69
	v_ashrrev_i32_e32 v68, 31, v67
	v_add_co_ci_u32_e64 v56, null, s5, v56, vcc_lo
	v_add_co_u32 v57, vcc_lo, s4, v57
	v_lshlrev_b64 v[63:64], 3, v[63:64]
	v_ashrrev_i32_e32 v70, 31, v69
	v_add_co_ci_u32_e64 v58, null, s5, v58, vcc_lo
	v_add_co_u32 v59, vcc_lo, s4, v59
	v_lshlrev_b64 v[65:66], 3, v[65:66]
	;; [unrolled: 4-line block ×3, first 2 shown]
	v_add_co_ci_u32_e64 v62, null, s5, v62, vcc_lo
	v_add_co_u32 v63, vcc_lo, s4, v63
	v_lshlrev_b64 v[69:70], 3, v[69:70]
	v_add_co_ci_u32_e64 v64, null, s5, v64, vcc_lo
	v_add_co_u32 v65, vcc_lo, s4, v65
	v_lshlrev_b64 v[118:119], 3, v[71:72]
	v_add_co_ci_u32_e64 v66, null, s5, v66, vcc_lo
	v_add_co_u32 v67, vcc_lo, s4, v67
	v_add_co_ci_u32_e64 v68, null, s5, v68, vcc_lo
	v_add_co_u32 v71, vcc_lo, s4, v69
	;; [unrolled: 2-line block ×3, first 2 shown]
	s_clause 0x7
	global_load_dwordx2 v[102:103], v[23:24], off
	global_load_dwordx2 v[104:105], v[25:26], off
	;; [unrolled: 1-line block ×8, first 2 shown]
	v_add_co_ci_u32_e64 v70, null, s5, v119, vcc_lo
	s_mov_b32 s5, -1
	s_waitcnt vmcnt(20)
	buffer_store_dword v76, off, s[0:3], 0 offset:4
	buffer_store_dword v75, off, s[0:3], 0
	s_clause 0x3
	global_load_dwordx2 v[75:76], v[41:42], off
	global_load_dwordx2 v[118:119], v[43:44], off
	;; [unrolled: 1-line block ×4, first 2 shown]
	s_waitcnt vmcnt(23)
	buffer_store_dword v79, off, s[0:3], 0 offset:12
	buffer_store_dword v78, off, s[0:3], 0 offset:8
	s_waitcnt vmcnt(22)
	buffer_store_dword v81, off, s[0:3], 0 offset:20
	buffer_store_dword v80, off, s[0:3], 0 offset:16
	;; [unrolled: 3-line block ×4, first 2 shown]
	s_clause 0x3
	global_load_dwordx2 v[78:79], v[49:50], off
	global_load_dwordx2 v[80:81], v[51:52], off
	;; [unrolled: 1-line block ×4, first 2 shown]
	s_waitcnt vmcnt(23)
	buffer_store_dword v87, off, s[0:3], 0 offset:44
	buffer_store_dword v86, off, s[0:3], 0 offset:40
	s_waitcnt vmcnt(22)
	buffer_store_dword v89, off, s[0:3], 0 offset:52
	buffer_store_dword v88, off, s[0:3], 0 offset:48
	;; [unrolled: 3-line block ×4, first 2 shown]
	s_clause 0x3
	global_load_dwordx2 v[86:87], v[57:58], off
	global_load_dwordx2 v[88:89], v[59:60], off
	;; [unrolled: 1-line block ×4, first 2 shown]
	s_waitcnt vmcnt(23)
	buffer_store_dword v94, off, s[0:3], 0 offset:72
	buffer_store_dword v95, off, s[0:3], 0 offset:76
	global_load_dwordx2 v[94:95], v[65:66], off
	s_waitcnt vmcnt(23)
	buffer_store_dword v96, off, s[0:3], 0 offset:80
	buffer_store_dword v97, off, s[0:3], 0 offset:84
	s_waitcnt vmcnt(22)
	buffer_store_dword v98, off, s[0:3], 0 offset:88
	buffer_store_dword v99, off, s[0:3], 0 offset:92
	s_clause 0x1
	global_load_dwordx2 v[96:97], v[67:68], off
	global_load_dwordx2 v[98:99], v[71:72], off
	s_waitcnt vmcnt(23)
	buffer_store_dword v100, off, s[0:3], 0 offset:96
	buffer_store_dword v101, off, s[0:3], 0 offset:100
	global_load_dwordx2 v[100:101], v[69:70], off
	s_waitcnt vmcnt(23)
	buffer_store_dword v102, off, s[0:3], 0 offset:104
	buffer_store_dword v103, off, s[0:3], 0 offset:108
	s_waitcnt vmcnt(22)
	buffer_store_dword v105, off, s[0:3], 0 offset:116
	buffer_store_dword v104, off, s[0:3], 0 offset:112
	;; [unrolled: 3-line block ×24, first 2 shown]
	s_cbranch_scc1 .LBB36_156
; %bb.4:
	v_cmp_eq_u32_e64 s4, 0, v0
	s_and_saveexec_b32 s5, s4
; %bb.5:
	v_mov_b32_e32 v75, 0
	ds_write_b32 v75, v75 offset:296
; %bb.6:
	s_or_b32 exec_lo, exec_lo, s5
	v_lshl_add_u32 v75, v0, 3, 0
	s_waitcnt lgkmcnt(0)
	s_waitcnt_vscnt null, 0x0
	s_barrier
	buffer_gl0_inv
	s_mov_b32 s8, exec_lo
	s_clause 0x1
	buffer_load_dword v78, v75, s[0:3], 0 offen
	buffer_load_dword v79, v75, s[0:3], 0 offen offset:4
	s_waitcnt vmcnt(0)
	v_cmpx_eq_f64_e32 0, v[78:79]
	s_cbranch_execz .LBB36_10
; %bb.7:
	v_mov_b32_e32 v76, 0
	s_mov_b32 s9, 0
	ds_read_b32 v78, v76 offset:296
	s_waitcnt lgkmcnt(0)
	v_readfirstlane_b32 s5, v78
	v_add_nc_u32_e32 v78, 1, v0
	s_cmp_eq_u32 s5, 0
	v_cmp_gt_i32_e32 vcc_lo, s5, v78
	s_cselect_b32 s12, -1, 0
	s_or_b32 s12, s12, vcc_lo
	s_and_b32 exec_lo, exec_lo, s12
	s_cbranch_execz .LBB36_10
; %bb.8:
	v_mov_b32_e32 v79, s5
.LBB36_9:                               ; =>This Inner Loop Header: Depth=1
	ds_cmpst_rtn_b32 v79, v76, v79, v78 offset:296
	s_waitcnt lgkmcnt(0)
	v_cmp_ne_u32_e32 vcc_lo, 0, v79
	v_cmp_le_i32_e64 s5, v79, v78
	s_and_b32 s5, vcc_lo, s5
	s_and_b32 s5, exec_lo, s5
	s_or_b32 s9, s5, s9
	s_andn2_b32 exec_lo, exec_lo, s9
	s_cbranch_execnz .LBB36_9
.LBB36_10:
	s_or_b32 exec_lo, exec_lo, s8
	v_mov_b32_e32 v76, 0
	s_barrier
	buffer_gl0_inv
	ds_read_b32 v78, v76 offset:296
	s_and_saveexec_b32 s5, s4
	s_cbranch_execz .LBB36_12
; %bb.11:
	s_lshl_b64 s[8:9], s[6:7], 2
	s_add_u32 s8, s10, s8
	s_addc_u32 s9, s11, s9
	s_waitcnt lgkmcnt(0)
	global_store_dword v76, v78, s[8:9]
.LBB36_12:
	s_or_b32 exec_lo, exec_lo, s5
	s_waitcnt lgkmcnt(0)
	v_cmp_ne_u32_e32 vcc_lo, 0, v78
	s_mov_b32 s5, 0
	s_cbranch_vccnz .LBB36_156
; %bb.13:
	s_clause 0x1
	buffer_load_dword v78, v75, s[0:3], 0 offen
	buffer_load_dword v79, v75, s[0:3], 0 offen offset:4
	s_waitcnt vmcnt(0)
	v_div_scale_f64 v[80:81], null, v[78:79], v[78:79], 1.0
	v_div_scale_f64 v[86:87], vcc_lo, 1.0, v[78:79], 1.0
	v_rcp_f64_e32 v[82:83], v[80:81]
	v_fma_f64 v[84:85], -v[80:81], v[82:83], 1.0
	v_fma_f64 v[82:83], v[82:83], v[84:85], v[82:83]
	v_fma_f64 v[84:85], -v[80:81], v[82:83], 1.0
	v_fma_f64 v[82:83], v[82:83], v[84:85], v[82:83]
	v_mul_f64 v[84:85], v[86:87], v[82:83]
	v_fma_f64 v[80:81], -v[80:81], v[84:85], v[86:87]
	v_div_fmas_f64 v[80:81], v[80:81], v[82:83], v[84:85]
	v_div_fixup_f64 v[79:80], v[80:81], v[78:79], 1.0
	v_add_nc_u32_e32 v78, 0x130, v77
	buffer_store_dword v80, v75, s[0:3], 0 offen offset:4
	buffer_store_dword v79, v75, s[0:3], 0 offen
	s_clause 0x1
	buffer_load_dword v82, off, s[0:3], 0 offset:12
	buffer_load_dword v81, off, s[0:3], 0 offset:8
	v_xor_b32_e32 v80, 0x80000000, v80
	s_waitcnt vmcnt(0)
	ds_write2_b64 v77, v[79:80], v[81:82] offset1:38
	s_waitcnt lgkmcnt(0)
	s_waitcnt_vscnt null, 0x0
	s_barrier
	buffer_gl0_inv
	s_and_saveexec_b32 s5, s4
	s_cbranch_execz .LBB36_15
; %bb.14:
	s_clause 0x1
	buffer_load_dword v79, v75, s[0:3], 0 offen
	buffer_load_dword v80, v75, s[0:3], 0 offen offset:4
	ds_read_b64 v[81:82], v78
	v_mov_b32_e32 v76, 0
	ds_read_b64 v[83:84], v76 offset:8
	s_waitcnt vmcnt(0) lgkmcnt(1)
	v_fma_f64 v[79:80], v[79:80], v[81:82], 0
	s_waitcnt lgkmcnt(0)
	v_mul_f64 v[79:80], v[79:80], v[83:84]
	buffer_store_dword v79, off, s[0:3], 0 offset:8
	buffer_store_dword v80, off, s[0:3], 0 offset:12
.LBB36_15:
	s_or_b32 exec_lo, exec_lo, s5
	s_waitcnt_vscnt null, 0x0
	s_barrier
	buffer_gl0_inv
	s_clause 0x1
	buffer_load_dword v79, off, s[0:3], 0 offset:16
	buffer_load_dword v80, off, s[0:3], 0 offset:20
	s_mov_b32 s5, exec_lo
	s_waitcnt vmcnt(0)
	ds_write_b64 v78, v[79:80]
	s_waitcnt lgkmcnt(0)
	s_barrier
	buffer_gl0_inv
	v_cmpx_gt_u32_e32 2, v0
	s_cbranch_execz .LBB36_19
; %bb.16:
	s_clause 0x1
	buffer_load_dword v79, v75, s[0:3], 0 offen
	buffer_load_dword v80, v75, s[0:3], 0 offen offset:4
	ds_read_b64 v[75:76], v78
	s_waitcnt vmcnt(0) lgkmcnt(0)
	v_fma_f64 v[75:76], v[79:80], v[75:76], 0
	s_and_saveexec_b32 s8, s4
	s_cbranch_execz .LBB36_18
; %bb.17:
	s_clause 0x1
	buffer_load_dword v79, off, s[0:3], 0 offset:8
	buffer_load_dword v80, off, s[0:3], 0 offset:12
	v_mov_b32_e32 v81, 0
	ds_read_b64 v[81:82], v81 offset:312
	s_waitcnt vmcnt(0) lgkmcnt(0)
	v_fma_f64 v[75:76], v[79:80], v[81:82], v[75:76]
.LBB36_18:
	s_or_b32 exec_lo, exec_lo, s8
	v_mov_b32_e32 v79, 0
	ds_read_b64 v[79:80], v79 offset:16
	s_waitcnt lgkmcnt(0)
	v_mul_f64 v[75:76], v[75:76], v[79:80]
	buffer_store_dword v76, off, s[0:3], 0 offset:20
	buffer_store_dword v75, off, s[0:3], 0 offset:16
.LBB36_19:
	s_or_b32 exec_lo, exec_lo, s5
	s_waitcnt_vscnt null, 0x0
	s_barrier
	buffer_gl0_inv
	s_clause 0x1
	buffer_load_dword v75, off, s[0:3], 0 offset:24
	buffer_load_dword v76, off, s[0:3], 0 offset:28
	v_add_nc_u32_e32 v79, -1, v0
	s_mov_b32 s4, exec_lo
	s_waitcnt vmcnt(0)
	ds_write_b64 v78, v[75:76]
	s_waitcnt lgkmcnt(0)
	s_barrier
	buffer_gl0_inv
	v_cmpx_gt_u32_e32 3, v0
	s_cbranch_execz .LBB36_23
; %bb.20:
	v_mov_b32_e32 v75, 0
	v_add_nc_u32_e32 v80, -1, v0
	v_add_nc_u32_e32 v81, 0x130, v77
	v_mov_b32_e32 v76, 0
	v_mov_b32_e32 v82, v77
	s_mov_b32 s5, 0
.LBB36_21:                              ; =>This Inner Loop Header: Depth=1
	s_clause 0x1
	buffer_load_dword v83, v82, s[0:3], 0 offen
	buffer_load_dword v84, v82, s[0:3], 0 offen offset:4
	ds_read_b64 v[85:86], v81
	v_add_nc_u32_e32 v80, 1, v80
	v_add_nc_u32_e32 v81, 8, v81
	v_add_nc_u32_e32 v82, 8, v82
	v_cmp_lt_u32_e32 vcc_lo, 1, v80
	s_or_b32 s5, vcc_lo, s5
	s_waitcnt vmcnt(0) lgkmcnt(0)
	v_fma_f64 v[75:76], v[83:84], v[85:86], v[75:76]
	s_andn2_b32 exec_lo, exec_lo, s5
	s_cbranch_execnz .LBB36_21
; %bb.22:
	s_or_b32 exec_lo, exec_lo, s5
	v_mov_b32_e32 v80, 0
	ds_read_b64 v[80:81], v80 offset:24
	s_waitcnt lgkmcnt(0)
	v_mul_f64 v[75:76], v[75:76], v[80:81]
	buffer_store_dword v76, off, s[0:3], 0 offset:28
	buffer_store_dword v75, off, s[0:3], 0 offset:24
.LBB36_23:
	s_or_b32 exec_lo, exec_lo, s4
	s_waitcnt_vscnt null, 0x0
	s_barrier
	buffer_gl0_inv
	s_clause 0x1
	buffer_load_dword v75, off, s[0:3], 0 offset:32
	buffer_load_dword v76, off, s[0:3], 0 offset:36
	s_mov_b32 s4, exec_lo
	s_waitcnt vmcnt(0)
	ds_write_b64 v78, v[75:76]
	s_waitcnt lgkmcnt(0)
	s_barrier
	buffer_gl0_inv
	v_cmpx_gt_u32_e32 4, v0
	s_cbranch_execz .LBB36_27
; %bb.24:
	v_mov_b32_e32 v75, 0
	v_add_nc_u32_e32 v80, -1, v0
	v_add_nc_u32_e32 v81, 0x130, v77
	v_mov_b32_e32 v76, 0
	v_mov_b32_e32 v82, v77
	s_mov_b32 s5, 0
.LBB36_25:                              ; =>This Inner Loop Header: Depth=1
	s_clause 0x1
	buffer_load_dword v83, v82, s[0:3], 0 offen
	buffer_load_dword v84, v82, s[0:3], 0 offen offset:4
	ds_read_b64 v[85:86], v81
	v_add_nc_u32_e32 v80, 1, v80
	v_add_nc_u32_e32 v81, 8, v81
	v_add_nc_u32_e32 v82, 8, v82
	v_cmp_lt_u32_e32 vcc_lo, 2, v80
	s_or_b32 s5, vcc_lo, s5
	s_waitcnt vmcnt(0) lgkmcnt(0)
	v_fma_f64 v[75:76], v[83:84], v[85:86], v[75:76]
	s_andn2_b32 exec_lo, exec_lo, s5
	s_cbranch_execnz .LBB36_25
; %bb.26:
	s_or_b32 exec_lo, exec_lo, s5
	v_mov_b32_e32 v80, 0
	ds_read_b64 v[80:81], v80 offset:32
	s_waitcnt lgkmcnt(0)
	v_mul_f64 v[75:76], v[75:76], v[80:81]
	buffer_store_dword v76, off, s[0:3], 0 offset:36
	buffer_store_dword v75, off, s[0:3], 0 offset:32
.LBB36_27:
	s_or_b32 exec_lo, exec_lo, s4
	s_waitcnt_vscnt null, 0x0
	s_barrier
	buffer_gl0_inv
	s_clause 0x1
	buffer_load_dword v75, off, s[0:3], 0 offset:40
	buffer_load_dword v76, off, s[0:3], 0 offset:44
	;; [unrolled: 45-line block ×20, first 2 shown]
	s_mov_b32 s4, exec_lo
	s_waitcnt vmcnt(0)
	ds_write_b64 v78, v[75:76]
	s_waitcnt lgkmcnt(0)
	s_barrier
	buffer_gl0_inv
	v_cmpx_gt_u32_e32 23, v0
	s_cbranch_execz .LBB36_103
; %bb.100:
	v_mov_b32_e32 v75, 0
	v_add_nc_u32_e32 v80, -1, v0
	v_add_nc_u32_e32 v81, 0x130, v77
	v_mov_b32_e32 v76, 0
	v_mov_b32_e32 v82, v77
	s_mov_b32 s5, 0
.LBB36_101:                             ; =>This Inner Loop Header: Depth=1
	s_clause 0x1
	buffer_load_dword v83, v82, s[0:3], 0 offen
	buffer_load_dword v84, v82, s[0:3], 0 offen offset:4
	ds_read_b64 v[85:86], v81
	v_add_nc_u32_e32 v80, 1, v80
	v_add_nc_u32_e32 v81, 8, v81
	v_add_nc_u32_e32 v82, 8, v82
	v_cmp_lt_u32_e32 vcc_lo, 21, v80
	s_or_b32 s5, vcc_lo, s5
	s_waitcnt vmcnt(0) lgkmcnt(0)
	v_fma_f64 v[75:76], v[83:84], v[85:86], v[75:76]
	s_andn2_b32 exec_lo, exec_lo, s5
	s_cbranch_execnz .LBB36_101
; %bb.102:
	s_or_b32 exec_lo, exec_lo, s5
	v_mov_b32_e32 v80, 0
	ds_read_b64 v[80:81], v80 offset:184
	s_waitcnt lgkmcnt(0)
	v_mul_f64 v[75:76], v[75:76], v[80:81]
	buffer_store_dword v76, off, s[0:3], 0 offset:188
	buffer_store_dword v75, off, s[0:3], 0 offset:184
.LBB36_103:
	s_or_b32 exec_lo, exec_lo, s4
	s_waitcnt_vscnt null, 0x0
	s_barrier
	buffer_gl0_inv
	s_clause 0x1
	buffer_load_dword v75, off, s[0:3], 0 offset:192
	buffer_load_dword v76, off, s[0:3], 0 offset:196
	s_mov_b32 s4, exec_lo
	s_waitcnt vmcnt(0)
	ds_write_b64 v78, v[75:76]
	s_waitcnt lgkmcnt(0)
	s_barrier
	buffer_gl0_inv
	v_cmpx_gt_u32_e32 24, v0
	s_cbranch_execz .LBB36_107
; %bb.104:
	v_mov_b32_e32 v75, 0
	v_add_nc_u32_e32 v80, -1, v0
	v_add_nc_u32_e32 v81, 0x130, v77
	v_mov_b32_e32 v76, 0
	v_mov_b32_e32 v82, v77
	s_mov_b32 s5, 0
.LBB36_105:                             ; =>This Inner Loop Header: Depth=1
	s_clause 0x1
	buffer_load_dword v83, v82, s[0:3], 0 offen
	buffer_load_dword v84, v82, s[0:3], 0 offen offset:4
	ds_read_b64 v[85:86], v81
	v_add_nc_u32_e32 v80, 1, v80
	v_add_nc_u32_e32 v81, 8, v81
	v_add_nc_u32_e32 v82, 8, v82
	v_cmp_lt_u32_e32 vcc_lo, 22, v80
	s_or_b32 s5, vcc_lo, s5
	s_waitcnt vmcnt(0) lgkmcnt(0)
	v_fma_f64 v[75:76], v[83:84], v[85:86], v[75:76]
	s_andn2_b32 exec_lo, exec_lo, s5
	s_cbranch_execnz .LBB36_105
; %bb.106:
	s_or_b32 exec_lo, exec_lo, s5
	v_mov_b32_e32 v80, 0
	ds_read_b64 v[80:81], v80 offset:192
	s_waitcnt lgkmcnt(0)
	v_mul_f64 v[75:76], v[75:76], v[80:81]
	buffer_store_dword v76, off, s[0:3], 0 offset:196
	buffer_store_dword v75, off, s[0:3], 0 offset:192
.LBB36_107:
	s_or_b32 exec_lo, exec_lo, s4
	s_waitcnt_vscnt null, 0x0
	s_barrier
	buffer_gl0_inv
	s_clause 0x1
	buffer_load_dword v75, off, s[0:3], 0 offset:200
	buffer_load_dword v76, off, s[0:3], 0 offset:204
	;; [unrolled: 45-line block ×13, first 2 shown]
	s_mov_b32 s4, exec_lo
	s_waitcnt vmcnt(0)
	ds_write_b64 v78, v[75:76]
	s_waitcnt lgkmcnt(0)
	s_barrier
	buffer_gl0_inv
	v_cmpx_ne_u32_e32 36, v0
	s_cbranch_execz .LBB36_155
; %bb.152:
	v_mov_b32_e32 v75, 0
	v_mov_b32_e32 v76, 0
	s_mov_b32 s5, 0
.LBB36_153:                             ; =>This Inner Loop Header: Depth=1
	s_clause 0x1
	buffer_load_dword v80, v77, s[0:3], 0 offen
	buffer_load_dword v81, v77, s[0:3], 0 offen offset:4
	ds_read_b64 v[82:83], v78
	v_add_nc_u32_e32 v79, 1, v79
	v_add_nc_u32_e32 v78, 8, v78
	;; [unrolled: 1-line block ×3, first 2 shown]
	v_cmp_lt_u32_e32 vcc_lo, 34, v79
	s_or_b32 s5, vcc_lo, s5
	s_waitcnt vmcnt(0) lgkmcnt(0)
	v_fma_f64 v[75:76], v[80:81], v[82:83], v[75:76]
	s_andn2_b32 exec_lo, exec_lo, s5
	s_cbranch_execnz .LBB36_153
; %bb.154:
	s_or_b32 exec_lo, exec_lo, s5
	v_mov_b32_e32 v77, 0
	ds_read_b64 v[77:78], v77 offset:288
	s_waitcnt lgkmcnt(0)
	v_mul_f64 v[75:76], v[75:76], v[77:78]
	buffer_store_dword v76, off, s[0:3], 0 offset:292
	buffer_store_dword v75, off, s[0:3], 0 offset:288
.LBB36_155:
	s_or_b32 exec_lo, exec_lo, s4
	s_mov_b32 s5, -1
	s_waitcnt_vscnt null, 0x0
	s_barrier
	buffer_gl0_inv
.LBB36_156:
	s_and_b32 vcc_lo, exec_lo, s5
	s_cbranch_vccz .LBB36_158
; %bb.157:
	s_lshl_b64 s[4:5], s[6:7], 2
	v_mov_b32_e32 v75, 0
	s_add_u32 s4, s10, s4
	s_addc_u32 s5, s11, s5
	global_load_dword v75, v75, s[4:5]
	s_waitcnt vmcnt(0)
	v_cmp_ne_u32_e32 vcc_lo, 0, v75
	s_cbranch_vccz .LBB36_159
.LBB36_158:
	s_endpgm
.LBB36_159:
	v_lshl_add_u32 v75, v0, 3, 0x130
	s_mov_b32 s4, exec_lo
	v_cmpx_eq_u32_e32 36, v0
	s_cbranch_execz .LBB36_161
; %bb.160:
	s_clause 0x1
	buffer_load_dword v76, off, s[0:3], 0 offset:280
	buffer_load_dword v77, off, s[0:3], 0 offset:284
	v_mov_b32_e32 v78, 0
	buffer_store_dword v78, off, s[0:3], 0 offset:280
	buffer_store_dword v78, off, s[0:3], 0 offset:284
	s_waitcnt vmcnt(0)
	ds_write_b64 v75, v[76:77]
.LBB36_161:
	s_or_b32 exec_lo, exec_lo, s4
	s_waitcnt lgkmcnt(0)
	s_waitcnt_vscnt null, 0x0
	s_barrier
	buffer_gl0_inv
	s_clause 0x3
	buffer_load_dword v77, off, s[0:3], 0 offset:288
	buffer_load_dword v78, off, s[0:3], 0 offset:292
	;; [unrolled: 1-line block ×4, first 2 shown]
	v_mov_b32_e32 v76, 0
	s_mov_b32 s4, exec_lo
	ds_read_b64 v[81:82], v76 offset:592
	s_waitcnt vmcnt(2) lgkmcnt(0)
	v_fma_f64 v[77:78], v[77:78], v[81:82], 0
	s_waitcnt vmcnt(0)
	v_add_f64 v[77:78], v[79:80], -v[77:78]
	buffer_store_dword v77, off, s[0:3], 0 offset:280
	buffer_store_dword v78, off, s[0:3], 0 offset:284
	v_cmpx_lt_u32_e32 34, v0
	s_cbranch_execz .LBB36_163
; %bb.162:
	s_clause 0x1
	buffer_load_dword v77, off, s[0:3], 0 offset:272
	buffer_load_dword v78, off, s[0:3], 0 offset:276
	buffer_store_dword v76, off, s[0:3], 0 offset:272
	buffer_store_dword v76, off, s[0:3], 0 offset:276
	s_waitcnt vmcnt(0)
	ds_write_b64 v75, v[77:78]
.LBB36_163:
	s_or_b32 exec_lo, exec_lo, s4
	s_waitcnt lgkmcnt(0)
	s_waitcnt_vscnt null, 0x0
	s_barrier
	buffer_gl0_inv
	s_clause 0x5
	buffer_load_dword v80, off, s[0:3], 0 offset:280
	buffer_load_dword v81, off, s[0:3], 0 offset:284
	;; [unrolled: 1-line block ×6, first 2 shown]
	ds_read2_b64 v[76:79], v76 offset0:73 offset1:74
	s_mov_b32 s4, exec_lo
	s_waitcnt vmcnt(4) lgkmcnt(0)
	v_fma_f64 v[76:77], v[80:81], v[76:77], 0
	s_waitcnt vmcnt(2)
	v_fma_f64 v[76:77], v[82:83], v[78:79], v[76:77]
	s_waitcnt vmcnt(0)
	v_add_f64 v[76:77], v[84:85], -v[76:77]
	buffer_store_dword v76, off, s[0:3], 0 offset:272
	buffer_store_dword v77, off, s[0:3], 0 offset:276
	v_cmpx_lt_u32_e32 33, v0
	s_cbranch_execz .LBB36_165
; %bb.164:
	s_clause 0x1
	buffer_load_dword v76, off, s[0:3], 0 offset:264
	buffer_load_dword v77, off, s[0:3], 0 offset:268
	v_mov_b32_e32 v78, 0
	buffer_store_dword v78, off, s[0:3], 0 offset:264
	buffer_store_dword v78, off, s[0:3], 0 offset:268
	s_waitcnt vmcnt(0)
	ds_write_b64 v75, v[76:77]
.LBB36_165:
	s_or_b32 exec_lo, exec_lo, s4
	s_waitcnt lgkmcnt(0)
	s_waitcnt_vscnt null, 0x0
	s_barrier
	buffer_gl0_inv
	s_clause 0x7
	buffer_load_dword v81, off, s[0:3], 0 offset:272
	buffer_load_dword v82, off, s[0:3], 0 offset:276
	;; [unrolled: 1-line block ×8, first 2 shown]
	v_mov_b32_e32 v76, 0
	ds_read_b128 v[77:80], v76 offset:576
	ds_read_b64 v[89:90], v76 offset:592
	s_mov_b32 s4, exec_lo
	s_waitcnt vmcnt(6) lgkmcnt(1)
	v_fma_f64 v[77:78], v[81:82], v[77:78], 0
	s_waitcnt vmcnt(4)
	v_fma_f64 v[77:78], v[83:84], v[79:80], v[77:78]
	s_waitcnt vmcnt(2) lgkmcnt(0)
	v_fma_f64 v[77:78], v[85:86], v[89:90], v[77:78]
	s_waitcnt vmcnt(0)
	v_add_f64 v[77:78], v[87:88], -v[77:78]
	buffer_store_dword v77, off, s[0:3], 0 offset:264
	buffer_store_dword v78, off, s[0:3], 0 offset:268
	v_cmpx_lt_u32_e32 32, v0
	s_cbranch_execz .LBB36_167
; %bb.166:
	s_clause 0x1
	buffer_load_dword v77, off, s[0:3], 0 offset:256
	buffer_load_dword v78, off, s[0:3], 0 offset:260
	buffer_store_dword v76, off, s[0:3], 0 offset:256
	buffer_store_dword v76, off, s[0:3], 0 offset:260
	s_waitcnt vmcnt(0)
	ds_write_b64 v75, v[77:78]
.LBB36_167:
	s_or_b32 exec_lo, exec_lo, s4
	s_waitcnt lgkmcnt(0)
	s_waitcnt_vscnt null, 0x0
	s_barrier
	buffer_gl0_inv
	s_clause 0x9
	buffer_load_dword v85, off, s[0:3], 0 offset:264
	buffer_load_dword v86, off, s[0:3], 0 offset:268
	;; [unrolled: 1-line block ×10, first 2 shown]
	ds_read2_b64 v[77:80], v76 offset0:71 offset1:72
	ds_read2_b64 v[81:84], v76 offset0:73 offset1:74
	s_mov_b32 s4, exec_lo
	s_waitcnt vmcnt(8) lgkmcnt(1)
	v_fma_f64 v[76:77], v[85:86], v[77:78], 0
	s_waitcnt vmcnt(6)
	v_fma_f64 v[76:77], v[87:88], v[79:80], v[76:77]
	s_waitcnt vmcnt(4) lgkmcnt(0)
	v_fma_f64 v[76:77], v[89:90], v[81:82], v[76:77]
	s_waitcnt vmcnt(2)
	v_fma_f64 v[76:77], v[91:92], v[83:84], v[76:77]
	s_waitcnt vmcnt(0)
	v_add_f64 v[76:77], v[93:94], -v[76:77]
	buffer_store_dword v76, off, s[0:3], 0 offset:256
	buffer_store_dword v77, off, s[0:3], 0 offset:260
	v_cmpx_lt_u32_e32 31, v0
	s_cbranch_execz .LBB36_169
; %bb.168:
	s_clause 0x1
	buffer_load_dword v76, off, s[0:3], 0 offset:248
	buffer_load_dword v77, off, s[0:3], 0 offset:252
	v_mov_b32_e32 v78, 0
	buffer_store_dword v78, off, s[0:3], 0 offset:248
	buffer_store_dword v78, off, s[0:3], 0 offset:252
	s_waitcnt vmcnt(0)
	ds_write_b64 v75, v[76:77]
.LBB36_169:
	s_or_b32 exec_lo, exec_lo, s4
	s_waitcnt lgkmcnt(0)
	s_waitcnt_vscnt null, 0x0
	s_barrier
	buffer_gl0_inv
	s_clause 0xb
	buffer_load_dword v85, off, s[0:3], 0 offset:256
	buffer_load_dword v86, off, s[0:3], 0 offset:260
	;; [unrolled: 1-line block ×12, first 2 shown]
	v_mov_b32_e32 v76, 0
	ds_read_b128 v[77:80], v76 offset:560
	ds_read_b128 v[81:84], v76 offset:576
	s_mov_b32 s4, exec_lo
	s_waitcnt vmcnt(10) lgkmcnt(1)
	v_fma_f64 v[77:78], v[85:86], v[77:78], 0
	s_waitcnt vmcnt(8)
	v_fma_f64 v[77:78], v[87:88], v[79:80], v[77:78]
	ds_read_b64 v[79:80], v76 offset:592
	s_waitcnt vmcnt(6) lgkmcnt(1)
	v_fma_f64 v[77:78], v[89:90], v[81:82], v[77:78]
	s_waitcnt vmcnt(4)
	v_fma_f64 v[77:78], v[91:92], v[83:84], v[77:78]
	s_waitcnt vmcnt(2) lgkmcnt(0)
	v_fma_f64 v[77:78], v[93:94], v[79:80], v[77:78]
	s_waitcnt vmcnt(0)
	v_add_f64 v[77:78], v[95:96], -v[77:78]
	buffer_store_dword v77, off, s[0:3], 0 offset:248
	buffer_store_dword v78, off, s[0:3], 0 offset:252
	v_cmpx_lt_u32_e32 30, v0
	s_cbranch_execz .LBB36_171
; %bb.170:
	s_clause 0x1
	buffer_load_dword v77, off, s[0:3], 0 offset:240
	buffer_load_dword v78, off, s[0:3], 0 offset:244
	buffer_store_dword v76, off, s[0:3], 0 offset:240
	buffer_store_dword v76, off, s[0:3], 0 offset:244
	s_waitcnt vmcnt(0)
	ds_write_b64 v75, v[77:78]
.LBB36_171:
	s_or_b32 exec_lo, exec_lo, s4
	s_waitcnt lgkmcnt(0)
	s_waitcnt_vscnt null, 0x0
	s_barrier
	buffer_gl0_inv
	s_clause 0xd
	buffer_load_dword v85, off, s[0:3], 0 offset:248
	buffer_load_dword v86, off, s[0:3], 0 offset:252
	buffer_load_dword v87, off, s[0:3], 0 offset:256
	buffer_load_dword v88, off, s[0:3], 0 offset:260
	buffer_load_dword v89, off, s[0:3], 0 offset:264
	buffer_load_dword v90, off, s[0:3], 0 offset:268
	buffer_load_dword v91, off, s[0:3], 0 offset:272
	buffer_load_dword v92, off, s[0:3], 0 offset:276
	buffer_load_dword v93, off, s[0:3], 0 offset:280
	buffer_load_dword v94, off, s[0:3], 0 offset:284
	buffer_load_dword v95, off, s[0:3], 0 offset:288
	buffer_load_dword v96, off, s[0:3], 0 offset:292
	buffer_load_dword v97, off, s[0:3], 0 offset:240
	buffer_load_dword v98, off, s[0:3], 0 offset:244
	ds_read2_b64 v[77:80], v76 offset0:69 offset1:70
	ds_read2_b64 v[81:84], v76 offset0:71 offset1:72
	s_mov_b32 s4, exec_lo
	s_waitcnt vmcnt(12) lgkmcnt(1)
	v_fma_f64 v[77:78], v[85:86], v[77:78], 0
	s_waitcnt vmcnt(10)
	v_fma_f64 v[77:78], v[87:88], v[79:80], v[77:78]
	s_waitcnt vmcnt(8) lgkmcnt(0)
	v_fma_f64 v[77:78], v[89:90], v[81:82], v[77:78]
	s_waitcnt vmcnt(6)
	v_fma_f64 v[80:81], v[91:92], v[83:84], v[77:78]
	ds_read2_b64 v[76:79], v76 offset0:73 offset1:74
	s_waitcnt vmcnt(4) lgkmcnt(0)
	v_fma_f64 v[76:77], v[93:94], v[76:77], v[80:81]
	s_waitcnt vmcnt(2)
	v_fma_f64 v[76:77], v[95:96], v[78:79], v[76:77]
	s_waitcnt vmcnt(0)
	v_add_f64 v[76:77], v[97:98], -v[76:77]
	buffer_store_dword v76, off, s[0:3], 0 offset:240
	buffer_store_dword v77, off, s[0:3], 0 offset:244
	v_cmpx_lt_u32_e32 29, v0
	s_cbranch_execz .LBB36_173
; %bb.172:
	s_clause 0x1
	buffer_load_dword v76, off, s[0:3], 0 offset:232
	buffer_load_dword v77, off, s[0:3], 0 offset:236
	v_mov_b32_e32 v78, 0
	buffer_store_dword v78, off, s[0:3], 0 offset:232
	buffer_store_dword v78, off, s[0:3], 0 offset:236
	s_waitcnt vmcnt(0)
	ds_write_b64 v75, v[76:77]
.LBB36_173:
	s_or_b32 exec_lo, exec_lo, s4
	s_waitcnt lgkmcnt(0)
	s_waitcnt_vscnt null, 0x0
	s_barrier
	buffer_gl0_inv
	s_clause 0xf
	buffer_load_dword v85, off, s[0:3], 0 offset:240
	buffer_load_dword v86, off, s[0:3], 0 offset:244
	buffer_load_dword v87, off, s[0:3], 0 offset:248
	buffer_load_dword v88, off, s[0:3], 0 offset:252
	buffer_load_dword v89, off, s[0:3], 0 offset:256
	buffer_load_dword v90, off, s[0:3], 0 offset:260
	buffer_load_dword v91, off, s[0:3], 0 offset:264
	buffer_load_dword v92, off, s[0:3], 0 offset:268
	buffer_load_dword v93, off, s[0:3], 0 offset:272
	buffer_load_dword v94, off, s[0:3], 0 offset:276
	buffer_load_dword v95, off, s[0:3], 0 offset:280
	buffer_load_dword v96, off, s[0:3], 0 offset:284
	buffer_load_dword v97, off, s[0:3], 0 offset:288
	buffer_load_dword v98, off, s[0:3], 0 offset:292
	buffer_load_dword v99, off, s[0:3], 0 offset:232
	buffer_load_dword v100, off, s[0:3], 0 offset:236
	v_mov_b32_e32 v76, 0
	ds_read_b128 v[77:80], v76 offset:544
	ds_read_b128 v[81:84], v76 offset:560
	s_mov_b32 s4, exec_lo
	s_waitcnt vmcnt(14) lgkmcnt(1)
	v_fma_f64 v[77:78], v[85:86], v[77:78], 0
	s_waitcnt vmcnt(12)
	v_fma_f64 v[77:78], v[87:88], v[79:80], v[77:78]
	s_waitcnt vmcnt(10) lgkmcnt(0)
	v_fma_f64 v[77:78], v[89:90], v[81:82], v[77:78]
	s_waitcnt vmcnt(8)
	v_fma_f64 v[81:82], v[91:92], v[83:84], v[77:78]
	ds_read_b128 v[77:80], v76 offset:576
	ds_read_b64 v[83:84], v76 offset:592
	s_waitcnt vmcnt(6) lgkmcnt(1)
	v_fma_f64 v[77:78], v[93:94], v[77:78], v[81:82]
	s_waitcnt vmcnt(4)
	v_fma_f64 v[77:78], v[95:96], v[79:80], v[77:78]
	s_waitcnt vmcnt(2) lgkmcnt(0)
	v_fma_f64 v[77:78], v[97:98], v[83:84], v[77:78]
	s_waitcnt vmcnt(0)
	v_add_f64 v[77:78], v[99:100], -v[77:78]
	buffer_store_dword v77, off, s[0:3], 0 offset:232
	buffer_store_dword v78, off, s[0:3], 0 offset:236
	v_cmpx_lt_u32_e32 28, v0
	s_cbranch_execz .LBB36_175
; %bb.174:
	s_clause 0x1
	buffer_load_dword v77, off, s[0:3], 0 offset:224
	buffer_load_dword v78, off, s[0:3], 0 offset:228
	buffer_store_dword v76, off, s[0:3], 0 offset:224
	buffer_store_dword v76, off, s[0:3], 0 offset:228
	s_waitcnt vmcnt(0)
	ds_write_b64 v75, v[77:78]
.LBB36_175:
	s_or_b32 exec_lo, exec_lo, s4
	s_waitcnt lgkmcnt(0)
	s_waitcnt_vscnt null, 0x0
	s_barrier
	buffer_gl0_inv
	s_clause 0x11
	buffer_load_dword v85, off, s[0:3], 0 offset:232
	buffer_load_dword v86, off, s[0:3], 0 offset:236
	;; [unrolled: 1-line block ×18, first 2 shown]
	ds_read2_b64 v[77:80], v76 offset0:67 offset1:68
	ds_read2_b64 v[81:84], v76 offset0:69 offset1:70
	s_mov_b32 s4, exec_lo
	s_waitcnt vmcnt(16) lgkmcnt(1)
	v_fma_f64 v[77:78], v[85:86], v[77:78], 0
	s_waitcnt vmcnt(14)
	v_fma_f64 v[77:78], v[87:88], v[79:80], v[77:78]
	s_waitcnt vmcnt(12) lgkmcnt(0)
	v_fma_f64 v[77:78], v[89:90], v[81:82], v[77:78]
	s_waitcnt vmcnt(10)
	v_fma_f64 v[85:86], v[91:92], v[83:84], v[77:78]
	ds_read2_b64 v[77:80], v76 offset0:71 offset1:72
	ds_read2_b64 v[81:84], v76 offset0:73 offset1:74
	s_waitcnt vmcnt(8) lgkmcnt(1)
	v_fma_f64 v[76:77], v[93:94], v[77:78], v[85:86]
	s_waitcnt vmcnt(6)
	v_fma_f64 v[76:77], v[95:96], v[79:80], v[76:77]
	s_waitcnt vmcnt(4) lgkmcnt(0)
	v_fma_f64 v[76:77], v[97:98], v[81:82], v[76:77]
	s_waitcnt vmcnt(2)
	v_fma_f64 v[76:77], v[99:100], v[83:84], v[76:77]
	s_waitcnt vmcnt(0)
	v_add_f64 v[76:77], v[101:102], -v[76:77]
	buffer_store_dword v76, off, s[0:3], 0 offset:224
	buffer_store_dword v77, off, s[0:3], 0 offset:228
	v_cmpx_lt_u32_e32 27, v0
	s_cbranch_execz .LBB36_177
; %bb.176:
	s_clause 0x1
	buffer_load_dword v76, off, s[0:3], 0 offset:216
	buffer_load_dword v77, off, s[0:3], 0 offset:220
	v_mov_b32_e32 v78, 0
	buffer_store_dword v78, off, s[0:3], 0 offset:216
	buffer_store_dword v78, off, s[0:3], 0 offset:220
	s_waitcnt vmcnt(0)
	ds_write_b64 v75, v[76:77]
.LBB36_177:
	s_or_b32 exec_lo, exec_lo, s4
	s_waitcnt lgkmcnt(0)
	s_waitcnt_vscnt null, 0x0
	s_barrier
	buffer_gl0_inv
	s_clause 0x13
	buffer_load_dword v85, off, s[0:3], 0 offset:224
	buffer_load_dword v86, off, s[0:3], 0 offset:228
	;; [unrolled: 1-line block ×20, first 2 shown]
	v_mov_b32_e32 v76, 0
	ds_read_b128 v[77:80], v76 offset:528
	ds_read_b128 v[81:84], v76 offset:544
	s_mov_b32 s4, exec_lo
	s_waitcnt vmcnt(18) lgkmcnt(1)
	v_fma_f64 v[77:78], v[85:86], v[77:78], 0
	s_waitcnt vmcnt(16)
	v_fma_f64 v[77:78], v[87:88], v[79:80], v[77:78]
	s_waitcnt vmcnt(14) lgkmcnt(0)
	v_fma_f64 v[77:78], v[89:90], v[81:82], v[77:78]
	s_waitcnt vmcnt(12)
	v_fma_f64 v[85:86], v[91:92], v[83:84], v[77:78]
	ds_read_b128 v[77:80], v76 offset:560
	ds_read_b128 v[81:84], v76 offset:576
	s_waitcnt vmcnt(10) lgkmcnt(1)
	v_fma_f64 v[77:78], v[93:94], v[77:78], v[85:86]
	s_waitcnt vmcnt(8)
	v_fma_f64 v[77:78], v[95:96], v[79:80], v[77:78]
	ds_read_b64 v[79:80], v76 offset:592
	s_waitcnt vmcnt(6) lgkmcnt(1)
	v_fma_f64 v[77:78], v[97:98], v[81:82], v[77:78]
	s_waitcnt vmcnt(3)
	v_fma_f64 v[77:78], v[99:100], v[83:84], v[77:78]
	s_waitcnt vmcnt(2) lgkmcnt(0)
	v_fma_f64 v[77:78], v[101:102], v[79:80], v[77:78]
	s_waitcnt vmcnt(0)
	v_add_f64 v[77:78], v[103:104], -v[77:78]
	buffer_store_dword v77, off, s[0:3], 0 offset:216
	buffer_store_dword v78, off, s[0:3], 0 offset:220
	v_cmpx_lt_u32_e32 26, v0
	s_cbranch_execz .LBB36_179
; %bb.178:
	s_clause 0x1
	buffer_load_dword v77, off, s[0:3], 0 offset:208
	buffer_load_dword v78, off, s[0:3], 0 offset:212
	buffer_store_dword v76, off, s[0:3], 0 offset:208
	buffer_store_dword v76, off, s[0:3], 0 offset:212
	s_waitcnt vmcnt(0)
	ds_write_b64 v75, v[77:78]
.LBB36_179:
	s_or_b32 exec_lo, exec_lo, s4
	s_waitcnt lgkmcnt(0)
	s_waitcnt_vscnt null, 0x0
	s_barrier
	buffer_gl0_inv
	s_clause 0x15
	buffer_load_dword v85, off, s[0:3], 0 offset:216
	buffer_load_dword v86, off, s[0:3], 0 offset:220
	;; [unrolled: 1-line block ×22, first 2 shown]
	ds_read2_b64 v[77:80], v76 offset0:65 offset1:66
	ds_read2_b64 v[81:84], v76 offset0:67 offset1:68
	s_mov_b32 s4, exec_lo
	s_waitcnt vmcnt(20) lgkmcnt(1)
	v_fma_f64 v[77:78], v[85:86], v[77:78], 0
	s_waitcnt vmcnt(18)
	v_fma_f64 v[77:78], v[87:88], v[79:80], v[77:78]
	s_waitcnt vmcnt(16) lgkmcnt(0)
	v_fma_f64 v[77:78], v[89:90], v[81:82], v[77:78]
	s_waitcnt vmcnt(14)
	v_fma_f64 v[85:86], v[91:92], v[83:84], v[77:78]
	ds_read2_b64 v[77:80], v76 offset0:69 offset1:70
	ds_read2_b64 v[81:84], v76 offset0:71 offset1:72
	s_waitcnt vmcnt(12) lgkmcnt(1)
	v_fma_f64 v[77:78], v[93:94], v[77:78], v[85:86]
	s_waitcnt vmcnt(10)
	v_fma_f64 v[77:78], v[95:96], v[79:80], v[77:78]
	s_waitcnt vmcnt(8) lgkmcnt(0)
	v_fma_f64 v[77:78], v[97:98], v[81:82], v[77:78]
	s_waitcnt vmcnt(4)
	v_fma_f64 v[80:81], v[99:100], v[83:84], v[77:78]
	ds_read2_b64 v[76:79], v76 offset0:73 offset1:74
	s_waitcnt vmcnt(3) lgkmcnt(0)
	v_fma_f64 v[76:77], v[103:104], v[76:77], v[80:81]
	s_waitcnt vmcnt(2)
	v_fma_f64 v[76:77], v[101:102], v[78:79], v[76:77]
	s_waitcnt vmcnt(0)
	v_add_f64 v[76:77], v[105:106], -v[76:77]
	buffer_store_dword v76, off, s[0:3], 0 offset:208
	buffer_store_dword v77, off, s[0:3], 0 offset:212
	v_cmpx_lt_u32_e32 25, v0
	s_cbranch_execz .LBB36_181
; %bb.180:
	s_clause 0x1
	buffer_load_dword v76, off, s[0:3], 0 offset:200
	buffer_load_dword v77, off, s[0:3], 0 offset:204
	v_mov_b32_e32 v78, 0
	buffer_store_dword v78, off, s[0:3], 0 offset:200
	buffer_store_dword v78, off, s[0:3], 0 offset:204
	s_waitcnt vmcnt(0)
	ds_write_b64 v75, v[76:77]
.LBB36_181:
	s_or_b32 exec_lo, exec_lo, s4
	s_waitcnt lgkmcnt(0)
	s_waitcnt_vscnt null, 0x0
	s_barrier
	buffer_gl0_inv
	s_clause 0x17
	buffer_load_dword v85, off, s[0:3], 0 offset:208
	buffer_load_dword v86, off, s[0:3], 0 offset:212
	;; [unrolled: 1-line block ×24, first 2 shown]
	v_mov_b32_e32 v76, 0
	ds_read_b128 v[77:80], v76 offset:512
	ds_read_b128 v[81:84], v76 offset:528
	s_mov_b32 s4, exec_lo
	s_waitcnt vmcnt(22) lgkmcnt(1)
	v_fma_f64 v[77:78], v[85:86], v[77:78], 0
	s_waitcnt vmcnt(20)
	v_fma_f64 v[77:78], v[87:88], v[79:80], v[77:78]
	s_waitcnt vmcnt(18) lgkmcnt(0)
	v_fma_f64 v[77:78], v[89:90], v[81:82], v[77:78]
	s_waitcnt vmcnt(16)
	v_fma_f64 v[85:86], v[91:92], v[83:84], v[77:78]
	ds_read_b128 v[77:80], v76 offset:544
	ds_read_b128 v[81:84], v76 offset:560
	s_waitcnt vmcnt(14) lgkmcnt(1)
	v_fma_f64 v[77:78], v[93:94], v[77:78], v[85:86]
	s_waitcnt vmcnt(12)
	v_fma_f64 v[77:78], v[95:96], v[79:80], v[77:78]
	s_waitcnt vmcnt(10) lgkmcnt(0)
	v_fma_f64 v[77:78], v[97:98], v[81:82], v[77:78]
	s_waitcnt vmcnt(5)
	v_fma_f64 v[81:82], v[99:100], v[83:84], v[77:78]
	ds_read_b128 v[77:80], v76 offset:576
	ds_read_b64 v[83:84], v76 offset:592
	s_waitcnt vmcnt(4) lgkmcnt(1)
	v_fma_f64 v[77:78], v[105:106], v[77:78], v[81:82]
	s_waitcnt vmcnt(3)
	v_fma_f64 v[77:78], v[103:104], v[79:80], v[77:78]
	s_waitcnt vmcnt(2) lgkmcnt(0)
	v_fma_f64 v[77:78], v[101:102], v[83:84], v[77:78]
	s_waitcnt vmcnt(0)
	v_add_f64 v[77:78], v[107:108], -v[77:78]
	buffer_store_dword v78, off, s[0:3], 0 offset:204
	buffer_store_dword v77, off, s[0:3], 0 offset:200
	v_cmpx_lt_u32_e32 24, v0
	s_cbranch_execz .LBB36_183
; %bb.182:
	s_clause 0x1
	buffer_load_dword v77, off, s[0:3], 0 offset:192
	buffer_load_dword v78, off, s[0:3], 0 offset:196
	buffer_store_dword v76, off, s[0:3], 0 offset:192
	buffer_store_dword v76, off, s[0:3], 0 offset:196
	s_waitcnt vmcnt(0)
	ds_write_b64 v75, v[77:78]
.LBB36_183:
	s_or_b32 exec_lo, exec_lo, s4
	s_waitcnt lgkmcnt(0)
	s_waitcnt_vscnt null, 0x0
	s_barrier
	buffer_gl0_inv
	s_clause 0x19
	buffer_load_dword v81, off, s[0:3], 0 offset:200
	buffer_load_dword v82, off, s[0:3], 0 offset:204
	;; [unrolled: 1-line block ×26, first 2 shown]
	ds_read2_b64 v[77:80], v76 offset0:63 offset1:64
	s_mov_b32 s4, exec_lo
	s_waitcnt vmcnt(24) lgkmcnt(0)
	v_fma_f64 v[77:78], v[81:82], v[77:78], 0
	s_waitcnt vmcnt(22)
	v_fma_f64 v[81:82], v[83:84], v[79:80], v[77:78]
	ds_read2_b64 v[77:80], v76 offset0:65 offset1:66
	s_waitcnt vmcnt(20) lgkmcnt(0)
	v_fma_f64 v[77:78], v[85:86], v[77:78], v[81:82]
	s_waitcnt vmcnt(18)
	v_fma_f64 v[81:82], v[87:88], v[79:80], v[77:78]
	ds_read2_b64 v[77:80], v76 offset0:67 offset1:68
	;; [unrolled: 5-line block ×5, first 2 shown]
	s_waitcnt vmcnt(4) lgkmcnt(0)
	v_fma_f64 v[76:77], v[101:102], v[76:77], v[80:81]
	s_waitcnt vmcnt(2)
	v_fma_f64 v[76:77], v[103:104], v[78:79], v[76:77]
	s_waitcnt vmcnt(0)
	v_add_f64 v[76:77], v[105:106], -v[76:77]
	buffer_store_dword v77, off, s[0:3], 0 offset:196
	buffer_store_dword v76, off, s[0:3], 0 offset:192
	v_cmpx_lt_u32_e32 23, v0
	s_cbranch_execz .LBB36_185
; %bb.184:
	s_clause 0x1
	buffer_load_dword v76, off, s[0:3], 0 offset:184
	buffer_load_dword v77, off, s[0:3], 0 offset:188
	v_mov_b32_e32 v78, 0
	buffer_store_dword v78, off, s[0:3], 0 offset:184
	buffer_store_dword v78, off, s[0:3], 0 offset:188
	s_waitcnt vmcnt(0)
	ds_write_b64 v75, v[76:77]
.LBB36_185:
	s_or_b32 exec_lo, exec_lo, s4
	s_waitcnt lgkmcnt(0)
	s_waitcnt_vscnt null, 0x0
	s_barrier
	buffer_gl0_inv
	s_clause 0x1b
	buffer_load_dword v81, off, s[0:3], 0 offset:192
	buffer_load_dword v82, off, s[0:3], 0 offset:196
	;; [unrolled: 1-line block ×28, first 2 shown]
	v_mov_b32_e32 v76, 0
	s_mov_b32 s4, exec_lo
	ds_read_b128 v[77:80], v76 offset:496
	s_waitcnt vmcnt(26) lgkmcnt(0)
	v_fma_f64 v[77:78], v[81:82], v[77:78], 0
	s_waitcnt vmcnt(24)
	v_fma_f64 v[81:82], v[83:84], v[79:80], v[77:78]
	ds_read_b128 v[77:80], v76 offset:512
	s_waitcnt vmcnt(22) lgkmcnt(0)
	v_fma_f64 v[77:78], v[85:86], v[77:78], v[81:82]
	s_waitcnt vmcnt(20)
	v_fma_f64 v[81:82], v[87:88], v[79:80], v[77:78]
	;; [unrolled: 5-line block ×6, first 2 shown]
	ds_read_b64 v[79:80], v76 offset:592
	s_waitcnt vmcnt(2) lgkmcnt(0)
	v_fma_f64 v[77:78], v[105:106], v[79:80], v[77:78]
	s_waitcnt vmcnt(0)
	v_add_f64 v[77:78], v[107:108], -v[77:78]
	buffer_store_dword v78, off, s[0:3], 0 offset:188
	buffer_store_dword v77, off, s[0:3], 0 offset:184
	v_cmpx_lt_u32_e32 22, v0
	s_cbranch_execz .LBB36_187
; %bb.186:
	s_clause 0x1
	buffer_load_dword v77, off, s[0:3], 0 offset:176
	buffer_load_dword v78, off, s[0:3], 0 offset:180
	buffer_store_dword v76, off, s[0:3], 0 offset:176
	buffer_store_dword v76, off, s[0:3], 0 offset:180
	s_waitcnt vmcnt(0)
	ds_write_b64 v75, v[77:78]
.LBB36_187:
	s_or_b32 exec_lo, exec_lo, s4
	s_waitcnt lgkmcnt(0)
	s_waitcnt_vscnt null, 0x0
	s_barrier
	buffer_gl0_inv
	s_clause 0x1b
	buffer_load_dword v81, off, s[0:3], 0 offset:184
	buffer_load_dword v82, off, s[0:3], 0 offset:188
	;; [unrolled: 1-line block ×28, first 2 shown]
	ds_read2_b64 v[77:80], v76 offset0:61 offset1:62
	s_clause 0x1
	buffer_load_dword v109, off, s[0:3], 0 offset:176
	buffer_load_dword v110, off, s[0:3], 0 offset:180
	s_mov_b32 s4, exec_lo
	s_waitcnt vmcnt(28) lgkmcnt(0)
	v_fma_f64 v[77:78], v[81:82], v[77:78], 0
	s_waitcnt vmcnt(26)
	v_fma_f64 v[81:82], v[83:84], v[79:80], v[77:78]
	ds_read2_b64 v[77:80], v76 offset0:63 offset1:64
	s_waitcnt vmcnt(24) lgkmcnt(0)
	v_fma_f64 v[77:78], v[85:86], v[77:78], v[81:82]
	s_waitcnt vmcnt(22)
	v_fma_f64 v[81:82], v[87:88], v[79:80], v[77:78]
	ds_read2_b64 v[77:80], v76 offset0:65 offset1:66
	;; [unrolled: 5-line block ×6, first 2 shown]
	s_waitcnt vmcnt(4) lgkmcnt(0)
	v_fma_f64 v[76:77], v[105:106], v[76:77], v[80:81]
	s_waitcnt vmcnt(2)
	v_fma_f64 v[76:77], v[107:108], v[78:79], v[76:77]
	s_waitcnt vmcnt(0)
	v_add_f64 v[76:77], v[109:110], -v[76:77]
	buffer_store_dword v77, off, s[0:3], 0 offset:180
	buffer_store_dword v76, off, s[0:3], 0 offset:176
	v_cmpx_lt_u32_e32 21, v0
	s_cbranch_execz .LBB36_189
; %bb.188:
	s_clause 0x1
	buffer_load_dword v76, off, s[0:3], 0 offset:168
	buffer_load_dword v77, off, s[0:3], 0 offset:172
	v_mov_b32_e32 v78, 0
	buffer_store_dword v78, off, s[0:3], 0 offset:168
	buffer_store_dword v78, off, s[0:3], 0 offset:172
	s_waitcnt vmcnt(0)
	ds_write_b64 v75, v[76:77]
.LBB36_189:
	s_or_b32 exec_lo, exec_lo, s4
	s_waitcnt lgkmcnt(0)
	s_waitcnt_vscnt null, 0x0
	s_barrier
	buffer_gl0_inv
	s_clause 0x1c
	buffer_load_dword v85, off, s[0:3], 0 offset:176
	buffer_load_dword v86, off, s[0:3], 0 offset:180
	buffer_load_dword v87, off, s[0:3], 0 offset:184
	buffer_load_dword v88, off, s[0:3], 0 offset:188
	buffer_load_dword v89, off, s[0:3], 0 offset:192
	buffer_load_dword v90, off, s[0:3], 0 offset:196
	buffer_load_dword v91, off, s[0:3], 0 offset:200
	buffer_load_dword v92, off, s[0:3], 0 offset:204
	buffer_load_dword v93, off, s[0:3], 0 offset:208
	buffer_load_dword v94, off, s[0:3], 0 offset:212
	buffer_load_dword v95, off, s[0:3], 0 offset:216
	buffer_load_dword v96, off, s[0:3], 0 offset:220
	buffer_load_dword v97, off, s[0:3], 0 offset:224
	buffer_load_dword v98, off, s[0:3], 0 offset:228
	buffer_load_dword v100, off, s[0:3], 0 offset:236
	buffer_load_dword v101, off, s[0:3], 0 offset:256
	buffer_load_dword v103, off, s[0:3], 0 offset:248
	buffer_load_dword v105, off, s[0:3], 0 offset:240
	buffer_load_dword v99, off, s[0:3], 0 offset:232
	buffer_load_dword v106, off, s[0:3], 0 offset:244
	buffer_load_dword v104, off, s[0:3], 0 offset:252
	buffer_load_dword v102, off, s[0:3], 0 offset:260
	buffer_load_dword v108, off, s[0:3], 0 offset:268
	buffer_load_dword v109, off, s[0:3], 0 offset:288
	buffer_load_dword v111, off, s[0:3], 0 offset:280
	buffer_load_dword v113, off, s[0:3], 0 offset:272
	buffer_load_dword v107, off, s[0:3], 0 offset:264
	buffer_load_dword v114, off, s[0:3], 0 offset:276
	buffer_load_dword v112, off, s[0:3], 0 offset:284
	v_mov_b32_e32 v76, 0
	buffer_load_dword v110, off, s[0:3], 0 offset:292
	s_mov_b32 s4, exec_lo
	ds_read_b128 v[77:80], v76 offset:480
	ds_read_b128 v[81:84], v76 offset:496
	s_waitcnt vmcnt(28) lgkmcnt(1)
	v_fma_f64 v[77:78], v[85:86], v[77:78], 0
	s_clause 0x1
	buffer_load_dword v85, off, s[0:3], 0 offset:168
	buffer_load_dword v86, off, s[0:3], 0 offset:172
	s_waitcnt vmcnt(28)
	v_fma_f64 v[77:78], v[87:88], v[79:80], v[77:78]
	s_waitcnt vmcnt(26) lgkmcnt(0)
	v_fma_f64 v[77:78], v[89:90], v[81:82], v[77:78]
	s_waitcnt vmcnt(24)
	v_fma_f64 v[87:88], v[91:92], v[83:84], v[77:78]
	ds_read_b128 v[77:80], v76 offset:512
	ds_read_b128 v[81:84], v76 offset:528
	s_waitcnt vmcnt(22) lgkmcnt(1)
	v_fma_f64 v[77:78], v[93:94], v[77:78], v[87:88]
	s_waitcnt vmcnt(20)
	v_fma_f64 v[77:78], v[95:96], v[79:80], v[77:78]
	s_waitcnt vmcnt(18) lgkmcnt(0)
	v_fma_f64 v[77:78], v[97:98], v[81:82], v[77:78]
	s_waitcnt vmcnt(13)
	v_fma_f64 v[87:88], v[99:100], v[83:84], v[77:78]
	ds_read_b128 v[77:80], v76 offset:544
	ds_read_b128 v[81:84], v76 offset:560
	s_waitcnt vmcnt(12) lgkmcnt(1)
	v_fma_f64 v[77:78], v[105:106], v[77:78], v[87:88]
	s_waitcnt vmcnt(11)
	v_fma_f64 v[77:78], v[103:104], v[79:80], v[77:78]
	s_waitcnt vmcnt(10) lgkmcnt(0)
	v_fma_f64 v[77:78], v[101:102], v[81:82], v[77:78]
	s_waitcnt vmcnt(5)
	v_fma_f64 v[81:82], v[107:108], v[83:84], v[77:78]
	ds_read_b128 v[77:80], v76 offset:576
	ds_read_b64 v[83:84], v76 offset:592
	s_waitcnt vmcnt(4) lgkmcnt(1)
	v_fma_f64 v[77:78], v[113:114], v[77:78], v[81:82]
	s_waitcnt vmcnt(3)
	v_fma_f64 v[77:78], v[111:112], v[79:80], v[77:78]
	s_waitcnt vmcnt(2) lgkmcnt(0)
	v_fma_f64 v[77:78], v[109:110], v[83:84], v[77:78]
	s_waitcnt vmcnt(0)
	v_add_f64 v[77:78], v[85:86], -v[77:78]
	buffer_store_dword v78, off, s[0:3], 0 offset:172
	buffer_store_dword v77, off, s[0:3], 0 offset:168
	v_cmpx_lt_u32_e32 20, v0
	s_cbranch_execz .LBB36_191
; %bb.190:
	s_clause 0x1
	buffer_load_dword v77, off, s[0:3], 0 offset:160
	buffer_load_dword v78, off, s[0:3], 0 offset:164
	buffer_store_dword v76, off, s[0:3], 0 offset:160
	buffer_store_dword v76, off, s[0:3], 0 offset:164
	s_waitcnt vmcnt(0)
	ds_write_b64 v75, v[77:78]
.LBB36_191:
	s_or_b32 exec_lo, exec_lo, s4
	s_waitcnt lgkmcnt(0)
	s_waitcnt_vscnt null, 0x0
	s_barrier
	buffer_gl0_inv
	s_clause 0x1c
	buffer_load_dword v85, off, s[0:3], 0 offset:168
	buffer_load_dword v86, off, s[0:3], 0 offset:172
	;; [unrolled: 1-line block ×29, first 2 shown]
	ds_read2_b64 v[77:80], v76 offset0:59 offset1:60
	ds_read2_b64 v[81:84], v76 offset0:61 offset1:62
	buffer_load_dword v110, off, s[0:3], 0 offset:284
	s_mov_b32 s4, exec_lo
	s_waitcnt vmcnt(28) lgkmcnt(1)
	v_fma_f64 v[77:78], v[85:86], v[77:78], 0
	s_clause 0x1
	buffer_load_dword v86, off, s[0:3], 0 offset:292
	buffer_load_dword v85, off, s[0:3], 0 offset:288
	s_waitcnt vmcnt(28)
	v_fma_f64 v[77:78], v[87:88], v[79:80], v[77:78]
	s_clause 0x1
	buffer_load_dword v87, off, s[0:3], 0 offset:160
	buffer_load_dword v88, off, s[0:3], 0 offset:164
	s_waitcnt vmcnt(28) lgkmcnt(0)
	v_fma_f64 v[77:78], v[89:90], v[81:82], v[77:78]
	s_waitcnt vmcnt(26)
	v_fma_f64 v[89:90], v[91:92], v[83:84], v[77:78]
	ds_read2_b64 v[77:80], v76 offset0:63 offset1:64
	ds_read2_b64 v[81:84], v76 offset0:65 offset1:66
	s_waitcnt vmcnt(24) lgkmcnt(1)
	v_fma_f64 v[77:78], v[93:94], v[77:78], v[89:90]
	s_waitcnt vmcnt(22)
	v_fma_f64 v[77:78], v[95:96], v[79:80], v[77:78]
	s_waitcnt vmcnt(20) lgkmcnt(0)
	v_fma_f64 v[77:78], v[97:98], v[81:82], v[77:78]
	s_waitcnt vmcnt(15)
	v_fma_f64 v[89:90], v[99:100], v[83:84], v[77:78]
	ds_read2_b64 v[77:80], v76 offset0:67 offset1:68
	ds_read2_b64 v[81:84], v76 offset0:69 offset1:70
	s_waitcnt vmcnt(14) lgkmcnt(1)
	v_fma_f64 v[77:78], v[105:106], v[77:78], v[89:90]
	s_waitcnt vmcnt(13)
	v_fma_f64 v[77:78], v[103:104], v[79:80], v[77:78]
	;; [unrolled: 10-line block ×3, first 2 shown]
	s_waitcnt vmcnt(4) lgkmcnt(0)
	v_fma_f64 v[76:77], v[109:110], v[81:82], v[76:77]
	s_waitcnt vmcnt(2)
	v_fma_f64 v[76:77], v[85:86], v[83:84], v[76:77]
	s_waitcnt vmcnt(0)
	v_add_f64 v[76:77], v[87:88], -v[76:77]
	buffer_store_dword v77, off, s[0:3], 0 offset:164
	buffer_store_dword v76, off, s[0:3], 0 offset:160
	v_cmpx_lt_u32_e32 19, v0
	s_cbranch_execz .LBB36_193
; %bb.192:
	s_clause 0x1
	buffer_load_dword v76, off, s[0:3], 0 offset:152
	buffer_load_dword v77, off, s[0:3], 0 offset:156
	v_mov_b32_e32 v78, 0
	buffer_store_dword v78, off, s[0:3], 0 offset:152
	buffer_store_dword v78, off, s[0:3], 0 offset:156
	s_waitcnt vmcnt(0)
	ds_write_b64 v75, v[76:77]
.LBB36_193:
	s_or_b32 exec_lo, exec_lo, s4
	s_waitcnt lgkmcnt(0)
	s_waitcnt_vscnt null, 0x0
	s_barrier
	buffer_gl0_inv
	s_clause 0x1c
	buffer_load_dword v85, off, s[0:3], 0 offset:160
	buffer_load_dword v86, off, s[0:3], 0 offset:164
	;; [unrolled: 1-line block ×29, first 2 shown]
	v_mov_b32_e32 v76, 0
	buffer_load_dword v110, off, s[0:3], 0 offset:276
	s_mov_b32 s4, exec_lo
	ds_read_b128 v[77:80], v76 offset:464
	ds_read_b128 v[81:84], v76 offset:480
	s_waitcnt vmcnt(28) lgkmcnt(1)
	v_fma_f64 v[77:78], v[85:86], v[77:78], 0
	s_clause 0x3
	buffer_load_dword v86, off, s[0:3], 0 offset:284
	buffer_load_dword v115, off, s[0:3], 0 offset:288
	buffer_load_dword v85, off, s[0:3], 0 offset:280
	buffer_load_dword v116, off, s[0:3], 0 offset:292
	s_waitcnt vmcnt(30)
	v_fma_f64 v[77:78], v[87:88], v[79:80], v[77:78]
	s_clause 0x1
	buffer_load_dword v87, off, s[0:3], 0 offset:152
	buffer_load_dword v88, off, s[0:3], 0 offset:156
	s_waitcnt vmcnt(30) lgkmcnt(0)
	v_fma_f64 v[77:78], v[89:90], v[81:82], v[77:78]
	s_waitcnt vmcnt(28)
	v_fma_f64 v[89:90], v[91:92], v[83:84], v[77:78]
	ds_read_b128 v[77:80], v76 offset:496
	ds_read_b128 v[81:84], v76 offset:512
	s_waitcnt vmcnt(26) lgkmcnt(1)
	v_fma_f64 v[77:78], v[93:94], v[77:78], v[89:90]
	s_waitcnt vmcnt(24)
	v_fma_f64 v[77:78], v[95:96], v[79:80], v[77:78]
	s_waitcnt vmcnt(22) lgkmcnt(0)
	v_fma_f64 v[77:78], v[97:98], v[81:82], v[77:78]
	s_waitcnt vmcnt(17)
	v_fma_f64 v[89:90], v[99:100], v[83:84], v[77:78]
	ds_read_b128 v[77:80], v76 offset:528
	ds_read_b128 v[81:84], v76 offset:544
	s_waitcnt vmcnt(16) lgkmcnt(1)
	v_fma_f64 v[77:78], v[105:106], v[77:78], v[89:90]
	s_waitcnt vmcnt(15)
	v_fma_f64 v[77:78], v[103:104], v[79:80], v[77:78]
	s_waitcnt vmcnt(14) lgkmcnt(0)
	v_fma_f64 v[77:78], v[101:102], v[81:82], v[77:78]
	s_waitcnt vmcnt(9)
	v_fma_f64 v[89:90], v[107:108], v[83:84], v[77:78]
	ds_read_b128 v[77:80], v76 offset:560
	ds_read_b128 v[81:84], v76 offset:576
	s_waitcnt vmcnt(8) lgkmcnt(1)
	v_fma_f64 v[77:78], v[113:114], v[77:78], v[89:90]
	s_waitcnt vmcnt(7)
	v_fma_f64 v[77:78], v[111:112], v[79:80], v[77:78]
	ds_read_b64 v[79:80], v76 offset:592
	s_waitcnt vmcnt(6) lgkmcnt(1)
	v_fma_f64 v[77:78], v[109:110], v[81:82], v[77:78]
	s_waitcnt vmcnt(3)
	v_fma_f64 v[77:78], v[85:86], v[83:84], v[77:78]
	s_waitcnt vmcnt(2) lgkmcnt(0)
	v_fma_f64 v[77:78], v[115:116], v[79:80], v[77:78]
	s_waitcnt vmcnt(0)
	v_add_f64 v[77:78], v[87:88], -v[77:78]
	buffer_store_dword v78, off, s[0:3], 0 offset:156
	buffer_store_dword v77, off, s[0:3], 0 offset:152
	v_cmpx_lt_u32_e32 18, v0
	s_cbranch_execz .LBB36_195
; %bb.194:
	s_clause 0x1
	buffer_load_dword v77, off, s[0:3], 0 offset:144
	buffer_load_dword v78, off, s[0:3], 0 offset:148
	buffer_store_dword v76, off, s[0:3], 0 offset:144
	buffer_store_dword v76, off, s[0:3], 0 offset:148
	s_waitcnt vmcnt(0)
	ds_write_b64 v75, v[77:78]
.LBB36_195:
	s_or_b32 exec_lo, exec_lo, s4
	s_waitcnt lgkmcnt(0)
	s_waitcnt_vscnt null, 0x0
	s_barrier
	buffer_gl0_inv
	s_clause 0x1c
	buffer_load_dword v85, off, s[0:3], 0 offset:152
	buffer_load_dword v86, off, s[0:3], 0 offset:156
	;; [unrolled: 1-line block ×29, first 2 shown]
	ds_read2_b64 v[77:80], v76 offset0:57 offset1:58
	ds_read2_b64 v[81:84], v76 offset0:59 offset1:60
	buffer_load_dword v110, off, s[0:3], 0 offset:268
	s_mov_b32 s4, exec_lo
	s_waitcnt vmcnt(28) lgkmcnt(1)
	v_fma_f64 v[77:78], v[85:86], v[77:78], 0
	s_clause 0x5
	buffer_load_dword v86, off, s[0:3], 0 offset:276
	buffer_load_dword v115, off, s[0:3], 0 offset:288
	buffer_load_dword v117, off, s[0:3], 0 offset:280
	buffer_load_dword v85, off, s[0:3], 0 offset:272
	buffer_load_dword v118, off, s[0:3], 0 offset:284
	buffer_load_dword v116, off, s[0:3], 0 offset:292
	s_waitcnt vmcnt(32)
	v_fma_f64 v[77:78], v[87:88], v[79:80], v[77:78]
	s_waitcnt vmcnt(30) lgkmcnt(0)
	v_fma_f64 v[77:78], v[89:90], v[81:82], v[77:78]
	s_waitcnt vmcnt(28)
	v_fma_f64 v[87:88], v[91:92], v[83:84], v[77:78]
	ds_read2_b64 v[77:80], v76 offset0:61 offset1:62
	s_clause 0x1
	buffer_load_dword v89, off, s[0:3], 0 offset:144
	buffer_load_dword v90, off, s[0:3], 0 offset:148
	ds_read2_b64 v[81:84], v76 offset0:63 offset1:64
	s_waitcnt vmcnt(28) lgkmcnt(1)
	v_fma_f64 v[77:78], v[93:94], v[77:78], v[87:88]
	s_waitcnt vmcnt(26)
	v_fma_f64 v[77:78], v[95:96], v[79:80], v[77:78]
	s_waitcnt vmcnt(24) lgkmcnt(0)
	v_fma_f64 v[77:78], v[97:98], v[81:82], v[77:78]
	s_waitcnt vmcnt(19)
	v_fma_f64 v[87:88], v[99:100], v[83:84], v[77:78]
	ds_read2_b64 v[77:80], v76 offset0:65 offset1:66
	ds_read2_b64 v[81:84], v76 offset0:67 offset1:68
	s_waitcnt vmcnt(18) lgkmcnt(1)
	v_fma_f64 v[77:78], v[105:106], v[77:78], v[87:88]
	s_waitcnt vmcnt(17)
	v_fma_f64 v[77:78], v[103:104], v[79:80], v[77:78]
	s_waitcnt vmcnt(16) lgkmcnt(0)
	v_fma_f64 v[77:78], v[101:102], v[81:82], v[77:78]
	s_waitcnt vmcnt(11)
	v_fma_f64 v[87:88], v[107:108], v[83:84], v[77:78]
	ds_read2_b64 v[77:80], v76 offset0:69 offset1:70
	;; [unrolled: 10-line block ×3, first 2 shown]
	s_waitcnt vmcnt(3) lgkmcnt(0)
	v_fma_f64 v[76:77], v[117:118], v[76:77], v[80:81]
	s_waitcnt vmcnt(2)
	v_fma_f64 v[76:77], v[115:116], v[78:79], v[76:77]
	s_waitcnt vmcnt(0)
	v_add_f64 v[76:77], v[89:90], -v[76:77]
	buffer_store_dword v77, off, s[0:3], 0 offset:148
	buffer_store_dword v76, off, s[0:3], 0 offset:144
	v_cmpx_lt_u32_e32 17, v0
	s_cbranch_execz .LBB36_197
; %bb.196:
	s_clause 0x1
	buffer_load_dword v76, off, s[0:3], 0 offset:136
	buffer_load_dword v77, off, s[0:3], 0 offset:140
	v_mov_b32_e32 v78, 0
	buffer_store_dword v78, off, s[0:3], 0 offset:136
	buffer_store_dword v78, off, s[0:3], 0 offset:140
	s_waitcnt vmcnt(0)
	ds_write_b64 v75, v[76:77]
.LBB36_197:
	s_or_b32 exec_lo, exec_lo, s4
	s_waitcnt lgkmcnt(0)
	s_waitcnt_vscnt null, 0x0
	s_barrier
	buffer_gl0_inv
	s_clause 0x1c
	buffer_load_dword v85, off, s[0:3], 0 offset:144
	buffer_load_dword v86, off, s[0:3], 0 offset:148
	;; [unrolled: 1-line block ×29, first 2 shown]
	v_mov_b32_e32 v76, 0
	buffer_load_dword v110, off, s[0:3], 0 offset:260
	s_mov_b32 s4, exec_lo
	ds_read_b128 v[77:80], v76 offset:448
	ds_read_b128 v[81:84], v76 offset:464
	s_waitcnt vmcnt(28) lgkmcnt(1)
	v_fma_f64 v[77:78], v[85:86], v[77:78], 0
	s_clause 0x7
	buffer_load_dword v86, off, s[0:3], 0 offset:268
	buffer_load_dword v115, off, s[0:3], 0 offset:288
	;; [unrolled: 1-line block ×8, first 2 shown]
	s_waitcnt vmcnt(34)
	v_fma_f64 v[77:78], v[87:88], v[79:80], v[77:78]
	s_waitcnt vmcnt(32) lgkmcnt(0)
	v_fma_f64 v[77:78], v[89:90], v[81:82], v[77:78]
	s_waitcnt vmcnt(30)
	v_fma_f64 v[87:88], v[91:92], v[83:84], v[77:78]
	ds_read_b128 v[77:80], v76 offset:480
	ds_read_b128 v[81:84], v76 offset:496
	s_waitcnt vmcnt(28) lgkmcnt(1)
	v_fma_f64 v[77:78], v[93:94], v[77:78], v[87:88]
	s_clause 0x1
	buffer_load_dword v87, off, s[0:3], 0 offset:136
	buffer_load_dword v88, off, s[0:3], 0 offset:140
	s_waitcnt vmcnt(28)
	v_fma_f64 v[77:78], v[95:96], v[79:80], v[77:78]
	s_waitcnt vmcnt(26) lgkmcnt(0)
	v_fma_f64 v[77:78], v[97:98], v[81:82], v[77:78]
	s_waitcnt vmcnt(21)
	v_fma_f64 v[89:90], v[99:100], v[83:84], v[77:78]
	ds_read_b128 v[77:80], v76 offset:512
	ds_read_b128 v[81:84], v76 offset:528
	s_waitcnt vmcnt(20) lgkmcnt(1)
	v_fma_f64 v[77:78], v[105:106], v[77:78], v[89:90]
	s_waitcnt vmcnt(19)
	v_fma_f64 v[77:78], v[103:104], v[79:80], v[77:78]
	s_waitcnt vmcnt(18) lgkmcnt(0)
	v_fma_f64 v[77:78], v[101:102], v[81:82], v[77:78]
	s_waitcnt vmcnt(13)
	v_fma_f64 v[89:90], v[107:108], v[83:84], v[77:78]
	ds_read_b128 v[77:80], v76 offset:544
	ds_read_b128 v[81:84], v76 offset:560
	s_waitcnt vmcnt(12) lgkmcnt(1)
	v_fma_f64 v[77:78], v[113:114], v[77:78], v[89:90]
	s_waitcnt vmcnt(11)
	v_fma_f64 v[77:78], v[111:112], v[79:80], v[77:78]
	s_waitcnt vmcnt(10) lgkmcnt(0)
	v_fma_f64 v[77:78], v[109:110], v[81:82], v[77:78]
	s_waitcnt vmcnt(5)
	v_fma_f64 v[81:82], v[85:86], v[83:84], v[77:78]
	ds_read_b128 v[77:80], v76 offset:576
	ds_read_b64 v[83:84], v76 offset:592
	s_waitcnt vmcnt(4) lgkmcnt(1)
	v_fma_f64 v[77:78], v[119:120], v[77:78], v[81:82]
	s_waitcnt vmcnt(3)
	v_fma_f64 v[77:78], v[117:118], v[79:80], v[77:78]
	s_waitcnt vmcnt(2) lgkmcnt(0)
	v_fma_f64 v[77:78], v[115:116], v[83:84], v[77:78]
	s_waitcnt vmcnt(0)
	v_add_f64 v[77:78], v[87:88], -v[77:78]
	buffer_store_dword v78, off, s[0:3], 0 offset:140
	buffer_store_dword v77, off, s[0:3], 0 offset:136
	v_cmpx_lt_u32_e32 16, v0
	s_cbranch_execz .LBB36_199
; %bb.198:
	s_clause 0x1
	buffer_load_dword v77, off, s[0:3], 0 offset:128
	buffer_load_dword v78, off, s[0:3], 0 offset:132
	buffer_store_dword v76, off, s[0:3], 0 offset:128
	buffer_store_dword v76, off, s[0:3], 0 offset:132
	s_waitcnt vmcnt(0)
	ds_write_b64 v75, v[77:78]
.LBB36_199:
	s_or_b32 exec_lo, exec_lo, s4
	s_waitcnt lgkmcnt(0)
	s_waitcnt_vscnt null, 0x0
	s_barrier
	buffer_gl0_inv
	s_clause 0x1c
	buffer_load_dword v85, off, s[0:3], 0 offset:136
	buffer_load_dword v86, off, s[0:3], 0 offset:140
	;; [unrolled: 1-line block ×29, first 2 shown]
	ds_read2_b64 v[77:80], v76 offset0:55 offset1:56
	ds_read2_b64 v[81:84], v76 offset0:57 offset1:58
	buffer_load_dword v110, off, s[0:3], 0 offset:252
	s_mov_b32 s4, exec_lo
	s_waitcnt vmcnt(28) lgkmcnt(1)
	v_fma_f64 v[77:78], v[85:86], v[77:78], 0
	s_clause 0x7
	buffer_load_dword v86, off, s[0:3], 0 offset:260
	buffer_load_dword v115, off, s[0:3], 0 offset:280
	;; [unrolled: 1-line block ×8, first 2 shown]
	s_waitcnt vmcnt(34)
	v_fma_f64 v[77:78], v[87:88], v[79:80], v[77:78]
	s_waitcnt vmcnt(32) lgkmcnt(0)
	v_fma_f64 v[77:78], v[89:90], v[81:82], v[77:78]
	s_waitcnt vmcnt(30)
	v_fma_f64 v[87:88], v[91:92], v[83:84], v[77:78]
	ds_read2_b64 v[77:80], v76 offset0:59 offset1:60
	ds_read2_b64 v[81:84], v76 offset0:61 offset1:62
	s_waitcnt vmcnt(28) lgkmcnt(1)
	v_fma_f64 v[77:78], v[93:94], v[77:78], v[87:88]
	s_clause 0x3
	buffer_load_dword v88, off, s[0:3], 0 offset:292
	buffer_load_dword v87, off, s[0:3], 0 offset:288
	buffer_load_dword v89, off, s[0:3], 0 offset:128
	buffer_load_dword v90, off, s[0:3], 0 offset:132
	s_waitcnt vmcnt(30)
	v_fma_f64 v[77:78], v[95:96], v[79:80], v[77:78]
	s_waitcnt vmcnt(28) lgkmcnt(0)
	v_fma_f64 v[77:78], v[97:98], v[81:82], v[77:78]
	s_waitcnt vmcnt(23)
	v_fma_f64 v[91:92], v[99:100], v[83:84], v[77:78]
	ds_read2_b64 v[77:80], v76 offset0:63 offset1:64
	ds_read2_b64 v[81:84], v76 offset0:65 offset1:66
	s_waitcnt vmcnt(22) lgkmcnt(1)
	v_fma_f64 v[77:78], v[105:106], v[77:78], v[91:92]
	s_waitcnt vmcnt(21)
	v_fma_f64 v[77:78], v[103:104], v[79:80], v[77:78]
	s_waitcnt vmcnt(20) lgkmcnt(0)
	v_fma_f64 v[77:78], v[101:102], v[81:82], v[77:78]
	s_waitcnt vmcnt(15)
	v_fma_f64 v[91:92], v[107:108], v[83:84], v[77:78]
	ds_read2_b64 v[77:80], v76 offset0:67 offset1:68
	ds_read2_b64 v[81:84], v76 offset0:69 offset1:70
	s_waitcnt vmcnt(14) lgkmcnt(1)
	v_fma_f64 v[77:78], v[113:114], v[77:78], v[91:92]
	;; [unrolled: 10-line block ×3, first 2 shown]
	s_waitcnt vmcnt(5)
	v_fma_f64 v[76:77], v[117:118], v[79:80], v[76:77]
	s_waitcnt vmcnt(4) lgkmcnt(0)
	v_fma_f64 v[76:77], v[115:116], v[81:82], v[76:77]
	s_waitcnt vmcnt(2)
	v_fma_f64 v[76:77], v[87:88], v[83:84], v[76:77]
	s_waitcnt vmcnt(0)
	v_add_f64 v[76:77], v[89:90], -v[76:77]
	buffer_store_dword v77, off, s[0:3], 0 offset:132
	buffer_store_dword v76, off, s[0:3], 0 offset:128
	v_cmpx_lt_u32_e32 15, v0
	s_cbranch_execz .LBB36_201
; %bb.200:
	s_clause 0x1
	buffer_load_dword v76, off, s[0:3], 0 offset:120
	buffer_load_dword v77, off, s[0:3], 0 offset:124
	v_mov_b32_e32 v78, 0
	buffer_store_dword v78, off, s[0:3], 0 offset:120
	buffer_store_dword v78, off, s[0:3], 0 offset:124
	s_waitcnt vmcnt(0)
	ds_write_b64 v75, v[76:77]
.LBB36_201:
	s_or_b32 exec_lo, exec_lo, s4
	s_waitcnt lgkmcnt(0)
	s_waitcnt_vscnt null, 0x0
	s_barrier
	buffer_gl0_inv
	s_clause 0x1c
	buffer_load_dword v85, off, s[0:3], 0 offset:128
	buffer_load_dword v86, off, s[0:3], 0 offset:132
	;; [unrolled: 1-line block ×29, first 2 shown]
	v_mov_b32_e32 v76, 0
	buffer_load_dword v110, off, s[0:3], 0 offset:244
	s_mov_b32 s4, exec_lo
	ds_read_b128 v[77:80], v76 offset:432
	ds_read_b128 v[81:84], v76 offset:448
	s_waitcnt vmcnt(28) lgkmcnt(1)
	v_fma_f64 v[77:78], v[85:86], v[77:78], 0
	s_clause 0x7
	buffer_load_dword v86, off, s[0:3], 0 offset:252
	buffer_load_dword v115, off, s[0:3], 0 offset:272
	;; [unrolled: 1-line block ×8, first 2 shown]
	s_waitcnt vmcnt(34)
	v_fma_f64 v[77:78], v[87:88], v[79:80], v[77:78]
	s_waitcnt vmcnt(32) lgkmcnt(0)
	v_fma_f64 v[77:78], v[89:90], v[81:82], v[77:78]
	s_waitcnt vmcnt(30)
	v_fma_f64 v[87:88], v[91:92], v[83:84], v[77:78]
	ds_read_b128 v[77:80], v76 offset:464
	ds_read_b128 v[81:84], v76 offset:480
	s_waitcnt vmcnt(28) lgkmcnt(1)
	v_fma_f64 v[77:78], v[93:94], v[77:78], v[87:88]
	s_clause 0x5
	buffer_load_dword v88, off, s[0:3], 0 offset:284
	buffer_load_dword v89, off, s[0:3], 0 offset:288
	buffer_load_dword v87, off, s[0:3], 0 offset:280
	buffer_load_dword v90, off, s[0:3], 0 offset:292
	buffer_load_dword v91, off, s[0:3], 0 offset:120
	buffer_load_dword v92, off, s[0:3], 0 offset:124
	s_waitcnt vmcnt(32)
	v_fma_f64 v[77:78], v[95:96], v[79:80], v[77:78]
	s_waitcnt vmcnt(30) lgkmcnt(0)
	v_fma_f64 v[77:78], v[97:98], v[81:82], v[77:78]
	s_waitcnt vmcnt(25)
	v_fma_f64 v[93:94], v[99:100], v[83:84], v[77:78]
	ds_read_b128 v[77:80], v76 offset:496
	ds_read_b128 v[81:84], v76 offset:512
	s_waitcnt vmcnt(24) lgkmcnt(1)
	v_fma_f64 v[77:78], v[105:106], v[77:78], v[93:94]
	s_waitcnt vmcnt(23)
	v_fma_f64 v[77:78], v[103:104], v[79:80], v[77:78]
	s_waitcnt vmcnt(22) lgkmcnt(0)
	v_fma_f64 v[77:78], v[101:102], v[81:82], v[77:78]
	s_waitcnt vmcnt(17)
	v_fma_f64 v[93:94], v[107:108], v[83:84], v[77:78]
	ds_read_b128 v[77:80], v76 offset:528
	ds_read_b128 v[81:84], v76 offset:544
	s_waitcnt vmcnt(16) lgkmcnt(1)
	v_fma_f64 v[77:78], v[113:114], v[77:78], v[93:94]
	;; [unrolled: 10-line block ×3, first 2 shown]
	s_waitcnt vmcnt(7)
	v_fma_f64 v[77:78], v[117:118], v[79:80], v[77:78]
	ds_read_b64 v[79:80], v76 offset:592
	s_waitcnt vmcnt(6) lgkmcnt(1)
	v_fma_f64 v[77:78], v[115:116], v[81:82], v[77:78]
	s_waitcnt vmcnt(3)
	v_fma_f64 v[77:78], v[87:88], v[83:84], v[77:78]
	s_waitcnt vmcnt(2) lgkmcnt(0)
	v_fma_f64 v[77:78], v[89:90], v[79:80], v[77:78]
	s_waitcnt vmcnt(0)
	v_add_f64 v[77:78], v[91:92], -v[77:78]
	buffer_store_dword v78, off, s[0:3], 0 offset:124
	buffer_store_dword v77, off, s[0:3], 0 offset:120
	v_cmpx_lt_u32_e32 14, v0
	s_cbranch_execz .LBB36_203
; %bb.202:
	s_clause 0x1
	buffer_load_dword v77, off, s[0:3], 0 offset:112
	buffer_load_dword v78, off, s[0:3], 0 offset:116
	buffer_store_dword v76, off, s[0:3], 0 offset:112
	buffer_store_dword v76, off, s[0:3], 0 offset:116
	s_waitcnt vmcnt(0)
	ds_write_b64 v75, v[77:78]
.LBB36_203:
	s_or_b32 exec_lo, exec_lo, s4
	s_waitcnt lgkmcnt(0)
	s_waitcnt_vscnt null, 0x0
	s_barrier
	buffer_gl0_inv
	s_clause 0x1c
	buffer_load_dword v85, off, s[0:3], 0 offset:120
	buffer_load_dword v86, off, s[0:3], 0 offset:124
	;; [unrolled: 1-line block ×29, first 2 shown]
	ds_read2_b64 v[77:80], v76 offset0:53 offset1:54
	ds_read2_b64 v[81:84], v76 offset0:55 offset1:56
	buffer_load_dword v110, off, s[0:3], 0 offset:236
	s_mov_b32 s4, exec_lo
	s_waitcnt vmcnt(28) lgkmcnt(1)
	v_fma_f64 v[77:78], v[85:86], v[77:78], 0
	s_clause 0x7
	buffer_load_dword v86, off, s[0:3], 0 offset:244
	buffer_load_dword v115, off, s[0:3], 0 offset:264
	;; [unrolled: 1-line block ×8, first 2 shown]
	s_waitcnt vmcnt(34)
	v_fma_f64 v[77:78], v[87:88], v[79:80], v[77:78]
	s_waitcnt vmcnt(32) lgkmcnt(0)
	v_fma_f64 v[77:78], v[89:90], v[81:82], v[77:78]
	s_waitcnt vmcnt(30)
	v_fma_f64 v[87:88], v[91:92], v[83:84], v[77:78]
	ds_read2_b64 v[77:80], v76 offset0:57 offset1:58
	ds_read2_b64 v[81:84], v76 offset0:59 offset1:60
	s_waitcnt vmcnt(28) lgkmcnt(1)
	v_fma_f64 v[77:78], v[93:94], v[77:78], v[87:88]
	s_clause 0x5
	buffer_load_dword v88, off, s[0:3], 0 offset:276
	buffer_load_dword v89, off, s[0:3], 0 offset:288
	;; [unrolled: 1-line block ×6, first 2 shown]
	s_waitcnt vmcnt(32)
	v_fma_f64 v[77:78], v[95:96], v[79:80], v[77:78]
	s_waitcnt vmcnt(30) lgkmcnt(0)
	v_fma_f64 v[77:78], v[97:98], v[81:82], v[77:78]
	s_waitcnt vmcnt(25)
	v_fma_f64 v[93:94], v[99:100], v[83:84], v[77:78]
	ds_read2_b64 v[77:80], v76 offset0:61 offset1:62
	s_clause 0x1
	buffer_load_dword v95, off, s[0:3], 0 offset:112
	buffer_load_dword v96, off, s[0:3], 0 offset:116
	ds_read2_b64 v[81:84], v76 offset0:63 offset1:64
	s_waitcnt vmcnt(26) lgkmcnt(1)
	v_fma_f64 v[77:78], v[105:106], v[77:78], v[93:94]
	s_waitcnt vmcnt(25)
	v_fma_f64 v[77:78], v[103:104], v[79:80], v[77:78]
	s_waitcnt vmcnt(24) lgkmcnt(0)
	v_fma_f64 v[77:78], v[101:102], v[81:82], v[77:78]
	s_waitcnt vmcnt(19)
	v_fma_f64 v[93:94], v[107:108], v[83:84], v[77:78]
	ds_read2_b64 v[77:80], v76 offset0:65 offset1:66
	ds_read2_b64 v[81:84], v76 offset0:67 offset1:68
	s_waitcnt vmcnt(18) lgkmcnt(1)
	v_fma_f64 v[77:78], v[113:114], v[77:78], v[93:94]
	s_waitcnt vmcnt(17)
	v_fma_f64 v[77:78], v[111:112], v[79:80], v[77:78]
	s_waitcnt vmcnt(16) lgkmcnt(0)
	v_fma_f64 v[77:78], v[109:110], v[81:82], v[77:78]
	s_waitcnt vmcnt(11)
	v_fma_f64 v[85:86], v[85:86], v[83:84], v[77:78]
	ds_read2_b64 v[77:80], v76 offset0:69 offset1:70
	ds_read2_b64 v[81:84], v76 offset0:71 offset1:72
	s_waitcnt vmcnt(10) lgkmcnt(1)
	v_fma_f64 v[77:78], v[119:120], v[77:78], v[85:86]
	s_waitcnt vmcnt(9)
	v_fma_f64 v[77:78], v[117:118], v[79:80], v[77:78]
	s_waitcnt vmcnt(8) lgkmcnt(0)
	v_fma_f64 v[77:78], v[115:116], v[81:82], v[77:78]
	s_waitcnt vmcnt(4)
	v_fma_f64 v[80:81], v[87:88], v[83:84], v[77:78]
	ds_read2_b64 v[76:79], v76 offset0:73 offset1:74
	s_waitcnt vmcnt(3) lgkmcnt(0)
	v_fma_f64 v[76:77], v[91:92], v[76:77], v[80:81]
	s_waitcnt vmcnt(2)
	v_fma_f64 v[76:77], v[89:90], v[78:79], v[76:77]
	s_waitcnt vmcnt(0)
	v_add_f64 v[76:77], v[95:96], -v[76:77]
	buffer_store_dword v77, off, s[0:3], 0 offset:116
	buffer_store_dword v76, off, s[0:3], 0 offset:112
	v_cmpx_lt_u32_e32 13, v0
	s_cbranch_execz .LBB36_205
; %bb.204:
	s_clause 0x1
	buffer_load_dword v76, off, s[0:3], 0 offset:104
	buffer_load_dword v77, off, s[0:3], 0 offset:108
	v_mov_b32_e32 v78, 0
	buffer_store_dword v78, off, s[0:3], 0 offset:104
	buffer_store_dword v78, off, s[0:3], 0 offset:108
	s_waitcnt vmcnt(0)
	ds_write_b64 v75, v[76:77]
.LBB36_205:
	s_or_b32 exec_lo, exec_lo, s4
	s_waitcnt lgkmcnt(0)
	s_waitcnt_vscnt null, 0x0
	s_barrier
	buffer_gl0_inv
	s_clause 0x1c
	buffer_load_dword v85, off, s[0:3], 0 offset:112
	buffer_load_dword v86, off, s[0:3], 0 offset:116
	buffer_load_dword v87, off, s[0:3], 0 offset:120
	buffer_load_dword v88, off, s[0:3], 0 offset:124
	buffer_load_dword v89, off, s[0:3], 0 offset:128
	buffer_load_dword v90, off, s[0:3], 0 offset:132
	buffer_load_dword v91, off, s[0:3], 0 offset:136
	buffer_load_dword v92, off, s[0:3], 0 offset:140
	buffer_load_dword v93, off, s[0:3], 0 offset:144
	buffer_load_dword v94, off, s[0:3], 0 offset:148
	buffer_load_dword v95, off, s[0:3], 0 offset:152
	buffer_load_dword v96, off, s[0:3], 0 offset:156
	buffer_load_dword v97, off, s[0:3], 0 offset:160
	buffer_load_dword v98, off, s[0:3], 0 offset:164
	buffer_load_dword v100, off, s[0:3], 0 offset:172
	buffer_load_dword v101, off, s[0:3], 0 offset:192
	buffer_load_dword v103, off, s[0:3], 0 offset:184
	buffer_load_dword v105, off, s[0:3], 0 offset:176
	buffer_load_dword v99, off, s[0:3], 0 offset:168
	buffer_load_dword v106, off, s[0:3], 0 offset:180
	buffer_load_dword v104, off, s[0:3], 0 offset:188
	buffer_load_dword v102, off, s[0:3], 0 offset:196
	buffer_load_dword v108, off, s[0:3], 0 offset:204
	buffer_load_dword v109, off, s[0:3], 0 offset:224
	buffer_load_dword v111, off, s[0:3], 0 offset:216
	buffer_load_dword v113, off, s[0:3], 0 offset:208
	buffer_load_dword v107, off, s[0:3], 0 offset:200
	buffer_load_dword v114, off, s[0:3], 0 offset:212
	buffer_load_dword v112, off, s[0:3], 0 offset:220
	v_mov_b32_e32 v76, 0
	buffer_load_dword v110, off, s[0:3], 0 offset:228
	s_mov_b32 s4, exec_lo
	ds_read_b128 v[77:80], v76 offset:416
	ds_read_b128 v[81:84], v76 offset:432
	s_waitcnt vmcnt(28) lgkmcnt(1)
	v_fma_f64 v[77:78], v[85:86], v[77:78], 0
	s_clause 0x7
	buffer_load_dword v86, off, s[0:3], 0 offset:236
	buffer_load_dword v115, off, s[0:3], 0 offset:256
	;; [unrolled: 1-line block ×8, first 2 shown]
	s_waitcnt vmcnt(34)
	v_fma_f64 v[77:78], v[87:88], v[79:80], v[77:78]
	s_waitcnt vmcnt(32) lgkmcnt(0)
	v_fma_f64 v[77:78], v[89:90], v[81:82], v[77:78]
	s_waitcnt vmcnt(30)
	v_fma_f64 v[87:88], v[91:92], v[83:84], v[77:78]
	ds_read_b128 v[77:80], v76 offset:448
	ds_read_b128 v[81:84], v76 offset:464
	s_waitcnt vmcnt(28) lgkmcnt(1)
	v_fma_f64 v[77:78], v[93:94], v[77:78], v[87:88]
	s_clause 0x7
	buffer_load_dword v88, off, s[0:3], 0 offset:268
	buffer_load_dword v89, off, s[0:3], 0 offset:288
	;; [unrolled: 1-line block ×8, first 2 shown]
	s_waitcnt vmcnt(34)
	v_fma_f64 v[77:78], v[95:96], v[79:80], v[77:78]
	s_waitcnt vmcnt(32) lgkmcnt(0)
	v_fma_f64 v[77:78], v[97:98], v[81:82], v[77:78]
	s_waitcnt vmcnt(27)
	v_fma_f64 v[95:96], v[99:100], v[83:84], v[77:78]
	ds_read_b128 v[77:80], v76 offset:480
	ds_read_b128 v[81:84], v76 offset:496
	s_waitcnt vmcnt(26) lgkmcnt(1)
	v_fma_f64 v[77:78], v[105:106], v[77:78], v[95:96]
	s_clause 0x1
	buffer_load_dword v95, off, s[0:3], 0 offset:104
	buffer_load_dword v96, off, s[0:3], 0 offset:108
	s_waitcnt vmcnt(27)
	v_fma_f64 v[77:78], v[103:104], v[79:80], v[77:78]
	s_waitcnt vmcnt(26) lgkmcnt(0)
	v_fma_f64 v[77:78], v[101:102], v[81:82], v[77:78]
	s_waitcnt vmcnt(21)
	v_fma_f64 v[97:98], v[107:108], v[83:84], v[77:78]
	ds_read_b128 v[77:80], v76 offset:512
	ds_read_b128 v[81:84], v76 offset:528
	s_waitcnt vmcnt(20) lgkmcnt(1)
	v_fma_f64 v[77:78], v[113:114], v[77:78], v[97:98]
	s_waitcnt vmcnt(19)
	v_fma_f64 v[77:78], v[111:112], v[79:80], v[77:78]
	s_waitcnt vmcnt(18) lgkmcnt(0)
	v_fma_f64 v[77:78], v[109:110], v[81:82], v[77:78]
	s_waitcnt vmcnt(13)
	v_fma_f64 v[85:86], v[85:86], v[83:84], v[77:78]
	ds_read_b128 v[77:80], v76 offset:544
	ds_read_b128 v[81:84], v76 offset:560
	s_waitcnt vmcnt(12) lgkmcnt(1)
	v_fma_f64 v[77:78], v[119:120], v[77:78], v[85:86]
	s_waitcnt vmcnt(11)
	v_fma_f64 v[77:78], v[117:118], v[79:80], v[77:78]
	s_waitcnt vmcnt(10) lgkmcnt(0)
	v_fma_f64 v[77:78], v[115:116], v[81:82], v[77:78]
	s_waitcnt vmcnt(5)
	v_fma_f64 v[81:82], v[87:88], v[83:84], v[77:78]
	ds_read_b128 v[77:80], v76 offset:576
	ds_read_b64 v[83:84], v76 offset:592
	s_waitcnt vmcnt(4) lgkmcnt(1)
	v_fma_f64 v[77:78], v[93:94], v[77:78], v[81:82]
	s_waitcnt vmcnt(3)
	v_fma_f64 v[77:78], v[91:92], v[79:80], v[77:78]
	s_waitcnt vmcnt(2) lgkmcnt(0)
	v_fma_f64 v[77:78], v[89:90], v[83:84], v[77:78]
	s_waitcnt vmcnt(0)
	v_add_f64 v[77:78], v[95:96], -v[77:78]
	buffer_store_dword v78, off, s[0:3], 0 offset:108
	buffer_store_dword v77, off, s[0:3], 0 offset:104
	v_cmpx_lt_u32_e32 12, v0
	s_cbranch_execz .LBB36_207
; %bb.206:
	s_clause 0x1
	buffer_load_dword v77, off, s[0:3], 0 offset:96
	buffer_load_dword v78, off, s[0:3], 0 offset:100
	buffer_store_dword v76, off, s[0:3], 0 offset:96
	buffer_store_dword v76, off, s[0:3], 0 offset:100
	s_waitcnt vmcnt(0)
	ds_write_b64 v75, v[77:78]
.LBB36_207:
	s_or_b32 exec_lo, exec_lo, s4
	s_waitcnt lgkmcnt(0)
	s_waitcnt_vscnt null, 0x0
	s_barrier
	buffer_gl0_inv
	s_clause 0x1c
	buffer_load_dword v85, off, s[0:3], 0 offset:104
	buffer_load_dword v86, off, s[0:3], 0 offset:108
	;; [unrolled: 1-line block ×29, first 2 shown]
	ds_read2_b64 v[77:80], v76 offset0:51 offset1:52
	ds_read2_b64 v[81:84], v76 offset0:53 offset1:54
	buffer_load_dword v110, off, s[0:3], 0 offset:220
	s_mov_b32 s4, exec_lo
	s_waitcnt vmcnt(28) lgkmcnt(1)
	v_fma_f64 v[77:78], v[85:86], v[77:78], 0
	s_clause 0x7
	buffer_load_dword v86, off, s[0:3], 0 offset:228
	buffer_load_dword v115, off, s[0:3], 0 offset:248
	;; [unrolled: 1-line block ×8, first 2 shown]
	s_waitcnt vmcnt(34)
	v_fma_f64 v[77:78], v[87:88], v[79:80], v[77:78]
	s_waitcnt vmcnt(32) lgkmcnt(0)
	v_fma_f64 v[77:78], v[89:90], v[81:82], v[77:78]
	s_waitcnt vmcnt(30)
	v_fma_f64 v[87:88], v[91:92], v[83:84], v[77:78]
	ds_read2_b64 v[77:80], v76 offset0:55 offset1:56
	ds_read2_b64 v[81:84], v76 offset0:57 offset1:58
	s_waitcnt vmcnt(28) lgkmcnt(1)
	v_fma_f64 v[77:78], v[93:94], v[77:78], v[87:88]
	s_clause 0x7
	buffer_load_dword v88, off, s[0:3], 0 offset:260
	buffer_load_dword v89, off, s[0:3], 0 offset:280
	;; [unrolled: 1-line block ×8, first 2 shown]
	s_waitcnt vmcnt(34)
	v_fma_f64 v[77:78], v[95:96], v[79:80], v[77:78]
	s_waitcnt vmcnt(32) lgkmcnt(0)
	v_fma_f64 v[77:78], v[97:98], v[81:82], v[77:78]
	s_waitcnt vmcnt(27)
	v_fma_f64 v[95:96], v[99:100], v[83:84], v[77:78]
	ds_read2_b64 v[77:80], v76 offset0:59 offset1:60
	ds_read2_b64 v[81:84], v76 offset0:61 offset1:62
	s_waitcnt vmcnt(26) lgkmcnt(1)
	v_fma_f64 v[77:78], v[105:106], v[77:78], v[95:96]
	s_clause 0x3
	buffer_load_dword v96, off, s[0:3], 0 offset:292
	buffer_load_dword v95, off, s[0:3], 0 offset:288
	;; [unrolled: 1-line block ×4, first 2 shown]
	s_waitcnt vmcnt(29)
	v_fma_f64 v[77:78], v[103:104], v[79:80], v[77:78]
	s_waitcnt vmcnt(28) lgkmcnt(0)
	v_fma_f64 v[77:78], v[101:102], v[81:82], v[77:78]
	s_waitcnt vmcnt(23)
	v_fma_f64 v[99:100], v[107:108], v[83:84], v[77:78]
	ds_read2_b64 v[77:80], v76 offset0:63 offset1:64
	ds_read2_b64 v[81:84], v76 offset0:65 offset1:66
	s_waitcnt vmcnt(22) lgkmcnt(1)
	v_fma_f64 v[77:78], v[113:114], v[77:78], v[99:100]
	s_waitcnt vmcnt(21)
	v_fma_f64 v[77:78], v[111:112], v[79:80], v[77:78]
	s_waitcnt vmcnt(20) lgkmcnt(0)
	v_fma_f64 v[77:78], v[109:110], v[81:82], v[77:78]
	s_waitcnt vmcnt(15)
	v_fma_f64 v[85:86], v[85:86], v[83:84], v[77:78]
	ds_read2_b64 v[77:80], v76 offset0:67 offset1:68
	ds_read2_b64 v[81:84], v76 offset0:69 offset1:70
	s_waitcnt vmcnt(14) lgkmcnt(1)
	v_fma_f64 v[77:78], v[119:120], v[77:78], v[85:86]
	;; [unrolled: 10-line block ×3, first 2 shown]
	s_waitcnt vmcnt(5)
	v_fma_f64 v[76:77], v[91:92], v[79:80], v[76:77]
	s_waitcnt vmcnt(4) lgkmcnt(0)
	v_fma_f64 v[76:77], v[89:90], v[81:82], v[76:77]
	s_waitcnt vmcnt(2)
	v_fma_f64 v[76:77], v[95:96], v[83:84], v[76:77]
	s_waitcnt vmcnt(0)
	v_add_f64 v[76:77], v[97:98], -v[76:77]
	buffer_store_dword v77, off, s[0:3], 0 offset:100
	buffer_store_dword v76, off, s[0:3], 0 offset:96
	v_cmpx_lt_u32_e32 11, v0
	s_cbranch_execz .LBB36_209
; %bb.208:
	s_clause 0x1
	buffer_load_dword v76, off, s[0:3], 0 offset:88
	buffer_load_dword v77, off, s[0:3], 0 offset:92
	v_mov_b32_e32 v78, 0
	buffer_store_dword v78, off, s[0:3], 0 offset:88
	buffer_store_dword v78, off, s[0:3], 0 offset:92
	s_waitcnt vmcnt(0)
	ds_write_b64 v75, v[76:77]
.LBB36_209:
	s_or_b32 exec_lo, exec_lo, s4
	s_waitcnt lgkmcnt(0)
	s_waitcnt_vscnt null, 0x0
	s_barrier
	buffer_gl0_inv
	s_clause 0x1c
	buffer_load_dword v85, off, s[0:3], 0 offset:96
	buffer_load_dword v86, off, s[0:3], 0 offset:100
	;; [unrolled: 1-line block ×29, first 2 shown]
	v_mov_b32_e32 v76, 0
	buffer_load_dword v110, off, s[0:3], 0 offset:212
	s_mov_b32 s4, exec_lo
	ds_read_b128 v[77:80], v76 offset:400
	ds_read_b128 v[81:84], v76 offset:416
	s_waitcnt vmcnt(28) lgkmcnt(1)
	v_fma_f64 v[77:78], v[85:86], v[77:78], 0
	s_clause 0x7
	buffer_load_dword v86, off, s[0:3], 0 offset:220
	buffer_load_dword v115, off, s[0:3], 0 offset:240
	;; [unrolled: 1-line block ×8, first 2 shown]
	s_waitcnt vmcnt(34)
	v_fma_f64 v[77:78], v[87:88], v[79:80], v[77:78]
	s_waitcnt vmcnt(32) lgkmcnt(0)
	v_fma_f64 v[77:78], v[89:90], v[81:82], v[77:78]
	s_waitcnt vmcnt(30)
	v_fma_f64 v[87:88], v[91:92], v[83:84], v[77:78]
	ds_read_b128 v[77:80], v76 offset:432
	ds_read_b128 v[81:84], v76 offset:448
	s_waitcnt vmcnt(28) lgkmcnt(1)
	v_fma_f64 v[77:78], v[93:94], v[77:78], v[87:88]
	s_clause 0x7
	buffer_load_dword v88, off, s[0:3], 0 offset:252
	buffer_load_dword v89, off, s[0:3], 0 offset:272
	;; [unrolled: 1-line block ×8, first 2 shown]
	s_waitcnt vmcnt(34)
	v_fma_f64 v[77:78], v[95:96], v[79:80], v[77:78]
	s_waitcnt vmcnt(32) lgkmcnt(0)
	v_fma_f64 v[77:78], v[97:98], v[81:82], v[77:78]
	s_waitcnt vmcnt(27)
	v_fma_f64 v[95:96], v[99:100], v[83:84], v[77:78]
	ds_read_b128 v[77:80], v76 offset:464
	ds_read_b128 v[81:84], v76 offset:480
	s_waitcnt vmcnt(26) lgkmcnt(1)
	v_fma_f64 v[77:78], v[105:106], v[77:78], v[95:96]
	s_clause 0x5
	buffer_load_dword v96, off, s[0:3], 0 offset:284
	buffer_load_dword v97, off, s[0:3], 0 offset:288
	;; [unrolled: 1-line block ×6, first 2 shown]
	s_waitcnt vmcnt(31)
	v_fma_f64 v[77:78], v[103:104], v[79:80], v[77:78]
	s_waitcnt vmcnt(30) lgkmcnt(0)
	v_fma_f64 v[77:78], v[101:102], v[81:82], v[77:78]
	s_waitcnt vmcnt(25)
	v_fma_f64 v[101:102], v[107:108], v[83:84], v[77:78]
	ds_read_b128 v[77:80], v76 offset:496
	ds_read_b128 v[81:84], v76 offset:512
	s_waitcnt vmcnt(24) lgkmcnt(1)
	v_fma_f64 v[77:78], v[113:114], v[77:78], v[101:102]
	s_waitcnt vmcnt(23)
	v_fma_f64 v[77:78], v[111:112], v[79:80], v[77:78]
	s_waitcnt vmcnt(22) lgkmcnt(0)
	v_fma_f64 v[77:78], v[109:110], v[81:82], v[77:78]
	s_waitcnt vmcnt(17)
	v_fma_f64 v[85:86], v[85:86], v[83:84], v[77:78]
	ds_read_b128 v[77:80], v76 offset:528
	ds_read_b128 v[81:84], v76 offset:544
	s_waitcnt vmcnt(16) lgkmcnt(1)
	v_fma_f64 v[77:78], v[119:120], v[77:78], v[85:86]
	;; [unrolled: 10-line block ×3, first 2 shown]
	s_waitcnt vmcnt(7)
	v_fma_f64 v[77:78], v[91:92], v[79:80], v[77:78]
	ds_read_b64 v[79:80], v76 offset:592
	s_waitcnt vmcnt(6) lgkmcnt(1)
	v_fma_f64 v[77:78], v[89:90], v[81:82], v[77:78]
	s_waitcnt vmcnt(3)
	v_fma_f64 v[77:78], v[95:96], v[83:84], v[77:78]
	s_waitcnt vmcnt(2) lgkmcnt(0)
	v_fma_f64 v[77:78], v[97:98], v[79:80], v[77:78]
	s_waitcnt vmcnt(0)
	v_add_f64 v[77:78], v[99:100], -v[77:78]
	buffer_store_dword v78, off, s[0:3], 0 offset:92
	buffer_store_dword v77, off, s[0:3], 0 offset:88
	v_cmpx_lt_u32_e32 10, v0
	s_cbranch_execz .LBB36_211
; %bb.210:
	s_clause 0x1
	buffer_load_dword v77, off, s[0:3], 0 offset:80
	buffer_load_dword v78, off, s[0:3], 0 offset:84
	buffer_store_dword v76, off, s[0:3], 0 offset:80
	buffer_store_dword v76, off, s[0:3], 0 offset:84
	s_waitcnt vmcnt(0)
	ds_write_b64 v75, v[77:78]
.LBB36_211:
	s_or_b32 exec_lo, exec_lo, s4
	s_waitcnt lgkmcnt(0)
	s_waitcnt_vscnt null, 0x0
	s_barrier
	buffer_gl0_inv
	s_clause 0x1c
	buffer_load_dword v85, off, s[0:3], 0 offset:88
	buffer_load_dword v86, off, s[0:3], 0 offset:92
	;; [unrolled: 1-line block ×29, first 2 shown]
	ds_read2_b64 v[77:80], v76 offset0:49 offset1:50
	ds_read2_b64 v[81:84], v76 offset0:51 offset1:52
	buffer_load_dword v110, off, s[0:3], 0 offset:204
	s_mov_b32 s4, exec_lo
	s_waitcnt vmcnt(28) lgkmcnt(1)
	v_fma_f64 v[77:78], v[85:86], v[77:78], 0
	s_clause 0x7
	buffer_load_dword v86, off, s[0:3], 0 offset:212
	buffer_load_dword v115, off, s[0:3], 0 offset:232
	;; [unrolled: 1-line block ×8, first 2 shown]
	s_waitcnt vmcnt(34)
	v_fma_f64 v[77:78], v[87:88], v[79:80], v[77:78]
	s_waitcnt vmcnt(32) lgkmcnt(0)
	v_fma_f64 v[77:78], v[89:90], v[81:82], v[77:78]
	s_waitcnt vmcnt(30)
	v_fma_f64 v[87:88], v[91:92], v[83:84], v[77:78]
	ds_read2_b64 v[77:80], v76 offset0:53 offset1:54
	ds_read2_b64 v[81:84], v76 offset0:55 offset1:56
	s_waitcnt vmcnt(28) lgkmcnt(1)
	v_fma_f64 v[77:78], v[93:94], v[77:78], v[87:88]
	s_clause 0x7
	buffer_load_dword v88, off, s[0:3], 0 offset:244
	buffer_load_dword v89, off, s[0:3], 0 offset:264
	;; [unrolled: 1-line block ×8, first 2 shown]
	s_waitcnt vmcnt(34)
	v_fma_f64 v[77:78], v[95:96], v[79:80], v[77:78]
	s_waitcnt vmcnt(32) lgkmcnt(0)
	v_fma_f64 v[77:78], v[97:98], v[81:82], v[77:78]
	s_waitcnt vmcnt(27)
	v_fma_f64 v[95:96], v[99:100], v[83:84], v[77:78]
	ds_read2_b64 v[77:80], v76 offset0:57 offset1:58
	ds_read2_b64 v[81:84], v76 offset0:59 offset1:60
	s_waitcnt vmcnt(26) lgkmcnt(1)
	v_fma_f64 v[77:78], v[105:106], v[77:78], v[95:96]
	s_clause 0x5
	buffer_load_dword v96, off, s[0:3], 0 offset:276
	buffer_load_dword v97, off, s[0:3], 0 offset:288
	;; [unrolled: 1-line block ×6, first 2 shown]
	s_waitcnt vmcnt(31)
	v_fma_f64 v[77:78], v[103:104], v[79:80], v[77:78]
	s_waitcnt vmcnt(30) lgkmcnt(0)
	v_fma_f64 v[77:78], v[101:102], v[81:82], v[77:78]
	s_waitcnt vmcnt(25)
	v_fma_f64 v[101:102], v[107:108], v[83:84], v[77:78]
	ds_read2_b64 v[77:80], v76 offset0:61 offset1:62
	s_clause 0x1
	buffer_load_dword v103, off, s[0:3], 0 offset:80
	buffer_load_dword v104, off, s[0:3], 0 offset:84
	ds_read2_b64 v[81:84], v76 offset0:63 offset1:64
	s_waitcnt vmcnt(26) lgkmcnt(1)
	v_fma_f64 v[77:78], v[113:114], v[77:78], v[101:102]
	s_waitcnt vmcnt(25)
	v_fma_f64 v[77:78], v[111:112], v[79:80], v[77:78]
	s_waitcnt vmcnt(24) lgkmcnt(0)
	v_fma_f64 v[77:78], v[109:110], v[81:82], v[77:78]
	s_waitcnt vmcnt(19)
	v_fma_f64 v[85:86], v[85:86], v[83:84], v[77:78]
	ds_read2_b64 v[77:80], v76 offset0:65 offset1:66
	ds_read2_b64 v[81:84], v76 offset0:67 offset1:68
	s_waitcnt vmcnt(18) lgkmcnt(1)
	v_fma_f64 v[77:78], v[119:120], v[77:78], v[85:86]
	s_waitcnt vmcnt(17)
	v_fma_f64 v[77:78], v[117:118], v[79:80], v[77:78]
	s_waitcnt vmcnt(16) lgkmcnt(0)
	v_fma_f64 v[77:78], v[115:116], v[81:82], v[77:78]
	s_waitcnt vmcnt(11)
	v_fma_f64 v[85:86], v[87:88], v[83:84], v[77:78]
	ds_read2_b64 v[77:80], v76 offset0:69 offset1:70
	;; [unrolled: 10-line block ×3, first 2 shown]
	s_waitcnt vmcnt(3) lgkmcnt(0)
	v_fma_f64 v[76:77], v[99:100], v[76:77], v[80:81]
	s_waitcnt vmcnt(2)
	v_fma_f64 v[76:77], v[97:98], v[78:79], v[76:77]
	s_waitcnt vmcnt(0)
	v_add_f64 v[76:77], v[103:104], -v[76:77]
	buffer_store_dword v77, off, s[0:3], 0 offset:84
	buffer_store_dword v76, off, s[0:3], 0 offset:80
	v_cmpx_lt_u32_e32 9, v0
	s_cbranch_execz .LBB36_213
; %bb.212:
	s_clause 0x1
	buffer_load_dword v76, off, s[0:3], 0 offset:72
	buffer_load_dword v77, off, s[0:3], 0 offset:76
	v_mov_b32_e32 v78, 0
	buffer_store_dword v78, off, s[0:3], 0 offset:72
	buffer_store_dword v78, off, s[0:3], 0 offset:76
	s_waitcnt vmcnt(0)
	ds_write_b64 v75, v[76:77]
.LBB36_213:
	s_or_b32 exec_lo, exec_lo, s4
	s_waitcnt lgkmcnt(0)
	s_waitcnt_vscnt null, 0x0
	s_barrier
	buffer_gl0_inv
	s_clause 0x1c
	buffer_load_dword v85, off, s[0:3], 0 offset:80
	buffer_load_dword v86, off, s[0:3], 0 offset:84
	;; [unrolled: 1-line block ×29, first 2 shown]
	v_mov_b32_e32 v76, 0
	buffer_load_dword v110, off, s[0:3], 0 offset:196
	s_mov_b32 s4, exec_lo
	ds_read_b128 v[77:80], v76 offset:384
	ds_read_b128 v[81:84], v76 offset:400
	s_waitcnt vmcnt(28) lgkmcnt(1)
	v_fma_f64 v[77:78], v[85:86], v[77:78], 0
	s_clause 0x7
	buffer_load_dword v86, off, s[0:3], 0 offset:204
	buffer_load_dword v115, off, s[0:3], 0 offset:224
	buffer_load_dword v117, off, s[0:3], 0 offset:216
	buffer_load_dword v119, off, s[0:3], 0 offset:208
	buffer_load_dword v85, off, s[0:3], 0 offset:200
	buffer_load_dword v120, off, s[0:3], 0 offset:212
	buffer_load_dword v118, off, s[0:3], 0 offset:220
	buffer_load_dword v116, off, s[0:3], 0 offset:228
	s_waitcnt vmcnt(34)
	v_fma_f64 v[77:78], v[87:88], v[79:80], v[77:78]
	s_waitcnt vmcnt(32) lgkmcnt(0)
	v_fma_f64 v[77:78], v[89:90], v[81:82], v[77:78]
	s_waitcnt vmcnt(30)
	v_fma_f64 v[87:88], v[91:92], v[83:84], v[77:78]
	ds_read_b128 v[77:80], v76 offset:416
	ds_read_b128 v[81:84], v76 offset:432
	s_waitcnt vmcnt(28) lgkmcnt(1)
	v_fma_f64 v[77:78], v[93:94], v[77:78], v[87:88]
	s_clause 0x7
	buffer_load_dword v88, off, s[0:3], 0 offset:236
	buffer_load_dword v89, off, s[0:3], 0 offset:256
	buffer_load_dword v91, off, s[0:3], 0 offset:248
	buffer_load_dword v93, off, s[0:3], 0 offset:240
	buffer_load_dword v87, off, s[0:3], 0 offset:232
	buffer_load_dword v94, off, s[0:3], 0 offset:244
	buffer_load_dword v92, off, s[0:3], 0 offset:252
	buffer_load_dword v90, off, s[0:3], 0 offset:260
	s_waitcnt vmcnt(34)
	v_fma_f64 v[77:78], v[95:96], v[79:80], v[77:78]
	s_waitcnt vmcnt(32) lgkmcnt(0)
	v_fma_f64 v[77:78], v[97:98], v[81:82], v[77:78]
	s_waitcnt vmcnt(27)
	v_fma_f64 v[95:96], v[99:100], v[83:84], v[77:78]
	;; [unrolled: 19-line block ×3, first 2 shown]
	ds_read_b128 v[77:80], v76 offset:480
	ds_read_b128 v[81:84], v76 offset:496
	s_waitcnt vmcnt(26) lgkmcnt(1)
	v_fma_f64 v[77:78], v[113:114], v[77:78], v[101:102]
	s_clause 0x1
	buffer_load_dword v101, off, s[0:3], 0 offset:72
	buffer_load_dword v102, off, s[0:3], 0 offset:76
	s_waitcnt vmcnt(27)
	v_fma_f64 v[77:78], v[111:112], v[79:80], v[77:78]
	s_waitcnt vmcnt(26) lgkmcnt(0)
	v_fma_f64 v[77:78], v[109:110], v[81:82], v[77:78]
	s_waitcnt vmcnt(21)
	v_fma_f64 v[85:86], v[85:86], v[83:84], v[77:78]
	ds_read_b128 v[77:80], v76 offset:512
	ds_read_b128 v[81:84], v76 offset:528
	s_waitcnt vmcnt(20) lgkmcnt(1)
	v_fma_f64 v[77:78], v[119:120], v[77:78], v[85:86]
	s_waitcnt vmcnt(19)
	v_fma_f64 v[77:78], v[117:118], v[79:80], v[77:78]
	s_waitcnt vmcnt(18) lgkmcnt(0)
	v_fma_f64 v[77:78], v[115:116], v[81:82], v[77:78]
	s_waitcnt vmcnt(13)
	v_fma_f64 v[85:86], v[87:88], v[83:84], v[77:78]
	ds_read_b128 v[77:80], v76 offset:544
	ds_read_b128 v[81:84], v76 offset:560
	s_waitcnt vmcnt(12) lgkmcnt(1)
	v_fma_f64 v[77:78], v[93:94], v[77:78], v[85:86]
	s_waitcnt vmcnt(11)
	v_fma_f64 v[77:78], v[91:92], v[79:80], v[77:78]
	s_waitcnt vmcnt(10) lgkmcnt(0)
	v_fma_f64 v[77:78], v[89:90], v[81:82], v[77:78]
	s_waitcnt vmcnt(5)
	v_fma_f64 v[81:82], v[95:96], v[83:84], v[77:78]
	ds_read_b128 v[77:80], v76 offset:576
	ds_read_b64 v[83:84], v76 offset:592
	s_waitcnt vmcnt(4) lgkmcnt(1)
	v_fma_f64 v[77:78], v[105:106], v[77:78], v[81:82]
	s_waitcnt vmcnt(3)
	v_fma_f64 v[77:78], v[99:100], v[79:80], v[77:78]
	s_waitcnt vmcnt(2) lgkmcnt(0)
	v_fma_f64 v[77:78], v[97:98], v[83:84], v[77:78]
	s_waitcnt vmcnt(0)
	v_add_f64 v[77:78], v[101:102], -v[77:78]
	buffer_store_dword v78, off, s[0:3], 0 offset:76
	buffer_store_dword v77, off, s[0:3], 0 offset:72
	v_cmpx_lt_u32_e32 8, v0
	s_cbranch_execz .LBB36_215
; %bb.214:
	s_clause 0x1
	buffer_load_dword v77, off, s[0:3], 0 offset:64
	buffer_load_dword v78, off, s[0:3], 0 offset:68
	buffer_store_dword v76, off, s[0:3], 0 offset:64
	buffer_store_dword v76, off, s[0:3], 0 offset:68
	s_waitcnt vmcnt(0)
	ds_write_b64 v75, v[77:78]
.LBB36_215:
	s_or_b32 exec_lo, exec_lo, s4
	s_waitcnt lgkmcnt(0)
	s_waitcnt_vscnt null, 0x0
	s_barrier
	buffer_gl0_inv
	s_clause 0x1c
	buffer_load_dword v85, off, s[0:3], 0 offset:72
	buffer_load_dword v86, off, s[0:3], 0 offset:76
	;; [unrolled: 1-line block ×29, first 2 shown]
	ds_read2_b64 v[77:80], v76 offset0:47 offset1:48
	ds_read2_b64 v[81:84], v76 offset0:49 offset1:50
	buffer_load_dword v110, off, s[0:3], 0 offset:188
	s_mov_b32 s4, exec_lo
	s_waitcnt vmcnt(28) lgkmcnt(1)
	v_fma_f64 v[77:78], v[85:86], v[77:78], 0
	s_clause 0x7
	buffer_load_dword v86, off, s[0:3], 0 offset:196
	buffer_load_dword v115, off, s[0:3], 0 offset:216
	buffer_load_dword v117, off, s[0:3], 0 offset:208
	buffer_load_dword v119, off, s[0:3], 0 offset:200
	buffer_load_dword v85, off, s[0:3], 0 offset:192
	buffer_load_dword v120, off, s[0:3], 0 offset:204
	buffer_load_dword v118, off, s[0:3], 0 offset:212
	buffer_load_dword v116, off, s[0:3], 0 offset:220
	s_waitcnt vmcnt(34)
	v_fma_f64 v[77:78], v[87:88], v[79:80], v[77:78]
	s_waitcnt vmcnt(32) lgkmcnt(0)
	v_fma_f64 v[77:78], v[89:90], v[81:82], v[77:78]
	s_waitcnt vmcnt(30)
	v_fma_f64 v[87:88], v[91:92], v[83:84], v[77:78]
	ds_read2_b64 v[77:80], v76 offset0:51 offset1:52
	ds_read2_b64 v[81:84], v76 offset0:53 offset1:54
	s_waitcnt vmcnt(28) lgkmcnt(1)
	v_fma_f64 v[77:78], v[93:94], v[77:78], v[87:88]
	s_clause 0x7
	buffer_load_dword v88, off, s[0:3], 0 offset:228
	buffer_load_dword v89, off, s[0:3], 0 offset:248
	buffer_load_dword v91, off, s[0:3], 0 offset:240
	buffer_load_dword v93, off, s[0:3], 0 offset:232
	buffer_load_dword v87, off, s[0:3], 0 offset:224
	buffer_load_dword v94, off, s[0:3], 0 offset:236
	buffer_load_dword v92, off, s[0:3], 0 offset:244
	buffer_load_dword v90, off, s[0:3], 0 offset:252
	s_waitcnt vmcnt(34)
	v_fma_f64 v[77:78], v[95:96], v[79:80], v[77:78]
	s_waitcnt vmcnt(32) lgkmcnt(0)
	v_fma_f64 v[77:78], v[97:98], v[81:82], v[77:78]
	s_waitcnt vmcnt(27)
	v_fma_f64 v[95:96], v[99:100], v[83:84], v[77:78]
	ds_read2_b64 v[77:80], v76 offset0:55 offset1:56
	ds_read2_b64 v[81:84], v76 offset0:57 offset1:58
	;; [unrolled: 19-line block ×3, first 2 shown]
	s_waitcnt vmcnt(26) lgkmcnt(1)
	v_fma_f64 v[77:78], v[113:114], v[77:78], v[101:102]
	s_clause 0x3
	buffer_load_dword v102, off, s[0:3], 0 offset:292
	buffer_load_dword v101, off, s[0:3], 0 offset:288
	buffer_load_dword v103, off, s[0:3], 0 offset:64
	buffer_load_dword v104, off, s[0:3], 0 offset:68
	s_waitcnt vmcnt(29)
	v_fma_f64 v[77:78], v[111:112], v[79:80], v[77:78]
	s_waitcnt vmcnt(28) lgkmcnt(0)
	v_fma_f64 v[77:78], v[109:110], v[81:82], v[77:78]
	s_waitcnt vmcnt(23)
	v_fma_f64 v[85:86], v[85:86], v[83:84], v[77:78]
	ds_read2_b64 v[77:80], v76 offset0:63 offset1:64
	ds_read2_b64 v[81:84], v76 offset0:65 offset1:66
	s_waitcnt vmcnt(22) lgkmcnt(1)
	v_fma_f64 v[77:78], v[119:120], v[77:78], v[85:86]
	s_waitcnt vmcnt(21)
	v_fma_f64 v[77:78], v[117:118], v[79:80], v[77:78]
	s_waitcnt vmcnt(20) lgkmcnt(0)
	v_fma_f64 v[77:78], v[115:116], v[81:82], v[77:78]
	s_waitcnt vmcnt(15)
	v_fma_f64 v[85:86], v[87:88], v[83:84], v[77:78]
	ds_read2_b64 v[77:80], v76 offset0:67 offset1:68
	ds_read2_b64 v[81:84], v76 offset0:69 offset1:70
	s_waitcnt vmcnt(14) lgkmcnt(1)
	v_fma_f64 v[77:78], v[93:94], v[77:78], v[85:86]
	;; [unrolled: 10-line block ×3, first 2 shown]
	s_waitcnt vmcnt(5)
	v_fma_f64 v[76:77], v[99:100], v[79:80], v[76:77]
	s_waitcnt vmcnt(4) lgkmcnt(0)
	v_fma_f64 v[76:77], v[97:98], v[81:82], v[76:77]
	s_waitcnt vmcnt(2)
	v_fma_f64 v[76:77], v[101:102], v[83:84], v[76:77]
	s_waitcnt vmcnt(0)
	v_add_f64 v[76:77], v[103:104], -v[76:77]
	buffer_store_dword v77, off, s[0:3], 0 offset:68
	buffer_store_dword v76, off, s[0:3], 0 offset:64
	v_cmpx_lt_u32_e32 7, v0
	s_cbranch_execz .LBB36_217
; %bb.216:
	s_clause 0x1
	buffer_load_dword v76, off, s[0:3], 0 offset:56
	buffer_load_dword v77, off, s[0:3], 0 offset:60
	v_mov_b32_e32 v78, 0
	buffer_store_dword v78, off, s[0:3], 0 offset:56
	buffer_store_dword v78, off, s[0:3], 0 offset:60
	s_waitcnt vmcnt(0)
	ds_write_b64 v75, v[76:77]
.LBB36_217:
	s_or_b32 exec_lo, exec_lo, s4
	s_waitcnt lgkmcnt(0)
	s_waitcnt_vscnt null, 0x0
	s_barrier
	buffer_gl0_inv
	s_clause 0x1c
	buffer_load_dword v85, off, s[0:3], 0 offset:64
	buffer_load_dword v86, off, s[0:3], 0 offset:68
	;; [unrolled: 1-line block ×29, first 2 shown]
	v_mov_b32_e32 v76, 0
	buffer_load_dword v110, off, s[0:3], 0 offset:180
	s_mov_b32 s4, exec_lo
	ds_read_b128 v[77:80], v76 offset:368
	ds_read_b128 v[81:84], v76 offset:384
	s_waitcnt vmcnt(28) lgkmcnt(1)
	v_fma_f64 v[77:78], v[85:86], v[77:78], 0
	s_clause 0x7
	buffer_load_dword v86, off, s[0:3], 0 offset:188
	buffer_load_dword v115, off, s[0:3], 0 offset:208
	buffer_load_dword v117, off, s[0:3], 0 offset:200
	buffer_load_dword v119, off, s[0:3], 0 offset:192
	buffer_load_dword v85, off, s[0:3], 0 offset:184
	buffer_load_dword v120, off, s[0:3], 0 offset:196
	buffer_load_dword v118, off, s[0:3], 0 offset:204
	buffer_load_dword v116, off, s[0:3], 0 offset:212
	s_waitcnt vmcnt(34)
	v_fma_f64 v[77:78], v[87:88], v[79:80], v[77:78]
	s_waitcnt vmcnt(32) lgkmcnt(0)
	v_fma_f64 v[77:78], v[89:90], v[81:82], v[77:78]
	s_waitcnt vmcnt(30)
	v_fma_f64 v[87:88], v[91:92], v[83:84], v[77:78]
	ds_read_b128 v[77:80], v76 offset:400
	ds_read_b128 v[81:84], v76 offset:416
	s_waitcnt vmcnt(28) lgkmcnt(1)
	v_fma_f64 v[77:78], v[93:94], v[77:78], v[87:88]
	s_clause 0x7
	buffer_load_dword v88, off, s[0:3], 0 offset:220
	buffer_load_dword v89, off, s[0:3], 0 offset:240
	buffer_load_dword v91, off, s[0:3], 0 offset:232
	buffer_load_dword v93, off, s[0:3], 0 offset:224
	buffer_load_dword v87, off, s[0:3], 0 offset:216
	buffer_load_dword v94, off, s[0:3], 0 offset:228
	buffer_load_dword v92, off, s[0:3], 0 offset:236
	buffer_load_dword v90, off, s[0:3], 0 offset:244
	s_waitcnt vmcnt(34)
	v_fma_f64 v[77:78], v[95:96], v[79:80], v[77:78]
	s_waitcnt vmcnt(32) lgkmcnt(0)
	v_fma_f64 v[77:78], v[97:98], v[81:82], v[77:78]
	s_waitcnt vmcnt(27)
	v_fma_f64 v[95:96], v[99:100], v[83:84], v[77:78]
	;; [unrolled: 19-line block ×3, first 2 shown]
	ds_read_b128 v[77:80], v76 offset:464
	ds_read_b128 v[81:84], v76 offset:480
	s_waitcnt vmcnt(26) lgkmcnt(1)
	v_fma_f64 v[77:78], v[113:114], v[77:78], v[101:102]
	s_clause 0x5
	buffer_load_dword v102, off, s[0:3], 0 offset:284
	buffer_load_dword v103, off, s[0:3], 0 offset:288
	;; [unrolled: 1-line block ×6, first 2 shown]
	s_waitcnt vmcnt(31)
	v_fma_f64 v[77:78], v[111:112], v[79:80], v[77:78]
	s_waitcnt vmcnt(30) lgkmcnt(0)
	v_fma_f64 v[77:78], v[109:110], v[81:82], v[77:78]
	s_waitcnt vmcnt(25)
	v_fma_f64 v[85:86], v[85:86], v[83:84], v[77:78]
	ds_read_b128 v[77:80], v76 offset:496
	ds_read_b128 v[81:84], v76 offset:512
	s_waitcnt vmcnt(24) lgkmcnt(1)
	v_fma_f64 v[77:78], v[119:120], v[77:78], v[85:86]
	s_waitcnt vmcnt(23)
	v_fma_f64 v[77:78], v[117:118], v[79:80], v[77:78]
	s_waitcnt vmcnt(22) lgkmcnt(0)
	v_fma_f64 v[77:78], v[115:116], v[81:82], v[77:78]
	s_waitcnt vmcnt(17)
	v_fma_f64 v[85:86], v[87:88], v[83:84], v[77:78]
	ds_read_b128 v[77:80], v76 offset:528
	ds_read_b128 v[81:84], v76 offset:544
	s_waitcnt vmcnt(16) lgkmcnt(1)
	v_fma_f64 v[77:78], v[93:94], v[77:78], v[85:86]
	;; [unrolled: 10-line block ×3, first 2 shown]
	s_waitcnt vmcnt(7)
	v_fma_f64 v[77:78], v[99:100], v[79:80], v[77:78]
	ds_read_b64 v[79:80], v76 offset:592
	s_waitcnt vmcnt(6) lgkmcnt(1)
	v_fma_f64 v[77:78], v[97:98], v[81:82], v[77:78]
	s_waitcnt vmcnt(3)
	v_fma_f64 v[77:78], v[101:102], v[83:84], v[77:78]
	s_waitcnt vmcnt(2) lgkmcnt(0)
	v_fma_f64 v[77:78], v[103:104], v[79:80], v[77:78]
	s_waitcnt vmcnt(0)
	v_add_f64 v[77:78], v[107:108], -v[77:78]
	buffer_store_dword v78, off, s[0:3], 0 offset:60
	buffer_store_dword v77, off, s[0:3], 0 offset:56
	v_cmpx_lt_u32_e32 6, v0
	s_cbranch_execz .LBB36_219
; %bb.218:
	s_clause 0x1
	buffer_load_dword v77, off, s[0:3], 0 offset:48
	buffer_load_dword v78, off, s[0:3], 0 offset:52
	buffer_store_dword v76, off, s[0:3], 0 offset:48
	buffer_store_dword v76, off, s[0:3], 0 offset:52
	s_waitcnt vmcnt(0)
	ds_write_b64 v75, v[77:78]
.LBB36_219:
	s_or_b32 exec_lo, exec_lo, s4
	s_waitcnt lgkmcnt(0)
	s_waitcnt_vscnt null, 0x0
	s_barrier
	buffer_gl0_inv
	s_clause 0x1c
	buffer_load_dword v85, off, s[0:3], 0 offset:56
	buffer_load_dword v86, off, s[0:3], 0 offset:60
	;; [unrolled: 1-line block ×29, first 2 shown]
	ds_read2_b64 v[77:80], v76 offset0:45 offset1:46
	ds_read2_b64 v[81:84], v76 offset0:47 offset1:48
	buffer_load_dword v110, off, s[0:3], 0 offset:172
	s_mov_b32 s4, exec_lo
	s_waitcnt vmcnt(28) lgkmcnt(1)
	v_fma_f64 v[77:78], v[85:86], v[77:78], 0
	s_clause 0x7
	buffer_load_dword v86, off, s[0:3], 0 offset:180
	buffer_load_dword v115, off, s[0:3], 0 offset:200
	buffer_load_dword v117, off, s[0:3], 0 offset:192
	buffer_load_dword v119, off, s[0:3], 0 offset:184
	buffer_load_dword v85, off, s[0:3], 0 offset:176
	buffer_load_dword v120, off, s[0:3], 0 offset:188
	buffer_load_dword v118, off, s[0:3], 0 offset:196
	buffer_load_dword v116, off, s[0:3], 0 offset:204
	s_waitcnt vmcnt(34)
	v_fma_f64 v[77:78], v[87:88], v[79:80], v[77:78]
	s_waitcnt vmcnt(32) lgkmcnt(0)
	v_fma_f64 v[77:78], v[89:90], v[81:82], v[77:78]
	s_waitcnt vmcnt(30)
	v_fma_f64 v[87:88], v[91:92], v[83:84], v[77:78]
	ds_read2_b64 v[77:80], v76 offset0:49 offset1:50
	ds_read2_b64 v[81:84], v76 offset0:51 offset1:52
	s_waitcnt vmcnt(28) lgkmcnt(1)
	v_fma_f64 v[77:78], v[93:94], v[77:78], v[87:88]
	s_clause 0x7
	buffer_load_dword v88, off, s[0:3], 0 offset:212
	buffer_load_dword v89, off, s[0:3], 0 offset:232
	buffer_load_dword v91, off, s[0:3], 0 offset:224
	buffer_load_dword v93, off, s[0:3], 0 offset:216
	buffer_load_dword v87, off, s[0:3], 0 offset:208
	buffer_load_dword v94, off, s[0:3], 0 offset:220
	buffer_load_dword v92, off, s[0:3], 0 offset:228
	buffer_load_dword v90, off, s[0:3], 0 offset:236
	s_waitcnt vmcnt(34)
	v_fma_f64 v[77:78], v[95:96], v[79:80], v[77:78]
	s_waitcnt vmcnt(32) lgkmcnt(0)
	v_fma_f64 v[77:78], v[97:98], v[81:82], v[77:78]
	s_waitcnt vmcnt(27)
	v_fma_f64 v[95:96], v[99:100], v[83:84], v[77:78]
	ds_read2_b64 v[77:80], v76 offset0:53 offset1:54
	ds_read2_b64 v[81:84], v76 offset0:55 offset1:56
	;; [unrolled: 19-line block ×3, first 2 shown]
	s_waitcnt vmcnt(26) lgkmcnt(1)
	v_fma_f64 v[77:78], v[113:114], v[77:78], v[101:102]
	s_clause 0x5
	buffer_load_dword v102, off, s[0:3], 0 offset:276
	buffer_load_dword v103, off, s[0:3], 0 offset:288
	;; [unrolled: 1-line block ×6, first 2 shown]
	s_waitcnt vmcnt(31)
	v_fma_f64 v[77:78], v[111:112], v[79:80], v[77:78]
	s_waitcnt vmcnt(30) lgkmcnt(0)
	v_fma_f64 v[77:78], v[109:110], v[81:82], v[77:78]
	s_waitcnt vmcnt(25)
	v_fma_f64 v[85:86], v[85:86], v[83:84], v[77:78]
	ds_read2_b64 v[77:80], v76 offset0:61 offset1:62
	s_clause 0x1
	buffer_load_dword v109, off, s[0:3], 0 offset:48
	buffer_load_dword v110, off, s[0:3], 0 offset:52
	ds_read2_b64 v[81:84], v76 offset0:63 offset1:64
	s_waitcnt vmcnt(26) lgkmcnt(1)
	v_fma_f64 v[77:78], v[119:120], v[77:78], v[85:86]
	s_waitcnt vmcnt(25)
	v_fma_f64 v[77:78], v[117:118], v[79:80], v[77:78]
	s_waitcnt vmcnt(24) lgkmcnt(0)
	v_fma_f64 v[77:78], v[115:116], v[81:82], v[77:78]
	s_waitcnt vmcnt(19)
	v_fma_f64 v[85:86], v[87:88], v[83:84], v[77:78]
	ds_read2_b64 v[77:80], v76 offset0:65 offset1:66
	ds_read2_b64 v[81:84], v76 offset0:67 offset1:68
	s_waitcnt vmcnt(18) lgkmcnt(1)
	v_fma_f64 v[77:78], v[93:94], v[77:78], v[85:86]
	s_waitcnt vmcnt(17)
	v_fma_f64 v[77:78], v[91:92], v[79:80], v[77:78]
	s_waitcnt vmcnt(16) lgkmcnt(0)
	v_fma_f64 v[77:78], v[89:90], v[81:82], v[77:78]
	s_waitcnt vmcnt(11)
	v_fma_f64 v[85:86], v[95:96], v[83:84], v[77:78]
	ds_read2_b64 v[77:80], v76 offset0:69 offset1:70
	;; [unrolled: 10-line block ×3, first 2 shown]
	s_waitcnt vmcnt(3) lgkmcnt(0)
	v_fma_f64 v[76:77], v[107:108], v[76:77], v[80:81]
	s_waitcnt vmcnt(2)
	v_fma_f64 v[76:77], v[103:104], v[78:79], v[76:77]
	s_waitcnt vmcnt(0)
	v_add_f64 v[76:77], v[109:110], -v[76:77]
	buffer_store_dword v77, off, s[0:3], 0 offset:52
	buffer_store_dword v76, off, s[0:3], 0 offset:48
	v_cmpx_lt_u32_e32 5, v0
	s_cbranch_execz .LBB36_221
; %bb.220:
	s_clause 0x1
	buffer_load_dword v76, off, s[0:3], 0 offset:40
	buffer_load_dword v77, off, s[0:3], 0 offset:44
	v_mov_b32_e32 v78, 0
	buffer_store_dword v78, off, s[0:3], 0 offset:40
	buffer_store_dword v78, off, s[0:3], 0 offset:44
	s_waitcnt vmcnt(0)
	ds_write_b64 v75, v[76:77]
.LBB36_221:
	s_or_b32 exec_lo, exec_lo, s4
	s_waitcnt lgkmcnt(0)
	s_waitcnt_vscnt null, 0x0
	s_barrier
	buffer_gl0_inv
	s_clause 0x1c
	buffer_load_dword v85, off, s[0:3], 0 offset:48
	buffer_load_dword v86, off, s[0:3], 0 offset:52
	;; [unrolled: 1-line block ×29, first 2 shown]
	v_mov_b32_e32 v76, 0
	buffer_load_dword v110, off, s[0:3], 0 offset:164
	s_mov_b32 s4, exec_lo
	ds_read_b128 v[77:80], v76 offset:352
	ds_read_b128 v[81:84], v76 offset:368
	s_waitcnt vmcnt(28) lgkmcnt(1)
	v_fma_f64 v[77:78], v[85:86], v[77:78], 0
	s_clause 0x7
	buffer_load_dword v86, off, s[0:3], 0 offset:172
	buffer_load_dword v115, off, s[0:3], 0 offset:192
	buffer_load_dword v117, off, s[0:3], 0 offset:184
	buffer_load_dword v119, off, s[0:3], 0 offset:176
	buffer_load_dword v85, off, s[0:3], 0 offset:168
	buffer_load_dword v120, off, s[0:3], 0 offset:180
	buffer_load_dword v118, off, s[0:3], 0 offset:188
	buffer_load_dword v116, off, s[0:3], 0 offset:196
	s_waitcnt vmcnt(34)
	v_fma_f64 v[77:78], v[87:88], v[79:80], v[77:78]
	s_waitcnt vmcnt(32) lgkmcnt(0)
	v_fma_f64 v[77:78], v[89:90], v[81:82], v[77:78]
	s_waitcnt vmcnt(30)
	v_fma_f64 v[87:88], v[91:92], v[83:84], v[77:78]
	ds_read_b128 v[77:80], v76 offset:384
	ds_read_b128 v[81:84], v76 offset:400
	s_waitcnt vmcnt(28) lgkmcnt(1)
	v_fma_f64 v[77:78], v[93:94], v[77:78], v[87:88]
	s_clause 0x7
	buffer_load_dword v88, off, s[0:3], 0 offset:204
	buffer_load_dword v89, off, s[0:3], 0 offset:224
	buffer_load_dword v91, off, s[0:3], 0 offset:216
	buffer_load_dword v93, off, s[0:3], 0 offset:208
	buffer_load_dword v87, off, s[0:3], 0 offset:200
	buffer_load_dword v94, off, s[0:3], 0 offset:212
	buffer_load_dword v92, off, s[0:3], 0 offset:220
	buffer_load_dword v90, off, s[0:3], 0 offset:228
	s_waitcnt vmcnt(34)
	v_fma_f64 v[77:78], v[95:96], v[79:80], v[77:78]
	s_waitcnt vmcnt(32) lgkmcnt(0)
	v_fma_f64 v[77:78], v[97:98], v[81:82], v[77:78]
	s_waitcnt vmcnt(27)
	v_fma_f64 v[95:96], v[99:100], v[83:84], v[77:78]
	;; [unrolled: 19-line block ×4, first 2 shown]
	ds_read_b128 v[77:80], v76 offset:480
	ds_read_b128 v[81:84], v76 offset:496
	s_waitcnt vmcnt(26) lgkmcnt(1)
	v_fma_f64 v[77:78], v[119:120], v[77:78], v[85:86]
	s_clause 0x1
	buffer_load_dword v85, off, s[0:3], 0 offset:40
	buffer_load_dword v86, off, s[0:3], 0 offset:44
	s_waitcnt vmcnt(27)
	v_fma_f64 v[77:78], v[117:118], v[79:80], v[77:78]
	s_waitcnt vmcnt(26) lgkmcnt(0)
	v_fma_f64 v[77:78], v[115:116], v[81:82], v[77:78]
	s_waitcnt vmcnt(21)
	v_fma_f64 v[87:88], v[87:88], v[83:84], v[77:78]
	ds_read_b128 v[77:80], v76 offset:512
	ds_read_b128 v[81:84], v76 offset:528
	s_waitcnt vmcnt(20) lgkmcnt(1)
	v_fma_f64 v[77:78], v[93:94], v[77:78], v[87:88]
	s_waitcnt vmcnt(19)
	v_fma_f64 v[77:78], v[91:92], v[79:80], v[77:78]
	s_waitcnt vmcnt(18) lgkmcnt(0)
	v_fma_f64 v[77:78], v[89:90], v[81:82], v[77:78]
	s_waitcnt vmcnt(13)
	v_fma_f64 v[87:88], v[95:96], v[83:84], v[77:78]
	ds_read_b128 v[77:80], v76 offset:544
	ds_read_b128 v[81:84], v76 offset:560
	s_waitcnt vmcnt(12) lgkmcnt(1)
	v_fma_f64 v[77:78], v[105:106], v[77:78], v[87:88]
	s_waitcnt vmcnt(11)
	v_fma_f64 v[77:78], v[99:100], v[79:80], v[77:78]
	s_waitcnt vmcnt(10) lgkmcnt(0)
	v_fma_f64 v[77:78], v[97:98], v[81:82], v[77:78]
	s_waitcnt vmcnt(5)
	v_fma_f64 v[81:82], v[101:102], v[83:84], v[77:78]
	ds_read_b128 v[77:80], v76 offset:576
	ds_read_b64 v[83:84], v76 offset:592
	s_waitcnt vmcnt(4) lgkmcnt(1)
	v_fma_f64 v[77:78], v[113:114], v[77:78], v[81:82]
	s_waitcnt vmcnt(3)
	v_fma_f64 v[77:78], v[107:108], v[79:80], v[77:78]
	s_waitcnt vmcnt(2) lgkmcnt(0)
	v_fma_f64 v[77:78], v[103:104], v[83:84], v[77:78]
	s_waitcnt vmcnt(0)
	v_add_f64 v[77:78], v[85:86], -v[77:78]
	buffer_store_dword v78, off, s[0:3], 0 offset:44
	buffer_store_dword v77, off, s[0:3], 0 offset:40
	v_cmpx_lt_u32_e32 4, v0
	s_cbranch_execz .LBB36_223
; %bb.222:
	s_clause 0x1
	buffer_load_dword v77, off, s[0:3], 0 offset:32
	buffer_load_dword v78, off, s[0:3], 0 offset:36
	buffer_store_dword v76, off, s[0:3], 0 offset:32
	buffer_store_dword v76, off, s[0:3], 0 offset:36
	s_waitcnt vmcnt(0)
	ds_write_b64 v75, v[77:78]
.LBB36_223:
	s_or_b32 exec_lo, exec_lo, s4
	s_waitcnt lgkmcnt(0)
	s_waitcnt_vscnt null, 0x0
	s_barrier
	buffer_gl0_inv
	s_clause 0x1c
	buffer_load_dword v85, off, s[0:3], 0 offset:40
	buffer_load_dword v86, off, s[0:3], 0 offset:44
	;; [unrolled: 1-line block ×29, first 2 shown]
	ds_read2_b64 v[77:80], v76 offset0:43 offset1:44
	ds_read2_b64 v[81:84], v76 offset0:45 offset1:46
	buffer_load_dword v110, off, s[0:3], 0 offset:156
	s_mov_b32 s4, exec_lo
	s_waitcnt vmcnt(28) lgkmcnt(1)
	v_fma_f64 v[77:78], v[85:86], v[77:78], 0
	s_clause 0x7
	buffer_load_dword v86, off, s[0:3], 0 offset:164
	buffer_load_dword v115, off, s[0:3], 0 offset:184
	buffer_load_dword v117, off, s[0:3], 0 offset:176
	buffer_load_dword v119, off, s[0:3], 0 offset:168
	buffer_load_dword v85, off, s[0:3], 0 offset:160
	buffer_load_dword v120, off, s[0:3], 0 offset:172
	buffer_load_dword v118, off, s[0:3], 0 offset:180
	buffer_load_dword v116, off, s[0:3], 0 offset:188
	s_waitcnt vmcnt(34)
	v_fma_f64 v[77:78], v[87:88], v[79:80], v[77:78]
	s_waitcnt vmcnt(32) lgkmcnt(0)
	v_fma_f64 v[77:78], v[89:90], v[81:82], v[77:78]
	s_waitcnt vmcnt(30)
	v_fma_f64 v[87:88], v[91:92], v[83:84], v[77:78]
	ds_read2_b64 v[77:80], v76 offset0:47 offset1:48
	ds_read2_b64 v[81:84], v76 offset0:49 offset1:50
	s_waitcnt vmcnt(28) lgkmcnt(1)
	v_fma_f64 v[77:78], v[93:94], v[77:78], v[87:88]
	s_clause 0x7
	buffer_load_dword v88, off, s[0:3], 0 offset:196
	buffer_load_dword v89, off, s[0:3], 0 offset:216
	buffer_load_dword v91, off, s[0:3], 0 offset:208
	buffer_load_dword v93, off, s[0:3], 0 offset:200
	buffer_load_dword v87, off, s[0:3], 0 offset:192
	buffer_load_dword v94, off, s[0:3], 0 offset:204
	buffer_load_dword v92, off, s[0:3], 0 offset:212
	buffer_load_dword v90, off, s[0:3], 0 offset:220
	s_waitcnt vmcnt(34)
	v_fma_f64 v[77:78], v[95:96], v[79:80], v[77:78]
	s_waitcnt vmcnt(32) lgkmcnt(0)
	v_fma_f64 v[77:78], v[97:98], v[81:82], v[77:78]
	s_waitcnt vmcnt(27)
	v_fma_f64 v[95:96], v[99:100], v[83:84], v[77:78]
	ds_read2_b64 v[77:80], v76 offset0:51 offset1:52
	ds_read2_b64 v[81:84], v76 offset0:53 offset1:54
	;; [unrolled: 19-line block ×4, first 2 shown]
	s_waitcnt vmcnt(26) lgkmcnt(1)
	v_fma_f64 v[77:78], v[119:120], v[77:78], v[85:86]
	s_clause 0x3
	buffer_load_dword v86, off, s[0:3], 0 offset:292
	buffer_load_dword v85, off, s[0:3], 0 offset:288
	;; [unrolled: 1-line block ×4, first 2 shown]
	s_waitcnt vmcnt(29)
	v_fma_f64 v[77:78], v[117:118], v[79:80], v[77:78]
	s_waitcnt vmcnt(28) lgkmcnt(0)
	v_fma_f64 v[77:78], v[115:116], v[81:82], v[77:78]
	s_waitcnt vmcnt(23)
	v_fma_f64 v[87:88], v[87:88], v[83:84], v[77:78]
	ds_read2_b64 v[77:80], v76 offset0:63 offset1:64
	ds_read2_b64 v[81:84], v76 offset0:65 offset1:66
	s_waitcnt vmcnt(22) lgkmcnt(1)
	v_fma_f64 v[77:78], v[93:94], v[77:78], v[87:88]
	s_waitcnt vmcnt(21)
	v_fma_f64 v[77:78], v[91:92], v[79:80], v[77:78]
	s_waitcnt vmcnt(20) lgkmcnt(0)
	v_fma_f64 v[77:78], v[89:90], v[81:82], v[77:78]
	s_waitcnt vmcnt(15)
	v_fma_f64 v[87:88], v[95:96], v[83:84], v[77:78]
	ds_read2_b64 v[77:80], v76 offset0:67 offset1:68
	ds_read2_b64 v[81:84], v76 offset0:69 offset1:70
	s_waitcnt vmcnt(14) lgkmcnt(1)
	v_fma_f64 v[77:78], v[105:106], v[77:78], v[87:88]
	;; [unrolled: 10-line block ×3, first 2 shown]
	s_waitcnt vmcnt(5)
	v_fma_f64 v[76:77], v[107:108], v[79:80], v[76:77]
	s_waitcnt vmcnt(4) lgkmcnt(0)
	v_fma_f64 v[76:77], v[103:104], v[81:82], v[76:77]
	s_waitcnt vmcnt(2)
	v_fma_f64 v[76:77], v[85:86], v[83:84], v[76:77]
	s_waitcnt vmcnt(0)
	v_add_f64 v[76:77], v[109:110], -v[76:77]
	buffer_store_dword v77, off, s[0:3], 0 offset:36
	buffer_store_dword v76, off, s[0:3], 0 offset:32
	v_cmpx_lt_u32_e32 3, v0
	s_cbranch_execz .LBB36_225
; %bb.224:
	s_clause 0x1
	buffer_load_dword v76, off, s[0:3], 0 offset:24
	buffer_load_dword v77, off, s[0:3], 0 offset:28
	v_mov_b32_e32 v78, 0
	buffer_store_dword v78, off, s[0:3], 0 offset:24
	buffer_store_dword v78, off, s[0:3], 0 offset:28
	s_waitcnt vmcnt(0)
	ds_write_b64 v75, v[76:77]
.LBB36_225:
	s_or_b32 exec_lo, exec_lo, s4
	s_waitcnt lgkmcnt(0)
	s_waitcnt_vscnt null, 0x0
	s_barrier
	buffer_gl0_inv
	s_clause 0x1c
	buffer_load_dword v85, off, s[0:3], 0 offset:32
	buffer_load_dword v86, off, s[0:3], 0 offset:36
	;; [unrolled: 1-line block ×29, first 2 shown]
	v_mov_b32_e32 v76, 0
	buffer_load_dword v110, off, s[0:3], 0 offset:148
	s_mov_b32 s4, exec_lo
	ds_read_b128 v[77:80], v76 offset:336
	ds_read_b128 v[81:84], v76 offset:352
	s_waitcnt vmcnt(28) lgkmcnt(1)
	v_fma_f64 v[77:78], v[85:86], v[77:78], 0
	s_clause 0x7
	buffer_load_dword v86, off, s[0:3], 0 offset:156
	buffer_load_dword v115, off, s[0:3], 0 offset:176
	buffer_load_dword v117, off, s[0:3], 0 offset:168
	buffer_load_dword v119, off, s[0:3], 0 offset:160
	buffer_load_dword v85, off, s[0:3], 0 offset:152
	buffer_load_dword v120, off, s[0:3], 0 offset:164
	buffer_load_dword v118, off, s[0:3], 0 offset:172
	buffer_load_dword v116, off, s[0:3], 0 offset:180
	s_waitcnt vmcnt(34)
	v_fma_f64 v[77:78], v[87:88], v[79:80], v[77:78]
	s_waitcnt vmcnt(32) lgkmcnt(0)
	v_fma_f64 v[77:78], v[89:90], v[81:82], v[77:78]
	s_waitcnt vmcnt(30)
	v_fma_f64 v[87:88], v[91:92], v[83:84], v[77:78]
	ds_read_b128 v[77:80], v76 offset:368
	ds_read_b128 v[81:84], v76 offset:384
	s_waitcnt vmcnt(28) lgkmcnt(1)
	v_fma_f64 v[77:78], v[93:94], v[77:78], v[87:88]
	s_clause 0x7
	buffer_load_dword v88, off, s[0:3], 0 offset:188
	buffer_load_dword v89, off, s[0:3], 0 offset:208
	buffer_load_dword v91, off, s[0:3], 0 offset:200
	buffer_load_dword v93, off, s[0:3], 0 offset:192
	buffer_load_dword v87, off, s[0:3], 0 offset:184
	buffer_load_dword v94, off, s[0:3], 0 offset:196
	buffer_load_dword v92, off, s[0:3], 0 offset:204
	buffer_load_dword v90, off, s[0:3], 0 offset:212
	s_waitcnt vmcnt(34)
	v_fma_f64 v[77:78], v[95:96], v[79:80], v[77:78]
	s_waitcnt vmcnt(32) lgkmcnt(0)
	v_fma_f64 v[77:78], v[97:98], v[81:82], v[77:78]
	s_waitcnt vmcnt(27)
	v_fma_f64 v[95:96], v[99:100], v[83:84], v[77:78]
	;; [unrolled: 19-line block ×4, first 2 shown]
	ds_read_b128 v[77:80], v76 offset:464
	ds_read_b128 v[81:84], v76 offset:480
	s_waitcnt vmcnt(26) lgkmcnt(1)
	v_fma_f64 v[77:78], v[119:120], v[77:78], v[85:86]
	s_clause 0x5
	buffer_load_dword v86, off, s[0:3], 0 offset:284
	buffer_load_dword v109, off, s[0:3], 0 offset:288
	;; [unrolled: 1-line block ×6, first 2 shown]
	s_waitcnt vmcnt(31)
	v_fma_f64 v[77:78], v[117:118], v[79:80], v[77:78]
	s_waitcnt vmcnt(30) lgkmcnt(0)
	v_fma_f64 v[77:78], v[115:116], v[81:82], v[77:78]
	s_waitcnt vmcnt(25)
	v_fma_f64 v[87:88], v[87:88], v[83:84], v[77:78]
	ds_read_b128 v[77:80], v76 offset:496
	ds_read_b128 v[81:84], v76 offset:512
	s_waitcnt vmcnt(24) lgkmcnt(1)
	v_fma_f64 v[77:78], v[93:94], v[77:78], v[87:88]
	s_waitcnt vmcnt(23)
	v_fma_f64 v[77:78], v[91:92], v[79:80], v[77:78]
	s_waitcnt vmcnt(22) lgkmcnt(0)
	v_fma_f64 v[77:78], v[89:90], v[81:82], v[77:78]
	s_waitcnt vmcnt(17)
	v_fma_f64 v[87:88], v[95:96], v[83:84], v[77:78]
	ds_read_b128 v[77:80], v76 offset:528
	ds_read_b128 v[81:84], v76 offset:544
	s_waitcnt vmcnt(16) lgkmcnt(1)
	v_fma_f64 v[77:78], v[105:106], v[77:78], v[87:88]
	;; [unrolled: 10-line block ×3, first 2 shown]
	s_waitcnt vmcnt(7)
	v_fma_f64 v[77:78], v[107:108], v[79:80], v[77:78]
	ds_read_b64 v[79:80], v76 offset:592
	s_waitcnt vmcnt(6) lgkmcnt(1)
	v_fma_f64 v[77:78], v[103:104], v[81:82], v[77:78]
	s_waitcnt vmcnt(3)
	v_fma_f64 v[77:78], v[85:86], v[83:84], v[77:78]
	s_waitcnt vmcnt(2) lgkmcnt(0)
	v_fma_f64 v[77:78], v[109:110], v[79:80], v[77:78]
	s_waitcnt vmcnt(0)
	v_add_f64 v[77:78], v[111:112], -v[77:78]
	buffer_store_dword v78, off, s[0:3], 0 offset:28
	buffer_store_dword v77, off, s[0:3], 0 offset:24
	v_cmpx_lt_u32_e32 2, v0
	s_cbranch_execz .LBB36_227
; %bb.226:
	s_clause 0x1
	buffer_load_dword v77, off, s[0:3], 0 offset:16
	buffer_load_dword v78, off, s[0:3], 0 offset:20
	buffer_store_dword v76, off, s[0:3], 0 offset:16
	buffer_store_dword v76, off, s[0:3], 0 offset:20
	s_waitcnt vmcnt(0)
	ds_write_b64 v75, v[77:78]
.LBB36_227:
	s_or_b32 exec_lo, exec_lo, s4
	s_waitcnt lgkmcnt(0)
	s_waitcnt_vscnt null, 0x0
	s_barrier
	buffer_gl0_inv
	s_clause 0x1c
	buffer_load_dword v85, off, s[0:3], 0 offset:24
	buffer_load_dword v86, off, s[0:3], 0 offset:28
	;; [unrolled: 1-line block ×29, first 2 shown]
	ds_read2_b64 v[77:80], v76 offset0:41 offset1:42
	ds_read2_b64 v[81:84], v76 offset0:43 offset1:44
	buffer_load_dword v110, off, s[0:3], 0 offset:140
	s_mov_b32 s4, exec_lo
	s_waitcnt vmcnt(28) lgkmcnt(1)
	v_fma_f64 v[77:78], v[85:86], v[77:78], 0
	s_clause 0x7
	buffer_load_dword v86, off, s[0:3], 0 offset:148
	buffer_load_dword v115, off, s[0:3], 0 offset:168
	buffer_load_dword v117, off, s[0:3], 0 offset:160
	buffer_load_dword v119, off, s[0:3], 0 offset:152
	buffer_load_dword v85, off, s[0:3], 0 offset:144
	buffer_load_dword v120, off, s[0:3], 0 offset:156
	buffer_load_dword v118, off, s[0:3], 0 offset:164
	buffer_load_dword v116, off, s[0:3], 0 offset:172
	s_waitcnt vmcnt(34)
	v_fma_f64 v[77:78], v[87:88], v[79:80], v[77:78]
	s_waitcnt vmcnt(32) lgkmcnt(0)
	v_fma_f64 v[77:78], v[89:90], v[81:82], v[77:78]
	s_waitcnt vmcnt(30)
	v_fma_f64 v[87:88], v[91:92], v[83:84], v[77:78]
	ds_read2_b64 v[77:80], v76 offset0:45 offset1:46
	ds_read2_b64 v[81:84], v76 offset0:47 offset1:48
	s_waitcnt vmcnt(28) lgkmcnt(1)
	v_fma_f64 v[77:78], v[93:94], v[77:78], v[87:88]
	s_clause 0x7
	buffer_load_dword v88, off, s[0:3], 0 offset:180
	buffer_load_dword v89, off, s[0:3], 0 offset:200
	buffer_load_dword v91, off, s[0:3], 0 offset:192
	buffer_load_dword v93, off, s[0:3], 0 offset:184
	buffer_load_dword v87, off, s[0:3], 0 offset:176
	buffer_load_dword v94, off, s[0:3], 0 offset:188
	buffer_load_dword v92, off, s[0:3], 0 offset:196
	buffer_load_dword v90, off, s[0:3], 0 offset:204
	s_waitcnt vmcnt(34)
	v_fma_f64 v[77:78], v[95:96], v[79:80], v[77:78]
	s_waitcnt vmcnt(32) lgkmcnt(0)
	v_fma_f64 v[77:78], v[97:98], v[81:82], v[77:78]
	s_waitcnt vmcnt(27)
	v_fma_f64 v[95:96], v[99:100], v[83:84], v[77:78]
	ds_read2_b64 v[77:80], v76 offset0:49 offset1:50
	ds_read2_b64 v[81:84], v76 offset0:51 offset1:52
	;; [unrolled: 19-line block ×4, first 2 shown]
	s_waitcnt vmcnt(26) lgkmcnt(1)
	v_fma_f64 v[77:78], v[119:120], v[77:78], v[85:86]
	s_clause 0x5
	buffer_load_dword v86, off, s[0:3], 0 offset:276
	buffer_load_dword v109, off, s[0:3], 0 offset:288
	;; [unrolled: 1-line block ×6, first 2 shown]
	s_waitcnt vmcnt(31)
	v_fma_f64 v[77:78], v[117:118], v[79:80], v[77:78]
	s_waitcnt vmcnt(30) lgkmcnt(0)
	v_fma_f64 v[77:78], v[115:116], v[81:82], v[77:78]
	s_waitcnt vmcnt(25)
	v_fma_f64 v[87:88], v[87:88], v[83:84], v[77:78]
	ds_read2_b64 v[77:80], v76 offset0:61 offset1:62
	s_clause 0x1
	buffer_load_dword v115, off, s[0:3], 0 offset:16
	buffer_load_dword v116, off, s[0:3], 0 offset:20
	ds_read2_b64 v[81:84], v76 offset0:63 offset1:64
	s_waitcnt vmcnt(26) lgkmcnt(1)
	v_fma_f64 v[77:78], v[93:94], v[77:78], v[87:88]
	s_waitcnt vmcnt(25)
	v_fma_f64 v[77:78], v[91:92], v[79:80], v[77:78]
	s_waitcnt vmcnt(24) lgkmcnt(0)
	v_fma_f64 v[77:78], v[89:90], v[81:82], v[77:78]
	s_waitcnt vmcnt(19)
	v_fma_f64 v[87:88], v[95:96], v[83:84], v[77:78]
	ds_read2_b64 v[77:80], v76 offset0:65 offset1:66
	ds_read2_b64 v[81:84], v76 offset0:67 offset1:68
	s_waitcnt vmcnt(18) lgkmcnt(1)
	v_fma_f64 v[77:78], v[105:106], v[77:78], v[87:88]
	s_waitcnt vmcnt(17)
	v_fma_f64 v[77:78], v[99:100], v[79:80], v[77:78]
	s_waitcnt vmcnt(16) lgkmcnt(0)
	v_fma_f64 v[77:78], v[97:98], v[81:82], v[77:78]
	s_waitcnt vmcnt(11)
	v_fma_f64 v[87:88], v[101:102], v[83:84], v[77:78]
	ds_read2_b64 v[77:80], v76 offset0:69 offset1:70
	;; [unrolled: 10-line block ×3, first 2 shown]
	s_waitcnt vmcnt(3) lgkmcnt(0)
	v_fma_f64 v[76:77], v[111:112], v[76:77], v[80:81]
	s_waitcnt vmcnt(2)
	v_fma_f64 v[76:77], v[109:110], v[78:79], v[76:77]
	s_waitcnt vmcnt(0)
	v_add_f64 v[76:77], v[115:116], -v[76:77]
	buffer_store_dword v77, off, s[0:3], 0 offset:20
	buffer_store_dword v76, off, s[0:3], 0 offset:16
	v_cmpx_lt_u32_e32 1, v0
	s_cbranch_execz .LBB36_229
; %bb.228:
	s_clause 0x1
	buffer_load_dword v76, off, s[0:3], 0 offset:8
	buffer_load_dword v77, off, s[0:3], 0 offset:12
	v_mov_b32_e32 v78, 0
	buffer_store_dword v78, off, s[0:3], 0 offset:8
	buffer_store_dword v78, off, s[0:3], 0 offset:12
	s_waitcnt vmcnt(0)
	ds_write_b64 v75, v[76:77]
.LBB36_229:
	s_or_b32 exec_lo, exec_lo, s4
	s_waitcnt lgkmcnt(0)
	s_waitcnt_vscnt null, 0x0
	s_barrier
	buffer_gl0_inv
	s_clause 0x1c
	buffer_load_dword v86, off, s[0:3], 0 offset:16
	buffer_load_dword v87, off, s[0:3], 0 offset:20
	;; [unrolled: 1-line block ×29, first 2 shown]
	v_mov_b32_e32 v77, 0
	buffer_load_dword v111, off, s[0:3], 0 offset:132
	s_mov_b32 s4, exec_lo
	ds_read_b128 v[78:81], v77 offset:320
	ds_read_b128 v[82:85], v77 offset:336
	s_waitcnt vmcnt(28) lgkmcnt(1)
	v_fma_f64 v[78:79], v[86:87], v[78:79], 0
	s_clause 0x7
	buffer_load_dword v87, off, s[0:3], 0 offset:140
	buffer_load_dword v116, off, s[0:3], 0 offset:160
	buffer_load_dword v118, off, s[0:3], 0 offset:152
	buffer_load_dword v120, off, s[0:3], 0 offset:144
	buffer_load_dword v86, off, s[0:3], 0 offset:136
	buffer_load_dword v121, off, s[0:3], 0 offset:148
	buffer_load_dword v119, off, s[0:3], 0 offset:156
	buffer_load_dword v117, off, s[0:3], 0 offset:164
	s_waitcnt vmcnt(34)
	v_fma_f64 v[78:79], v[88:89], v[80:81], v[78:79]
	s_waitcnt vmcnt(32) lgkmcnt(0)
	v_fma_f64 v[78:79], v[90:91], v[82:83], v[78:79]
	s_waitcnt vmcnt(30)
	v_fma_f64 v[88:89], v[92:93], v[84:85], v[78:79]
	ds_read_b128 v[78:81], v77 offset:352
	ds_read_b128 v[82:85], v77 offset:368
	s_waitcnt vmcnt(28) lgkmcnt(1)
	v_fma_f64 v[78:79], v[94:95], v[78:79], v[88:89]
	s_clause 0x7
	buffer_load_dword v89, off, s[0:3], 0 offset:172
	buffer_load_dword v90, off, s[0:3], 0 offset:192
	buffer_load_dword v92, off, s[0:3], 0 offset:184
	buffer_load_dword v94, off, s[0:3], 0 offset:176
	buffer_load_dword v88, off, s[0:3], 0 offset:168
	buffer_load_dword v95, off, s[0:3], 0 offset:180
	buffer_load_dword v93, off, s[0:3], 0 offset:188
	buffer_load_dword v91, off, s[0:3], 0 offset:196
	s_waitcnt vmcnt(34)
	v_fma_f64 v[78:79], v[96:97], v[80:81], v[78:79]
	s_waitcnt vmcnt(32) lgkmcnt(0)
	v_fma_f64 v[78:79], v[98:99], v[82:83], v[78:79]
	s_waitcnt vmcnt(27)
	v_fma_f64 v[96:97], v[100:101], v[84:85], v[78:79]
	;; [unrolled: 19-line block ×5, first 2 shown]
	ds_read_b128 v[78:81], v77 offset:480
	ds_read_b128 v[82:85], v77 offset:496
	s_waitcnt vmcnt(26) lgkmcnt(1)
	v_fma_f64 v[78:79], v[94:95], v[78:79], v[88:89]
	s_clause 0x1
	buffer_load_dword v88, off, s[0:3], 0 offset:8
	buffer_load_dword v89, off, s[0:3], 0 offset:12
	s_waitcnt vmcnt(27)
	v_fma_f64 v[78:79], v[92:93], v[80:81], v[78:79]
	s_waitcnt vmcnt(26) lgkmcnt(0)
	v_fma_f64 v[78:79], v[90:91], v[82:83], v[78:79]
	s_waitcnt vmcnt(21)
	v_fma_f64 v[90:91], v[96:97], v[84:85], v[78:79]
	ds_read_b128 v[78:81], v77 offset:512
	ds_read_b128 v[82:85], v77 offset:528
	s_waitcnt vmcnt(20) lgkmcnt(1)
	v_fma_f64 v[78:79], v[106:107], v[78:79], v[90:91]
	s_waitcnt vmcnt(19)
	v_fma_f64 v[78:79], v[100:101], v[80:81], v[78:79]
	s_waitcnt vmcnt(18) lgkmcnt(0)
	v_fma_f64 v[78:79], v[98:99], v[82:83], v[78:79]
	s_waitcnt vmcnt(13)
	v_fma_f64 v[90:91], v[102:103], v[84:85], v[78:79]
	ds_read_b128 v[78:81], v77 offset:544
	ds_read_b128 v[82:85], v77 offset:560
	s_waitcnt vmcnt(12) lgkmcnt(1)
	v_fma_f64 v[78:79], v[114:115], v[78:79], v[90:91]
	s_waitcnt vmcnt(11)
	v_fma_f64 v[78:79], v[108:109], v[80:81], v[78:79]
	s_waitcnt vmcnt(10) lgkmcnt(0)
	v_fma_f64 v[78:79], v[104:105], v[82:83], v[78:79]
	s_waitcnt vmcnt(5)
	v_fma_f64 v[82:83], v[86:87], v[84:85], v[78:79]
	ds_read_b128 v[78:81], v77 offset:576
	ds_read_b64 v[84:85], v77 offset:592
	s_waitcnt vmcnt(4) lgkmcnt(1)
	v_fma_f64 v[78:79], v[120:121], v[78:79], v[82:83]
	s_waitcnt vmcnt(3)
	v_fma_f64 v[78:79], v[112:113], v[80:81], v[78:79]
	s_waitcnt vmcnt(2) lgkmcnt(0)
	v_fma_f64 v[78:79], v[110:111], v[84:85], v[78:79]
	s_waitcnt vmcnt(0)
	v_add_f64 v[78:79], v[88:89], -v[78:79]
	buffer_store_dword v79, off, s[0:3], 0 offset:12
	buffer_store_dword v78, off, s[0:3], 0 offset:8
	v_cmpx_ne_u32_e32 0, v0
	s_cbranch_execz .LBB36_231
; %bb.230:
	s_clause 0x1
	buffer_load_dword v78, off, s[0:3], 0
	buffer_load_dword v79, off, s[0:3], 0 offset:4
	buffer_store_dword v77, off, s[0:3], 0
	buffer_store_dword v77, off, s[0:3], 0 offset:4
	s_waitcnt vmcnt(0)
	ds_write_b64 v75, v[78:79]
.LBB36_231:
	s_or_b32 exec_lo, exec_lo, s4
	s_waitcnt lgkmcnt(0)
	s_waitcnt_vscnt null, 0x0
	s_barrier
	buffer_gl0_inv
	s_clause 0x1c
	buffer_load_dword v75, off, s[0:3], 0 offset:8
	buffer_load_dword v76, off, s[0:3], 0 offset:12
	;; [unrolled: 1-line block ×29, first 2 shown]
	ds_read2_b64 v[78:81], v77 offset0:39 offset1:40
	ds_read2_b64 v[82:85], v77 offset0:41 offset1:42
	s_clause 0x8
	buffer_load_dword v109, off, s[0:3], 0 offset:124
	buffer_load_dword v115, off, s[0:3], 0 offset:132
	;; [unrolled: 1-line block ×9, first 2 shown]
	s_and_b32 vcc_lo, exec_lo, s22
	s_waitcnt vmcnt(36) lgkmcnt(1)
	v_fma_f64 v[75:76], v[75:76], v[78:79], 0
	s_waitcnt vmcnt(34)
	v_fma_f64 v[75:76], v[86:87], v[80:81], v[75:76]
	ds_read2_b64 v[78:81], v77 offset0:43 offset1:44
	s_waitcnt vmcnt(32) lgkmcnt(1)
	v_fma_f64 v[75:76], v[88:89], v[82:83], v[75:76]
	s_waitcnt vmcnt(30)
	v_fma_f64 v[75:76], v[90:91], v[84:85], v[75:76]
	ds_read2_b64 v[82:85], v77 offset0:45 offset1:46
	s_waitcnt vmcnt(28) lgkmcnt(1)
	v_fma_f64 v[75:76], v[92:93], v[78:79], v[75:76]
	s_clause 0x7
	buffer_load_dword v87, off, s[0:3], 0 offset:164
	buffer_load_dword v88, off, s[0:3], 0 offset:184
	buffer_load_dword v90, off, s[0:3], 0 offset:176
	buffer_load_dword v92, off, s[0:3], 0 offset:168
	buffer_load_dword v86, off, s[0:3], 0 offset:160
	buffer_load_dword v93, off, s[0:3], 0 offset:172
	buffer_load_dword v91, off, s[0:3], 0 offset:180
	buffer_load_dword v89, off, s[0:3], 0 offset:188
	s_waitcnt vmcnt(34)
	v_fma_f64 v[75:76], v[94:95], v[80:81], v[75:76]
	ds_read2_b64 v[78:81], v77 offset0:47 offset1:48
	s_waitcnt vmcnt(32) lgkmcnt(1)
	v_fma_f64 v[75:76], v[96:97], v[82:83], v[75:76]
	s_waitcnt vmcnt(27)
	v_fma_f64 v[75:76], v[98:99], v[84:85], v[75:76]
	ds_read2_b64 v[82:85], v77 offset0:49 offset1:50
	s_waitcnt vmcnt(26) lgkmcnt(1)
	v_fma_f64 v[75:76], v[104:105], v[78:79], v[75:76]
	s_clause 0x7
	buffer_load_dword v95, off, s[0:3], 0 offset:196
	buffer_load_dword v96, off, s[0:3], 0 offset:216
	buffer_load_dword v98, off, s[0:3], 0 offset:208
	buffer_load_dword v104, off, s[0:3], 0 offset:200
	buffer_load_dword v94, off, s[0:3], 0 offset:192
	buffer_load_dword v105, off, s[0:3], 0 offset:204
	buffer_load_dword v99, off, s[0:3], 0 offset:212
	buffer_load_dword v97, off, s[0:3], 0 offset:220
	;; [unrolled: 19-line block ×4, first 2 shown]
	s_waitcnt vmcnt(33)
	v_fma_f64 v[78:79], v[118:119], v[80:81], v[78:79]
	s_waitcnt vmcnt(32) lgkmcnt(0)
	v_fma_f64 v[78:79], v[116:117], v[82:83], v[78:79]
	s_waitcnt vmcnt(27)
	v_fma_f64 v[86:87], v[86:87], v[84:85], v[78:79]
	ds_read2_b64 v[78:81], v77 offset0:59 offset1:60
	ds_read2_b64 v[82:85], v77 offset0:61 offset1:62
	s_waitcnt vmcnt(26) lgkmcnt(1)
	v_fma_f64 v[78:79], v[92:93], v[78:79], v[86:87]
	s_clause 0x1
	buffer_load_dword v87, off, s[0:3], 0 offset:292
	buffer_load_dword v86, off, s[0:3], 0 offset:288
	s_waitcnt vmcnt(27)
	v_fma_f64 v[78:79], v[90:91], v[80:81], v[78:79]
	s_clause 0x1
	buffer_load_dword v90, off, s[0:3], 0
	buffer_load_dword v91, off, s[0:3], 0 offset:4
	s_waitcnt vmcnt(28) lgkmcnt(0)
	v_fma_f64 v[78:79], v[88:89], v[82:83], v[78:79]
	s_waitcnt vmcnt(23)
	v_fma_f64 v[88:89], v[94:95], v[84:85], v[78:79]
	ds_read2_b64 v[78:81], v77 offset0:63 offset1:64
	ds_read2_b64 v[82:85], v77 offset0:65 offset1:66
	s_waitcnt vmcnt(22) lgkmcnt(1)
	v_fma_f64 v[78:79], v[104:105], v[78:79], v[88:89]
	s_waitcnt vmcnt(21)
	v_fma_f64 v[78:79], v[98:99], v[80:81], v[78:79]
	s_waitcnt vmcnt(20) lgkmcnt(0)
	v_fma_f64 v[78:79], v[96:97], v[82:83], v[78:79]
	s_waitcnt vmcnt(15)
	v_fma_f64 v[88:89], v[100:101], v[84:85], v[78:79]
	ds_read2_b64 v[78:81], v77 offset0:67 offset1:68
	ds_read2_b64 v[82:85], v77 offset0:69 offset1:70
	s_waitcnt vmcnt(14) lgkmcnt(1)
	v_fma_f64 v[78:79], v[112:113], v[78:79], v[88:89]
	s_waitcnt vmcnt(13)
	v_fma_f64 v[78:79], v[106:107], v[80:81], v[78:79]
	;; [unrolled: 10-line block ×3, first 2 shown]
	s_waitcnt vmcnt(4) lgkmcnt(0)
	v_fma_f64 v[77:78], v[75:76], v[82:83], v[77:78]
	s_waitcnt vmcnt(2)
	v_fma_f64 v[77:78], v[86:87], v[84:85], v[77:78]
	s_waitcnt vmcnt(0)
	v_add_f64 v[77:78], v[90:91], -v[77:78]
	buffer_store_dword v78, off, s[0:3], 0 offset:4
	buffer_store_dword v77, off, s[0:3], 0
	s_cbranch_vccz .LBB36_304
; %bb.232:
	v_mov_b32_e32 v0, 0
	global_load_dword v77, v0, s[20:21] offset:140
	s_waitcnt vmcnt(0)
	v_add_nc_u32_e32 v77, -1, v77
	v_cmp_ne_u32_e32 vcc_lo, 35, v77
	s_cbranch_vccz .LBB36_234
; %bb.233:
	v_lshlrev_b32_e32 v77, 3, v77
	s_clause 0x1
	buffer_load_dword v78, v77, s[0:3], 0 offen
	buffer_load_dword v79, v77, s[0:3], 0 offen offset:4
	s_waitcnt vmcnt(1)
	buffer_store_dword v78, off, s[0:3], 0 offset:280
	s_waitcnt vmcnt(0)
	buffer_store_dword v79, off, s[0:3], 0 offset:284
	buffer_store_dword v75, v77, s[0:3], 0 offen
	buffer_store_dword v76, v77, s[0:3], 0 offen offset:4
.LBB36_234:
	global_load_dword v0, v0, s[20:21] offset:136
	s_waitcnt vmcnt(0)
	v_add_nc_u32_e32 v0, -1, v0
	v_cmp_eq_u32_e32 vcc_lo, 34, v0
	s_cbranch_vccnz .LBB36_236
; %bb.235:
	v_lshlrev_b32_e32 v0, 3, v0
	s_clause 0x3
	buffer_load_dword v75, v0, s[0:3], 0 offen
	buffer_load_dword v76, v0, s[0:3], 0 offen offset:4
	buffer_load_dword v77, off, s[0:3], 0 offset:276
	buffer_load_dword v78, off, s[0:3], 0 offset:272
	s_waitcnt vmcnt(3)
	buffer_store_dword v75, off, s[0:3], 0 offset:272
	s_waitcnt vmcnt(2)
	buffer_store_dword v76, off, s[0:3], 0 offset:276
	s_waitcnt vmcnt(1)
	buffer_store_dword v77, v0, s[0:3], 0 offen offset:4
	s_waitcnt vmcnt(0)
	buffer_store_dword v78, v0, s[0:3], 0 offen
.LBB36_236:
	v_mov_b32_e32 v0, 0
	global_load_dword v75, v0, s[20:21] offset:132
	s_waitcnt vmcnt(0)
	v_add_nc_u32_e32 v75, -1, v75
	v_cmp_eq_u32_e32 vcc_lo, 33, v75
	s_cbranch_vccnz .LBB36_238
; %bb.237:
	v_lshlrev_b32_e32 v75, 3, v75
	s_clause 0x3
	buffer_load_dword v76, v75, s[0:3], 0 offen
	buffer_load_dword v77, v75, s[0:3], 0 offen offset:4
	buffer_load_dword v78, off, s[0:3], 0 offset:264
	buffer_load_dword v79, off, s[0:3], 0 offset:268
	s_waitcnt vmcnt(3)
	buffer_store_dword v76, off, s[0:3], 0 offset:264
	s_waitcnt vmcnt(2)
	buffer_store_dword v77, off, s[0:3], 0 offset:268
	s_waitcnt vmcnt(1)
	buffer_store_dword v78, v75, s[0:3], 0 offen
	s_waitcnt vmcnt(0)
	buffer_store_dword v79, v75, s[0:3], 0 offen offset:4
.LBB36_238:
	global_load_dword v0, v0, s[20:21] offset:128
	s_waitcnt vmcnt(0)
	v_add_nc_u32_e32 v0, -1, v0
	v_cmp_eq_u32_e32 vcc_lo, 32, v0
	s_cbranch_vccnz .LBB36_240
; %bb.239:
	v_lshlrev_b32_e32 v0, 3, v0
	s_clause 0x3
	buffer_load_dword v75, v0, s[0:3], 0 offen
	buffer_load_dword v76, v0, s[0:3], 0 offen offset:4
	buffer_load_dword v77, off, s[0:3], 0 offset:260
	buffer_load_dword v78, off, s[0:3], 0 offset:256
	s_waitcnt vmcnt(3)
	buffer_store_dword v75, off, s[0:3], 0 offset:256
	s_waitcnt vmcnt(2)
	buffer_store_dword v76, off, s[0:3], 0 offset:260
	s_waitcnt vmcnt(1)
	buffer_store_dword v77, v0, s[0:3], 0 offen offset:4
	s_waitcnt vmcnt(0)
	buffer_store_dword v78, v0, s[0:3], 0 offen
.LBB36_240:
	v_mov_b32_e32 v0, 0
	global_load_dword v75, v0, s[20:21] offset:124
	s_waitcnt vmcnt(0)
	v_add_nc_u32_e32 v75, -1, v75
	v_cmp_eq_u32_e32 vcc_lo, 31, v75
	s_cbranch_vccnz .LBB36_242
; %bb.241:
	v_lshlrev_b32_e32 v75, 3, v75
	s_clause 0x3
	buffer_load_dword v76, v75, s[0:3], 0 offen
	buffer_load_dword v77, v75, s[0:3], 0 offen offset:4
	buffer_load_dword v78, off, s[0:3], 0 offset:248
	buffer_load_dword v79, off, s[0:3], 0 offset:252
	s_waitcnt vmcnt(3)
	buffer_store_dword v76, off, s[0:3], 0 offset:248
	s_waitcnt vmcnt(2)
	buffer_store_dword v77, off, s[0:3], 0 offset:252
	s_waitcnt vmcnt(1)
	buffer_store_dword v78, v75, s[0:3], 0 offen
	s_waitcnt vmcnt(0)
	buffer_store_dword v79, v75, s[0:3], 0 offen offset:4
.LBB36_242:
	;; [unrolled: 43-line block ×17, first 2 shown]
	global_load_dword v0, v0, s[20:21]
	s_clause 0x1
	buffer_load_dword v77, off, s[0:3], 0
	buffer_load_dword v78, off, s[0:3], 0 offset:4
	s_waitcnt vmcnt(2)
	v_add_nc_u32_e32 v0, -1, v0
	v_cmp_eq_u32_e32 vcc_lo, 0, v0
	s_cbranch_vccnz .LBB36_304
; %bb.303:
	v_lshlrev_b32_e32 v0, 3, v0
	s_clause 0x1
	buffer_load_dword v75, v0, s[0:3], 0 offen offset:4
	buffer_load_dword v76, v0, s[0:3], 0 offen
	s_waitcnt vmcnt(1)
	buffer_store_dword v75, off, s[0:3], 0 offset:4
	s_waitcnt vmcnt(0)
	buffer_store_dword v76, off, s[0:3], 0
	buffer_store_dword v78, v0, s[0:3], 0 offen offset:4
	buffer_store_dword v77, v0, s[0:3], 0 offen
	s_clause 0x1
	buffer_load_dword v77, off, s[0:3], 0
	buffer_load_dword v78, off, s[0:3], 0 offset:4
.LBB36_304:
	s_clause 0x9
	buffer_load_dword v75, off, s[0:3], 0 offset:8
	buffer_load_dword v76, off, s[0:3], 0 offset:12
	;; [unrolled: 1-line block ×10, first 2 shown]
	s_waitcnt vmcnt(10)
	global_store_dwordx2 v[73:74], v[77:78], off
	s_clause 0x25
	buffer_load_dword v73, off, s[0:3], 0 offset:48
	buffer_load_dword v74, off, s[0:3], 0 offset:52
	;; [unrolled: 1-line block ×38, first 2 shown]
	s_waitcnt vmcnt(46)
	global_store_dwordx2 v[33:34], v[75:76], off
	s_clause 0x7
	buffer_load_dword v33, off, s[0:3], 0 offset:200
	buffer_load_dword v34, off, s[0:3], 0 offset:204
	buffer_load_dword v75, off, s[0:3], 0 offset:208
	buffer_load_dword v76, off, s[0:3], 0 offset:212
	buffer_load_dword v121, off, s[0:3], 0 offset:216
	buffer_load_dword v122, off, s[0:3], 0 offset:220
	buffer_load_dword v123, off, s[0:3], 0 offset:224
	buffer_load_dword v124, off, s[0:3], 0 offset:228
	s_waitcnt vmcnt(52)
	global_store_dwordx2 v[11:12], v[79:80], off
	s_waitcnt vmcnt(50)
	global_store_dwordx2 v[15:16], v[81:82], off
	s_clause 0x7
	buffer_load_dword v11, off, s[0:3], 0 offset:232
	buffer_load_dword v12, off, s[0:3], 0 offset:236
	buffer_load_dword v15, off, s[0:3], 0 offset:240
	buffer_load_dword v16, off, s[0:3], 0 offset:244
	buffer_load_dword v79, off, s[0:3], 0 offset:248
	buffer_load_dword v80, off, s[0:3], 0 offset:252
	buffer_load_dword v81, off, s[0:3], 0 offset:256
	buffer_load_dword v82, off, s[0:3], 0 offset:260
	s_waitcnt vmcnt(56)
	global_store_dwordx2 v[5:6], v[83:84], off
	s_waitcnt vmcnt(54)
	global_store_dwordx2 v[7:8], v[85:86], off
	s_clause 0x7
	buffer_load_dword v5, off, s[0:3], 0 offset:264
	buffer_load_dword v6, off, s[0:3], 0 offset:268
	buffer_load_dword v7, off, s[0:3], 0 offset:272
	buffer_load_dword v8, off, s[0:3], 0 offset:276
	buffer_load_dword v83, off, s[0:3], 0 offset:280
	buffer_load_dword v84, off, s[0:3], 0 offset:284
	buffer_load_dword v85, off, s[0:3], 0 offset:288
	buffer_load_dword v86, off, s[0:3], 0 offset:292
	s_waitcnt vmcnt(60)
	global_store_dwordx2 v[1:2], v[73:74], off
	s_waitcnt vmcnt(58)
	global_store_dwordx2 v[3:4], v[77:78], off
	s_waitcnt vmcnt(56)
	global_store_dwordx2 v[9:10], v[87:88], off
	;; [unrolled: 2-line block ×30, first 2 shown]
	s_endpgm
	.section	.rodata,"a",@progbits
	.p2align	6, 0x0
	.amdhsa_kernel _ZN9rocsolver6v33100L18getri_kernel_smallILi37EdPdEEvT1_iilPiilS4_bb
		.amdhsa_group_segment_fixed_size 600
		.amdhsa_private_segment_fixed_size 304
		.amdhsa_kernarg_size 60
		.amdhsa_user_sgpr_count 6
		.amdhsa_user_sgpr_private_segment_buffer 1
		.amdhsa_user_sgpr_dispatch_ptr 0
		.amdhsa_user_sgpr_queue_ptr 0
		.amdhsa_user_sgpr_kernarg_segment_ptr 1
		.amdhsa_user_sgpr_dispatch_id 0
		.amdhsa_user_sgpr_flat_scratch_init 0
		.amdhsa_user_sgpr_private_segment_size 0
		.amdhsa_wavefront_size32 1
		.amdhsa_uses_dynamic_stack 0
		.amdhsa_system_sgpr_private_segment_wavefront_offset 1
		.amdhsa_system_sgpr_workgroup_id_x 1
		.amdhsa_system_sgpr_workgroup_id_y 0
		.amdhsa_system_sgpr_workgroup_id_z 0
		.amdhsa_system_sgpr_workgroup_info 0
		.amdhsa_system_vgpr_workitem_id 0
		.amdhsa_next_free_vgpr 125
		.amdhsa_next_free_sgpr 23
		.amdhsa_reserve_vcc 1
		.amdhsa_reserve_flat_scratch 0
		.amdhsa_float_round_mode_32 0
		.amdhsa_float_round_mode_16_64 0
		.amdhsa_float_denorm_mode_32 3
		.amdhsa_float_denorm_mode_16_64 3
		.amdhsa_dx10_clamp 1
		.amdhsa_ieee_mode 1
		.amdhsa_fp16_overflow 0
		.amdhsa_workgroup_processor_mode 1
		.amdhsa_memory_ordered 1
		.amdhsa_forward_progress 1
		.amdhsa_shared_vgpr_count 0
		.amdhsa_exception_fp_ieee_invalid_op 0
		.amdhsa_exception_fp_denorm_src 0
		.amdhsa_exception_fp_ieee_div_zero 0
		.amdhsa_exception_fp_ieee_overflow 0
		.amdhsa_exception_fp_ieee_underflow 0
		.amdhsa_exception_fp_ieee_inexact 0
		.amdhsa_exception_int_div_zero 0
	.end_amdhsa_kernel
	.section	.text._ZN9rocsolver6v33100L18getri_kernel_smallILi37EdPdEEvT1_iilPiilS4_bb,"axG",@progbits,_ZN9rocsolver6v33100L18getri_kernel_smallILi37EdPdEEvT1_iilPiilS4_bb,comdat
.Lfunc_end36:
	.size	_ZN9rocsolver6v33100L18getri_kernel_smallILi37EdPdEEvT1_iilPiilS4_bb, .Lfunc_end36-_ZN9rocsolver6v33100L18getri_kernel_smallILi37EdPdEEvT1_iilPiilS4_bb
                                        ; -- End function
	.set _ZN9rocsolver6v33100L18getri_kernel_smallILi37EdPdEEvT1_iilPiilS4_bb.num_vgpr, 125
	.set _ZN9rocsolver6v33100L18getri_kernel_smallILi37EdPdEEvT1_iilPiilS4_bb.num_agpr, 0
	.set _ZN9rocsolver6v33100L18getri_kernel_smallILi37EdPdEEvT1_iilPiilS4_bb.numbered_sgpr, 23
	.set _ZN9rocsolver6v33100L18getri_kernel_smallILi37EdPdEEvT1_iilPiilS4_bb.num_named_barrier, 0
	.set _ZN9rocsolver6v33100L18getri_kernel_smallILi37EdPdEEvT1_iilPiilS4_bb.private_seg_size, 304
	.set _ZN9rocsolver6v33100L18getri_kernel_smallILi37EdPdEEvT1_iilPiilS4_bb.uses_vcc, 1
	.set _ZN9rocsolver6v33100L18getri_kernel_smallILi37EdPdEEvT1_iilPiilS4_bb.uses_flat_scratch, 0
	.set _ZN9rocsolver6v33100L18getri_kernel_smallILi37EdPdEEvT1_iilPiilS4_bb.has_dyn_sized_stack, 0
	.set _ZN9rocsolver6v33100L18getri_kernel_smallILi37EdPdEEvT1_iilPiilS4_bb.has_recursion, 0
	.set _ZN9rocsolver6v33100L18getri_kernel_smallILi37EdPdEEvT1_iilPiilS4_bb.has_indirect_call, 0
	.section	.AMDGPU.csdata,"",@progbits
; Kernel info:
; codeLenInByte = 42544
; TotalNumSgprs: 25
; NumVgprs: 125
; ScratchSize: 304
; MemoryBound: 1
; FloatMode: 240
; IeeeMode: 1
; LDSByteSize: 600 bytes/workgroup (compile time only)
; SGPRBlocks: 0
; VGPRBlocks: 15
; NumSGPRsForWavesPerEU: 25
; NumVGPRsForWavesPerEU: 125
; Occupancy: 8
; WaveLimiterHint : 1
; COMPUTE_PGM_RSRC2:SCRATCH_EN: 1
; COMPUTE_PGM_RSRC2:USER_SGPR: 6
; COMPUTE_PGM_RSRC2:TRAP_HANDLER: 0
; COMPUTE_PGM_RSRC2:TGID_X_EN: 1
; COMPUTE_PGM_RSRC2:TGID_Y_EN: 0
; COMPUTE_PGM_RSRC2:TGID_Z_EN: 0
; COMPUTE_PGM_RSRC2:TIDIG_COMP_CNT: 0
	.section	.text._ZN9rocsolver6v33100L18getri_kernel_smallILi38EdPdEEvT1_iilPiilS4_bb,"axG",@progbits,_ZN9rocsolver6v33100L18getri_kernel_smallILi38EdPdEEvT1_iilPiilS4_bb,comdat
	.globl	_ZN9rocsolver6v33100L18getri_kernel_smallILi38EdPdEEvT1_iilPiilS4_bb ; -- Begin function _ZN9rocsolver6v33100L18getri_kernel_smallILi38EdPdEEvT1_iilPiilS4_bb
	.p2align	8
	.type	_ZN9rocsolver6v33100L18getri_kernel_smallILi38EdPdEEvT1_iilPiilS4_bb,@function
_ZN9rocsolver6v33100L18getri_kernel_smallILi38EdPdEEvT1_iilPiilS4_bb: ; @_ZN9rocsolver6v33100L18getri_kernel_smallILi38EdPdEEvT1_iilPiilS4_bb
; %bb.0:
	s_add_u32 s0, s0, s7
	s_addc_u32 s1, s1, 0
	s_mov_b32 s7, exec_lo
	v_cmpx_gt_u32_e32 38, v0
	s_cbranch_execz .LBB37_162
; %bb.1:
	s_clause 0x2
	s_load_dword s7, s[4:5], 0x38
	s_load_dwordx4 s[16:19], s[4:5], 0x10
	s_load_dwordx4 s[8:11], s[4:5], 0x28
                                        ; implicit-def: $sgpr20_sgpr21
	s_waitcnt lgkmcnt(0)
	s_bitcmp1_b32 s7, 8
	s_cselect_b32 s22, -1, 0
	s_bfe_u32 s12, s7, 0x10008
	s_ashr_i32 s7, s6, 31
	s_cmp_eq_u32 s12, 0
	s_cbranch_scc1 .LBB37_3
; %bb.2:
	s_load_dword s12, s[4:5], 0x20
	s_mul_i32 s13, s8, s7
	s_mul_hi_u32 s14, s8, s6
	s_mul_i32 s9, s9, s6
	s_add_i32 s13, s14, s13
	s_mul_i32 s8, s8, s6
	s_add_i32 s9, s13, s9
	s_lshl_b64 s[8:9], s[8:9], 2
	s_waitcnt lgkmcnt(0)
	s_ashr_i32 s13, s12, 31
	s_add_u32 s14, s18, s8
	s_addc_u32 s15, s19, s9
	s_lshl_b64 s[8:9], s[12:13], 2
	s_add_u32 s20, s14, s8
	s_addc_u32 s21, s15, s9
.LBB37_3:
	s_clause 0x1
	s_load_dwordx4 s[12:15], s[4:5], 0x0
	s_load_dword s8, s[4:5], 0x38
	s_mul_i32 s4, s16, s7
	s_mul_hi_u32 s5, s16, s6
	s_mul_i32 s9, s17, s6
	s_add_i32 s5, s5, s4
	s_mul_i32 s4, s16, s6
	s_add_i32 s5, s5, s9
	v_lshlrev_b32_e32 v79, 3, v0
	s_lshl_b64 s[4:5], s[4:5], 3
	s_waitcnt lgkmcnt(0)
	v_add3_u32 v1, s15, s15, v0
	s_ashr_i32 s17, s14, 31
	s_mov_b32 s16, s14
	s_add_u32 s9, s12, s4
	s_addc_u32 s12, s13, s5
	v_add_nc_u32_e32 v3, s15, v1
	v_ashrrev_i32_e32 v2, 31, v1
	s_lshl_b64 s[4:5], s[16:17], 3
	s_add_u32 s4, s9, s4
	v_add_nc_u32_e32 v5, s15, v3
	v_ashrrev_i32_e32 v4, 31, v3
	v_lshlrev_b64 v[1:2], 3, v[1:2]
	s_addc_u32 s5, s12, s5
	v_add_co_u32 v75, s9, s4, v79
	v_add_nc_u32_e32 v9, s15, v5
	v_lshlrev_b64 v[7:8], 3, v[3:4]
	v_ashrrev_i32_e32 v6, 31, v5
	v_add_co_u32 v3, vcc_lo, s4, v1
	v_add_nc_u32_e32 v11, s15, v9
	v_ashrrev_i32_e32 v10, 31, v9
	v_add_co_ci_u32_e64 v4, null, s5, v2, vcc_lo
	v_lshlrev_b64 v[5:6], 3, v[5:6]
	v_add_co_u32 v1, vcc_lo, s4, v7
	v_add_nc_u32_e32 v13, s15, v11
	v_add_co_ci_u32_e64 v2, null, s5, v8, vcc_lo
	v_lshlrev_b64 v[7:8], 3, v[9:10]
	v_add_co_u32 v9, vcc_lo, s4, v5
	v_ashrrev_i32_e32 v14, 31, v13
	v_add_nc_u32_e32 v15, s15, v13
	v_add_co_ci_u32_e64 v10, null, s5, v6, vcc_lo
	v_add_co_u32 v5, vcc_lo, s4, v7
	v_add_co_ci_u32_e64 v6, null, s5, v8, vcc_lo
	v_lshlrev_b64 v[7:8], 3, v[13:14]
	v_add_nc_u32_e32 v13, s15, v15
	v_ashrrev_i32_e32 v12, 31, v11
	v_ashrrev_i32_e32 v16, 31, v15
	s_mov_b32 s12, s15
	s_ashr_i32 s13, s15, 31
	v_add_nc_u32_e32 v17, s15, v13
	v_lshlrev_b64 v[11:12], 3, v[11:12]
	v_ashrrev_i32_e32 v14, 31, v13
	v_lshlrev_b64 v[15:16], 3, v[15:16]
	v_add_co_ci_u32_e64 v76, null, s5, 0, s9
	v_add_nc_u32_e32 v21, s15, v17
	v_add_co_u32 v11, vcc_lo, s4, v11
	v_lshlrev_b64 v[19:20], 3, v[13:14]
	v_add_co_ci_u32_e64 v12, null, s5, v12, vcc_lo
	v_add_co_u32 v7, vcc_lo, s4, v7
	v_ashrrev_i32_e32 v22, 31, v21
	v_add_nc_u32_e32 v23, s15, v21
	v_add_co_ci_u32_e64 v8, null, s5, v8, vcc_lo
	v_add_co_u32 v13, vcc_lo, s4, v15
	v_add_co_ci_u32_e64 v14, null, s5, v16, vcc_lo
	v_add_co_u32 v15, vcc_lo, s4, v19
	v_add_co_ci_u32_e64 v16, null, s5, v20, vcc_lo
	v_lshlrev_b64 v[19:20], 3, v[21:22]
	v_add_nc_u32_e32 v21, s15, v23
	v_ashrrev_i32_e32 v18, 31, v17
	v_ashrrev_i32_e32 v24, 31, v23
	s_lshl_b64 s[12:13], s[12:13], 3
	s_clause 0x2
	global_load_dwordx2 v[77:78], v79, s[4:5]
	global_load_dwordx2 v[82:83], v[3:4], off
	global_load_dwordx2 v[84:85], v[1:2], off
	v_add_nc_u32_e32 v27, s15, v21
	v_lshlrev_b64 v[17:18], 3, v[17:18]
	v_ashrrev_i32_e32 v22, 31, v21
	v_add_co_u32 v33, vcc_lo, v75, s12
	v_ashrrev_i32_e32 v28, 31, v27
	v_lshlrev_b64 v[23:24], 3, v[23:24]
	v_add_co_ci_u32_e64 v34, null, s13, v76, vcc_lo
	v_add_co_u32 v17, vcc_lo, s4, v17
	v_lshlrev_b64 v[25:26], 3, v[21:22]
	v_add_co_ci_u32_e64 v18, null, s5, v18, vcc_lo
	v_add_co_u32 v19, vcc_lo, s4, v19
	;; [unrolled: 3-line block ×3, first 2 shown]
	v_add_co_ci_u32_e64 v22, null, s5, v24, vcc_lo
	v_add_co_u32 v23, vcc_lo, s4, v25
	v_add_co_ci_u32_e64 v24, null, s5, v26, vcc_lo
	v_add_co_u32 v25, vcc_lo, s4, v28
	s_clause 0x2
	global_load_dwordx2 v[80:81], v[33:34], off
	global_load_dwordx2 v[86:87], v[9:10], off
	;; [unrolled: 1-line block ×3, first 2 shown]
	v_add_co_ci_u32_e64 v26, null, s5, v29, vcc_lo
	s_clause 0x8
	global_load_dwordx2 v[90:91], v[11:12], off
	global_load_dwordx2 v[92:93], v[7:8], off
	;; [unrolled: 1-line block ×9, first 2 shown]
	v_add_nc_u32_e32 v27, s15, v27
	s_bitcmp0_b32 s8, 0
	v_add_nc_u32_e32 v29, s15, v27
	v_ashrrev_i32_e32 v28, 31, v27
	v_add_nc_u32_e32 v31, s15, v29
	v_ashrrev_i32_e32 v30, 31, v29
	v_lshlrev_b64 v[27:28], 3, v[27:28]
	v_add_nc_u32_e32 v35, s15, v31
	v_ashrrev_i32_e32 v32, 31, v31
	v_lshlrev_b64 v[29:30], 3, v[29:30]
	v_add_co_u32 v27, vcc_lo, s4, v27
	v_add_nc_u32_e32 v37, s15, v35
	v_ashrrev_i32_e32 v36, 31, v35
	v_lshlrev_b64 v[31:32], 3, v[31:32]
	v_add_co_ci_u32_e64 v28, null, s5, v28, vcc_lo
	v_add_nc_u32_e32 v39, s15, v37
	v_ashrrev_i32_e32 v38, 31, v37
	v_lshlrev_b64 v[35:36], 3, v[35:36]
	v_add_co_u32 v29, vcc_lo, s4, v29
	v_add_nc_u32_e32 v41, s15, v39
	v_ashrrev_i32_e32 v40, 31, v39
	v_lshlrev_b64 v[37:38], 3, v[37:38]
	v_add_co_ci_u32_e64 v30, null, s5, v30, vcc_lo
	v_add_nc_u32_e32 v43, s15, v41
	v_ashrrev_i32_e32 v42, 31, v41
	v_add_co_u32 v31, vcc_lo, s4, v31
	v_lshlrev_b64 v[39:40], 3, v[39:40]
	v_add_nc_u32_e32 v45, s15, v43
	v_ashrrev_i32_e32 v44, 31, v43
	v_add_co_ci_u32_e64 v32, null, s5, v32, vcc_lo
	v_add_co_u32 v35, vcc_lo, s4, v35
	v_add_nc_u32_e32 v47, s15, v45
	v_ashrrev_i32_e32 v46, 31, v45
	v_lshlrev_b64 v[41:42], 3, v[41:42]
	v_add_co_ci_u32_e64 v36, null, s5, v36, vcc_lo
	v_add_nc_u32_e32 v49, s15, v47
	v_ashrrev_i32_e32 v48, 31, v47
	v_add_co_u32 v37, vcc_lo, s4, v37
	v_lshlrev_b64 v[43:44], 3, v[43:44]
	v_add_nc_u32_e32 v51, s15, v49
	v_ashrrev_i32_e32 v50, 31, v49
	v_add_co_ci_u32_e64 v38, null, s5, v38, vcc_lo
	v_add_co_u32 v39, vcc_lo, s4, v39
	v_add_nc_u32_e32 v53, s15, v51
	v_lshlrev_b64 v[45:46], 3, v[45:46]
	v_ashrrev_i32_e32 v52, 31, v51
	v_add_co_ci_u32_e64 v40, null, s5, v40, vcc_lo
	v_add_nc_u32_e32 v55, s15, v53
	v_add_co_u32 v41, vcc_lo, s4, v41
	v_lshlrev_b64 v[47:48], 3, v[47:48]
	v_ashrrev_i32_e32 v54, 31, v53
	v_add_nc_u32_e32 v57, s15, v55
	v_add_co_ci_u32_e64 v42, null, s5, v42, vcc_lo
	v_add_co_u32 v43, vcc_lo, s4, v43
	v_add_nc_u32_e32 v59, s15, v57
	v_lshlrev_b64 v[49:50], 3, v[49:50]
	v_ashrrev_i32_e32 v56, 31, v55
	v_add_co_ci_u32_e64 v44, null, s5, v44, vcc_lo
	v_add_nc_u32_e32 v61, s15, v59
	v_add_co_u32 v45, vcc_lo, s4, v45
	v_lshlrev_b64 v[51:52], 3, v[51:52]
	v_ashrrev_i32_e32 v58, 31, v57
	v_add_nc_u32_e32 v63, s15, v61
	;; [unrolled: 11-line block ×3, first 2 shown]
	v_add_co_ci_u32_e64 v50, null, s5, v50, vcc_lo
	v_add_co_u32 v51, vcc_lo, s4, v51
	v_lshlrev_b64 v[57:58], 3, v[57:58]
	v_ashrrev_i32_e32 v64, 31, v63
	v_add_nc_u32_e32 v71, s15, v69
	v_add_co_ci_u32_e64 v52, null, s5, v52, vcc_lo
	v_add_co_u32 v53, vcc_lo, s4, v53
	v_lshlrev_b64 v[59:60], 3, v[59:60]
	v_ashrrev_i32_e32 v66, 31, v65
	v_add_co_ci_u32_e64 v54, null, s5, v54, vcc_lo
	v_add_co_u32 v55, vcc_lo, s4, v55
	v_lshlrev_b64 v[61:62], 3, v[61:62]
	v_ashrrev_i32_e32 v68, 31, v67
	v_add_co_ci_u32_e64 v56, null, s5, v56, vcc_lo
	v_add_co_u32 v57, vcc_lo, s4, v57
	v_lshlrev_b64 v[63:64], 3, v[63:64]
	v_add_nc_u32_e32 v73, s15, v71
	v_ashrrev_i32_e32 v70, 31, v69
	v_add_co_ci_u32_e64 v58, null, s5, v58, vcc_lo
	v_add_co_u32 v59, vcc_lo, s4, v59
	v_lshlrev_b64 v[65:66], 3, v[65:66]
	v_ashrrev_i32_e32 v72, 31, v71
	v_add_co_ci_u32_e64 v60, null, s5, v60, vcc_lo
	v_add_co_u32 v61, vcc_lo, s4, v61
	v_lshlrev_b64 v[67:68], 3, v[67:68]
	;; [unrolled: 4-line block ×3, first 2 shown]
	v_add_co_ci_u32_e64 v64, null, s5, v64, vcc_lo
	v_add_co_u32 v65, vcc_lo, s4, v65
	v_lshlrev_b64 v[71:72], 3, v[71:72]
	v_add_co_ci_u32_e64 v66, null, s5, v66, vcc_lo
	v_add_co_u32 v67, vcc_lo, s4, v67
	v_lshlrev_b64 v[120:121], 3, v[73:74]
	v_add_co_ci_u32_e64 v68, null, s5, v68, vcc_lo
	v_add_co_u32 v69, vcc_lo, s4, v69
	v_add_co_ci_u32_e64 v70, null, s5, v70, vcc_lo
	v_add_co_u32 v73, vcc_lo, s4, v71
	;; [unrolled: 2-line block ×3, first 2 shown]
	s_clause 0x5
	global_load_dwordx2 v[108:109], v[27:28], off
	global_load_dwordx2 v[110:111], v[29:30], off
	;; [unrolled: 1-line block ×6, first 2 shown]
	v_add_co_ci_u32_e64 v72, null, s5, v121, vcc_lo
	s_mov_b32 s5, -1
	s_waitcnt vmcnt(20)
	buffer_store_dword v78, off, s[0:3], 0 offset:4
	buffer_store_dword v77, off, s[0:3], 0
	s_waitcnt vmcnt(17)
	buffer_store_dword v81, off, s[0:3], 0 offset:12
	buffer_store_dword v80, off, s[0:3], 0 offset:8
	s_clause 0x3
	global_load_dwordx2 v[77:78], v[41:42], off
	global_load_dwordx2 v[80:81], v[43:44], off
	;; [unrolled: 1-line block ×4, first 2 shown]
	buffer_store_dword v83, off, s[0:3], 0 offset:20
	buffer_store_dword v82, off, s[0:3], 0 offset:16
	;; [unrolled: 1-line block ×4, first 2 shown]
	s_waitcnt vmcnt(20)
	buffer_store_dword v87, off, s[0:3], 0 offset:36
	buffer_store_dword v86, off, s[0:3], 0 offset:32
	s_waitcnt vmcnt(19)
	buffer_store_dword v89, off, s[0:3], 0 offset:44
	buffer_store_dword v88, off, s[0:3], 0 offset:40
	s_clause 0x3
	global_load_dwordx2 v[82:83], v[49:50], off
	global_load_dwordx2 v[84:85], v[51:52], off
	;; [unrolled: 1-line block ×4, first 2 shown]
	s_waitcnt vmcnt(22)
	buffer_store_dword v91, off, s[0:3], 0 offset:52
	buffer_store_dword v90, off, s[0:3], 0 offset:48
	s_waitcnt vmcnt(21)
	buffer_store_dword v93, off, s[0:3], 0 offset:60
	buffer_store_dword v92, off, s[0:3], 0 offset:56
	;; [unrolled: 3-line block ×4, first 2 shown]
	s_clause 0x3
	global_load_dwordx2 v[90:91], v[57:58], off
	global_load_dwordx2 v[92:93], v[59:60], off
	;; [unrolled: 1-line block ×4, first 2 shown]
	s_waitcnt vmcnt(22)
	buffer_store_dword v98, off, s[0:3], 0 offset:80
	buffer_store_dword v99, off, s[0:3], 0 offset:84
	s_waitcnt vmcnt(21)
	buffer_store_dword v100, off, s[0:3], 0 offset:88
	buffer_store_dword v101, off, s[0:3], 0 offset:92
	s_clause 0x1
	global_load_dwordx2 v[98:99], v[65:66], off
	global_load_dwordx2 v[100:101], v[67:68], off
	s_waitcnt vmcnt(22)
	buffer_store_dword v102, off, s[0:3], 0 offset:96
	buffer_store_dword v103, off, s[0:3], 0 offset:100
	s_waitcnt vmcnt(21)
	buffer_store_dword v104, off, s[0:3], 0 offset:104
	buffer_store_dword v105, off, s[0:3], 0 offset:108
	s_clause 0x1
	global_load_dwordx2 v[102:103], v[69:70], off
	global_load_dwordx2 v[104:105], v[73:74], off
	s_waitcnt vmcnt(22)
	buffer_store_dword v107, off, s[0:3], 0 offset:116
	buffer_store_dword v106, off, s[0:3], 0 offset:112
	global_load_dwordx2 v[106:107], v[71:72], off
	s_waitcnt vmcnt(22)
	buffer_store_dword v108, off, s[0:3], 0 offset:120
	buffer_store_dword v109, off, s[0:3], 0 offset:124
	s_waitcnt vmcnt(21)
	buffer_store_dword v110, off, s[0:3], 0 offset:128
	buffer_store_dword v111, off, s[0:3], 0 offset:132
	;; [unrolled: 3-line block ×23, first 2 shown]
	s_cbranch_scc1 .LBB37_160
; %bb.4:
	v_cmp_eq_u32_e64 s4, 0, v0
	s_and_saveexec_b32 s5, s4
; %bb.5:
	v_mov_b32_e32 v77, 0
	ds_write_b32 v77, v77 offset:608
; %bb.6:
	s_or_b32 exec_lo, exec_lo, s5
	v_lshl_add_u32 v77, v0, 3, 0
	s_waitcnt lgkmcnt(0)
	s_waitcnt_vscnt null, 0x0
	s_barrier
	buffer_gl0_inv
	s_mov_b32 s8, exec_lo
	s_clause 0x1
	buffer_load_dword v80, v77, s[0:3], 0 offen
	buffer_load_dword v81, v77, s[0:3], 0 offen offset:4
	s_waitcnt vmcnt(0)
	v_cmpx_eq_f64_e32 0, v[80:81]
	s_cbranch_execz .LBB37_10
; %bb.7:
	v_mov_b32_e32 v78, 0
	s_mov_b32 s9, 0
	ds_read_b32 v80, v78 offset:608
	s_waitcnt lgkmcnt(0)
	v_readfirstlane_b32 s5, v80
	v_add_nc_u32_e32 v80, 1, v0
	s_cmp_eq_u32 s5, 0
	v_cmp_gt_i32_e32 vcc_lo, s5, v80
	s_cselect_b32 s12, -1, 0
	s_or_b32 s12, s12, vcc_lo
	s_and_b32 exec_lo, exec_lo, s12
	s_cbranch_execz .LBB37_10
; %bb.8:
	v_mov_b32_e32 v81, s5
.LBB37_9:                               ; =>This Inner Loop Header: Depth=1
	ds_cmpst_rtn_b32 v81, v78, v81, v80 offset:608
	s_waitcnt lgkmcnt(0)
	v_cmp_ne_u32_e32 vcc_lo, 0, v81
	v_cmp_le_i32_e64 s5, v81, v80
	s_and_b32 s5, vcc_lo, s5
	s_and_b32 s5, exec_lo, s5
	s_or_b32 s9, s5, s9
	s_andn2_b32 exec_lo, exec_lo, s9
	s_cbranch_execnz .LBB37_9
.LBB37_10:
	s_or_b32 exec_lo, exec_lo, s8
	v_mov_b32_e32 v78, 0
	s_barrier
	buffer_gl0_inv
	ds_read_b32 v80, v78 offset:608
	s_and_saveexec_b32 s5, s4
	s_cbranch_execz .LBB37_12
; %bb.11:
	s_lshl_b64 s[8:9], s[6:7], 2
	s_add_u32 s8, s10, s8
	s_addc_u32 s9, s11, s9
	s_waitcnt lgkmcnt(0)
	global_store_dword v78, v80, s[8:9]
.LBB37_12:
	s_or_b32 exec_lo, exec_lo, s5
	s_waitcnt lgkmcnt(0)
	v_cmp_ne_u32_e32 vcc_lo, 0, v80
	s_mov_b32 s5, 0
	s_cbranch_vccnz .LBB37_160
; %bb.13:
	s_clause 0x1
	buffer_load_dword v80, v77, s[0:3], 0 offen
	buffer_load_dword v81, v77, s[0:3], 0 offen offset:4
	s_waitcnt vmcnt(0)
	v_div_scale_f64 v[82:83], null, v[80:81], v[80:81], 1.0
	v_div_scale_f64 v[88:89], vcc_lo, 1.0, v[80:81], 1.0
	v_rcp_f64_e32 v[84:85], v[82:83]
	v_fma_f64 v[86:87], -v[82:83], v[84:85], 1.0
	v_fma_f64 v[84:85], v[84:85], v[86:87], v[84:85]
	v_fma_f64 v[86:87], -v[82:83], v[84:85], 1.0
	v_fma_f64 v[84:85], v[84:85], v[86:87], v[84:85]
	v_mul_f64 v[86:87], v[88:89], v[84:85]
	v_fma_f64 v[82:83], -v[82:83], v[86:87], v[88:89]
	v_div_fmas_f64 v[82:83], v[82:83], v[84:85], v[86:87]
	v_div_fixup_f64 v[81:82], v[82:83], v[80:81], 1.0
	v_add_nc_u32_e32 v80, 0x130, v79
	buffer_store_dword v82, v77, s[0:3], 0 offen offset:4
	buffer_store_dword v81, v77, s[0:3], 0 offen
	s_clause 0x1
	buffer_load_dword v84, off, s[0:3], 0 offset:12
	buffer_load_dword v83, off, s[0:3], 0 offset:8
	v_xor_b32_e32 v82, 0x80000000, v82
	s_waitcnt vmcnt(0)
	ds_write2_b64 v79, v[81:82], v[83:84] offset1:38
	s_waitcnt lgkmcnt(0)
	s_waitcnt_vscnt null, 0x0
	s_barrier
	buffer_gl0_inv
	s_and_saveexec_b32 s5, s4
	s_cbranch_execz .LBB37_15
; %bb.14:
	s_clause 0x1
	buffer_load_dword v81, v77, s[0:3], 0 offen
	buffer_load_dword v82, v77, s[0:3], 0 offen offset:4
	ds_read_b64 v[83:84], v80
	v_mov_b32_e32 v78, 0
	ds_read_b64 v[85:86], v78 offset:8
	s_waitcnt vmcnt(0) lgkmcnt(1)
	v_fma_f64 v[81:82], v[81:82], v[83:84], 0
	s_waitcnt lgkmcnt(0)
	v_mul_f64 v[81:82], v[81:82], v[85:86]
	buffer_store_dword v81, off, s[0:3], 0 offset:8
	buffer_store_dword v82, off, s[0:3], 0 offset:12
.LBB37_15:
	s_or_b32 exec_lo, exec_lo, s5
	s_waitcnt_vscnt null, 0x0
	s_barrier
	buffer_gl0_inv
	s_clause 0x1
	buffer_load_dword v81, off, s[0:3], 0 offset:16
	buffer_load_dword v82, off, s[0:3], 0 offset:20
	s_mov_b32 s5, exec_lo
	s_waitcnt vmcnt(0)
	ds_write_b64 v80, v[81:82]
	s_waitcnt lgkmcnt(0)
	s_barrier
	buffer_gl0_inv
	v_cmpx_gt_u32_e32 2, v0
	s_cbranch_execz .LBB37_19
; %bb.16:
	s_clause 0x1
	buffer_load_dword v81, v77, s[0:3], 0 offen
	buffer_load_dword v82, v77, s[0:3], 0 offen offset:4
	ds_read_b64 v[77:78], v80
	s_waitcnt vmcnt(0) lgkmcnt(0)
	v_fma_f64 v[77:78], v[81:82], v[77:78], 0
	s_and_saveexec_b32 s8, s4
	s_cbranch_execz .LBB37_18
; %bb.17:
	s_clause 0x1
	buffer_load_dword v81, off, s[0:3], 0 offset:8
	buffer_load_dword v82, off, s[0:3], 0 offset:12
	v_mov_b32_e32 v83, 0
	ds_read_b64 v[83:84], v83 offset:312
	s_waitcnt vmcnt(0) lgkmcnt(0)
	v_fma_f64 v[77:78], v[81:82], v[83:84], v[77:78]
.LBB37_18:
	s_or_b32 exec_lo, exec_lo, s8
	v_mov_b32_e32 v81, 0
	ds_read_b64 v[81:82], v81 offset:16
	s_waitcnt lgkmcnt(0)
	v_mul_f64 v[77:78], v[77:78], v[81:82]
	buffer_store_dword v78, off, s[0:3], 0 offset:20
	buffer_store_dword v77, off, s[0:3], 0 offset:16
.LBB37_19:
	s_or_b32 exec_lo, exec_lo, s5
	s_waitcnt_vscnt null, 0x0
	s_barrier
	buffer_gl0_inv
	s_clause 0x1
	buffer_load_dword v77, off, s[0:3], 0 offset:24
	buffer_load_dword v78, off, s[0:3], 0 offset:28
	v_add_nc_u32_e32 v81, -1, v0
	s_mov_b32 s4, exec_lo
	s_waitcnt vmcnt(0)
	ds_write_b64 v80, v[77:78]
	s_waitcnt lgkmcnt(0)
	s_barrier
	buffer_gl0_inv
	v_cmpx_gt_u32_e32 3, v0
	s_cbranch_execz .LBB37_23
; %bb.20:
	v_mov_b32_e32 v77, 0
	v_add_nc_u32_e32 v82, -1, v0
	v_add_nc_u32_e32 v83, 0x130, v79
	v_mov_b32_e32 v78, 0
	v_mov_b32_e32 v84, v79
	s_mov_b32 s5, 0
.LBB37_21:                              ; =>This Inner Loop Header: Depth=1
	s_clause 0x1
	buffer_load_dword v85, v84, s[0:3], 0 offen
	buffer_load_dword v86, v84, s[0:3], 0 offen offset:4
	ds_read_b64 v[87:88], v83
	v_add_nc_u32_e32 v82, 1, v82
	v_add_nc_u32_e32 v83, 8, v83
	v_add_nc_u32_e32 v84, 8, v84
	v_cmp_lt_u32_e32 vcc_lo, 1, v82
	s_or_b32 s5, vcc_lo, s5
	s_waitcnt vmcnt(0) lgkmcnt(0)
	v_fma_f64 v[77:78], v[85:86], v[87:88], v[77:78]
	s_andn2_b32 exec_lo, exec_lo, s5
	s_cbranch_execnz .LBB37_21
; %bb.22:
	s_or_b32 exec_lo, exec_lo, s5
	v_mov_b32_e32 v82, 0
	ds_read_b64 v[82:83], v82 offset:24
	s_waitcnt lgkmcnt(0)
	v_mul_f64 v[77:78], v[77:78], v[82:83]
	buffer_store_dword v78, off, s[0:3], 0 offset:28
	buffer_store_dword v77, off, s[0:3], 0 offset:24
.LBB37_23:
	s_or_b32 exec_lo, exec_lo, s4
	s_waitcnt_vscnt null, 0x0
	s_barrier
	buffer_gl0_inv
	s_clause 0x1
	buffer_load_dword v77, off, s[0:3], 0 offset:32
	buffer_load_dword v78, off, s[0:3], 0 offset:36
	s_mov_b32 s4, exec_lo
	s_waitcnt vmcnt(0)
	ds_write_b64 v80, v[77:78]
	s_waitcnt lgkmcnt(0)
	s_barrier
	buffer_gl0_inv
	v_cmpx_gt_u32_e32 4, v0
	s_cbranch_execz .LBB37_27
; %bb.24:
	v_mov_b32_e32 v77, 0
	v_add_nc_u32_e32 v82, -1, v0
	v_add_nc_u32_e32 v83, 0x130, v79
	v_mov_b32_e32 v78, 0
	v_mov_b32_e32 v84, v79
	s_mov_b32 s5, 0
.LBB37_25:                              ; =>This Inner Loop Header: Depth=1
	s_clause 0x1
	buffer_load_dword v85, v84, s[0:3], 0 offen
	buffer_load_dword v86, v84, s[0:3], 0 offen offset:4
	ds_read_b64 v[87:88], v83
	v_add_nc_u32_e32 v82, 1, v82
	v_add_nc_u32_e32 v83, 8, v83
	v_add_nc_u32_e32 v84, 8, v84
	v_cmp_lt_u32_e32 vcc_lo, 2, v82
	s_or_b32 s5, vcc_lo, s5
	s_waitcnt vmcnt(0) lgkmcnt(0)
	v_fma_f64 v[77:78], v[85:86], v[87:88], v[77:78]
	s_andn2_b32 exec_lo, exec_lo, s5
	s_cbranch_execnz .LBB37_25
; %bb.26:
	s_or_b32 exec_lo, exec_lo, s5
	v_mov_b32_e32 v82, 0
	ds_read_b64 v[82:83], v82 offset:32
	s_waitcnt lgkmcnt(0)
	v_mul_f64 v[77:78], v[77:78], v[82:83]
	buffer_store_dword v78, off, s[0:3], 0 offset:36
	buffer_store_dword v77, off, s[0:3], 0 offset:32
.LBB37_27:
	s_or_b32 exec_lo, exec_lo, s4
	s_waitcnt_vscnt null, 0x0
	s_barrier
	buffer_gl0_inv
	s_clause 0x1
	buffer_load_dword v77, off, s[0:3], 0 offset:40
	buffer_load_dword v78, off, s[0:3], 0 offset:44
	;; [unrolled: 45-line block ×20, first 2 shown]
	s_mov_b32 s4, exec_lo
	s_waitcnt vmcnt(0)
	ds_write_b64 v80, v[77:78]
	s_waitcnt lgkmcnt(0)
	s_barrier
	buffer_gl0_inv
	v_cmpx_gt_u32_e32 23, v0
	s_cbranch_execz .LBB37_103
; %bb.100:
	v_mov_b32_e32 v77, 0
	v_add_nc_u32_e32 v82, -1, v0
	v_add_nc_u32_e32 v83, 0x130, v79
	v_mov_b32_e32 v78, 0
	v_mov_b32_e32 v84, v79
	s_mov_b32 s5, 0
.LBB37_101:                             ; =>This Inner Loop Header: Depth=1
	s_clause 0x1
	buffer_load_dword v85, v84, s[0:3], 0 offen
	buffer_load_dword v86, v84, s[0:3], 0 offen offset:4
	ds_read_b64 v[87:88], v83
	v_add_nc_u32_e32 v82, 1, v82
	v_add_nc_u32_e32 v83, 8, v83
	v_add_nc_u32_e32 v84, 8, v84
	v_cmp_lt_u32_e32 vcc_lo, 21, v82
	s_or_b32 s5, vcc_lo, s5
	s_waitcnt vmcnt(0) lgkmcnt(0)
	v_fma_f64 v[77:78], v[85:86], v[87:88], v[77:78]
	s_andn2_b32 exec_lo, exec_lo, s5
	s_cbranch_execnz .LBB37_101
; %bb.102:
	s_or_b32 exec_lo, exec_lo, s5
	v_mov_b32_e32 v82, 0
	ds_read_b64 v[82:83], v82 offset:184
	s_waitcnt lgkmcnt(0)
	v_mul_f64 v[77:78], v[77:78], v[82:83]
	buffer_store_dword v78, off, s[0:3], 0 offset:188
	buffer_store_dword v77, off, s[0:3], 0 offset:184
.LBB37_103:
	s_or_b32 exec_lo, exec_lo, s4
	s_waitcnt_vscnt null, 0x0
	s_barrier
	buffer_gl0_inv
	s_clause 0x1
	buffer_load_dword v77, off, s[0:3], 0 offset:192
	buffer_load_dword v78, off, s[0:3], 0 offset:196
	s_mov_b32 s4, exec_lo
	s_waitcnt vmcnt(0)
	ds_write_b64 v80, v[77:78]
	s_waitcnt lgkmcnt(0)
	s_barrier
	buffer_gl0_inv
	v_cmpx_gt_u32_e32 24, v0
	s_cbranch_execz .LBB37_107
; %bb.104:
	v_mov_b32_e32 v77, 0
	v_add_nc_u32_e32 v82, -1, v0
	v_add_nc_u32_e32 v83, 0x130, v79
	v_mov_b32_e32 v78, 0
	v_mov_b32_e32 v84, v79
	s_mov_b32 s5, 0
.LBB37_105:                             ; =>This Inner Loop Header: Depth=1
	s_clause 0x1
	buffer_load_dword v85, v84, s[0:3], 0 offen
	buffer_load_dword v86, v84, s[0:3], 0 offen offset:4
	ds_read_b64 v[87:88], v83
	v_add_nc_u32_e32 v82, 1, v82
	v_add_nc_u32_e32 v83, 8, v83
	v_add_nc_u32_e32 v84, 8, v84
	v_cmp_lt_u32_e32 vcc_lo, 22, v82
	s_or_b32 s5, vcc_lo, s5
	s_waitcnt vmcnt(0) lgkmcnt(0)
	v_fma_f64 v[77:78], v[85:86], v[87:88], v[77:78]
	s_andn2_b32 exec_lo, exec_lo, s5
	s_cbranch_execnz .LBB37_105
; %bb.106:
	s_or_b32 exec_lo, exec_lo, s5
	v_mov_b32_e32 v82, 0
	ds_read_b64 v[82:83], v82 offset:192
	s_waitcnt lgkmcnt(0)
	v_mul_f64 v[77:78], v[77:78], v[82:83]
	buffer_store_dword v78, off, s[0:3], 0 offset:196
	buffer_store_dword v77, off, s[0:3], 0 offset:192
.LBB37_107:
	s_or_b32 exec_lo, exec_lo, s4
	s_waitcnt_vscnt null, 0x0
	s_barrier
	buffer_gl0_inv
	s_clause 0x1
	buffer_load_dword v77, off, s[0:3], 0 offset:200
	buffer_load_dword v78, off, s[0:3], 0 offset:204
	;; [unrolled: 45-line block ×14, first 2 shown]
	s_mov_b32 s4, exec_lo
	s_waitcnt vmcnt(0)
	ds_write_b64 v80, v[77:78]
	s_waitcnt lgkmcnt(0)
	s_barrier
	buffer_gl0_inv
	v_cmpx_ne_u32_e32 37, v0
	s_cbranch_execz .LBB37_159
; %bb.156:
	v_mov_b32_e32 v77, 0
	v_mov_b32_e32 v78, 0
	s_mov_b32 s5, 0
.LBB37_157:                             ; =>This Inner Loop Header: Depth=1
	s_clause 0x1
	buffer_load_dword v82, v79, s[0:3], 0 offen
	buffer_load_dword v83, v79, s[0:3], 0 offen offset:4
	ds_read_b64 v[84:85], v80
	v_add_nc_u32_e32 v81, 1, v81
	v_add_nc_u32_e32 v80, 8, v80
	;; [unrolled: 1-line block ×3, first 2 shown]
	v_cmp_lt_u32_e32 vcc_lo, 35, v81
	s_or_b32 s5, vcc_lo, s5
	s_waitcnt vmcnt(0) lgkmcnt(0)
	v_fma_f64 v[77:78], v[82:83], v[84:85], v[77:78]
	s_andn2_b32 exec_lo, exec_lo, s5
	s_cbranch_execnz .LBB37_157
; %bb.158:
	s_or_b32 exec_lo, exec_lo, s5
	v_mov_b32_e32 v79, 0
	ds_read_b64 v[79:80], v79 offset:296
	s_waitcnt lgkmcnt(0)
	v_mul_f64 v[77:78], v[77:78], v[79:80]
	buffer_store_dword v78, off, s[0:3], 0 offset:300
	buffer_store_dword v77, off, s[0:3], 0 offset:296
.LBB37_159:
	s_or_b32 exec_lo, exec_lo, s4
	s_mov_b32 s5, -1
	s_waitcnt_vscnt null, 0x0
	s_barrier
	buffer_gl0_inv
.LBB37_160:
	s_and_b32 vcc_lo, exec_lo, s5
	s_cbranch_vccz .LBB37_162
; %bb.161:
	s_lshl_b64 s[4:5], s[6:7], 2
	v_mov_b32_e32 v77, 0
	s_add_u32 s4, s10, s4
	s_addc_u32 s5, s11, s5
	global_load_dword v77, v77, s[4:5]
	s_waitcnt vmcnt(0)
	v_cmp_ne_u32_e32 vcc_lo, 0, v77
	s_cbranch_vccz .LBB37_163
.LBB37_162:
	s_endpgm
.LBB37_163:
	v_lshl_add_u32 v77, v0, 3, 0x130
	s_mov_b32 s4, exec_lo
	v_cmpx_eq_u32_e32 37, v0
	s_cbranch_execz .LBB37_165
; %bb.164:
	s_clause 0x1
	buffer_load_dword v78, off, s[0:3], 0 offset:288
	buffer_load_dword v79, off, s[0:3], 0 offset:292
	v_mov_b32_e32 v80, 0
	buffer_store_dword v80, off, s[0:3], 0 offset:288
	buffer_store_dword v80, off, s[0:3], 0 offset:292
	s_waitcnt vmcnt(0)
	ds_write_b64 v77, v[78:79]
.LBB37_165:
	s_or_b32 exec_lo, exec_lo, s4
	s_waitcnt lgkmcnt(0)
	s_waitcnt_vscnt null, 0x0
	s_barrier
	buffer_gl0_inv
	s_clause 0x3
	buffer_load_dword v79, off, s[0:3], 0 offset:296
	buffer_load_dword v80, off, s[0:3], 0 offset:300
	buffer_load_dword v81, off, s[0:3], 0 offset:288
	buffer_load_dword v82, off, s[0:3], 0 offset:292
	v_mov_b32_e32 v78, 0
	s_mov_b32 s4, exec_lo
	ds_read_b64 v[83:84], v78 offset:600
	s_waitcnt vmcnt(2) lgkmcnt(0)
	v_fma_f64 v[79:80], v[79:80], v[83:84], 0
	s_waitcnt vmcnt(0)
	v_add_f64 v[79:80], v[81:82], -v[79:80]
	buffer_store_dword v79, off, s[0:3], 0 offset:288
	buffer_store_dword v80, off, s[0:3], 0 offset:292
	v_cmpx_lt_u32_e32 35, v0
	s_cbranch_execz .LBB37_167
; %bb.166:
	s_clause 0x1
	buffer_load_dword v79, off, s[0:3], 0 offset:280
	buffer_load_dword v80, off, s[0:3], 0 offset:284
	buffer_store_dword v78, off, s[0:3], 0 offset:280
	buffer_store_dword v78, off, s[0:3], 0 offset:284
	s_waitcnt vmcnt(0)
	ds_write_b64 v77, v[79:80]
.LBB37_167:
	s_or_b32 exec_lo, exec_lo, s4
	s_waitcnt lgkmcnt(0)
	s_waitcnt_vscnt null, 0x0
	s_barrier
	buffer_gl0_inv
	s_clause 0x5
	buffer_load_dword v82, off, s[0:3], 0 offset:288
	buffer_load_dword v83, off, s[0:3], 0 offset:292
	;; [unrolled: 1-line block ×6, first 2 shown]
	ds_read_b128 v[78:81], v78 offset:592
	s_mov_b32 s4, exec_lo
	s_waitcnt vmcnt(4) lgkmcnt(0)
	v_fma_f64 v[78:79], v[82:83], v[78:79], 0
	s_waitcnt vmcnt(2)
	v_fma_f64 v[78:79], v[84:85], v[80:81], v[78:79]
	s_waitcnt vmcnt(0)
	v_add_f64 v[78:79], v[86:87], -v[78:79]
	buffer_store_dword v78, off, s[0:3], 0 offset:280
	buffer_store_dword v79, off, s[0:3], 0 offset:284
	v_cmpx_lt_u32_e32 34, v0
	s_cbranch_execz .LBB37_169
; %bb.168:
	s_clause 0x1
	buffer_load_dword v78, off, s[0:3], 0 offset:272
	buffer_load_dword v79, off, s[0:3], 0 offset:276
	v_mov_b32_e32 v80, 0
	buffer_store_dword v80, off, s[0:3], 0 offset:272
	buffer_store_dword v80, off, s[0:3], 0 offset:276
	s_waitcnt vmcnt(0)
	ds_write_b64 v77, v[78:79]
.LBB37_169:
	s_or_b32 exec_lo, exec_lo, s4
	s_waitcnt lgkmcnt(0)
	s_waitcnt_vscnt null, 0x0
	s_barrier
	buffer_gl0_inv
	s_clause 0x7
	buffer_load_dword v83, off, s[0:3], 0 offset:280
	buffer_load_dword v84, off, s[0:3], 0 offset:284
	buffer_load_dword v85, off, s[0:3], 0 offset:288
	buffer_load_dword v86, off, s[0:3], 0 offset:292
	buffer_load_dword v87, off, s[0:3], 0 offset:296
	buffer_load_dword v88, off, s[0:3], 0 offset:300
	buffer_load_dword v89, off, s[0:3], 0 offset:272
	buffer_load_dword v90, off, s[0:3], 0 offset:276
	v_mov_b32_e32 v78, 0
	ds_read2_b64 v[79:82], v78 offset0:73 offset1:74
	ds_read_b64 v[91:92], v78 offset:600
	s_mov_b32 s4, exec_lo
	s_waitcnt vmcnt(6) lgkmcnt(1)
	v_fma_f64 v[79:80], v[83:84], v[79:80], 0
	s_waitcnt vmcnt(4)
	v_fma_f64 v[79:80], v[85:86], v[81:82], v[79:80]
	s_waitcnt vmcnt(2) lgkmcnt(0)
	v_fma_f64 v[79:80], v[87:88], v[91:92], v[79:80]
	s_waitcnt vmcnt(0)
	v_add_f64 v[79:80], v[89:90], -v[79:80]
	buffer_store_dword v79, off, s[0:3], 0 offset:272
	buffer_store_dword v80, off, s[0:3], 0 offset:276
	v_cmpx_lt_u32_e32 33, v0
	s_cbranch_execz .LBB37_171
; %bb.170:
	s_clause 0x1
	buffer_load_dword v79, off, s[0:3], 0 offset:264
	buffer_load_dword v80, off, s[0:3], 0 offset:268
	buffer_store_dword v78, off, s[0:3], 0 offset:264
	buffer_store_dword v78, off, s[0:3], 0 offset:268
	s_waitcnt vmcnt(0)
	ds_write_b64 v77, v[79:80]
.LBB37_171:
	s_or_b32 exec_lo, exec_lo, s4
	s_waitcnt lgkmcnt(0)
	s_waitcnt_vscnt null, 0x0
	s_barrier
	buffer_gl0_inv
	s_clause 0x9
	buffer_load_dword v87, off, s[0:3], 0 offset:272
	buffer_load_dword v88, off, s[0:3], 0 offset:276
	;; [unrolled: 1-line block ×10, first 2 shown]
	ds_read_b128 v[79:82], v78 offset:576
	ds_read_b128 v[83:86], v78 offset:592
	s_mov_b32 s4, exec_lo
	s_waitcnt vmcnt(8) lgkmcnt(1)
	v_fma_f64 v[78:79], v[87:88], v[79:80], 0
	s_waitcnt vmcnt(6)
	v_fma_f64 v[78:79], v[89:90], v[81:82], v[78:79]
	s_waitcnt vmcnt(4) lgkmcnt(0)
	v_fma_f64 v[78:79], v[91:92], v[83:84], v[78:79]
	s_waitcnt vmcnt(2)
	v_fma_f64 v[78:79], v[93:94], v[85:86], v[78:79]
	s_waitcnt vmcnt(0)
	v_add_f64 v[78:79], v[95:96], -v[78:79]
	buffer_store_dword v78, off, s[0:3], 0 offset:264
	buffer_store_dword v79, off, s[0:3], 0 offset:268
	v_cmpx_lt_u32_e32 32, v0
	s_cbranch_execz .LBB37_173
; %bb.172:
	s_clause 0x1
	buffer_load_dword v78, off, s[0:3], 0 offset:256
	buffer_load_dword v79, off, s[0:3], 0 offset:260
	v_mov_b32_e32 v80, 0
	buffer_store_dword v80, off, s[0:3], 0 offset:256
	buffer_store_dword v80, off, s[0:3], 0 offset:260
	s_waitcnt vmcnt(0)
	ds_write_b64 v77, v[78:79]
.LBB37_173:
	s_or_b32 exec_lo, exec_lo, s4
	s_waitcnt lgkmcnt(0)
	s_waitcnt_vscnt null, 0x0
	s_barrier
	buffer_gl0_inv
	s_clause 0xb
	buffer_load_dword v87, off, s[0:3], 0 offset:264
	buffer_load_dword v88, off, s[0:3], 0 offset:268
	;; [unrolled: 1-line block ×12, first 2 shown]
	v_mov_b32_e32 v78, 0
	ds_read2_b64 v[79:82], v78 offset0:71 offset1:72
	ds_read2_b64 v[83:86], v78 offset0:73 offset1:74
	s_mov_b32 s4, exec_lo
	s_waitcnt vmcnt(10) lgkmcnt(1)
	v_fma_f64 v[79:80], v[87:88], v[79:80], 0
	s_waitcnt vmcnt(8)
	v_fma_f64 v[79:80], v[89:90], v[81:82], v[79:80]
	ds_read_b64 v[81:82], v78 offset:600
	s_waitcnt vmcnt(6) lgkmcnt(1)
	v_fma_f64 v[79:80], v[91:92], v[83:84], v[79:80]
	s_waitcnt vmcnt(4)
	v_fma_f64 v[79:80], v[93:94], v[85:86], v[79:80]
	s_waitcnt vmcnt(2) lgkmcnt(0)
	v_fma_f64 v[79:80], v[95:96], v[81:82], v[79:80]
	s_waitcnt vmcnt(0)
	v_add_f64 v[79:80], v[97:98], -v[79:80]
	buffer_store_dword v79, off, s[0:3], 0 offset:256
	buffer_store_dword v80, off, s[0:3], 0 offset:260
	v_cmpx_lt_u32_e32 31, v0
	s_cbranch_execz .LBB37_175
; %bb.174:
	s_clause 0x1
	buffer_load_dword v79, off, s[0:3], 0 offset:248
	buffer_load_dword v80, off, s[0:3], 0 offset:252
	buffer_store_dword v78, off, s[0:3], 0 offset:248
	buffer_store_dword v78, off, s[0:3], 0 offset:252
	s_waitcnt vmcnt(0)
	ds_write_b64 v77, v[79:80]
.LBB37_175:
	s_or_b32 exec_lo, exec_lo, s4
	s_waitcnt lgkmcnt(0)
	s_waitcnt_vscnt null, 0x0
	s_barrier
	buffer_gl0_inv
	s_clause 0xd
	buffer_load_dword v87, off, s[0:3], 0 offset:256
	buffer_load_dword v88, off, s[0:3], 0 offset:260
	;; [unrolled: 1-line block ×14, first 2 shown]
	ds_read_b128 v[79:82], v78 offset:560
	ds_read_b128 v[83:86], v78 offset:576
	s_mov_b32 s4, exec_lo
	s_waitcnt vmcnt(12) lgkmcnt(1)
	v_fma_f64 v[79:80], v[87:88], v[79:80], 0
	s_waitcnt vmcnt(10)
	v_fma_f64 v[79:80], v[89:90], v[81:82], v[79:80]
	s_waitcnt vmcnt(8) lgkmcnt(0)
	v_fma_f64 v[79:80], v[91:92], v[83:84], v[79:80]
	s_waitcnt vmcnt(6)
	v_fma_f64 v[82:83], v[93:94], v[85:86], v[79:80]
	ds_read_b128 v[78:81], v78 offset:592
	s_waitcnt vmcnt(4) lgkmcnt(0)
	v_fma_f64 v[78:79], v[95:96], v[78:79], v[82:83]
	s_waitcnt vmcnt(2)
	v_fma_f64 v[78:79], v[97:98], v[80:81], v[78:79]
	s_waitcnt vmcnt(0)
	v_add_f64 v[78:79], v[99:100], -v[78:79]
	buffer_store_dword v78, off, s[0:3], 0 offset:248
	buffer_store_dword v79, off, s[0:3], 0 offset:252
	v_cmpx_lt_u32_e32 30, v0
	s_cbranch_execz .LBB37_177
; %bb.176:
	s_clause 0x1
	buffer_load_dword v78, off, s[0:3], 0 offset:240
	buffer_load_dword v79, off, s[0:3], 0 offset:244
	v_mov_b32_e32 v80, 0
	buffer_store_dword v80, off, s[0:3], 0 offset:240
	buffer_store_dword v80, off, s[0:3], 0 offset:244
	s_waitcnt vmcnt(0)
	ds_write_b64 v77, v[78:79]
.LBB37_177:
	s_or_b32 exec_lo, exec_lo, s4
	s_waitcnt lgkmcnt(0)
	s_waitcnt_vscnt null, 0x0
	s_barrier
	buffer_gl0_inv
	s_clause 0xf
	buffer_load_dword v87, off, s[0:3], 0 offset:248
	buffer_load_dword v88, off, s[0:3], 0 offset:252
	;; [unrolled: 1-line block ×16, first 2 shown]
	v_mov_b32_e32 v78, 0
	ds_read2_b64 v[79:82], v78 offset0:69 offset1:70
	ds_read2_b64 v[83:86], v78 offset0:71 offset1:72
	s_mov_b32 s4, exec_lo
	s_waitcnt vmcnt(14) lgkmcnt(1)
	v_fma_f64 v[79:80], v[87:88], v[79:80], 0
	s_waitcnt vmcnt(12)
	v_fma_f64 v[79:80], v[89:90], v[81:82], v[79:80]
	s_waitcnt vmcnt(10) lgkmcnt(0)
	v_fma_f64 v[79:80], v[91:92], v[83:84], v[79:80]
	s_waitcnt vmcnt(8)
	v_fma_f64 v[83:84], v[93:94], v[85:86], v[79:80]
	ds_read2_b64 v[79:82], v78 offset0:73 offset1:74
	ds_read_b64 v[85:86], v78 offset:600
	s_waitcnt vmcnt(6) lgkmcnt(1)
	v_fma_f64 v[79:80], v[95:96], v[79:80], v[83:84]
	s_waitcnt vmcnt(4)
	v_fma_f64 v[79:80], v[97:98], v[81:82], v[79:80]
	s_waitcnt vmcnt(2) lgkmcnt(0)
	v_fma_f64 v[79:80], v[99:100], v[85:86], v[79:80]
	s_waitcnt vmcnt(0)
	v_add_f64 v[79:80], v[101:102], -v[79:80]
	buffer_store_dword v79, off, s[0:3], 0 offset:240
	buffer_store_dword v80, off, s[0:3], 0 offset:244
	v_cmpx_lt_u32_e32 29, v0
	s_cbranch_execz .LBB37_179
; %bb.178:
	s_clause 0x1
	buffer_load_dword v79, off, s[0:3], 0 offset:232
	buffer_load_dword v80, off, s[0:3], 0 offset:236
	buffer_store_dword v78, off, s[0:3], 0 offset:232
	buffer_store_dword v78, off, s[0:3], 0 offset:236
	s_waitcnt vmcnt(0)
	ds_write_b64 v77, v[79:80]
.LBB37_179:
	s_or_b32 exec_lo, exec_lo, s4
	s_waitcnt lgkmcnt(0)
	s_waitcnt_vscnt null, 0x0
	s_barrier
	buffer_gl0_inv
	s_clause 0x11
	buffer_load_dword v87, off, s[0:3], 0 offset:240
	buffer_load_dword v88, off, s[0:3], 0 offset:244
	;; [unrolled: 1-line block ×18, first 2 shown]
	ds_read_b128 v[79:82], v78 offset:544
	ds_read_b128 v[83:86], v78 offset:560
	s_mov_b32 s4, exec_lo
	s_waitcnt vmcnt(16) lgkmcnt(1)
	v_fma_f64 v[79:80], v[87:88], v[79:80], 0
	s_waitcnt vmcnt(14)
	v_fma_f64 v[79:80], v[89:90], v[81:82], v[79:80]
	s_waitcnt vmcnt(12) lgkmcnt(0)
	v_fma_f64 v[79:80], v[91:92], v[83:84], v[79:80]
	s_waitcnt vmcnt(10)
	v_fma_f64 v[87:88], v[93:94], v[85:86], v[79:80]
	ds_read_b128 v[79:82], v78 offset:576
	ds_read_b128 v[83:86], v78 offset:592
	s_waitcnt vmcnt(8) lgkmcnt(1)
	v_fma_f64 v[78:79], v[95:96], v[79:80], v[87:88]
	s_waitcnt vmcnt(6)
	v_fma_f64 v[78:79], v[97:98], v[81:82], v[78:79]
	s_waitcnt vmcnt(4) lgkmcnt(0)
	v_fma_f64 v[78:79], v[99:100], v[83:84], v[78:79]
	s_waitcnt vmcnt(2)
	v_fma_f64 v[78:79], v[101:102], v[85:86], v[78:79]
	s_waitcnt vmcnt(0)
	v_add_f64 v[78:79], v[103:104], -v[78:79]
	buffer_store_dword v78, off, s[0:3], 0 offset:232
	buffer_store_dword v79, off, s[0:3], 0 offset:236
	v_cmpx_lt_u32_e32 28, v0
	s_cbranch_execz .LBB37_181
; %bb.180:
	s_clause 0x1
	buffer_load_dword v78, off, s[0:3], 0 offset:224
	buffer_load_dword v79, off, s[0:3], 0 offset:228
	v_mov_b32_e32 v80, 0
	buffer_store_dword v80, off, s[0:3], 0 offset:224
	buffer_store_dword v80, off, s[0:3], 0 offset:228
	s_waitcnt vmcnt(0)
	ds_write_b64 v77, v[78:79]
.LBB37_181:
	s_or_b32 exec_lo, exec_lo, s4
	s_waitcnt lgkmcnt(0)
	s_waitcnt_vscnt null, 0x0
	s_barrier
	buffer_gl0_inv
	s_clause 0x13
	buffer_load_dword v87, off, s[0:3], 0 offset:232
	buffer_load_dword v88, off, s[0:3], 0 offset:236
	;; [unrolled: 1-line block ×20, first 2 shown]
	v_mov_b32_e32 v78, 0
	ds_read2_b64 v[79:82], v78 offset0:67 offset1:68
	ds_read2_b64 v[83:86], v78 offset0:69 offset1:70
	s_mov_b32 s4, exec_lo
	s_waitcnt vmcnt(18) lgkmcnt(1)
	v_fma_f64 v[79:80], v[87:88], v[79:80], 0
	s_waitcnt vmcnt(16)
	v_fma_f64 v[79:80], v[89:90], v[81:82], v[79:80]
	s_waitcnt vmcnt(14) lgkmcnt(0)
	v_fma_f64 v[79:80], v[91:92], v[83:84], v[79:80]
	s_waitcnt vmcnt(12)
	v_fma_f64 v[87:88], v[93:94], v[85:86], v[79:80]
	ds_read2_b64 v[79:82], v78 offset0:71 offset1:72
	ds_read2_b64 v[83:86], v78 offset0:73 offset1:74
	s_waitcnt vmcnt(10) lgkmcnt(1)
	v_fma_f64 v[79:80], v[95:96], v[79:80], v[87:88]
	s_waitcnt vmcnt(8)
	v_fma_f64 v[79:80], v[97:98], v[81:82], v[79:80]
	ds_read_b64 v[81:82], v78 offset:600
	s_waitcnt vmcnt(6) lgkmcnt(1)
	v_fma_f64 v[79:80], v[99:100], v[83:84], v[79:80]
	s_waitcnt vmcnt(3)
	v_fma_f64 v[79:80], v[101:102], v[85:86], v[79:80]
	s_waitcnt vmcnt(2) lgkmcnt(0)
	v_fma_f64 v[79:80], v[103:104], v[81:82], v[79:80]
	s_waitcnt vmcnt(0)
	v_add_f64 v[79:80], v[105:106], -v[79:80]
	buffer_store_dword v79, off, s[0:3], 0 offset:224
	buffer_store_dword v80, off, s[0:3], 0 offset:228
	v_cmpx_lt_u32_e32 27, v0
	s_cbranch_execz .LBB37_183
; %bb.182:
	s_clause 0x1
	buffer_load_dword v79, off, s[0:3], 0 offset:216
	buffer_load_dword v80, off, s[0:3], 0 offset:220
	buffer_store_dword v78, off, s[0:3], 0 offset:216
	buffer_store_dword v78, off, s[0:3], 0 offset:220
	s_waitcnt vmcnt(0)
	ds_write_b64 v77, v[79:80]
.LBB37_183:
	s_or_b32 exec_lo, exec_lo, s4
	s_waitcnt lgkmcnt(0)
	s_waitcnt_vscnt null, 0x0
	s_barrier
	buffer_gl0_inv
	s_clause 0x15
	buffer_load_dword v87, off, s[0:3], 0 offset:224
	buffer_load_dword v88, off, s[0:3], 0 offset:228
	;; [unrolled: 1-line block ×22, first 2 shown]
	ds_read_b128 v[79:82], v78 offset:528
	ds_read_b128 v[83:86], v78 offset:544
	s_mov_b32 s4, exec_lo
	s_waitcnt vmcnt(20) lgkmcnt(1)
	v_fma_f64 v[79:80], v[87:88], v[79:80], 0
	s_waitcnt vmcnt(18)
	v_fma_f64 v[79:80], v[89:90], v[81:82], v[79:80]
	s_waitcnt vmcnt(16) lgkmcnt(0)
	v_fma_f64 v[79:80], v[91:92], v[83:84], v[79:80]
	s_waitcnt vmcnt(14)
	v_fma_f64 v[87:88], v[93:94], v[85:86], v[79:80]
	ds_read_b128 v[79:82], v78 offset:560
	ds_read_b128 v[83:86], v78 offset:576
	s_waitcnt vmcnt(12) lgkmcnt(1)
	v_fma_f64 v[79:80], v[95:96], v[79:80], v[87:88]
	s_waitcnt vmcnt(10)
	v_fma_f64 v[79:80], v[97:98], v[81:82], v[79:80]
	s_waitcnt vmcnt(8) lgkmcnt(0)
	v_fma_f64 v[79:80], v[99:100], v[83:84], v[79:80]
	s_waitcnt vmcnt(4)
	v_fma_f64 v[82:83], v[101:102], v[85:86], v[79:80]
	ds_read_b128 v[78:81], v78 offset:592
	s_waitcnt vmcnt(3) lgkmcnt(0)
	v_fma_f64 v[78:79], v[105:106], v[78:79], v[82:83]
	s_waitcnt vmcnt(2)
	v_fma_f64 v[78:79], v[103:104], v[80:81], v[78:79]
	s_waitcnt vmcnt(0)
	v_add_f64 v[78:79], v[107:108], -v[78:79]
	buffer_store_dword v78, off, s[0:3], 0 offset:216
	buffer_store_dword v79, off, s[0:3], 0 offset:220
	v_cmpx_lt_u32_e32 26, v0
	s_cbranch_execz .LBB37_185
; %bb.184:
	s_clause 0x1
	buffer_load_dword v78, off, s[0:3], 0 offset:208
	buffer_load_dword v79, off, s[0:3], 0 offset:212
	v_mov_b32_e32 v80, 0
	buffer_store_dword v80, off, s[0:3], 0 offset:208
	buffer_store_dword v80, off, s[0:3], 0 offset:212
	s_waitcnt vmcnt(0)
	ds_write_b64 v77, v[78:79]
.LBB37_185:
	s_or_b32 exec_lo, exec_lo, s4
	s_waitcnt lgkmcnt(0)
	s_waitcnt_vscnt null, 0x0
	s_barrier
	buffer_gl0_inv
	s_clause 0x17
	buffer_load_dword v83, off, s[0:3], 0 offset:216
	buffer_load_dword v84, off, s[0:3], 0 offset:220
	;; [unrolled: 1-line block ×24, first 2 shown]
	v_mov_b32_e32 v78, 0
	s_mov_b32 s4, exec_lo
	ds_read2_b64 v[79:82], v78 offset0:65 offset1:66
	s_waitcnt vmcnt(22) lgkmcnt(0)
	v_fma_f64 v[79:80], v[83:84], v[79:80], 0
	s_waitcnt vmcnt(20)
	v_fma_f64 v[83:84], v[85:86], v[81:82], v[79:80]
	ds_read2_b64 v[79:82], v78 offset0:67 offset1:68
	s_waitcnt vmcnt(18) lgkmcnt(0)
	v_fma_f64 v[79:80], v[87:88], v[79:80], v[83:84]
	s_waitcnt vmcnt(16)
	v_fma_f64 v[83:84], v[89:90], v[81:82], v[79:80]
	;; [unrolled: 5-line block ×5, first 2 shown]
	ds_read_b64 v[81:82], v78 offset:600
	s_waitcnt vmcnt(2) lgkmcnt(0)
	v_fma_f64 v[79:80], v[103:104], v[81:82], v[79:80]
	s_waitcnt vmcnt(0)
	v_add_f64 v[79:80], v[105:106], -v[79:80]
	buffer_store_dword v80, off, s[0:3], 0 offset:212
	buffer_store_dword v79, off, s[0:3], 0 offset:208
	v_cmpx_lt_u32_e32 25, v0
	s_cbranch_execz .LBB37_187
; %bb.186:
	s_clause 0x1
	buffer_load_dword v79, off, s[0:3], 0 offset:200
	buffer_load_dword v80, off, s[0:3], 0 offset:204
	buffer_store_dword v78, off, s[0:3], 0 offset:200
	buffer_store_dword v78, off, s[0:3], 0 offset:204
	s_waitcnt vmcnt(0)
	ds_write_b64 v77, v[79:80]
.LBB37_187:
	s_or_b32 exec_lo, exec_lo, s4
	s_waitcnt lgkmcnt(0)
	s_waitcnt_vscnt null, 0x0
	s_barrier
	buffer_gl0_inv
	s_clause 0x19
	buffer_load_dword v83, off, s[0:3], 0 offset:208
	buffer_load_dword v84, off, s[0:3], 0 offset:212
	;; [unrolled: 1-line block ×26, first 2 shown]
	ds_read_b128 v[79:82], v78 offset:512
	s_mov_b32 s4, exec_lo
	s_waitcnt vmcnt(24) lgkmcnt(0)
	v_fma_f64 v[79:80], v[83:84], v[79:80], 0
	s_waitcnt vmcnt(22)
	v_fma_f64 v[83:84], v[85:86], v[81:82], v[79:80]
	ds_read_b128 v[79:82], v78 offset:528
	s_waitcnt vmcnt(20) lgkmcnt(0)
	v_fma_f64 v[79:80], v[87:88], v[79:80], v[83:84]
	s_waitcnt vmcnt(18)
	v_fma_f64 v[83:84], v[89:90], v[81:82], v[79:80]
	ds_read_b128 v[79:82], v78 offset:544
	;; [unrolled: 5-line block ×5, first 2 shown]
	s_waitcnt vmcnt(4) lgkmcnt(0)
	v_fma_f64 v[78:79], v[103:104], v[78:79], v[82:83]
	s_waitcnt vmcnt(2)
	v_fma_f64 v[78:79], v[105:106], v[80:81], v[78:79]
	s_waitcnt vmcnt(0)
	v_add_f64 v[78:79], v[107:108], -v[78:79]
	buffer_store_dword v79, off, s[0:3], 0 offset:204
	buffer_store_dword v78, off, s[0:3], 0 offset:200
	v_cmpx_lt_u32_e32 24, v0
	s_cbranch_execz .LBB37_189
; %bb.188:
	s_clause 0x1
	buffer_load_dword v78, off, s[0:3], 0 offset:192
	buffer_load_dword v79, off, s[0:3], 0 offset:196
	v_mov_b32_e32 v80, 0
	buffer_store_dword v80, off, s[0:3], 0 offset:192
	buffer_store_dword v80, off, s[0:3], 0 offset:196
	s_waitcnt vmcnt(0)
	ds_write_b64 v77, v[78:79]
.LBB37_189:
	s_or_b32 exec_lo, exec_lo, s4
	s_waitcnt lgkmcnt(0)
	s_waitcnt_vscnt null, 0x0
	s_barrier
	buffer_gl0_inv
	s_clause 0x1b
	buffer_load_dword v83, off, s[0:3], 0 offset:200
	buffer_load_dword v84, off, s[0:3], 0 offset:204
	;; [unrolled: 1-line block ×28, first 2 shown]
	v_mov_b32_e32 v78, 0
	s_mov_b32 s4, exec_lo
	ds_read2_b64 v[79:82], v78 offset0:63 offset1:64
	s_waitcnt vmcnt(26) lgkmcnt(0)
	v_fma_f64 v[79:80], v[83:84], v[79:80], 0
	s_waitcnt vmcnt(24)
	v_fma_f64 v[83:84], v[85:86], v[81:82], v[79:80]
	ds_read2_b64 v[79:82], v78 offset0:65 offset1:66
	s_waitcnt vmcnt(22) lgkmcnt(0)
	v_fma_f64 v[79:80], v[87:88], v[79:80], v[83:84]
	s_waitcnt vmcnt(20)
	v_fma_f64 v[83:84], v[89:90], v[81:82], v[79:80]
	;; [unrolled: 5-line block ×6, first 2 shown]
	ds_read_b64 v[81:82], v78 offset:600
	s_waitcnt vmcnt(2) lgkmcnt(0)
	v_fma_f64 v[79:80], v[107:108], v[81:82], v[79:80]
	s_waitcnt vmcnt(0)
	v_add_f64 v[79:80], v[109:110], -v[79:80]
	buffer_store_dword v80, off, s[0:3], 0 offset:196
	buffer_store_dword v79, off, s[0:3], 0 offset:192
	v_cmpx_lt_u32_e32 23, v0
	s_cbranch_execz .LBB37_191
; %bb.190:
	s_clause 0x1
	buffer_load_dword v79, off, s[0:3], 0 offset:184
	buffer_load_dword v80, off, s[0:3], 0 offset:188
	buffer_store_dword v78, off, s[0:3], 0 offset:184
	buffer_store_dword v78, off, s[0:3], 0 offset:188
	s_waitcnt vmcnt(0)
	ds_write_b64 v77, v[79:80]
.LBB37_191:
	s_or_b32 exec_lo, exec_lo, s4
	s_waitcnt lgkmcnt(0)
	s_waitcnt_vscnt null, 0x0
	s_barrier
	buffer_gl0_inv
	s_clause 0x1b
	buffer_load_dword v87, off, s[0:3], 0 offset:192
	buffer_load_dword v88, off, s[0:3], 0 offset:196
	;; [unrolled: 1-line block ×28, first 2 shown]
	ds_read_b128 v[79:82], v78 offset:496
	s_clause 0x1
	buffer_load_dword v115, off, s[0:3], 0 offset:184
	buffer_load_dword v116, off, s[0:3], 0 offset:188
	ds_read_b128 v[83:86], v78 offset:512
	s_mov_b32 s4, exec_lo
	s_waitcnt vmcnt(28) lgkmcnt(1)
	v_fma_f64 v[79:80], v[87:88], v[79:80], 0
	s_waitcnt vmcnt(26)
	v_fma_f64 v[79:80], v[89:90], v[81:82], v[79:80]
	s_waitcnt vmcnt(24) lgkmcnt(0)
	v_fma_f64 v[79:80], v[91:92], v[83:84], v[79:80]
	s_waitcnt vmcnt(22)
	v_fma_f64 v[87:88], v[93:94], v[85:86], v[79:80]
	ds_read_b128 v[79:82], v78 offset:528
	ds_read_b128 v[83:86], v78 offset:544
	s_waitcnt vmcnt(20) lgkmcnt(1)
	v_fma_f64 v[79:80], v[95:96], v[79:80], v[87:88]
	s_waitcnt vmcnt(18)
	v_fma_f64 v[79:80], v[97:98], v[81:82], v[79:80]
	s_waitcnt vmcnt(16) lgkmcnt(0)
	v_fma_f64 v[79:80], v[99:100], v[83:84], v[79:80]
	s_waitcnt vmcnt(11)
	v_fma_f64 v[87:88], v[101:102], v[85:86], v[79:80]
	ds_read_b128 v[79:82], v78 offset:560
	ds_read_b128 v[83:86], v78 offset:576
	s_waitcnt vmcnt(10) lgkmcnt(1)
	v_fma_f64 v[79:80], v[107:108], v[79:80], v[87:88]
	s_waitcnt vmcnt(9)
	v_fma_f64 v[79:80], v[105:106], v[81:82], v[79:80]
	s_waitcnt vmcnt(8) lgkmcnt(0)
	v_fma_f64 v[79:80], v[103:104], v[83:84], v[79:80]
	s_waitcnt vmcnt(4)
	v_fma_f64 v[82:83], v[109:110], v[85:86], v[79:80]
	ds_read_b128 v[78:81], v78 offset:592
	s_waitcnt vmcnt(3) lgkmcnt(0)
	v_fma_f64 v[78:79], v[113:114], v[78:79], v[82:83]
	s_waitcnt vmcnt(2)
	v_fma_f64 v[78:79], v[111:112], v[80:81], v[78:79]
	s_waitcnt vmcnt(0)
	v_add_f64 v[78:79], v[115:116], -v[78:79]
	buffer_store_dword v79, off, s[0:3], 0 offset:188
	buffer_store_dword v78, off, s[0:3], 0 offset:184
	v_cmpx_lt_u32_e32 22, v0
	s_cbranch_execz .LBB37_193
; %bb.192:
	s_clause 0x1
	buffer_load_dword v78, off, s[0:3], 0 offset:176
	buffer_load_dword v79, off, s[0:3], 0 offset:180
	v_mov_b32_e32 v80, 0
	buffer_store_dword v80, off, s[0:3], 0 offset:176
	buffer_store_dword v80, off, s[0:3], 0 offset:180
	s_waitcnt vmcnt(0)
	ds_write_b64 v77, v[78:79]
.LBB37_193:
	s_or_b32 exec_lo, exec_lo, s4
	s_waitcnt lgkmcnt(0)
	s_waitcnt_vscnt null, 0x0
	s_barrier
	buffer_gl0_inv
	s_clause 0x1c
	buffer_load_dword v87, off, s[0:3], 0 offset:184
	buffer_load_dword v88, off, s[0:3], 0 offset:188
	;; [unrolled: 1-line block ×29, first 2 shown]
	v_mov_b32_e32 v78, 0
	buffer_load_dword v112, off, s[0:3], 0 offset:300
	s_mov_b32 s4, exec_lo
	ds_read2_b64 v[79:82], v78 offset0:61 offset1:62
	ds_read2_b64 v[83:86], v78 offset0:63 offset1:64
	s_waitcnt vmcnt(28) lgkmcnt(1)
	v_fma_f64 v[79:80], v[87:88], v[79:80], 0
	s_clause 0x1
	buffer_load_dword v87, off, s[0:3], 0 offset:176
	buffer_load_dword v88, off, s[0:3], 0 offset:180
	s_waitcnt vmcnt(28)
	v_fma_f64 v[79:80], v[89:90], v[81:82], v[79:80]
	s_waitcnt vmcnt(26) lgkmcnt(0)
	v_fma_f64 v[79:80], v[91:92], v[83:84], v[79:80]
	s_waitcnt vmcnt(24)
	v_fma_f64 v[89:90], v[93:94], v[85:86], v[79:80]
	ds_read2_b64 v[79:82], v78 offset0:65 offset1:66
	ds_read2_b64 v[83:86], v78 offset0:67 offset1:68
	s_waitcnt vmcnt(22) lgkmcnt(1)
	v_fma_f64 v[79:80], v[95:96], v[79:80], v[89:90]
	s_waitcnt vmcnt(20)
	v_fma_f64 v[79:80], v[97:98], v[81:82], v[79:80]
	s_waitcnt vmcnt(18) lgkmcnt(0)
	v_fma_f64 v[79:80], v[99:100], v[83:84], v[79:80]
	s_waitcnt vmcnt(13)
	v_fma_f64 v[89:90], v[101:102], v[85:86], v[79:80]
	ds_read2_b64 v[79:82], v78 offset0:69 offset1:70
	ds_read2_b64 v[83:86], v78 offset0:71 offset1:72
	s_waitcnt vmcnt(12) lgkmcnt(1)
	v_fma_f64 v[79:80], v[107:108], v[79:80], v[89:90]
	s_waitcnt vmcnt(11)
	v_fma_f64 v[79:80], v[105:106], v[81:82], v[79:80]
	s_waitcnt vmcnt(10) lgkmcnt(0)
	v_fma_f64 v[79:80], v[103:104], v[83:84], v[79:80]
	s_waitcnt vmcnt(5)
	v_fma_f64 v[83:84], v[109:110], v[85:86], v[79:80]
	ds_read2_b64 v[79:82], v78 offset0:73 offset1:74
	ds_read_b64 v[85:86], v78 offset:600
	s_waitcnt vmcnt(4) lgkmcnt(1)
	v_fma_f64 v[79:80], v[115:116], v[79:80], v[83:84]
	s_waitcnt vmcnt(3)
	v_fma_f64 v[79:80], v[113:114], v[81:82], v[79:80]
	s_waitcnt vmcnt(2) lgkmcnt(0)
	v_fma_f64 v[79:80], v[111:112], v[85:86], v[79:80]
	s_waitcnt vmcnt(0)
	v_add_f64 v[79:80], v[87:88], -v[79:80]
	buffer_store_dword v80, off, s[0:3], 0 offset:180
	buffer_store_dword v79, off, s[0:3], 0 offset:176
	v_cmpx_lt_u32_e32 21, v0
	s_cbranch_execz .LBB37_195
; %bb.194:
	s_clause 0x1
	buffer_load_dword v79, off, s[0:3], 0 offset:168
	buffer_load_dword v80, off, s[0:3], 0 offset:172
	buffer_store_dword v78, off, s[0:3], 0 offset:168
	buffer_store_dword v78, off, s[0:3], 0 offset:172
	s_waitcnt vmcnt(0)
	ds_write_b64 v77, v[79:80]
.LBB37_195:
	s_or_b32 exec_lo, exec_lo, s4
	s_waitcnt lgkmcnt(0)
	s_waitcnt_vscnt null, 0x0
	s_barrier
	buffer_gl0_inv
	s_clause 0x1c
	buffer_load_dword v87, off, s[0:3], 0 offset:176
	buffer_load_dword v88, off, s[0:3], 0 offset:180
	;; [unrolled: 1-line block ×29, first 2 shown]
	ds_read_b128 v[79:82], v78 offset:480
	ds_read_b128 v[83:86], v78 offset:496
	buffer_load_dword v112, off, s[0:3], 0 offset:292
	s_mov_b32 s4, exec_lo
	s_waitcnt vmcnt(28) lgkmcnt(1)
	v_fma_f64 v[79:80], v[87:88], v[79:80], 0
	s_clause 0x1
	buffer_load_dword v88, off, s[0:3], 0 offset:300
	buffer_load_dword v87, off, s[0:3], 0 offset:296
	s_waitcnt vmcnt(28)
	v_fma_f64 v[79:80], v[89:90], v[81:82], v[79:80]
	s_clause 0x1
	buffer_load_dword v89, off, s[0:3], 0 offset:168
	buffer_load_dword v90, off, s[0:3], 0 offset:172
	s_waitcnt vmcnt(28) lgkmcnt(0)
	v_fma_f64 v[79:80], v[91:92], v[83:84], v[79:80]
	s_waitcnt vmcnt(26)
	v_fma_f64 v[91:92], v[93:94], v[85:86], v[79:80]
	ds_read_b128 v[79:82], v78 offset:512
	ds_read_b128 v[83:86], v78 offset:528
	s_waitcnt vmcnt(24) lgkmcnt(1)
	v_fma_f64 v[79:80], v[95:96], v[79:80], v[91:92]
	s_waitcnt vmcnt(22)
	v_fma_f64 v[79:80], v[97:98], v[81:82], v[79:80]
	s_waitcnt vmcnt(20) lgkmcnt(0)
	v_fma_f64 v[79:80], v[99:100], v[83:84], v[79:80]
	s_waitcnt vmcnt(15)
	v_fma_f64 v[91:92], v[101:102], v[85:86], v[79:80]
	ds_read_b128 v[79:82], v78 offset:544
	ds_read_b128 v[83:86], v78 offset:560
	s_waitcnt vmcnt(14) lgkmcnt(1)
	v_fma_f64 v[79:80], v[107:108], v[79:80], v[91:92]
	s_waitcnt vmcnt(13)
	v_fma_f64 v[79:80], v[105:106], v[81:82], v[79:80]
	;; [unrolled: 10-line block ×3, first 2 shown]
	s_waitcnt vmcnt(4) lgkmcnt(0)
	v_fma_f64 v[78:79], v[111:112], v[83:84], v[78:79]
	s_waitcnt vmcnt(2)
	v_fma_f64 v[78:79], v[87:88], v[85:86], v[78:79]
	s_waitcnt vmcnt(0)
	v_add_f64 v[78:79], v[89:90], -v[78:79]
	buffer_store_dword v79, off, s[0:3], 0 offset:172
	buffer_store_dword v78, off, s[0:3], 0 offset:168
	v_cmpx_lt_u32_e32 20, v0
	s_cbranch_execz .LBB37_197
; %bb.196:
	s_clause 0x1
	buffer_load_dword v78, off, s[0:3], 0 offset:160
	buffer_load_dword v79, off, s[0:3], 0 offset:164
	v_mov_b32_e32 v80, 0
	buffer_store_dword v80, off, s[0:3], 0 offset:160
	buffer_store_dword v80, off, s[0:3], 0 offset:164
	s_waitcnt vmcnt(0)
	ds_write_b64 v77, v[78:79]
.LBB37_197:
	s_or_b32 exec_lo, exec_lo, s4
	s_waitcnt lgkmcnt(0)
	s_waitcnt_vscnt null, 0x0
	s_barrier
	buffer_gl0_inv
	s_clause 0x1c
	buffer_load_dword v87, off, s[0:3], 0 offset:168
	buffer_load_dword v88, off, s[0:3], 0 offset:172
	buffer_load_dword v89, off, s[0:3], 0 offset:176
	buffer_load_dword v90, off, s[0:3], 0 offset:180
	buffer_load_dword v91, off, s[0:3], 0 offset:184
	buffer_load_dword v92, off, s[0:3], 0 offset:188
	buffer_load_dword v93, off, s[0:3], 0 offset:192
	buffer_load_dword v94, off, s[0:3], 0 offset:196
	buffer_load_dword v95, off, s[0:3], 0 offset:200
	buffer_load_dword v96, off, s[0:3], 0 offset:204
	buffer_load_dword v97, off, s[0:3], 0 offset:208
	buffer_load_dword v98, off, s[0:3], 0 offset:212
	buffer_load_dword v99, off, s[0:3], 0 offset:216
	buffer_load_dword v100, off, s[0:3], 0 offset:220
	buffer_load_dword v102, off, s[0:3], 0 offset:228
	buffer_load_dword v103, off, s[0:3], 0 offset:248
	buffer_load_dword v105, off, s[0:3], 0 offset:240
	buffer_load_dword v107, off, s[0:3], 0 offset:232
	buffer_load_dword v101, off, s[0:3], 0 offset:224
	buffer_load_dword v108, off, s[0:3], 0 offset:236
	buffer_load_dword v106, off, s[0:3], 0 offset:244
	buffer_load_dword v104, off, s[0:3], 0 offset:252
	buffer_load_dword v110, off, s[0:3], 0 offset:260
	buffer_load_dword v111, off, s[0:3], 0 offset:280
	buffer_load_dword v113, off, s[0:3], 0 offset:272
	buffer_load_dword v115, off, s[0:3], 0 offset:264
	buffer_load_dword v109, off, s[0:3], 0 offset:256
	buffer_load_dword v116, off, s[0:3], 0 offset:268
	buffer_load_dword v114, off, s[0:3], 0 offset:276
	v_mov_b32_e32 v78, 0
	buffer_load_dword v112, off, s[0:3], 0 offset:284
	s_mov_b32 s4, exec_lo
	ds_read2_b64 v[79:82], v78 offset0:59 offset1:60
	ds_read2_b64 v[83:86], v78 offset0:61 offset1:62
	s_waitcnt vmcnt(28) lgkmcnt(1)
	v_fma_f64 v[79:80], v[87:88], v[79:80], 0
	s_clause 0x3
	buffer_load_dword v88, off, s[0:3], 0 offset:292
	buffer_load_dword v117, off, s[0:3], 0 offset:296
	;; [unrolled: 1-line block ×4, first 2 shown]
	s_waitcnt vmcnt(30)
	v_fma_f64 v[79:80], v[89:90], v[81:82], v[79:80]
	s_clause 0x1
	buffer_load_dword v89, off, s[0:3], 0 offset:160
	buffer_load_dword v90, off, s[0:3], 0 offset:164
	s_waitcnt vmcnt(30) lgkmcnt(0)
	v_fma_f64 v[79:80], v[91:92], v[83:84], v[79:80]
	s_waitcnt vmcnt(28)
	v_fma_f64 v[91:92], v[93:94], v[85:86], v[79:80]
	ds_read2_b64 v[79:82], v78 offset0:63 offset1:64
	ds_read2_b64 v[83:86], v78 offset0:65 offset1:66
	s_waitcnt vmcnt(26) lgkmcnt(1)
	v_fma_f64 v[79:80], v[95:96], v[79:80], v[91:92]
	s_waitcnt vmcnt(24)
	v_fma_f64 v[79:80], v[97:98], v[81:82], v[79:80]
	s_waitcnt vmcnt(22) lgkmcnt(0)
	v_fma_f64 v[79:80], v[99:100], v[83:84], v[79:80]
	s_waitcnt vmcnt(17)
	v_fma_f64 v[91:92], v[101:102], v[85:86], v[79:80]
	ds_read2_b64 v[79:82], v78 offset0:67 offset1:68
	ds_read2_b64 v[83:86], v78 offset0:69 offset1:70
	s_waitcnt vmcnt(16) lgkmcnt(1)
	v_fma_f64 v[79:80], v[107:108], v[79:80], v[91:92]
	s_waitcnt vmcnt(15)
	v_fma_f64 v[79:80], v[105:106], v[81:82], v[79:80]
	;; [unrolled: 10-line block ×3, first 2 shown]
	ds_read_b64 v[81:82], v78 offset:600
	s_waitcnt vmcnt(6) lgkmcnt(1)
	v_fma_f64 v[79:80], v[111:112], v[83:84], v[79:80]
	s_waitcnt vmcnt(3)
	v_fma_f64 v[79:80], v[87:88], v[85:86], v[79:80]
	s_waitcnt vmcnt(2) lgkmcnt(0)
	v_fma_f64 v[79:80], v[117:118], v[81:82], v[79:80]
	s_waitcnt vmcnt(0)
	v_add_f64 v[79:80], v[89:90], -v[79:80]
	buffer_store_dword v80, off, s[0:3], 0 offset:164
	buffer_store_dword v79, off, s[0:3], 0 offset:160
	v_cmpx_lt_u32_e32 19, v0
	s_cbranch_execz .LBB37_199
; %bb.198:
	s_clause 0x1
	buffer_load_dword v79, off, s[0:3], 0 offset:152
	buffer_load_dword v80, off, s[0:3], 0 offset:156
	buffer_store_dword v78, off, s[0:3], 0 offset:152
	buffer_store_dword v78, off, s[0:3], 0 offset:156
	s_waitcnt vmcnt(0)
	ds_write_b64 v77, v[79:80]
.LBB37_199:
	s_or_b32 exec_lo, exec_lo, s4
	s_waitcnt lgkmcnt(0)
	s_waitcnt_vscnt null, 0x0
	s_barrier
	buffer_gl0_inv
	s_clause 0x1c
	buffer_load_dword v87, off, s[0:3], 0 offset:160
	buffer_load_dword v88, off, s[0:3], 0 offset:164
	;; [unrolled: 1-line block ×29, first 2 shown]
	ds_read_b128 v[79:82], v78 offset:464
	ds_read_b128 v[83:86], v78 offset:480
	buffer_load_dword v112, off, s[0:3], 0 offset:276
	s_mov_b32 s4, exec_lo
	s_waitcnt vmcnt(28) lgkmcnt(1)
	v_fma_f64 v[79:80], v[87:88], v[79:80], 0
	s_clause 0x5
	buffer_load_dword v88, off, s[0:3], 0 offset:284
	buffer_load_dword v117, off, s[0:3], 0 offset:296
	;; [unrolled: 1-line block ×6, first 2 shown]
	s_waitcnt vmcnt(32)
	v_fma_f64 v[79:80], v[89:90], v[81:82], v[79:80]
	s_waitcnt vmcnt(30) lgkmcnt(0)
	v_fma_f64 v[79:80], v[91:92], v[83:84], v[79:80]
	s_waitcnt vmcnt(28)
	v_fma_f64 v[89:90], v[93:94], v[85:86], v[79:80]
	ds_read_b128 v[79:82], v78 offset:496
	s_clause 0x1
	buffer_load_dword v91, off, s[0:3], 0 offset:152
	buffer_load_dword v92, off, s[0:3], 0 offset:156
	ds_read_b128 v[83:86], v78 offset:512
	s_waitcnt vmcnt(28) lgkmcnt(1)
	v_fma_f64 v[79:80], v[95:96], v[79:80], v[89:90]
	s_waitcnt vmcnt(26)
	v_fma_f64 v[79:80], v[97:98], v[81:82], v[79:80]
	s_waitcnt vmcnt(24) lgkmcnt(0)
	v_fma_f64 v[79:80], v[99:100], v[83:84], v[79:80]
	s_waitcnt vmcnt(19)
	v_fma_f64 v[89:90], v[101:102], v[85:86], v[79:80]
	ds_read_b128 v[79:82], v78 offset:528
	ds_read_b128 v[83:86], v78 offset:544
	s_waitcnt vmcnt(18) lgkmcnt(1)
	v_fma_f64 v[79:80], v[107:108], v[79:80], v[89:90]
	s_waitcnt vmcnt(17)
	v_fma_f64 v[79:80], v[105:106], v[81:82], v[79:80]
	s_waitcnt vmcnt(16) lgkmcnt(0)
	v_fma_f64 v[79:80], v[103:104], v[83:84], v[79:80]
	s_waitcnt vmcnt(11)
	v_fma_f64 v[89:90], v[109:110], v[85:86], v[79:80]
	ds_read_b128 v[79:82], v78 offset:560
	;; [unrolled: 10-line block ×3, first 2 shown]
	s_waitcnt vmcnt(3) lgkmcnt(0)
	v_fma_f64 v[78:79], v[119:120], v[78:79], v[82:83]
	s_waitcnt vmcnt(2)
	v_fma_f64 v[78:79], v[117:118], v[80:81], v[78:79]
	s_waitcnt vmcnt(0)
	v_add_f64 v[78:79], v[91:92], -v[78:79]
	buffer_store_dword v79, off, s[0:3], 0 offset:156
	buffer_store_dword v78, off, s[0:3], 0 offset:152
	v_cmpx_lt_u32_e32 18, v0
	s_cbranch_execz .LBB37_201
; %bb.200:
	s_clause 0x1
	buffer_load_dword v78, off, s[0:3], 0 offset:144
	buffer_load_dword v79, off, s[0:3], 0 offset:148
	v_mov_b32_e32 v80, 0
	buffer_store_dword v80, off, s[0:3], 0 offset:144
	buffer_store_dword v80, off, s[0:3], 0 offset:148
	s_waitcnt vmcnt(0)
	ds_write_b64 v77, v[78:79]
.LBB37_201:
	s_or_b32 exec_lo, exec_lo, s4
	s_waitcnt lgkmcnt(0)
	s_waitcnt_vscnt null, 0x0
	s_barrier
	buffer_gl0_inv
	s_clause 0x1c
	buffer_load_dword v87, off, s[0:3], 0 offset:152
	buffer_load_dword v88, off, s[0:3], 0 offset:156
	;; [unrolled: 1-line block ×29, first 2 shown]
	v_mov_b32_e32 v78, 0
	buffer_load_dword v112, off, s[0:3], 0 offset:268
	s_mov_b32 s4, exec_lo
	ds_read2_b64 v[79:82], v78 offset0:57 offset1:58
	ds_read2_b64 v[83:86], v78 offset0:59 offset1:60
	s_waitcnt vmcnt(28) lgkmcnt(1)
	v_fma_f64 v[79:80], v[87:88], v[79:80], 0
	s_clause 0x7
	buffer_load_dword v88, off, s[0:3], 0 offset:276
	buffer_load_dword v117, off, s[0:3], 0 offset:296
	;; [unrolled: 1-line block ×8, first 2 shown]
	s_waitcnt vmcnt(34)
	v_fma_f64 v[79:80], v[89:90], v[81:82], v[79:80]
	s_waitcnt vmcnt(32) lgkmcnt(0)
	v_fma_f64 v[79:80], v[91:92], v[83:84], v[79:80]
	s_waitcnt vmcnt(30)
	v_fma_f64 v[89:90], v[93:94], v[85:86], v[79:80]
	ds_read2_b64 v[79:82], v78 offset0:61 offset1:62
	ds_read2_b64 v[83:86], v78 offset0:63 offset1:64
	s_waitcnt vmcnt(28) lgkmcnt(1)
	v_fma_f64 v[79:80], v[95:96], v[79:80], v[89:90]
	s_clause 0x1
	buffer_load_dword v89, off, s[0:3], 0 offset:144
	buffer_load_dword v90, off, s[0:3], 0 offset:148
	s_waitcnt vmcnt(28)
	v_fma_f64 v[79:80], v[97:98], v[81:82], v[79:80]
	s_waitcnt vmcnt(26) lgkmcnt(0)
	v_fma_f64 v[79:80], v[99:100], v[83:84], v[79:80]
	s_waitcnt vmcnt(21)
	v_fma_f64 v[91:92], v[101:102], v[85:86], v[79:80]
	ds_read2_b64 v[79:82], v78 offset0:65 offset1:66
	ds_read2_b64 v[83:86], v78 offset0:67 offset1:68
	s_waitcnt vmcnt(20) lgkmcnt(1)
	v_fma_f64 v[79:80], v[107:108], v[79:80], v[91:92]
	s_waitcnt vmcnt(19)
	v_fma_f64 v[79:80], v[105:106], v[81:82], v[79:80]
	s_waitcnt vmcnt(18) lgkmcnt(0)
	v_fma_f64 v[79:80], v[103:104], v[83:84], v[79:80]
	s_waitcnt vmcnt(13)
	v_fma_f64 v[91:92], v[109:110], v[85:86], v[79:80]
	ds_read2_b64 v[79:82], v78 offset0:69 offset1:70
	ds_read2_b64 v[83:86], v78 offset0:71 offset1:72
	s_waitcnt vmcnt(12) lgkmcnt(1)
	v_fma_f64 v[79:80], v[115:116], v[79:80], v[91:92]
	s_waitcnt vmcnt(11)
	v_fma_f64 v[79:80], v[113:114], v[81:82], v[79:80]
	s_waitcnt vmcnt(10) lgkmcnt(0)
	v_fma_f64 v[79:80], v[111:112], v[83:84], v[79:80]
	s_waitcnt vmcnt(5)
	v_fma_f64 v[83:84], v[87:88], v[85:86], v[79:80]
	ds_read2_b64 v[79:82], v78 offset0:73 offset1:74
	ds_read_b64 v[85:86], v78 offset:600
	s_waitcnt vmcnt(4) lgkmcnt(1)
	v_fma_f64 v[79:80], v[121:122], v[79:80], v[83:84]
	s_waitcnt vmcnt(3)
	v_fma_f64 v[79:80], v[119:120], v[81:82], v[79:80]
	s_waitcnt vmcnt(2) lgkmcnt(0)
	v_fma_f64 v[79:80], v[117:118], v[85:86], v[79:80]
	s_waitcnt vmcnt(0)
	v_add_f64 v[79:80], v[89:90], -v[79:80]
	buffer_store_dword v80, off, s[0:3], 0 offset:148
	buffer_store_dword v79, off, s[0:3], 0 offset:144
	v_cmpx_lt_u32_e32 17, v0
	s_cbranch_execz .LBB37_203
; %bb.202:
	s_clause 0x1
	buffer_load_dword v79, off, s[0:3], 0 offset:136
	buffer_load_dword v80, off, s[0:3], 0 offset:140
	buffer_store_dword v78, off, s[0:3], 0 offset:136
	buffer_store_dword v78, off, s[0:3], 0 offset:140
	s_waitcnt vmcnt(0)
	ds_write_b64 v77, v[79:80]
.LBB37_203:
	s_or_b32 exec_lo, exec_lo, s4
	s_waitcnt lgkmcnt(0)
	s_waitcnt_vscnt null, 0x0
	s_barrier
	buffer_gl0_inv
	s_clause 0x1c
	buffer_load_dword v87, off, s[0:3], 0 offset:144
	buffer_load_dword v88, off, s[0:3], 0 offset:148
	;; [unrolled: 1-line block ×29, first 2 shown]
	ds_read_b128 v[79:82], v78 offset:448
	ds_read_b128 v[83:86], v78 offset:464
	buffer_load_dword v112, off, s[0:3], 0 offset:260
	s_mov_b32 s4, exec_lo
	s_waitcnt vmcnt(28) lgkmcnt(1)
	v_fma_f64 v[79:80], v[87:88], v[79:80], 0
	s_clause 0x7
	buffer_load_dword v88, off, s[0:3], 0 offset:268
	buffer_load_dword v117, off, s[0:3], 0 offset:288
	buffer_load_dword v119, off, s[0:3], 0 offset:280
	buffer_load_dword v121, off, s[0:3], 0 offset:272
	buffer_load_dword v87, off, s[0:3], 0 offset:264
	buffer_load_dword v122, off, s[0:3], 0 offset:276
	buffer_load_dword v120, off, s[0:3], 0 offset:284
	buffer_load_dword v118, off, s[0:3], 0 offset:292
	s_waitcnt vmcnt(34)
	v_fma_f64 v[79:80], v[89:90], v[81:82], v[79:80]
	s_waitcnt vmcnt(32) lgkmcnt(0)
	v_fma_f64 v[79:80], v[91:92], v[83:84], v[79:80]
	s_waitcnt vmcnt(30)
	v_fma_f64 v[89:90], v[93:94], v[85:86], v[79:80]
	ds_read_b128 v[79:82], v78 offset:480
	ds_read_b128 v[83:86], v78 offset:496
	s_waitcnt vmcnt(28) lgkmcnt(1)
	v_fma_f64 v[79:80], v[95:96], v[79:80], v[89:90]
	s_clause 0x3
	buffer_load_dword v90, off, s[0:3], 0 offset:300
	buffer_load_dword v89, off, s[0:3], 0 offset:296
	;; [unrolled: 1-line block ×4, first 2 shown]
	s_waitcnt vmcnt(30)
	v_fma_f64 v[79:80], v[97:98], v[81:82], v[79:80]
	s_waitcnt vmcnt(28) lgkmcnt(0)
	v_fma_f64 v[79:80], v[99:100], v[83:84], v[79:80]
	s_waitcnt vmcnt(23)
	v_fma_f64 v[93:94], v[101:102], v[85:86], v[79:80]
	ds_read_b128 v[79:82], v78 offset:512
	ds_read_b128 v[83:86], v78 offset:528
	s_waitcnt vmcnt(22) lgkmcnt(1)
	v_fma_f64 v[79:80], v[107:108], v[79:80], v[93:94]
	s_waitcnt vmcnt(21)
	v_fma_f64 v[79:80], v[105:106], v[81:82], v[79:80]
	s_waitcnt vmcnt(20) lgkmcnt(0)
	v_fma_f64 v[79:80], v[103:104], v[83:84], v[79:80]
	s_waitcnt vmcnt(15)
	v_fma_f64 v[93:94], v[109:110], v[85:86], v[79:80]
	ds_read_b128 v[79:82], v78 offset:544
	ds_read_b128 v[83:86], v78 offset:560
	s_waitcnt vmcnt(14) lgkmcnt(1)
	v_fma_f64 v[79:80], v[115:116], v[79:80], v[93:94]
	;; [unrolled: 10-line block ×3, first 2 shown]
	s_waitcnt vmcnt(5)
	v_fma_f64 v[78:79], v[119:120], v[81:82], v[78:79]
	s_waitcnt vmcnt(4) lgkmcnt(0)
	v_fma_f64 v[78:79], v[117:118], v[83:84], v[78:79]
	s_waitcnt vmcnt(2)
	v_fma_f64 v[78:79], v[89:90], v[85:86], v[78:79]
	s_waitcnt vmcnt(0)
	v_add_f64 v[78:79], v[91:92], -v[78:79]
	buffer_store_dword v79, off, s[0:3], 0 offset:140
	buffer_store_dword v78, off, s[0:3], 0 offset:136
	v_cmpx_lt_u32_e32 16, v0
	s_cbranch_execz .LBB37_205
; %bb.204:
	s_clause 0x1
	buffer_load_dword v78, off, s[0:3], 0 offset:128
	buffer_load_dword v79, off, s[0:3], 0 offset:132
	v_mov_b32_e32 v80, 0
	buffer_store_dword v80, off, s[0:3], 0 offset:128
	buffer_store_dword v80, off, s[0:3], 0 offset:132
	s_waitcnt vmcnt(0)
	ds_write_b64 v77, v[78:79]
.LBB37_205:
	s_or_b32 exec_lo, exec_lo, s4
	s_waitcnt lgkmcnt(0)
	s_waitcnt_vscnt null, 0x0
	s_barrier
	buffer_gl0_inv
	s_clause 0x1c
	buffer_load_dword v87, off, s[0:3], 0 offset:136
	buffer_load_dword v88, off, s[0:3], 0 offset:140
	;; [unrolled: 1-line block ×29, first 2 shown]
	v_mov_b32_e32 v78, 0
	buffer_load_dword v112, off, s[0:3], 0 offset:252
	s_mov_b32 s4, exec_lo
	ds_read2_b64 v[79:82], v78 offset0:55 offset1:56
	ds_read2_b64 v[83:86], v78 offset0:57 offset1:58
	s_waitcnt vmcnt(28) lgkmcnt(1)
	v_fma_f64 v[79:80], v[87:88], v[79:80], 0
	s_clause 0x7
	buffer_load_dword v88, off, s[0:3], 0 offset:260
	buffer_load_dword v117, off, s[0:3], 0 offset:280
	;; [unrolled: 1-line block ×8, first 2 shown]
	s_waitcnt vmcnt(34)
	v_fma_f64 v[79:80], v[89:90], v[81:82], v[79:80]
	s_waitcnt vmcnt(32) lgkmcnt(0)
	v_fma_f64 v[79:80], v[91:92], v[83:84], v[79:80]
	s_waitcnt vmcnt(30)
	v_fma_f64 v[89:90], v[93:94], v[85:86], v[79:80]
	ds_read2_b64 v[79:82], v78 offset0:59 offset1:60
	ds_read2_b64 v[83:86], v78 offset0:61 offset1:62
	s_waitcnt vmcnt(28) lgkmcnt(1)
	v_fma_f64 v[79:80], v[95:96], v[79:80], v[89:90]
	s_clause 0x5
	buffer_load_dword v90, off, s[0:3], 0 offset:292
	buffer_load_dword v91, off, s[0:3], 0 offset:296
	;; [unrolled: 1-line block ×6, first 2 shown]
	s_waitcnt vmcnt(32)
	v_fma_f64 v[79:80], v[97:98], v[81:82], v[79:80]
	s_waitcnt vmcnt(30) lgkmcnt(0)
	v_fma_f64 v[79:80], v[99:100], v[83:84], v[79:80]
	s_waitcnt vmcnt(25)
	v_fma_f64 v[95:96], v[101:102], v[85:86], v[79:80]
	ds_read2_b64 v[79:82], v78 offset0:63 offset1:64
	ds_read2_b64 v[83:86], v78 offset0:65 offset1:66
	s_waitcnt vmcnt(24) lgkmcnt(1)
	v_fma_f64 v[79:80], v[107:108], v[79:80], v[95:96]
	s_waitcnt vmcnt(23)
	v_fma_f64 v[79:80], v[105:106], v[81:82], v[79:80]
	s_waitcnt vmcnt(22) lgkmcnt(0)
	v_fma_f64 v[79:80], v[103:104], v[83:84], v[79:80]
	s_waitcnt vmcnt(17)
	v_fma_f64 v[95:96], v[109:110], v[85:86], v[79:80]
	ds_read2_b64 v[79:82], v78 offset0:67 offset1:68
	ds_read2_b64 v[83:86], v78 offset0:69 offset1:70
	s_waitcnt vmcnt(16) lgkmcnt(1)
	v_fma_f64 v[79:80], v[115:116], v[79:80], v[95:96]
	;; [unrolled: 10-line block ×3, first 2 shown]
	s_waitcnt vmcnt(7)
	v_fma_f64 v[79:80], v[119:120], v[81:82], v[79:80]
	ds_read_b64 v[81:82], v78 offset:600
	s_waitcnt vmcnt(6) lgkmcnt(1)
	v_fma_f64 v[79:80], v[117:118], v[83:84], v[79:80]
	s_waitcnt vmcnt(3)
	v_fma_f64 v[79:80], v[89:90], v[85:86], v[79:80]
	s_waitcnt vmcnt(2) lgkmcnt(0)
	v_fma_f64 v[79:80], v[91:92], v[81:82], v[79:80]
	s_waitcnt vmcnt(0)
	v_add_f64 v[79:80], v[93:94], -v[79:80]
	buffer_store_dword v80, off, s[0:3], 0 offset:132
	buffer_store_dword v79, off, s[0:3], 0 offset:128
	v_cmpx_lt_u32_e32 15, v0
	s_cbranch_execz .LBB37_207
; %bb.206:
	s_clause 0x1
	buffer_load_dword v79, off, s[0:3], 0 offset:120
	buffer_load_dword v80, off, s[0:3], 0 offset:124
	buffer_store_dword v78, off, s[0:3], 0 offset:120
	buffer_store_dword v78, off, s[0:3], 0 offset:124
	s_waitcnt vmcnt(0)
	ds_write_b64 v77, v[79:80]
.LBB37_207:
	s_or_b32 exec_lo, exec_lo, s4
	s_waitcnt lgkmcnt(0)
	s_waitcnt_vscnt null, 0x0
	s_barrier
	buffer_gl0_inv
	s_clause 0x1c
	buffer_load_dword v87, off, s[0:3], 0 offset:128
	buffer_load_dword v88, off, s[0:3], 0 offset:132
	;; [unrolled: 1-line block ×29, first 2 shown]
	ds_read_b128 v[79:82], v78 offset:432
	ds_read_b128 v[83:86], v78 offset:448
	buffer_load_dword v112, off, s[0:3], 0 offset:244
	s_mov_b32 s4, exec_lo
	s_waitcnt vmcnt(28) lgkmcnt(1)
	v_fma_f64 v[79:80], v[87:88], v[79:80], 0
	s_clause 0x7
	buffer_load_dword v88, off, s[0:3], 0 offset:252
	buffer_load_dword v117, off, s[0:3], 0 offset:272
	;; [unrolled: 1-line block ×8, first 2 shown]
	s_waitcnt vmcnt(34)
	v_fma_f64 v[79:80], v[89:90], v[81:82], v[79:80]
	s_waitcnt vmcnt(32) lgkmcnt(0)
	v_fma_f64 v[79:80], v[91:92], v[83:84], v[79:80]
	s_waitcnt vmcnt(30)
	v_fma_f64 v[89:90], v[93:94], v[85:86], v[79:80]
	ds_read_b128 v[79:82], v78 offset:464
	ds_read_b128 v[83:86], v78 offset:480
	s_waitcnt vmcnt(28) lgkmcnt(1)
	v_fma_f64 v[79:80], v[95:96], v[79:80], v[89:90]
	s_clause 0x5
	buffer_load_dword v90, off, s[0:3], 0 offset:284
	buffer_load_dword v91, off, s[0:3], 0 offset:296
	;; [unrolled: 1-line block ×6, first 2 shown]
	s_waitcnt vmcnt(32)
	v_fma_f64 v[79:80], v[97:98], v[81:82], v[79:80]
	s_waitcnt vmcnt(30) lgkmcnt(0)
	v_fma_f64 v[79:80], v[99:100], v[83:84], v[79:80]
	s_waitcnt vmcnt(25)
	v_fma_f64 v[95:96], v[101:102], v[85:86], v[79:80]
	ds_read_b128 v[79:82], v78 offset:496
	s_clause 0x1
	buffer_load_dword v97, off, s[0:3], 0 offset:120
	buffer_load_dword v98, off, s[0:3], 0 offset:124
	ds_read_b128 v[83:86], v78 offset:512
	s_waitcnt vmcnt(26) lgkmcnt(1)
	v_fma_f64 v[79:80], v[107:108], v[79:80], v[95:96]
	s_waitcnt vmcnt(25)
	v_fma_f64 v[79:80], v[105:106], v[81:82], v[79:80]
	s_waitcnt vmcnt(24) lgkmcnt(0)
	v_fma_f64 v[79:80], v[103:104], v[83:84], v[79:80]
	s_waitcnt vmcnt(19)
	v_fma_f64 v[95:96], v[109:110], v[85:86], v[79:80]
	ds_read_b128 v[79:82], v78 offset:528
	ds_read_b128 v[83:86], v78 offset:544
	s_waitcnt vmcnt(18) lgkmcnt(1)
	v_fma_f64 v[79:80], v[115:116], v[79:80], v[95:96]
	s_waitcnt vmcnt(17)
	v_fma_f64 v[79:80], v[113:114], v[81:82], v[79:80]
	s_waitcnt vmcnt(16) lgkmcnt(0)
	v_fma_f64 v[79:80], v[111:112], v[83:84], v[79:80]
	s_waitcnt vmcnt(11)
	v_fma_f64 v[87:88], v[87:88], v[85:86], v[79:80]
	ds_read_b128 v[79:82], v78 offset:560
	;; [unrolled: 10-line block ×3, first 2 shown]
	s_waitcnt vmcnt(3) lgkmcnt(0)
	v_fma_f64 v[78:79], v[93:94], v[78:79], v[82:83]
	s_waitcnt vmcnt(2)
	v_fma_f64 v[78:79], v[91:92], v[80:81], v[78:79]
	s_waitcnt vmcnt(0)
	v_add_f64 v[78:79], v[97:98], -v[78:79]
	buffer_store_dword v79, off, s[0:3], 0 offset:124
	buffer_store_dword v78, off, s[0:3], 0 offset:120
	v_cmpx_lt_u32_e32 14, v0
	s_cbranch_execz .LBB37_209
; %bb.208:
	s_clause 0x1
	buffer_load_dword v78, off, s[0:3], 0 offset:112
	buffer_load_dword v79, off, s[0:3], 0 offset:116
	v_mov_b32_e32 v80, 0
	buffer_store_dword v80, off, s[0:3], 0 offset:112
	buffer_store_dword v80, off, s[0:3], 0 offset:116
	s_waitcnt vmcnt(0)
	ds_write_b64 v77, v[78:79]
.LBB37_209:
	s_or_b32 exec_lo, exec_lo, s4
	s_waitcnt lgkmcnt(0)
	s_waitcnt_vscnt null, 0x0
	s_barrier
	buffer_gl0_inv
	s_clause 0x1c
	buffer_load_dword v87, off, s[0:3], 0 offset:120
	buffer_load_dword v88, off, s[0:3], 0 offset:124
	;; [unrolled: 1-line block ×29, first 2 shown]
	v_mov_b32_e32 v78, 0
	buffer_load_dword v112, off, s[0:3], 0 offset:236
	s_mov_b32 s4, exec_lo
	ds_read2_b64 v[79:82], v78 offset0:53 offset1:54
	ds_read2_b64 v[83:86], v78 offset0:55 offset1:56
	s_waitcnt vmcnt(28) lgkmcnt(1)
	v_fma_f64 v[79:80], v[87:88], v[79:80], 0
	s_clause 0x7
	buffer_load_dword v88, off, s[0:3], 0 offset:244
	buffer_load_dword v117, off, s[0:3], 0 offset:264
	;; [unrolled: 1-line block ×8, first 2 shown]
	s_waitcnt vmcnt(34)
	v_fma_f64 v[79:80], v[89:90], v[81:82], v[79:80]
	s_waitcnt vmcnt(32) lgkmcnt(0)
	v_fma_f64 v[79:80], v[91:92], v[83:84], v[79:80]
	s_waitcnt vmcnt(30)
	v_fma_f64 v[89:90], v[93:94], v[85:86], v[79:80]
	ds_read2_b64 v[79:82], v78 offset0:57 offset1:58
	ds_read2_b64 v[83:86], v78 offset0:59 offset1:60
	s_waitcnt vmcnt(28) lgkmcnt(1)
	v_fma_f64 v[79:80], v[95:96], v[79:80], v[89:90]
	s_clause 0x7
	buffer_load_dword v90, off, s[0:3], 0 offset:276
	buffer_load_dword v91, off, s[0:3], 0 offset:296
	;; [unrolled: 1-line block ×8, first 2 shown]
	s_waitcnt vmcnt(34)
	v_fma_f64 v[79:80], v[97:98], v[81:82], v[79:80]
	s_waitcnt vmcnt(32) lgkmcnt(0)
	v_fma_f64 v[79:80], v[99:100], v[83:84], v[79:80]
	s_waitcnt vmcnt(27)
	v_fma_f64 v[97:98], v[101:102], v[85:86], v[79:80]
	ds_read2_b64 v[79:82], v78 offset0:61 offset1:62
	ds_read2_b64 v[83:86], v78 offset0:63 offset1:64
	s_waitcnt vmcnt(26) lgkmcnt(1)
	v_fma_f64 v[79:80], v[107:108], v[79:80], v[97:98]
	s_clause 0x1
	buffer_load_dword v97, off, s[0:3], 0 offset:112
	buffer_load_dword v98, off, s[0:3], 0 offset:116
	s_waitcnt vmcnt(27)
	v_fma_f64 v[79:80], v[105:106], v[81:82], v[79:80]
	s_waitcnt vmcnt(26) lgkmcnt(0)
	v_fma_f64 v[79:80], v[103:104], v[83:84], v[79:80]
	s_waitcnt vmcnt(21)
	v_fma_f64 v[99:100], v[109:110], v[85:86], v[79:80]
	ds_read2_b64 v[79:82], v78 offset0:65 offset1:66
	ds_read2_b64 v[83:86], v78 offset0:67 offset1:68
	s_waitcnt vmcnt(20) lgkmcnt(1)
	v_fma_f64 v[79:80], v[115:116], v[79:80], v[99:100]
	s_waitcnt vmcnt(19)
	v_fma_f64 v[79:80], v[113:114], v[81:82], v[79:80]
	s_waitcnt vmcnt(18) lgkmcnt(0)
	v_fma_f64 v[79:80], v[111:112], v[83:84], v[79:80]
	s_waitcnt vmcnt(13)
	v_fma_f64 v[87:88], v[87:88], v[85:86], v[79:80]
	ds_read2_b64 v[79:82], v78 offset0:69 offset1:70
	ds_read2_b64 v[83:86], v78 offset0:71 offset1:72
	s_waitcnt vmcnt(12) lgkmcnt(1)
	v_fma_f64 v[79:80], v[121:122], v[79:80], v[87:88]
	s_waitcnt vmcnt(11)
	v_fma_f64 v[79:80], v[119:120], v[81:82], v[79:80]
	s_waitcnt vmcnt(10) lgkmcnt(0)
	v_fma_f64 v[79:80], v[117:118], v[83:84], v[79:80]
	s_waitcnt vmcnt(5)
	v_fma_f64 v[83:84], v[89:90], v[85:86], v[79:80]
	ds_read2_b64 v[79:82], v78 offset0:73 offset1:74
	ds_read_b64 v[85:86], v78 offset:600
	s_waitcnt vmcnt(4) lgkmcnt(1)
	v_fma_f64 v[79:80], v[95:96], v[79:80], v[83:84]
	s_waitcnt vmcnt(3)
	v_fma_f64 v[79:80], v[93:94], v[81:82], v[79:80]
	s_waitcnt vmcnt(2) lgkmcnt(0)
	v_fma_f64 v[79:80], v[91:92], v[85:86], v[79:80]
	s_waitcnt vmcnt(0)
	v_add_f64 v[79:80], v[97:98], -v[79:80]
	buffer_store_dword v80, off, s[0:3], 0 offset:116
	buffer_store_dword v79, off, s[0:3], 0 offset:112
	v_cmpx_lt_u32_e32 13, v0
	s_cbranch_execz .LBB37_211
; %bb.210:
	s_clause 0x1
	buffer_load_dword v79, off, s[0:3], 0 offset:104
	buffer_load_dword v80, off, s[0:3], 0 offset:108
	buffer_store_dword v78, off, s[0:3], 0 offset:104
	buffer_store_dword v78, off, s[0:3], 0 offset:108
	s_waitcnt vmcnt(0)
	ds_write_b64 v77, v[79:80]
.LBB37_211:
	s_or_b32 exec_lo, exec_lo, s4
	s_waitcnt lgkmcnt(0)
	s_waitcnt_vscnt null, 0x0
	s_barrier
	buffer_gl0_inv
	s_clause 0x1c
	buffer_load_dword v87, off, s[0:3], 0 offset:112
	buffer_load_dword v88, off, s[0:3], 0 offset:116
	;; [unrolled: 1-line block ×29, first 2 shown]
	ds_read_b128 v[79:82], v78 offset:416
	ds_read_b128 v[83:86], v78 offset:432
	buffer_load_dword v112, off, s[0:3], 0 offset:228
	s_mov_b32 s4, exec_lo
	s_waitcnt vmcnt(28) lgkmcnt(1)
	v_fma_f64 v[79:80], v[87:88], v[79:80], 0
	s_clause 0x7
	buffer_load_dword v88, off, s[0:3], 0 offset:236
	buffer_load_dword v117, off, s[0:3], 0 offset:256
	;; [unrolled: 1-line block ×8, first 2 shown]
	s_waitcnt vmcnt(34)
	v_fma_f64 v[79:80], v[89:90], v[81:82], v[79:80]
	s_waitcnt vmcnt(32) lgkmcnt(0)
	v_fma_f64 v[79:80], v[91:92], v[83:84], v[79:80]
	s_waitcnt vmcnt(30)
	v_fma_f64 v[89:90], v[93:94], v[85:86], v[79:80]
	ds_read_b128 v[79:82], v78 offset:448
	ds_read_b128 v[83:86], v78 offset:464
	s_waitcnt vmcnt(28) lgkmcnt(1)
	v_fma_f64 v[79:80], v[95:96], v[79:80], v[89:90]
	s_clause 0x7
	buffer_load_dword v90, off, s[0:3], 0 offset:268
	buffer_load_dword v91, off, s[0:3], 0 offset:288
	;; [unrolled: 1-line block ×8, first 2 shown]
	s_waitcnt vmcnt(34)
	v_fma_f64 v[79:80], v[97:98], v[81:82], v[79:80]
	s_waitcnt vmcnt(32) lgkmcnt(0)
	v_fma_f64 v[79:80], v[99:100], v[83:84], v[79:80]
	s_waitcnt vmcnt(27)
	v_fma_f64 v[97:98], v[101:102], v[85:86], v[79:80]
	ds_read_b128 v[79:82], v78 offset:480
	ds_read_b128 v[83:86], v78 offset:496
	s_waitcnt vmcnt(26) lgkmcnt(1)
	v_fma_f64 v[79:80], v[107:108], v[79:80], v[97:98]
	s_clause 0x3
	buffer_load_dword v98, off, s[0:3], 0 offset:300
	buffer_load_dword v97, off, s[0:3], 0 offset:296
	;; [unrolled: 1-line block ×4, first 2 shown]
	s_waitcnt vmcnt(29)
	v_fma_f64 v[79:80], v[105:106], v[81:82], v[79:80]
	s_waitcnt vmcnt(28) lgkmcnt(0)
	v_fma_f64 v[79:80], v[103:104], v[83:84], v[79:80]
	s_waitcnt vmcnt(23)
	v_fma_f64 v[101:102], v[109:110], v[85:86], v[79:80]
	ds_read_b128 v[79:82], v78 offset:512
	ds_read_b128 v[83:86], v78 offset:528
	s_waitcnt vmcnt(22) lgkmcnt(1)
	v_fma_f64 v[79:80], v[115:116], v[79:80], v[101:102]
	s_waitcnt vmcnt(21)
	v_fma_f64 v[79:80], v[113:114], v[81:82], v[79:80]
	s_waitcnt vmcnt(20) lgkmcnt(0)
	v_fma_f64 v[79:80], v[111:112], v[83:84], v[79:80]
	s_waitcnt vmcnt(15)
	v_fma_f64 v[87:88], v[87:88], v[85:86], v[79:80]
	ds_read_b128 v[79:82], v78 offset:544
	ds_read_b128 v[83:86], v78 offset:560
	s_waitcnt vmcnt(14) lgkmcnt(1)
	v_fma_f64 v[79:80], v[121:122], v[79:80], v[87:88]
	;; [unrolled: 10-line block ×3, first 2 shown]
	s_waitcnt vmcnt(5)
	v_fma_f64 v[78:79], v[93:94], v[81:82], v[78:79]
	s_waitcnt vmcnt(4) lgkmcnt(0)
	v_fma_f64 v[78:79], v[91:92], v[83:84], v[78:79]
	s_waitcnt vmcnt(2)
	v_fma_f64 v[78:79], v[97:98], v[85:86], v[78:79]
	s_waitcnt vmcnt(0)
	v_add_f64 v[78:79], v[99:100], -v[78:79]
	buffer_store_dword v79, off, s[0:3], 0 offset:108
	buffer_store_dword v78, off, s[0:3], 0 offset:104
	v_cmpx_lt_u32_e32 12, v0
	s_cbranch_execz .LBB37_213
; %bb.212:
	s_clause 0x1
	buffer_load_dword v78, off, s[0:3], 0 offset:96
	buffer_load_dword v79, off, s[0:3], 0 offset:100
	v_mov_b32_e32 v80, 0
	buffer_store_dword v80, off, s[0:3], 0 offset:96
	buffer_store_dword v80, off, s[0:3], 0 offset:100
	s_waitcnt vmcnt(0)
	ds_write_b64 v77, v[78:79]
.LBB37_213:
	s_or_b32 exec_lo, exec_lo, s4
	s_waitcnt lgkmcnt(0)
	s_waitcnt_vscnt null, 0x0
	s_barrier
	buffer_gl0_inv
	s_clause 0x1c
	buffer_load_dword v87, off, s[0:3], 0 offset:104
	buffer_load_dword v88, off, s[0:3], 0 offset:108
	;; [unrolled: 1-line block ×29, first 2 shown]
	v_mov_b32_e32 v78, 0
	buffer_load_dword v112, off, s[0:3], 0 offset:220
	s_mov_b32 s4, exec_lo
	ds_read2_b64 v[79:82], v78 offset0:51 offset1:52
	ds_read2_b64 v[83:86], v78 offset0:53 offset1:54
	s_waitcnt vmcnt(28) lgkmcnt(1)
	v_fma_f64 v[79:80], v[87:88], v[79:80], 0
	s_clause 0x7
	buffer_load_dword v88, off, s[0:3], 0 offset:228
	buffer_load_dword v117, off, s[0:3], 0 offset:248
	;; [unrolled: 1-line block ×8, first 2 shown]
	s_waitcnt vmcnt(34)
	v_fma_f64 v[79:80], v[89:90], v[81:82], v[79:80]
	s_waitcnt vmcnt(32) lgkmcnt(0)
	v_fma_f64 v[79:80], v[91:92], v[83:84], v[79:80]
	s_waitcnt vmcnt(30)
	v_fma_f64 v[89:90], v[93:94], v[85:86], v[79:80]
	ds_read2_b64 v[79:82], v78 offset0:55 offset1:56
	ds_read2_b64 v[83:86], v78 offset0:57 offset1:58
	s_waitcnt vmcnt(28) lgkmcnt(1)
	v_fma_f64 v[79:80], v[95:96], v[79:80], v[89:90]
	s_clause 0x7
	buffer_load_dword v90, off, s[0:3], 0 offset:260
	buffer_load_dword v91, off, s[0:3], 0 offset:280
	;; [unrolled: 1-line block ×8, first 2 shown]
	s_waitcnt vmcnt(34)
	v_fma_f64 v[79:80], v[97:98], v[81:82], v[79:80]
	s_waitcnt vmcnt(32) lgkmcnt(0)
	v_fma_f64 v[79:80], v[99:100], v[83:84], v[79:80]
	s_waitcnt vmcnt(27)
	v_fma_f64 v[97:98], v[101:102], v[85:86], v[79:80]
	ds_read2_b64 v[79:82], v78 offset0:59 offset1:60
	ds_read2_b64 v[83:86], v78 offset0:61 offset1:62
	s_waitcnt vmcnt(26) lgkmcnt(1)
	v_fma_f64 v[79:80], v[107:108], v[79:80], v[97:98]
	s_clause 0x5
	buffer_load_dword v98, off, s[0:3], 0 offset:292
	buffer_load_dword v99, off, s[0:3], 0 offset:296
	;; [unrolled: 1-line block ×6, first 2 shown]
	s_waitcnt vmcnt(31)
	v_fma_f64 v[79:80], v[105:106], v[81:82], v[79:80]
	s_waitcnt vmcnt(30) lgkmcnt(0)
	v_fma_f64 v[79:80], v[103:104], v[83:84], v[79:80]
	s_waitcnt vmcnt(25)
	v_fma_f64 v[103:104], v[109:110], v[85:86], v[79:80]
	ds_read2_b64 v[79:82], v78 offset0:63 offset1:64
	ds_read2_b64 v[83:86], v78 offset0:65 offset1:66
	s_waitcnt vmcnt(24) lgkmcnt(1)
	v_fma_f64 v[79:80], v[115:116], v[79:80], v[103:104]
	s_waitcnt vmcnt(23)
	v_fma_f64 v[79:80], v[113:114], v[81:82], v[79:80]
	s_waitcnt vmcnt(22) lgkmcnt(0)
	v_fma_f64 v[79:80], v[111:112], v[83:84], v[79:80]
	s_waitcnt vmcnt(17)
	v_fma_f64 v[87:88], v[87:88], v[85:86], v[79:80]
	ds_read2_b64 v[79:82], v78 offset0:67 offset1:68
	ds_read2_b64 v[83:86], v78 offset0:69 offset1:70
	s_waitcnt vmcnt(16) lgkmcnt(1)
	v_fma_f64 v[79:80], v[121:122], v[79:80], v[87:88]
	;; [unrolled: 10-line block ×3, first 2 shown]
	s_waitcnt vmcnt(7)
	v_fma_f64 v[79:80], v[93:94], v[81:82], v[79:80]
	ds_read_b64 v[81:82], v78 offset:600
	s_waitcnt vmcnt(6) lgkmcnt(1)
	v_fma_f64 v[79:80], v[91:92], v[83:84], v[79:80]
	s_waitcnt vmcnt(3)
	v_fma_f64 v[79:80], v[97:98], v[85:86], v[79:80]
	s_waitcnt vmcnt(2) lgkmcnt(0)
	v_fma_f64 v[79:80], v[99:100], v[81:82], v[79:80]
	s_waitcnt vmcnt(0)
	v_add_f64 v[79:80], v[101:102], -v[79:80]
	buffer_store_dword v80, off, s[0:3], 0 offset:100
	buffer_store_dword v79, off, s[0:3], 0 offset:96
	v_cmpx_lt_u32_e32 11, v0
	s_cbranch_execz .LBB37_215
; %bb.214:
	s_clause 0x1
	buffer_load_dword v79, off, s[0:3], 0 offset:88
	buffer_load_dword v80, off, s[0:3], 0 offset:92
	buffer_store_dword v78, off, s[0:3], 0 offset:88
	buffer_store_dword v78, off, s[0:3], 0 offset:92
	s_waitcnt vmcnt(0)
	ds_write_b64 v77, v[79:80]
.LBB37_215:
	s_or_b32 exec_lo, exec_lo, s4
	s_waitcnt lgkmcnt(0)
	s_waitcnt_vscnt null, 0x0
	s_barrier
	buffer_gl0_inv
	s_clause 0x1c
	buffer_load_dword v87, off, s[0:3], 0 offset:96
	buffer_load_dword v88, off, s[0:3], 0 offset:100
	;; [unrolled: 1-line block ×29, first 2 shown]
	ds_read_b128 v[79:82], v78 offset:400
	ds_read_b128 v[83:86], v78 offset:416
	buffer_load_dword v112, off, s[0:3], 0 offset:212
	s_mov_b32 s4, exec_lo
	s_waitcnt vmcnt(28) lgkmcnt(1)
	v_fma_f64 v[79:80], v[87:88], v[79:80], 0
	s_clause 0x7
	buffer_load_dword v88, off, s[0:3], 0 offset:220
	buffer_load_dword v117, off, s[0:3], 0 offset:240
	;; [unrolled: 1-line block ×8, first 2 shown]
	s_waitcnt vmcnt(34)
	v_fma_f64 v[79:80], v[89:90], v[81:82], v[79:80]
	s_waitcnt vmcnt(32) lgkmcnt(0)
	v_fma_f64 v[79:80], v[91:92], v[83:84], v[79:80]
	s_waitcnt vmcnt(30)
	v_fma_f64 v[89:90], v[93:94], v[85:86], v[79:80]
	ds_read_b128 v[79:82], v78 offset:432
	ds_read_b128 v[83:86], v78 offset:448
	s_waitcnt vmcnt(28) lgkmcnt(1)
	v_fma_f64 v[79:80], v[95:96], v[79:80], v[89:90]
	s_clause 0x7
	buffer_load_dword v90, off, s[0:3], 0 offset:252
	buffer_load_dword v91, off, s[0:3], 0 offset:272
	;; [unrolled: 1-line block ×8, first 2 shown]
	s_waitcnt vmcnt(34)
	v_fma_f64 v[79:80], v[97:98], v[81:82], v[79:80]
	s_waitcnt vmcnt(32) lgkmcnt(0)
	v_fma_f64 v[79:80], v[99:100], v[83:84], v[79:80]
	s_waitcnt vmcnt(27)
	v_fma_f64 v[97:98], v[101:102], v[85:86], v[79:80]
	ds_read_b128 v[79:82], v78 offset:464
	ds_read_b128 v[83:86], v78 offset:480
	s_waitcnt vmcnt(26) lgkmcnt(1)
	v_fma_f64 v[79:80], v[107:108], v[79:80], v[97:98]
	s_clause 0x5
	buffer_load_dword v98, off, s[0:3], 0 offset:284
	buffer_load_dword v99, off, s[0:3], 0 offset:296
	;; [unrolled: 1-line block ×6, first 2 shown]
	s_waitcnt vmcnt(31)
	v_fma_f64 v[79:80], v[105:106], v[81:82], v[79:80]
	s_waitcnt vmcnt(30) lgkmcnt(0)
	v_fma_f64 v[79:80], v[103:104], v[83:84], v[79:80]
	s_waitcnt vmcnt(25)
	v_fma_f64 v[103:104], v[109:110], v[85:86], v[79:80]
	ds_read_b128 v[79:82], v78 offset:496
	s_clause 0x1
	buffer_load_dword v105, off, s[0:3], 0 offset:88
	buffer_load_dword v106, off, s[0:3], 0 offset:92
	ds_read_b128 v[83:86], v78 offset:512
	s_waitcnt vmcnt(26) lgkmcnt(1)
	v_fma_f64 v[79:80], v[115:116], v[79:80], v[103:104]
	s_waitcnt vmcnt(25)
	v_fma_f64 v[79:80], v[113:114], v[81:82], v[79:80]
	s_waitcnt vmcnt(24) lgkmcnt(0)
	v_fma_f64 v[79:80], v[111:112], v[83:84], v[79:80]
	s_waitcnt vmcnt(19)
	v_fma_f64 v[87:88], v[87:88], v[85:86], v[79:80]
	ds_read_b128 v[79:82], v78 offset:528
	ds_read_b128 v[83:86], v78 offset:544
	s_waitcnt vmcnt(18) lgkmcnt(1)
	v_fma_f64 v[79:80], v[121:122], v[79:80], v[87:88]
	s_waitcnt vmcnt(17)
	v_fma_f64 v[79:80], v[119:120], v[81:82], v[79:80]
	s_waitcnt vmcnt(16) lgkmcnt(0)
	v_fma_f64 v[79:80], v[117:118], v[83:84], v[79:80]
	s_waitcnt vmcnt(11)
	v_fma_f64 v[87:88], v[89:90], v[85:86], v[79:80]
	ds_read_b128 v[79:82], v78 offset:560
	;; [unrolled: 10-line block ×3, first 2 shown]
	s_waitcnt vmcnt(3) lgkmcnt(0)
	v_fma_f64 v[78:79], v[101:102], v[78:79], v[82:83]
	s_waitcnt vmcnt(2)
	v_fma_f64 v[78:79], v[99:100], v[80:81], v[78:79]
	s_waitcnt vmcnt(0)
	v_add_f64 v[78:79], v[105:106], -v[78:79]
	buffer_store_dword v79, off, s[0:3], 0 offset:92
	buffer_store_dword v78, off, s[0:3], 0 offset:88
	v_cmpx_lt_u32_e32 10, v0
	s_cbranch_execz .LBB37_217
; %bb.216:
	s_clause 0x1
	buffer_load_dword v78, off, s[0:3], 0 offset:80
	buffer_load_dword v79, off, s[0:3], 0 offset:84
	v_mov_b32_e32 v80, 0
	buffer_store_dword v80, off, s[0:3], 0 offset:80
	buffer_store_dword v80, off, s[0:3], 0 offset:84
	s_waitcnt vmcnt(0)
	ds_write_b64 v77, v[78:79]
.LBB37_217:
	s_or_b32 exec_lo, exec_lo, s4
	s_waitcnt lgkmcnt(0)
	s_waitcnt_vscnt null, 0x0
	s_barrier
	buffer_gl0_inv
	s_clause 0x1c
	buffer_load_dword v87, off, s[0:3], 0 offset:88
	buffer_load_dword v88, off, s[0:3], 0 offset:92
	;; [unrolled: 1-line block ×29, first 2 shown]
	v_mov_b32_e32 v78, 0
	buffer_load_dword v112, off, s[0:3], 0 offset:204
	s_mov_b32 s4, exec_lo
	ds_read2_b64 v[79:82], v78 offset0:49 offset1:50
	ds_read2_b64 v[83:86], v78 offset0:51 offset1:52
	s_waitcnt vmcnt(28) lgkmcnt(1)
	v_fma_f64 v[79:80], v[87:88], v[79:80], 0
	s_clause 0x7
	buffer_load_dword v88, off, s[0:3], 0 offset:212
	buffer_load_dword v117, off, s[0:3], 0 offset:232
	buffer_load_dword v119, off, s[0:3], 0 offset:224
	buffer_load_dword v121, off, s[0:3], 0 offset:216
	buffer_load_dword v87, off, s[0:3], 0 offset:208
	buffer_load_dword v122, off, s[0:3], 0 offset:220
	buffer_load_dword v120, off, s[0:3], 0 offset:228
	buffer_load_dword v118, off, s[0:3], 0 offset:236
	s_waitcnt vmcnt(34)
	v_fma_f64 v[79:80], v[89:90], v[81:82], v[79:80]
	s_waitcnt vmcnt(32) lgkmcnt(0)
	v_fma_f64 v[79:80], v[91:92], v[83:84], v[79:80]
	s_waitcnt vmcnt(30)
	v_fma_f64 v[89:90], v[93:94], v[85:86], v[79:80]
	ds_read2_b64 v[79:82], v78 offset0:53 offset1:54
	ds_read2_b64 v[83:86], v78 offset0:55 offset1:56
	s_waitcnt vmcnt(28) lgkmcnt(1)
	v_fma_f64 v[79:80], v[95:96], v[79:80], v[89:90]
	s_clause 0x7
	buffer_load_dword v90, off, s[0:3], 0 offset:244
	buffer_load_dword v91, off, s[0:3], 0 offset:264
	buffer_load_dword v93, off, s[0:3], 0 offset:256
	buffer_load_dword v95, off, s[0:3], 0 offset:248
	buffer_load_dword v89, off, s[0:3], 0 offset:240
	buffer_load_dword v96, off, s[0:3], 0 offset:252
	buffer_load_dword v94, off, s[0:3], 0 offset:260
	buffer_load_dword v92, off, s[0:3], 0 offset:268
	s_waitcnt vmcnt(34)
	v_fma_f64 v[79:80], v[97:98], v[81:82], v[79:80]
	s_waitcnt vmcnt(32) lgkmcnt(0)
	v_fma_f64 v[79:80], v[99:100], v[83:84], v[79:80]
	s_waitcnt vmcnt(27)
	v_fma_f64 v[97:98], v[101:102], v[85:86], v[79:80]
	;; [unrolled: 19-line block ×3, first 2 shown]
	ds_read2_b64 v[79:82], v78 offset0:61 offset1:62
	ds_read2_b64 v[83:86], v78 offset0:63 offset1:64
	s_waitcnt vmcnt(26) lgkmcnt(1)
	v_fma_f64 v[79:80], v[115:116], v[79:80], v[103:104]
	s_clause 0x1
	buffer_load_dword v103, off, s[0:3], 0 offset:80
	buffer_load_dword v104, off, s[0:3], 0 offset:84
	s_waitcnt vmcnt(27)
	v_fma_f64 v[79:80], v[113:114], v[81:82], v[79:80]
	s_waitcnt vmcnt(26) lgkmcnt(0)
	v_fma_f64 v[79:80], v[111:112], v[83:84], v[79:80]
	s_waitcnt vmcnt(21)
	v_fma_f64 v[87:88], v[87:88], v[85:86], v[79:80]
	ds_read2_b64 v[79:82], v78 offset0:65 offset1:66
	ds_read2_b64 v[83:86], v78 offset0:67 offset1:68
	s_waitcnt vmcnt(20) lgkmcnt(1)
	v_fma_f64 v[79:80], v[121:122], v[79:80], v[87:88]
	s_waitcnt vmcnt(19)
	v_fma_f64 v[79:80], v[119:120], v[81:82], v[79:80]
	s_waitcnt vmcnt(18) lgkmcnt(0)
	v_fma_f64 v[79:80], v[117:118], v[83:84], v[79:80]
	s_waitcnt vmcnt(13)
	v_fma_f64 v[87:88], v[89:90], v[85:86], v[79:80]
	ds_read2_b64 v[79:82], v78 offset0:69 offset1:70
	ds_read2_b64 v[83:86], v78 offset0:71 offset1:72
	s_waitcnt vmcnt(12) lgkmcnt(1)
	v_fma_f64 v[79:80], v[95:96], v[79:80], v[87:88]
	s_waitcnt vmcnt(11)
	v_fma_f64 v[79:80], v[93:94], v[81:82], v[79:80]
	s_waitcnt vmcnt(10) lgkmcnt(0)
	v_fma_f64 v[79:80], v[91:92], v[83:84], v[79:80]
	s_waitcnt vmcnt(5)
	v_fma_f64 v[83:84], v[97:98], v[85:86], v[79:80]
	ds_read2_b64 v[79:82], v78 offset0:73 offset1:74
	ds_read_b64 v[85:86], v78 offset:600
	s_waitcnt vmcnt(4) lgkmcnt(1)
	v_fma_f64 v[79:80], v[107:108], v[79:80], v[83:84]
	s_waitcnt vmcnt(3)
	v_fma_f64 v[79:80], v[101:102], v[81:82], v[79:80]
	s_waitcnt vmcnt(2) lgkmcnt(0)
	v_fma_f64 v[79:80], v[99:100], v[85:86], v[79:80]
	s_waitcnt vmcnt(0)
	v_add_f64 v[79:80], v[103:104], -v[79:80]
	buffer_store_dword v80, off, s[0:3], 0 offset:84
	buffer_store_dword v79, off, s[0:3], 0 offset:80
	v_cmpx_lt_u32_e32 9, v0
	s_cbranch_execz .LBB37_219
; %bb.218:
	s_clause 0x1
	buffer_load_dword v79, off, s[0:3], 0 offset:72
	buffer_load_dword v80, off, s[0:3], 0 offset:76
	buffer_store_dword v78, off, s[0:3], 0 offset:72
	buffer_store_dword v78, off, s[0:3], 0 offset:76
	s_waitcnt vmcnt(0)
	ds_write_b64 v77, v[79:80]
.LBB37_219:
	s_or_b32 exec_lo, exec_lo, s4
	s_waitcnt lgkmcnt(0)
	s_waitcnt_vscnt null, 0x0
	s_barrier
	buffer_gl0_inv
	s_clause 0x1c
	buffer_load_dword v87, off, s[0:3], 0 offset:80
	buffer_load_dword v88, off, s[0:3], 0 offset:84
	;; [unrolled: 1-line block ×29, first 2 shown]
	ds_read_b128 v[79:82], v78 offset:384
	ds_read_b128 v[83:86], v78 offset:400
	buffer_load_dword v112, off, s[0:3], 0 offset:196
	s_mov_b32 s4, exec_lo
	s_waitcnt vmcnt(28) lgkmcnt(1)
	v_fma_f64 v[79:80], v[87:88], v[79:80], 0
	s_clause 0x7
	buffer_load_dword v88, off, s[0:3], 0 offset:204
	buffer_load_dword v117, off, s[0:3], 0 offset:224
	buffer_load_dword v119, off, s[0:3], 0 offset:216
	buffer_load_dword v121, off, s[0:3], 0 offset:208
	buffer_load_dword v87, off, s[0:3], 0 offset:200
	buffer_load_dword v122, off, s[0:3], 0 offset:212
	buffer_load_dword v120, off, s[0:3], 0 offset:220
	buffer_load_dword v118, off, s[0:3], 0 offset:228
	s_waitcnt vmcnt(34)
	v_fma_f64 v[79:80], v[89:90], v[81:82], v[79:80]
	s_waitcnt vmcnt(32) lgkmcnt(0)
	v_fma_f64 v[79:80], v[91:92], v[83:84], v[79:80]
	s_waitcnt vmcnt(30)
	v_fma_f64 v[89:90], v[93:94], v[85:86], v[79:80]
	ds_read_b128 v[79:82], v78 offset:416
	ds_read_b128 v[83:86], v78 offset:432
	s_waitcnt vmcnt(28) lgkmcnt(1)
	v_fma_f64 v[79:80], v[95:96], v[79:80], v[89:90]
	s_clause 0x7
	buffer_load_dword v90, off, s[0:3], 0 offset:236
	buffer_load_dword v91, off, s[0:3], 0 offset:256
	buffer_load_dword v93, off, s[0:3], 0 offset:248
	buffer_load_dword v95, off, s[0:3], 0 offset:240
	buffer_load_dword v89, off, s[0:3], 0 offset:232
	buffer_load_dword v96, off, s[0:3], 0 offset:244
	buffer_load_dword v94, off, s[0:3], 0 offset:252
	buffer_load_dword v92, off, s[0:3], 0 offset:260
	s_waitcnt vmcnt(34)
	v_fma_f64 v[79:80], v[97:98], v[81:82], v[79:80]
	s_waitcnt vmcnt(32) lgkmcnt(0)
	v_fma_f64 v[79:80], v[99:100], v[83:84], v[79:80]
	s_waitcnt vmcnt(27)
	v_fma_f64 v[97:98], v[101:102], v[85:86], v[79:80]
	ds_read_b128 v[79:82], v78 offset:448
	ds_read_b128 v[83:86], v78 offset:464
	;; [unrolled: 19-line block ×3, first 2 shown]
	s_waitcnt vmcnt(26) lgkmcnt(1)
	v_fma_f64 v[79:80], v[115:116], v[79:80], v[103:104]
	s_clause 0x3
	buffer_load_dword v104, off, s[0:3], 0 offset:300
	buffer_load_dword v103, off, s[0:3], 0 offset:296
	;; [unrolled: 1-line block ×4, first 2 shown]
	s_waitcnt vmcnt(29)
	v_fma_f64 v[79:80], v[113:114], v[81:82], v[79:80]
	s_waitcnt vmcnt(28) lgkmcnt(0)
	v_fma_f64 v[79:80], v[111:112], v[83:84], v[79:80]
	s_waitcnt vmcnt(23)
	v_fma_f64 v[87:88], v[87:88], v[85:86], v[79:80]
	ds_read_b128 v[79:82], v78 offset:512
	ds_read_b128 v[83:86], v78 offset:528
	s_waitcnt vmcnt(22) lgkmcnt(1)
	v_fma_f64 v[79:80], v[121:122], v[79:80], v[87:88]
	s_waitcnt vmcnt(21)
	v_fma_f64 v[79:80], v[119:120], v[81:82], v[79:80]
	s_waitcnt vmcnt(20) lgkmcnt(0)
	v_fma_f64 v[79:80], v[117:118], v[83:84], v[79:80]
	s_waitcnt vmcnt(15)
	v_fma_f64 v[87:88], v[89:90], v[85:86], v[79:80]
	ds_read_b128 v[79:82], v78 offset:544
	ds_read_b128 v[83:86], v78 offset:560
	s_waitcnt vmcnt(14) lgkmcnt(1)
	v_fma_f64 v[79:80], v[95:96], v[79:80], v[87:88]
	;; [unrolled: 10-line block ×3, first 2 shown]
	s_waitcnt vmcnt(5)
	v_fma_f64 v[78:79], v[101:102], v[81:82], v[78:79]
	s_waitcnt vmcnt(4) lgkmcnt(0)
	v_fma_f64 v[78:79], v[99:100], v[83:84], v[78:79]
	s_waitcnt vmcnt(2)
	v_fma_f64 v[78:79], v[103:104], v[85:86], v[78:79]
	s_waitcnt vmcnt(0)
	v_add_f64 v[78:79], v[105:106], -v[78:79]
	buffer_store_dword v79, off, s[0:3], 0 offset:76
	buffer_store_dword v78, off, s[0:3], 0 offset:72
	v_cmpx_lt_u32_e32 8, v0
	s_cbranch_execz .LBB37_221
; %bb.220:
	s_clause 0x1
	buffer_load_dword v78, off, s[0:3], 0 offset:64
	buffer_load_dword v79, off, s[0:3], 0 offset:68
	v_mov_b32_e32 v80, 0
	buffer_store_dword v80, off, s[0:3], 0 offset:64
	buffer_store_dword v80, off, s[0:3], 0 offset:68
	s_waitcnt vmcnt(0)
	ds_write_b64 v77, v[78:79]
.LBB37_221:
	s_or_b32 exec_lo, exec_lo, s4
	s_waitcnt lgkmcnt(0)
	s_waitcnt_vscnt null, 0x0
	s_barrier
	buffer_gl0_inv
	s_clause 0x1c
	buffer_load_dword v87, off, s[0:3], 0 offset:72
	buffer_load_dword v88, off, s[0:3], 0 offset:76
	;; [unrolled: 1-line block ×29, first 2 shown]
	v_mov_b32_e32 v78, 0
	buffer_load_dword v112, off, s[0:3], 0 offset:188
	s_mov_b32 s4, exec_lo
	ds_read2_b64 v[79:82], v78 offset0:47 offset1:48
	ds_read2_b64 v[83:86], v78 offset0:49 offset1:50
	s_waitcnt vmcnt(28) lgkmcnt(1)
	v_fma_f64 v[79:80], v[87:88], v[79:80], 0
	s_clause 0x7
	buffer_load_dword v88, off, s[0:3], 0 offset:196
	buffer_load_dword v117, off, s[0:3], 0 offset:216
	buffer_load_dword v119, off, s[0:3], 0 offset:208
	buffer_load_dword v121, off, s[0:3], 0 offset:200
	buffer_load_dword v87, off, s[0:3], 0 offset:192
	buffer_load_dword v122, off, s[0:3], 0 offset:204
	buffer_load_dword v120, off, s[0:3], 0 offset:212
	buffer_load_dword v118, off, s[0:3], 0 offset:220
	s_waitcnt vmcnt(34)
	v_fma_f64 v[79:80], v[89:90], v[81:82], v[79:80]
	s_waitcnt vmcnt(32) lgkmcnt(0)
	v_fma_f64 v[79:80], v[91:92], v[83:84], v[79:80]
	s_waitcnt vmcnt(30)
	v_fma_f64 v[89:90], v[93:94], v[85:86], v[79:80]
	ds_read2_b64 v[79:82], v78 offset0:51 offset1:52
	ds_read2_b64 v[83:86], v78 offset0:53 offset1:54
	s_waitcnt vmcnt(28) lgkmcnt(1)
	v_fma_f64 v[79:80], v[95:96], v[79:80], v[89:90]
	s_clause 0x7
	buffer_load_dword v90, off, s[0:3], 0 offset:228
	buffer_load_dword v91, off, s[0:3], 0 offset:248
	buffer_load_dword v93, off, s[0:3], 0 offset:240
	buffer_load_dword v95, off, s[0:3], 0 offset:232
	buffer_load_dword v89, off, s[0:3], 0 offset:224
	buffer_load_dword v96, off, s[0:3], 0 offset:236
	buffer_load_dword v94, off, s[0:3], 0 offset:244
	buffer_load_dword v92, off, s[0:3], 0 offset:252
	s_waitcnt vmcnt(34)
	v_fma_f64 v[79:80], v[97:98], v[81:82], v[79:80]
	s_waitcnt vmcnt(32) lgkmcnt(0)
	v_fma_f64 v[79:80], v[99:100], v[83:84], v[79:80]
	s_waitcnt vmcnt(27)
	v_fma_f64 v[97:98], v[101:102], v[85:86], v[79:80]
	;; [unrolled: 19-line block ×3, first 2 shown]
	ds_read2_b64 v[79:82], v78 offset0:59 offset1:60
	ds_read2_b64 v[83:86], v78 offset0:61 offset1:62
	s_waitcnt vmcnt(26) lgkmcnt(1)
	v_fma_f64 v[79:80], v[115:116], v[79:80], v[103:104]
	s_clause 0x5
	buffer_load_dword v104, off, s[0:3], 0 offset:292
	buffer_load_dword v105, off, s[0:3], 0 offset:296
	;; [unrolled: 1-line block ×6, first 2 shown]
	s_waitcnt vmcnt(31)
	v_fma_f64 v[79:80], v[113:114], v[81:82], v[79:80]
	s_waitcnt vmcnt(30) lgkmcnt(0)
	v_fma_f64 v[79:80], v[111:112], v[83:84], v[79:80]
	s_waitcnt vmcnt(25)
	v_fma_f64 v[87:88], v[87:88], v[85:86], v[79:80]
	ds_read2_b64 v[79:82], v78 offset0:63 offset1:64
	ds_read2_b64 v[83:86], v78 offset0:65 offset1:66
	s_waitcnt vmcnt(24) lgkmcnt(1)
	v_fma_f64 v[79:80], v[121:122], v[79:80], v[87:88]
	s_waitcnt vmcnt(23)
	v_fma_f64 v[79:80], v[119:120], v[81:82], v[79:80]
	s_waitcnt vmcnt(22) lgkmcnt(0)
	v_fma_f64 v[79:80], v[117:118], v[83:84], v[79:80]
	s_waitcnt vmcnt(17)
	v_fma_f64 v[87:88], v[89:90], v[85:86], v[79:80]
	ds_read2_b64 v[79:82], v78 offset0:67 offset1:68
	ds_read2_b64 v[83:86], v78 offset0:69 offset1:70
	s_waitcnt vmcnt(16) lgkmcnt(1)
	v_fma_f64 v[79:80], v[95:96], v[79:80], v[87:88]
	;; [unrolled: 10-line block ×3, first 2 shown]
	s_waitcnt vmcnt(7)
	v_fma_f64 v[79:80], v[101:102], v[81:82], v[79:80]
	ds_read_b64 v[81:82], v78 offset:600
	s_waitcnt vmcnt(6) lgkmcnt(1)
	v_fma_f64 v[79:80], v[99:100], v[83:84], v[79:80]
	s_waitcnt vmcnt(3)
	v_fma_f64 v[79:80], v[103:104], v[85:86], v[79:80]
	s_waitcnt vmcnt(2) lgkmcnt(0)
	v_fma_f64 v[79:80], v[105:106], v[81:82], v[79:80]
	s_waitcnt vmcnt(0)
	v_add_f64 v[79:80], v[109:110], -v[79:80]
	buffer_store_dword v80, off, s[0:3], 0 offset:68
	buffer_store_dword v79, off, s[0:3], 0 offset:64
	v_cmpx_lt_u32_e32 7, v0
	s_cbranch_execz .LBB37_223
; %bb.222:
	s_clause 0x1
	buffer_load_dword v79, off, s[0:3], 0 offset:56
	buffer_load_dword v80, off, s[0:3], 0 offset:60
	buffer_store_dword v78, off, s[0:3], 0 offset:56
	buffer_store_dword v78, off, s[0:3], 0 offset:60
	s_waitcnt vmcnt(0)
	ds_write_b64 v77, v[79:80]
.LBB37_223:
	s_or_b32 exec_lo, exec_lo, s4
	s_waitcnt lgkmcnt(0)
	s_waitcnt_vscnt null, 0x0
	s_barrier
	buffer_gl0_inv
	s_clause 0x1c
	buffer_load_dword v87, off, s[0:3], 0 offset:64
	buffer_load_dword v88, off, s[0:3], 0 offset:68
	;; [unrolled: 1-line block ×29, first 2 shown]
	ds_read_b128 v[79:82], v78 offset:368
	ds_read_b128 v[83:86], v78 offset:384
	buffer_load_dword v112, off, s[0:3], 0 offset:180
	s_mov_b32 s4, exec_lo
	s_waitcnt vmcnt(28) lgkmcnt(1)
	v_fma_f64 v[79:80], v[87:88], v[79:80], 0
	s_clause 0x7
	buffer_load_dword v88, off, s[0:3], 0 offset:188
	buffer_load_dword v117, off, s[0:3], 0 offset:208
	buffer_load_dword v119, off, s[0:3], 0 offset:200
	buffer_load_dword v121, off, s[0:3], 0 offset:192
	buffer_load_dword v87, off, s[0:3], 0 offset:184
	buffer_load_dword v122, off, s[0:3], 0 offset:196
	buffer_load_dword v120, off, s[0:3], 0 offset:204
	buffer_load_dword v118, off, s[0:3], 0 offset:212
	s_waitcnt vmcnt(34)
	v_fma_f64 v[79:80], v[89:90], v[81:82], v[79:80]
	s_waitcnt vmcnt(32) lgkmcnt(0)
	v_fma_f64 v[79:80], v[91:92], v[83:84], v[79:80]
	s_waitcnt vmcnt(30)
	v_fma_f64 v[89:90], v[93:94], v[85:86], v[79:80]
	ds_read_b128 v[79:82], v78 offset:400
	ds_read_b128 v[83:86], v78 offset:416
	s_waitcnt vmcnt(28) lgkmcnt(1)
	v_fma_f64 v[79:80], v[95:96], v[79:80], v[89:90]
	s_clause 0x7
	buffer_load_dword v90, off, s[0:3], 0 offset:220
	buffer_load_dword v91, off, s[0:3], 0 offset:240
	buffer_load_dword v93, off, s[0:3], 0 offset:232
	buffer_load_dword v95, off, s[0:3], 0 offset:224
	buffer_load_dword v89, off, s[0:3], 0 offset:216
	buffer_load_dword v96, off, s[0:3], 0 offset:228
	buffer_load_dword v94, off, s[0:3], 0 offset:236
	buffer_load_dword v92, off, s[0:3], 0 offset:244
	s_waitcnt vmcnt(34)
	v_fma_f64 v[79:80], v[97:98], v[81:82], v[79:80]
	s_waitcnt vmcnt(32) lgkmcnt(0)
	v_fma_f64 v[79:80], v[99:100], v[83:84], v[79:80]
	s_waitcnt vmcnt(27)
	v_fma_f64 v[97:98], v[101:102], v[85:86], v[79:80]
	ds_read_b128 v[79:82], v78 offset:432
	ds_read_b128 v[83:86], v78 offset:448
	;; [unrolled: 19-line block ×3, first 2 shown]
	s_waitcnt vmcnt(26) lgkmcnt(1)
	v_fma_f64 v[79:80], v[115:116], v[79:80], v[103:104]
	s_clause 0x5
	buffer_load_dword v104, off, s[0:3], 0 offset:284
	buffer_load_dword v105, off, s[0:3], 0 offset:296
	;; [unrolled: 1-line block ×6, first 2 shown]
	s_waitcnt vmcnt(31)
	v_fma_f64 v[79:80], v[113:114], v[81:82], v[79:80]
	s_waitcnt vmcnt(30) lgkmcnt(0)
	v_fma_f64 v[79:80], v[111:112], v[83:84], v[79:80]
	s_waitcnt vmcnt(25)
	v_fma_f64 v[87:88], v[87:88], v[85:86], v[79:80]
	ds_read_b128 v[79:82], v78 offset:496
	s_clause 0x1
	buffer_load_dword v111, off, s[0:3], 0 offset:56
	buffer_load_dword v112, off, s[0:3], 0 offset:60
	ds_read_b128 v[83:86], v78 offset:512
	s_waitcnt vmcnt(26) lgkmcnt(1)
	v_fma_f64 v[79:80], v[121:122], v[79:80], v[87:88]
	s_waitcnt vmcnt(25)
	v_fma_f64 v[79:80], v[119:120], v[81:82], v[79:80]
	s_waitcnt vmcnt(24) lgkmcnt(0)
	v_fma_f64 v[79:80], v[117:118], v[83:84], v[79:80]
	s_waitcnt vmcnt(19)
	v_fma_f64 v[87:88], v[89:90], v[85:86], v[79:80]
	ds_read_b128 v[79:82], v78 offset:528
	ds_read_b128 v[83:86], v78 offset:544
	s_waitcnt vmcnt(18) lgkmcnt(1)
	v_fma_f64 v[79:80], v[95:96], v[79:80], v[87:88]
	s_waitcnt vmcnt(17)
	v_fma_f64 v[79:80], v[93:94], v[81:82], v[79:80]
	s_waitcnt vmcnt(16) lgkmcnt(0)
	v_fma_f64 v[79:80], v[91:92], v[83:84], v[79:80]
	s_waitcnt vmcnt(11)
	v_fma_f64 v[87:88], v[97:98], v[85:86], v[79:80]
	ds_read_b128 v[79:82], v78 offset:560
	ds_read_b128 v[83:86], v78 offset:576
	s_waitcnt vmcnt(10) lgkmcnt(1)
	v_fma_f64 v[79:80], v[107:108], v[79:80], v[87:88]
	s_waitcnt vmcnt(9)
	v_fma_f64 v[79:80], v[101:102], v[81:82], v[79:80]
	s_waitcnt vmcnt(8) lgkmcnt(0)
	v_fma_f64 v[79:80], v[99:100], v[83:84], v[79:80]
	s_waitcnt vmcnt(4)
	v_fma_f64 v[82:83], v[103:104], v[85:86], v[79:80]
	ds_read_b128 v[78:81], v78 offset:592
	s_waitcnt vmcnt(3) lgkmcnt(0)
	v_fma_f64 v[78:79], v[109:110], v[78:79], v[82:83]
	s_waitcnt vmcnt(2)
	v_fma_f64 v[78:79], v[105:106], v[80:81], v[78:79]
	s_waitcnt vmcnt(0)
	v_add_f64 v[78:79], v[111:112], -v[78:79]
	buffer_store_dword v79, off, s[0:3], 0 offset:60
	buffer_store_dword v78, off, s[0:3], 0 offset:56
	v_cmpx_lt_u32_e32 6, v0
	s_cbranch_execz .LBB37_225
; %bb.224:
	s_clause 0x1
	buffer_load_dword v78, off, s[0:3], 0 offset:48
	buffer_load_dword v79, off, s[0:3], 0 offset:52
	v_mov_b32_e32 v80, 0
	buffer_store_dword v80, off, s[0:3], 0 offset:48
	buffer_store_dword v80, off, s[0:3], 0 offset:52
	s_waitcnt vmcnt(0)
	ds_write_b64 v77, v[78:79]
.LBB37_225:
	s_or_b32 exec_lo, exec_lo, s4
	s_waitcnt lgkmcnt(0)
	s_waitcnt_vscnt null, 0x0
	s_barrier
	buffer_gl0_inv
	s_clause 0x1c
	buffer_load_dword v87, off, s[0:3], 0 offset:56
	buffer_load_dword v88, off, s[0:3], 0 offset:60
	;; [unrolled: 1-line block ×29, first 2 shown]
	v_mov_b32_e32 v78, 0
	buffer_load_dword v112, off, s[0:3], 0 offset:172
	s_mov_b32 s4, exec_lo
	ds_read2_b64 v[79:82], v78 offset0:45 offset1:46
	ds_read2_b64 v[83:86], v78 offset0:47 offset1:48
	s_waitcnt vmcnt(28) lgkmcnt(1)
	v_fma_f64 v[79:80], v[87:88], v[79:80], 0
	s_clause 0x7
	buffer_load_dword v88, off, s[0:3], 0 offset:180
	buffer_load_dword v117, off, s[0:3], 0 offset:200
	buffer_load_dword v119, off, s[0:3], 0 offset:192
	buffer_load_dword v121, off, s[0:3], 0 offset:184
	buffer_load_dword v87, off, s[0:3], 0 offset:176
	buffer_load_dword v122, off, s[0:3], 0 offset:188
	buffer_load_dword v120, off, s[0:3], 0 offset:196
	buffer_load_dword v118, off, s[0:3], 0 offset:204
	s_waitcnt vmcnt(34)
	v_fma_f64 v[79:80], v[89:90], v[81:82], v[79:80]
	s_waitcnt vmcnt(32) lgkmcnt(0)
	v_fma_f64 v[79:80], v[91:92], v[83:84], v[79:80]
	s_waitcnt vmcnt(30)
	v_fma_f64 v[89:90], v[93:94], v[85:86], v[79:80]
	ds_read2_b64 v[79:82], v78 offset0:49 offset1:50
	ds_read2_b64 v[83:86], v78 offset0:51 offset1:52
	s_waitcnt vmcnt(28) lgkmcnt(1)
	v_fma_f64 v[79:80], v[95:96], v[79:80], v[89:90]
	s_clause 0x7
	buffer_load_dword v90, off, s[0:3], 0 offset:212
	buffer_load_dword v91, off, s[0:3], 0 offset:232
	buffer_load_dword v93, off, s[0:3], 0 offset:224
	buffer_load_dword v95, off, s[0:3], 0 offset:216
	buffer_load_dword v89, off, s[0:3], 0 offset:208
	buffer_load_dword v96, off, s[0:3], 0 offset:220
	buffer_load_dword v94, off, s[0:3], 0 offset:228
	buffer_load_dword v92, off, s[0:3], 0 offset:236
	s_waitcnt vmcnt(34)
	v_fma_f64 v[79:80], v[97:98], v[81:82], v[79:80]
	s_waitcnt vmcnt(32) lgkmcnt(0)
	v_fma_f64 v[79:80], v[99:100], v[83:84], v[79:80]
	s_waitcnt vmcnt(27)
	v_fma_f64 v[97:98], v[101:102], v[85:86], v[79:80]
	;; [unrolled: 19-line block ×4, first 2 shown]
	ds_read2_b64 v[79:82], v78 offset0:61 offset1:62
	ds_read2_b64 v[83:86], v78 offset0:63 offset1:64
	s_waitcnt vmcnt(26) lgkmcnt(1)
	v_fma_f64 v[79:80], v[121:122], v[79:80], v[87:88]
	s_clause 0x1
	buffer_load_dword v87, off, s[0:3], 0 offset:48
	buffer_load_dword v88, off, s[0:3], 0 offset:52
	s_waitcnt vmcnt(27)
	v_fma_f64 v[79:80], v[119:120], v[81:82], v[79:80]
	s_waitcnt vmcnt(26) lgkmcnt(0)
	v_fma_f64 v[79:80], v[117:118], v[83:84], v[79:80]
	s_waitcnt vmcnt(21)
	v_fma_f64 v[89:90], v[89:90], v[85:86], v[79:80]
	ds_read2_b64 v[79:82], v78 offset0:65 offset1:66
	ds_read2_b64 v[83:86], v78 offset0:67 offset1:68
	s_waitcnt vmcnt(20) lgkmcnt(1)
	v_fma_f64 v[79:80], v[95:96], v[79:80], v[89:90]
	s_waitcnt vmcnt(19)
	v_fma_f64 v[79:80], v[93:94], v[81:82], v[79:80]
	s_waitcnt vmcnt(18) lgkmcnt(0)
	v_fma_f64 v[79:80], v[91:92], v[83:84], v[79:80]
	s_waitcnt vmcnt(13)
	v_fma_f64 v[89:90], v[97:98], v[85:86], v[79:80]
	ds_read2_b64 v[79:82], v78 offset0:69 offset1:70
	ds_read2_b64 v[83:86], v78 offset0:71 offset1:72
	s_waitcnt vmcnt(12) lgkmcnt(1)
	v_fma_f64 v[79:80], v[107:108], v[79:80], v[89:90]
	s_waitcnt vmcnt(11)
	v_fma_f64 v[79:80], v[101:102], v[81:82], v[79:80]
	s_waitcnt vmcnt(10) lgkmcnt(0)
	v_fma_f64 v[79:80], v[99:100], v[83:84], v[79:80]
	s_waitcnt vmcnt(5)
	v_fma_f64 v[83:84], v[103:104], v[85:86], v[79:80]
	ds_read2_b64 v[79:82], v78 offset0:73 offset1:74
	ds_read_b64 v[85:86], v78 offset:600
	s_waitcnt vmcnt(4) lgkmcnt(1)
	v_fma_f64 v[79:80], v[115:116], v[79:80], v[83:84]
	s_waitcnt vmcnt(3)
	v_fma_f64 v[79:80], v[109:110], v[81:82], v[79:80]
	s_waitcnt vmcnt(2) lgkmcnt(0)
	v_fma_f64 v[79:80], v[105:106], v[85:86], v[79:80]
	s_waitcnt vmcnt(0)
	v_add_f64 v[79:80], v[87:88], -v[79:80]
	buffer_store_dword v80, off, s[0:3], 0 offset:52
	buffer_store_dword v79, off, s[0:3], 0 offset:48
	v_cmpx_lt_u32_e32 5, v0
	s_cbranch_execz .LBB37_227
; %bb.226:
	s_clause 0x1
	buffer_load_dword v79, off, s[0:3], 0 offset:40
	buffer_load_dword v80, off, s[0:3], 0 offset:44
	buffer_store_dword v78, off, s[0:3], 0 offset:40
	buffer_store_dword v78, off, s[0:3], 0 offset:44
	s_waitcnt vmcnt(0)
	ds_write_b64 v77, v[79:80]
.LBB37_227:
	s_or_b32 exec_lo, exec_lo, s4
	s_waitcnt lgkmcnt(0)
	s_waitcnt_vscnt null, 0x0
	s_barrier
	buffer_gl0_inv
	s_clause 0x1c
	buffer_load_dword v87, off, s[0:3], 0 offset:48
	buffer_load_dword v88, off, s[0:3], 0 offset:52
	;; [unrolled: 1-line block ×29, first 2 shown]
	ds_read_b128 v[79:82], v78 offset:352
	ds_read_b128 v[83:86], v78 offset:368
	buffer_load_dword v112, off, s[0:3], 0 offset:164
	s_mov_b32 s4, exec_lo
	s_waitcnt vmcnt(28) lgkmcnt(1)
	v_fma_f64 v[79:80], v[87:88], v[79:80], 0
	s_clause 0x7
	buffer_load_dword v88, off, s[0:3], 0 offset:172
	buffer_load_dword v117, off, s[0:3], 0 offset:192
	buffer_load_dword v119, off, s[0:3], 0 offset:184
	buffer_load_dword v121, off, s[0:3], 0 offset:176
	buffer_load_dword v87, off, s[0:3], 0 offset:168
	buffer_load_dword v122, off, s[0:3], 0 offset:180
	buffer_load_dword v120, off, s[0:3], 0 offset:188
	buffer_load_dword v118, off, s[0:3], 0 offset:196
	s_waitcnt vmcnt(34)
	v_fma_f64 v[79:80], v[89:90], v[81:82], v[79:80]
	s_waitcnt vmcnt(32) lgkmcnt(0)
	v_fma_f64 v[79:80], v[91:92], v[83:84], v[79:80]
	s_waitcnt vmcnt(30)
	v_fma_f64 v[89:90], v[93:94], v[85:86], v[79:80]
	ds_read_b128 v[79:82], v78 offset:384
	ds_read_b128 v[83:86], v78 offset:400
	s_waitcnt vmcnt(28) lgkmcnt(1)
	v_fma_f64 v[79:80], v[95:96], v[79:80], v[89:90]
	s_clause 0x7
	buffer_load_dword v90, off, s[0:3], 0 offset:204
	buffer_load_dword v91, off, s[0:3], 0 offset:224
	buffer_load_dword v93, off, s[0:3], 0 offset:216
	buffer_load_dword v95, off, s[0:3], 0 offset:208
	buffer_load_dword v89, off, s[0:3], 0 offset:200
	buffer_load_dword v96, off, s[0:3], 0 offset:212
	buffer_load_dword v94, off, s[0:3], 0 offset:220
	buffer_load_dword v92, off, s[0:3], 0 offset:228
	s_waitcnt vmcnt(34)
	v_fma_f64 v[79:80], v[97:98], v[81:82], v[79:80]
	s_waitcnt vmcnt(32) lgkmcnt(0)
	v_fma_f64 v[79:80], v[99:100], v[83:84], v[79:80]
	s_waitcnt vmcnt(27)
	v_fma_f64 v[97:98], v[101:102], v[85:86], v[79:80]
	ds_read_b128 v[79:82], v78 offset:416
	ds_read_b128 v[83:86], v78 offset:432
	;; [unrolled: 19-line block ×4, first 2 shown]
	s_waitcnt vmcnt(26) lgkmcnt(1)
	v_fma_f64 v[79:80], v[121:122], v[79:80], v[87:88]
	s_clause 0x3
	buffer_load_dword v88, off, s[0:3], 0 offset:300
	buffer_load_dword v87, off, s[0:3], 0 offset:296
	;; [unrolled: 1-line block ×4, first 2 shown]
	s_waitcnt vmcnt(29)
	v_fma_f64 v[79:80], v[119:120], v[81:82], v[79:80]
	s_waitcnt vmcnt(28) lgkmcnt(0)
	v_fma_f64 v[79:80], v[117:118], v[83:84], v[79:80]
	s_waitcnt vmcnt(23)
	v_fma_f64 v[89:90], v[89:90], v[85:86], v[79:80]
	ds_read_b128 v[79:82], v78 offset:512
	ds_read_b128 v[83:86], v78 offset:528
	s_waitcnt vmcnt(22) lgkmcnt(1)
	v_fma_f64 v[79:80], v[95:96], v[79:80], v[89:90]
	s_waitcnt vmcnt(21)
	v_fma_f64 v[79:80], v[93:94], v[81:82], v[79:80]
	s_waitcnt vmcnt(20) lgkmcnt(0)
	v_fma_f64 v[79:80], v[91:92], v[83:84], v[79:80]
	s_waitcnt vmcnt(15)
	v_fma_f64 v[89:90], v[97:98], v[85:86], v[79:80]
	ds_read_b128 v[79:82], v78 offset:544
	ds_read_b128 v[83:86], v78 offset:560
	s_waitcnt vmcnt(14) lgkmcnt(1)
	v_fma_f64 v[79:80], v[107:108], v[79:80], v[89:90]
	;; [unrolled: 10-line block ×3, first 2 shown]
	s_waitcnt vmcnt(5)
	v_fma_f64 v[78:79], v[109:110], v[81:82], v[78:79]
	s_waitcnt vmcnt(4) lgkmcnt(0)
	v_fma_f64 v[78:79], v[105:106], v[83:84], v[78:79]
	s_waitcnt vmcnt(2)
	v_fma_f64 v[78:79], v[87:88], v[85:86], v[78:79]
	s_waitcnt vmcnt(0)
	v_add_f64 v[78:79], v[111:112], -v[78:79]
	buffer_store_dword v79, off, s[0:3], 0 offset:44
	buffer_store_dword v78, off, s[0:3], 0 offset:40
	v_cmpx_lt_u32_e32 4, v0
	s_cbranch_execz .LBB37_229
; %bb.228:
	s_clause 0x1
	buffer_load_dword v78, off, s[0:3], 0 offset:32
	buffer_load_dword v79, off, s[0:3], 0 offset:36
	v_mov_b32_e32 v80, 0
	buffer_store_dword v80, off, s[0:3], 0 offset:32
	buffer_store_dword v80, off, s[0:3], 0 offset:36
	s_waitcnt vmcnt(0)
	ds_write_b64 v77, v[78:79]
.LBB37_229:
	s_or_b32 exec_lo, exec_lo, s4
	s_waitcnt lgkmcnt(0)
	s_waitcnt_vscnt null, 0x0
	s_barrier
	buffer_gl0_inv
	s_clause 0x1c
	buffer_load_dword v87, off, s[0:3], 0 offset:40
	buffer_load_dword v88, off, s[0:3], 0 offset:44
	;; [unrolled: 1-line block ×29, first 2 shown]
	v_mov_b32_e32 v78, 0
	buffer_load_dword v112, off, s[0:3], 0 offset:156
	s_mov_b32 s4, exec_lo
	ds_read2_b64 v[79:82], v78 offset0:43 offset1:44
	ds_read2_b64 v[83:86], v78 offset0:45 offset1:46
	s_waitcnt vmcnt(28) lgkmcnt(1)
	v_fma_f64 v[79:80], v[87:88], v[79:80], 0
	s_clause 0x7
	buffer_load_dword v88, off, s[0:3], 0 offset:164
	buffer_load_dword v117, off, s[0:3], 0 offset:184
	buffer_load_dword v119, off, s[0:3], 0 offset:176
	buffer_load_dword v121, off, s[0:3], 0 offset:168
	buffer_load_dword v87, off, s[0:3], 0 offset:160
	buffer_load_dword v122, off, s[0:3], 0 offset:172
	buffer_load_dword v120, off, s[0:3], 0 offset:180
	buffer_load_dword v118, off, s[0:3], 0 offset:188
	s_waitcnt vmcnt(34)
	v_fma_f64 v[79:80], v[89:90], v[81:82], v[79:80]
	s_waitcnt vmcnt(32) lgkmcnt(0)
	v_fma_f64 v[79:80], v[91:92], v[83:84], v[79:80]
	s_waitcnt vmcnt(30)
	v_fma_f64 v[89:90], v[93:94], v[85:86], v[79:80]
	ds_read2_b64 v[79:82], v78 offset0:47 offset1:48
	ds_read2_b64 v[83:86], v78 offset0:49 offset1:50
	s_waitcnt vmcnt(28) lgkmcnt(1)
	v_fma_f64 v[79:80], v[95:96], v[79:80], v[89:90]
	s_clause 0x7
	buffer_load_dword v90, off, s[0:3], 0 offset:196
	buffer_load_dword v91, off, s[0:3], 0 offset:216
	buffer_load_dword v93, off, s[0:3], 0 offset:208
	buffer_load_dword v95, off, s[0:3], 0 offset:200
	buffer_load_dword v89, off, s[0:3], 0 offset:192
	buffer_load_dword v96, off, s[0:3], 0 offset:204
	buffer_load_dword v94, off, s[0:3], 0 offset:212
	buffer_load_dword v92, off, s[0:3], 0 offset:220
	s_waitcnt vmcnt(34)
	v_fma_f64 v[79:80], v[97:98], v[81:82], v[79:80]
	s_waitcnt vmcnt(32) lgkmcnt(0)
	v_fma_f64 v[79:80], v[99:100], v[83:84], v[79:80]
	s_waitcnt vmcnt(27)
	v_fma_f64 v[97:98], v[101:102], v[85:86], v[79:80]
	;; [unrolled: 19-line block ×4, first 2 shown]
	ds_read2_b64 v[79:82], v78 offset0:59 offset1:60
	ds_read2_b64 v[83:86], v78 offset0:61 offset1:62
	s_waitcnt vmcnt(26) lgkmcnt(1)
	v_fma_f64 v[79:80], v[121:122], v[79:80], v[87:88]
	s_clause 0x5
	buffer_load_dword v88, off, s[0:3], 0 offset:292
	buffer_load_dword v111, off, s[0:3], 0 offset:296
	;; [unrolled: 1-line block ×6, first 2 shown]
	s_waitcnt vmcnt(31)
	v_fma_f64 v[79:80], v[119:120], v[81:82], v[79:80]
	s_waitcnt vmcnt(30) lgkmcnt(0)
	v_fma_f64 v[79:80], v[117:118], v[83:84], v[79:80]
	s_waitcnt vmcnt(25)
	v_fma_f64 v[89:90], v[89:90], v[85:86], v[79:80]
	ds_read2_b64 v[79:82], v78 offset0:63 offset1:64
	ds_read2_b64 v[83:86], v78 offset0:65 offset1:66
	s_waitcnt vmcnt(24) lgkmcnt(1)
	v_fma_f64 v[79:80], v[95:96], v[79:80], v[89:90]
	s_waitcnt vmcnt(23)
	v_fma_f64 v[79:80], v[93:94], v[81:82], v[79:80]
	s_waitcnt vmcnt(22) lgkmcnt(0)
	v_fma_f64 v[79:80], v[91:92], v[83:84], v[79:80]
	s_waitcnt vmcnt(17)
	v_fma_f64 v[89:90], v[97:98], v[85:86], v[79:80]
	ds_read2_b64 v[79:82], v78 offset0:67 offset1:68
	ds_read2_b64 v[83:86], v78 offset0:69 offset1:70
	s_waitcnt vmcnt(16) lgkmcnt(1)
	v_fma_f64 v[79:80], v[107:108], v[79:80], v[89:90]
	;; [unrolled: 10-line block ×3, first 2 shown]
	s_waitcnt vmcnt(7)
	v_fma_f64 v[79:80], v[109:110], v[81:82], v[79:80]
	ds_read_b64 v[81:82], v78 offset:600
	s_waitcnt vmcnt(6) lgkmcnt(1)
	v_fma_f64 v[79:80], v[105:106], v[83:84], v[79:80]
	s_waitcnt vmcnt(3)
	v_fma_f64 v[79:80], v[87:88], v[85:86], v[79:80]
	s_waitcnt vmcnt(2) lgkmcnt(0)
	v_fma_f64 v[79:80], v[111:112], v[81:82], v[79:80]
	s_waitcnt vmcnt(0)
	v_add_f64 v[79:80], v[113:114], -v[79:80]
	buffer_store_dword v80, off, s[0:3], 0 offset:36
	buffer_store_dword v79, off, s[0:3], 0 offset:32
	v_cmpx_lt_u32_e32 3, v0
	s_cbranch_execz .LBB37_231
; %bb.230:
	s_clause 0x1
	buffer_load_dword v79, off, s[0:3], 0 offset:24
	buffer_load_dword v80, off, s[0:3], 0 offset:28
	buffer_store_dword v78, off, s[0:3], 0 offset:24
	buffer_store_dword v78, off, s[0:3], 0 offset:28
	s_waitcnt vmcnt(0)
	ds_write_b64 v77, v[79:80]
.LBB37_231:
	s_or_b32 exec_lo, exec_lo, s4
	s_waitcnt lgkmcnt(0)
	s_waitcnt_vscnt null, 0x0
	s_barrier
	buffer_gl0_inv
	s_clause 0x1c
	buffer_load_dword v87, off, s[0:3], 0 offset:32
	buffer_load_dword v88, off, s[0:3], 0 offset:36
	;; [unrolled: 1-line block ×29, first 2 shown]
	ds_read_b128 v[79:82], v78 offset:336
	ds_read_b128 v[83:86], v78 offset:352
	buffer_load_dword v112, off, s[0:3], 0 offset:148
	s_mov_b32 s4, exec_lo
	s_waitcnt vmcnt(28) lgkmcnt(1)
	v_fma_f64 v[79:80], v[87:88], v[79:80], 0
	s_clause 0x7
	buffer_load_dword v88, off, s[0:3], 0 offset:156
	buffer_load_dword v117, off, s[0:3], 0 offset:176
	buffer_load_dword v119, off, s[0:3], 0 offset:168
	buffer_load_dword v121, off, s[0:3], 0 offset:160
	buffer_load_dword v87, off, s[0:3], 0 offset:152
	buffer_load_dword v122, off, s[0:3], 0 offset:164
	buffer_load_dword v120, off, s[0:3], 0 offset:172
	buffer_load_dword v118, off, s[0:3], 0 offset:180
	s_waitcnt vmcnt(34)
	v_fma_f64 v[79:80], v[89:90], v[81:82], v[79:80]
	s_waitcnt vmcnt(32) lgkmcnt(0)
	v_fma_f64 v[79:80], v[91:92], v[83:84], v[79:80]
	s_waitcnt vmcnt(30)
	v_fma_f64 v[89:90], v[93:94], v[85:86], v[79:80]
	ds_read_b128 v[79:82], v78 offset:368
	ds_read_b128 v[83:86], v78 offset:384
	s_waitcnt vmcnt(28) lgkmcnt(1)
	v_fma_f64 v[79:80], v[95:96], v[79:80], v[89:90]
	s_clause 0x7
	buffer_load_dword v90, off, s[0:3], 0 offset:188
	buffer_load_dword v91, off, s[0:3], 0 offset:208
	buffer_load_dword v93, off, s[0:3], 0 offset:200
	buffer_load_dword v95, off, s[0:3], 0 offset:192
	buffer_load_dword v89, off, s[0:3], 0 offset:184
	buffer_load_dword v96, off, s[0:3], 0 offset:196
	buffer_load_dword v94, off, s[0:3], 0 offset:204
	buffer_load_dword v92, off, s[0:3], 0 offset:212
	s_waitcnt vmcnt(34)
	v_fma_f64 v[79:80], v[97:98], v[81:82], v[79:80]
	s_waitcnt vmcnt(32) lgkmcnt(0)
	v_fma_f64 v[79:80], v[99:100], v[83:84], v[79:80]
	s_waitcnt vmcnt(27)
	v_fma_f64 v[97:98], v[101:102], v[85:86], v[79:80]
	ds_read_b128 v[79:82], v78 offset:400
	ds_read_b128 v[83:86], v78 offset:416
	s_waitcnt vmcnt(26) lgkmcnt(1)
	v_fma_f64 v[79:80], v[107:108], v[79:80], v[97:98]
	s_clause 0x7
	buffer_load_dword v98, off, s[0:3], 0 offset:220
	buffer_load_dword v99, off, s[0:3], 0 offset:240
	buffer_load_dword v101, off, s[0:3], 0 offset:232
	buffer_load_dword v107, off, s[0:3], 0 offset:224
	buffer_load_dword v97, off, s[0:3], 0 offset:216
	buffer_load_dword v108, off, s[0:3], 0 offset:228
	buffer_load_dword v102, off, s[0:3], 0 offset:236
	buffer_load_dword v100, off, s[0:3], 0 offset:244
	s_waitcnt vmcnt(33)
	v_fma_f64 v[79:80], v[105:106], v[81:82], v[79:80]
	s_waitcnt vmcnt(32) lgkmcnt(0)
	v_fma_f64 v[79:80], v[103:104], v[83:84], v[79:80]
	s_waitcnt vmcnt(27)
	v_fma_f64 v[103:104], v[109:110], v[85:86], v[79:80]
	ds_read_b128 v[79:82], v78 offset:432
	ds_read_b128 v[83:86], v78 offset:448
	s_waitcnt vmcnt(26) lgkmcnt(1)
	v_fma_f64 v[79:80], v[115:116], v[79:80], v[103:104]
	s_clause 0x7
	buffer_load_dword v104, off, s[0:3], 0 offset:252
	buffer_load_dword v105, off, s[0:3], 0 offset:272
	buffer_load_dword v109, off, s[0:3], 0 offset:264
	buffer_load_dword v115, off, s[0:3], 0 offset:256
	buffer_load_dword v103, off, s[0:3], 0 offset:248
	buffer_load_dword v116, off, s[0:3], 0 offset:260
	buffer_load_dword v110, off, s[0:3], 0 offset:268
	buffer_load_dword v106, off, s[0:3], 0 offset:276
	s_waitcnt vmcnt(33)
	v_fma_f64 v[79:80], v[113:114], v[81:82], v[79:80]
	s_waitcnt vmcnt(32) lgkmcnt(0)
	v_fma_f64 v[79:80], v[111:112], v[83:84], v[79:80]
	s_waitcnt vmcnt(27)
	v_fma_f64 v[87:88], v[87:88], v[85:86], v[79:80]
	ds_read_b128 v[79:82], v78 offset:464
	ds_read_b128 v[83:86], v78 offset:480
	s_waitcnt vmcnt(26) lgkmcnt(1)
	v_fma_f64 v[79:80], v[121:122], v[79:80], v[87:88]
	s_clause 0x5
	buffer_load_dword v88, off, s[0:3], 0 offset:284
	buffer_load_dword v111, off, s[0:3], 0 offset:296
	;; [unrolled: 1-line block ×6, first 2 shown]
	s_waitcnt vmcnt(31)
	v_fma_f64 v[79:80], v[119:120], v[81:82], v[79:80]
	s_waitcnt vmcnt(30) lgkmcnt(0)
	v_fma_f64 v[79:80], v[117:118], v[83:84], v[79:80]
	s_waitcnt vmcnt(25)
	v_fma_f64 v[89:90], v[89:90], v[85:86], v[79:80]
	ds_read_b128 v[79:82], v78 offset:496
	s_clause 0x1
	buffer_load_dword v117, off, s[0:3], 0 offset:24
	buffer_load_dword v118, off, s[0:3], 0 offset:28
	ds_read_b128 v[83:86], v78 offset:512
	s_waitcnt vmcnt(26) lgkmcnt(1)
	v_fma_f64 v[79:80], v[95:96], v[79:80], v[89:90]
	s_waitcnt vmcnt(25)
	v_fma_f64 v[79:80], v[93:94], v[81:82], v[79:80]
	s_waitcnt vmcnt(24) lgkmcnt(0)
	v_fma_f64 v[79:80], v[91:92], v[83:84], v[79:80]
	s_waitcnt vmcnt(19)
	v_fma_f64 v[89:90], v[97:98], v[85:86], v[79:80]
	ds_read_b128 v[79:82], v78 offset:528
	ds_read_b128 v[83:86], v78 offset:544
	s_waitcnt vmcnt(18) lgkmcnt(1)
	v_fma_f64 v[79:80], v[107:108], v[79:80], v[89:90]
	s_waitcnt vmcnt(17)
	v_fma_f64 v[79:80], v[101:102], v[81:82], v[79:80]
	s_waitcnt vmcnt(16) lgkmcnt(0)
	v_fma_f64 v[79:80], v[99:100], v[83:84], v[79:80]
	s_waitcnt vmcnt(11)
	v_fma_f64 v[89:90], v[103:104], v[85:86], v[79:80]
	ds_read_b128 v[79:82], v78 offset:560
	;; [unrolled: 10-line block ×3, first 2 shown]
	s_waitcnt vmcnt(3) lgkmcnt(0)
	v_fma_f64 v[78:79], v[113:114], v[78:79], v[82:83]
	s_waitcnt vmcnt(2)
	v_fma_f64 v[78:79], v[111:112], v[80:81], v[78:79]
	s_waitcnt vmcnt(0)
	v_add_f64 v[78:79], v[117:118], -v[78:79]
	buffer_store_dword v79, off, s[0:3], 0 offset:28
	buffer_store_dword v78, off, s[0:3], 0 offset:24
	v_cmpx_lt_u32_e32 2, v0
	s_cbranch_execz .LBB37_233
; %bb.232:
	s_clause 0x1
	buffer_load_dword v78, off, s[0:3], 0 offset:16
	buffer_load_dword v79, off, s[0:3], 0 offset:20
	v_mov_b32_e32 v80, 0
	buffer_store_dword v80, off, s[0:3], 0 offset:16
	buffer_store_dword v80, off, s[0:3], 0 offset:20
	s_waitcnt vmcnt(0)
	ds_write_b64 v77, v[78:79]
.LBB37_233:
	s_or_b32 exec_lo, exec_lo, s4
	s_waitcnt lgkmcnt(0)
	s_waitcnt_vscnt null, 0x0
	s_barrier
	buffer_gl0_inv
	s_clause 0x1c
	buffer_load_dword v87, off, s[0:3], 0 offset:24
	buffer_load_dword v88, off, s[0:3], 0 offset:28
	;; [unrolled: 1-line block ×29, first 2 shown]
	v_mov_b32_e32 v78, 0
	buffer_load_dword v112, off, s[0:3], 0 offset:140
	s_mov_b32 s4, exec_lo
	ds_read2_b64 v[79:82], v78 offset0:41 offset1:42
	ds_read2_b64 v[83:86], v78 offset0:43 offset1:44
	s_waitcnt vmcnt(28) lgkmcnt(1)
	v_fma_f64 v[79:80], v[87:88], v[79:80], 0
	s_clause 0x7
	buffer_load_dword v88, off, s[0:3], 0 offset:148
	buffer_load_dword v117, off, s[0:3], 0 offset:168
	buffer_load_dword v119, off, s[0:3], 0 offset:160
	buffer_load_dword v121, off, s[0:3], 0 offset:152
	buffer_load_dword v87, off, s[0:3], 0 offset:144
	buffer_load_dword v122, off, s[0:3], 0 offset:156
	buffer_load_dword v120, off, s[0:3], 0 offset:164
	buffer_load_dword v118, off, s[0:3], 0 offset:172
	s_waitcnt vmcnt(34)
	v_fma_f64 v[79:80], v[89:90], v[81:82], v[79:80]
	s_waitcnt vmcnt(32) lgkmcnt(0)
	v_fma_f64 v[79:80], v[91:92], v[83:84], v[79:80]
	s_waitcnt vmcnt(30)
	v_fma_f64 v[89:90], v[93:94], v[85:86], v[79:80]
	ds_read2_b64 v[79:82], v78 offset0:45 offset1:46
	ds_read2_b64 v[83:86], v78 offset0:47 offset1:48
	s_waitcnt vmcnt(28) lgkmcnt(1)
	v_fma_f64 v[79:80], v[95:96], v[79:80], v[89:90]
	s_clause 0x7
	buffer_load_dword v90, off, s[0:3], 0 offset:180
	buffer_load_dword v91, off, s[0:3], 0 offset:200
	buffer_load_dword v93, off, s[0:3], 0 offset:192
	buffer_load_dword v95, off, s[0:3], 0 offset:184
	buffer_load_dword v89, off, s[0:3], 0 offset:176
	buffer_load_dword v96, off, s[0:3], 0 offset:188
	buffer_load_dword v94, off, s[0:3], 0 offset:196
	buffer_load_dword v92, off, s[0:3], 0 offset:204
	s_waitcnt vmcnt(34)
	v_fma_f64 v[79:80], v[97:98], v[81:82], v[79:80]
	s_waitcnt vmcnt(32) lgkmcnt(0)
	v_fma_f64 v[79:80], v[99:100], v[83:84], v[79:80]
	s_waitcnt vmcnt(27)
	v_fma_f64 v[97:98], v[101:102], v[85:86], v[79:80]
	ds_read2_b64 v[79:82], v78 offset0:49 offset1:50
	ds_read2_b64 v[83:86], v78 offset0:51 offset1:52
	s_waitcnt vmcnt(26) lgkmcnt(1)
	v_fma_f64 v[79:80], v[107:108], v[79:80], v[97:98]
	s_clause 0x7
	buffer_load_dword v98, off, s[0:3], 0 offset:212
	buffer_load_dword v99, off, s[0:3], 0 offset:232
	buffer_load_dword v101, off, s[0:3], 0 offset:224
	buffer_load_dword v107, off, s[0:3], 0 offset:216
	buffer_load_dword v97, off, s[0:3], 0 offset:208
	buffer_load_dword v108, off, s[0:3], 0 offset:220
	buffer_load_dword v102, off, s[0:3], 0 offset:228
	buffer_load_dword v100, off, s[0:3], 0 offset:236
	s_waitcnt vmcnt(33)
	v_fma_f64 v[79:80], v[105:106], v[81:82], v[79:80]
	s_waitcnt vmcnt(32) lgkmcnt(0)
	v_fma_f64 v[79:80], v[103:104], v[83:84], v[79:80]
	s_waitcnt vmcnt(27)
	v_fma_f64 v[103:104], v[109:110], v[85:86], v[79:80]
	ds_read2_b64 v[79:82], v78 offset0:53 offset1:54
	ds_read2_b64 v[83:86], v78 offset0:55 offset1:56
	s_waitcnt vmcnt(26) lgkmcnt(1)
	v_fma_f64 v[79:80], v[115:116], v[79:80], v[103:104]
	s_clause 0x7
	buffer_load_dword v104, off, s[0:3], 0 offset:244
	buffer_load_dword v105, off, s[0:3], 0 offset:264
	buffer_load_dword v109, off, s[0:3], 0 offset:256
	buffer_load_dword v115, off, s[0:3], 0 offset:248
	buffer_load_dword v103, off, s[0:3], 0 offset:240
	buffer_load_dword v116, off, s[0:3], 0 offset:252
	buffer_load_dword v110, off, s[0:3], 0 offset:260
	buffer_load_dword v106, off, s[0:3], 0 offset:268
	s_waitcnt vmcnt(33)
	v_fma_f64 v[79:80], v[113:114], v[81:82], v[79:80]
	s_waitcnt vmcnt(32) lgkmcnt(0)
	v_fma_f64 v[79:80], v[111:112], v[83:84], v[79:80]
	s_waitcnt vmcnt(27)
	v_fma_f64 v[87:88], v[87:88], v[85:86], v[79:80]
	ds_read2_b64 v[79:82], v78 offset0:57 offset1:58
	ds_read2_b64 v[83:86], v78 offset0:59 offset1:60
	s_waitcnt vmcnt(26) lgkmcnt(1)
	v_fma_f64 v[79:80], v[121:122], v[79:80], v[87:88]
	s_clause 0x7
	buffer_load_dword v88, off, s[0:3], 0 offset:276
	buffer_load_dword v111, off, s[0:3], 0 offset:296
	buffer_load_dword v113, off, s[0:3], 0 offset:288
	buffer_load_dword v121, off, s[0:3], 0 offset:280
	buffer_load_dword v87, off, s[0:3], 0 offset:272
	buffer_load_dword v122, off, s[0:3], 0 offset:284
	buffer_load_dword v114, off, s[0:3], 0 offset:292
	buffer_load_dword v112, off, s[0:3], 0 offset:300
	s_waitcnt vmcnt(33)
	v_fma_f64 v[79:80], v[119:120], v[81:82], v[79:80]
	s_waitcnt vmcnt(32) lgkmcnt(0)
	v_fma_f64 v[79:80], v[117:118], v[83:84], v[79:80]
	s_waitcnt vmcnt(27)
	v_fma_f64 v[89:90], v[89:90], v[85:86], v[79:80]
	ds_read2_b64 v[79:82], v78 offset0:61 offset1:62
	ds_read2_b64 v[83:86], v78 offset0:63 offset1:64
	s_waitcnt vmcnt(26) lgkmcnt(1)
	v_fma_f64 v[79:80], v[95:96], v[79:80], v[89:90]
	s_clause 0x1
	buffer_load_dword v89, off, s[0:3], 0 offset:16
	buffer_load_dword v90, off, s[0:3], 0 offset:20
	s_waitcnt vmcnt(27)
	v_fma_f64 v[79:80], v[93:94], v[81:82], v[79:80]
	s_waitcnt vmcnt(26) lgkmcnt(0)
	v_fma_f64 v[79:80], v[91:92], v[83:84], v[79:80]
	s_waitcnt vmcnt(21)
	v_fma_f64 v[91:92], v[97:98], v[85:86], v[79:80]
	ds_read2_b64 v[79:82], v78 offset0:65 offset1:66
	ds_read2_b64 v[83:86], v78 offset0:67 offset1:68
	s_waitcnt vmcnt(20) lgkmcnt(1)
	v_fma_f64 v[79:80], v[107:108], v[79:80], v[91:92]
	s_waitcnt vmcnt(19)
	v_fma_f64 v[79:80], v[101:102], v[81:82], v[79:80]
	s_waitcnt vmcnt(18) lgkmcnt(0)
	v_fma_f64 v[79:80], v[99:100], v[83:84], v[79:80]
	s_waitcnt vmcnt(13)
	v_fma_f64 v[91:92], v[103:104], v[85:86], v[79:80]
	ds_read2_b64 v[79:82], v78 offset0:69 offset1:70
	ds_read2_b64 v[83:86], v78 offset0:71 offset1:72
	s_waitcnt vmcnt(12) lgkmcnt(1)
	v_fma_f64 v[79:80], v[115:116], v[79:80], v[91:92]
	s_waitcnt vmcnt(11)
	v_fma_f64 v[79:80], v[109:110], v[81:82], v[79:80]
	s_waitcnt vmcnt(10) lgkmcnt(0)
	v_fma_f64 v[79:80], v[105:106], v[83:84], v[79:80]
	s_waitcnt vmcnt(5)
	v_fma_f64 v[83:84], v[87:88], v[85:86], v[79:80]
	ds_read2_b64 v[79:82], v78 offset0:73 offset1:74
	ds_read_b64 v[85:86], v78 offset:600
	s_waitcnt vmcnt(4) lgkmcnt(1)
	v_fma_f64 v[79:80], v[121:122], v[79:80], v[83:84]
	s_waitcnt vmcnt(3)
	v_fma_f64 v[79:80], v[113:114], v[81:82], v[79:80]
	s_waitcnt vmcnt(2) lgkmcnt(0)
	v_fma_f64 v[79:80], v[111:112], v[85:86], v[79:80]
	s_waitcnt vmcnt(0)
	v_add_f64 v[79:80], v[89:90], -v[79:80]
	buffer_store_dword v80, off, s[0:3], 0 offset:20
	buffer_store_dword v79, off, s[0:3], 0 offset:16
	v_cmpx_lt_u32_e32 1, v0
	s_cbranch_execz .LBB37_235
; %bb.234:
	s_clause 0x1
	buffer_load_dword v79, off, s[0:3], 0 offset:8
	buffer_load_dword v80, off, s[0:3], 0 offset:12
	buffer_store_dword v78, off, s[0:3], 0 offset:8
	buffer_store_dword v78, off, s[0:3], 0 offset:12
	s_waitcnt vmcnt(0)
	ds_write_b64 v77, v[79:80]
.LBB37_235:
	s_or_b32 exec_lo, exec_lo, s4
	s_waitcnt lgkmcnt(0)
	s_waitcnt_vscnt null, 0x0
	s_barrier
	buffer_gl0_inv
	s_clause 0x1c
	buffer_load_dword v87, off, s[0:3], 0 offset:16
	buffer_load_dword v88, off, s[0:3], 0 offset:20
	;; [unrolled: 1-line block ×29, first 2 shown]
	ds_read_b128 v[79:82], v78 offset:320
	ds_read_b128 v[83:86], v78 offset:336
	buffer_load_dword v112, off, s[0:3], 0 offset:132
	s_mov_b32 s4, exec_lo
	s_waitcnt vmcnt(28) lgkmcnt(1)
	v_fma_f64 v[79:80], v[87:88], v[79:80], 0
	s_clause 0x7
	buffer_load_dword v88, off, s[0:3], 0 offset:140
	buffer_load_dword v117, off, s[0:3], 0 offset:160
	buffer_load_dword v119, off, s[0:3], 0 offset:152
	buffer_load_dword v121, off, s[0:3], 0 offset:144
	buffer_load_dword v87, off, s[0:3], 0 offset:136
	buffer_load_dword v122, off, s[0:3], 0 offset:148
	buffer_load_dword v120, off, s[0:3], 0 offset:156
	buffer_load_dword v118, off, s[0:3], 0 offset:164
	s_waitcnt vmcnt(34)
	v_fma_f64 v[79:80], v[89:90], v[81:82], v[79:80]
	s_waitcnt vmcnt(32) lgkmcnt(0)
	v_fma_f64 v[79:80], v[91:92], v[83:84], v[79:80]
	s_waitcnt vmcnt(30)
	v_fma_f64 v[89:90], v[93:94], v[85:86], v[79:80]
	ds_read_b128 v[79:82], v78 offset:352
	ds_read_b128 v[83:86], v78 offset:368
	s_waitcnt vmcnt(28) lgkmcnt(1)
	v_fma_f64 v[79:80], v[95:96], v[79:80], v[89:90]
	s_clause 0x7
	buffer_load_dword v90, off, s[0:3], 0 offset:172
	buffer_load_dword v91, off, s[0:3], 0 offset:192
	buffer_load_dword v93, off, s[0:3], 0 offset:184
	buffer_load_dword v95, off, s[0:3], 0 offset:176
	buffer_load_dword v89, off, s[0:3], 0 offset:168
	buffer_load_dword v96, off, s[0:3], 0 offset:180
	buffer_load_dword v94, off, s[0:3], 0 offset:188
	buffer_load_dword v92, off, s[0:3], 0 offset:196
	s_waitcnt vmcnt(34)
	v_fma_f64 v[79:80], v[97:98], v[81:82], v[79:80]
	s_waitcnt vmcnt(32) lgkmcnt(0)
	v_fma_f64 v[79:80], v[99:100], v[83:84], v[79:80]
	s_waitcnt vmcnt(27)
	v_fma_f64 v[97:98], v[101:102], v[85:86], v[79:80]
	ds_read_b128 v[79:82], v78 offset:384
	ds_read_b128 v[83:86], v78 offset:400
	;; [unrolled: 19-line block ×5, first 2 shown]
	s_waitcnt vmcnt(26) lgkmcnt(1)
	v_fma_f64 v[79:80], v[95:96], v[79:80], v[89:90]
	s_clause 0x1
	buffer_load_dword v90, off, s[0:3], 0 offset:300
	buffer_load_dword v89, off, s[0:3], 0 offset:296
	s_waitcnt vmcnt(27)
	v_fma_f64 v[79:80], v[93:94], v[81:82], v[79:80]
	s_clause 0x1
	buffer_load_dword v93, off, s[0:3], 0 offset:8
	buffer_load_dword v94, off, s[0:3], 0 offset:12
	s_waitcnt vmcnt(28) lgkmcnt(0)
	v_fma_f64 v[79:80], v[91:92], v[83:84], v[79:80]
	s_waitcnt vmcnt(23)
	v_fma_f64 v[91:92], v[97:98], v[85:86], v[79:80]
	ds_read_b128 v[79:82], v78 offset:512
	ds_read_b128 v[83:86], v78 offset:528
	s_waitcnt vmcnt(22) lgkmcnt(1)
	v_fma_f64 v[79:80], v[107:108], v[79:80], v[91:92]
	s_waitcnt vmcnt(21)
	v_fma_f64 v[79:80], v[101:102], v[81:82], v[79:80]
	s_waitcnt vmcnt(20) lgkmcnt(0)
	v_fma_f64 v[79:80], v[99:100], v[83:84], v[79:80]
	s_waitcnt vmcnt(15)
	v_fma_f64 v[91:92], v[103:104], v[85:86], v[79:80]
	ds_read_b128 v[79:82], v78 offset:544
	ds_read_b128 v[83:86], v78 offset:560
	s_waitcnt vmcnt(14) lgkmcnt(1)
	v_fma_f64 v[79:80], v[115:116], v[79:80], v[91:92]
	s_waitcnt vmcnt(13)
	v_fma_f64 v[79:80], v[109:110], v[81:82], v[79:80]
	;; [unrolled: 10-line block ×3, first 2 shown]
	s_waitcnt vmcnt(4) lgkmcnt(0)
	v_fma_f64 v[78:79], v[111:112], v[83:84], v[78:79]
	s_waitcnt vmcnt(2)
	v_fma_f64 v[78:79], v[89:90], v[85:86], v[78:79]
	s_waitcnt vmcnt(0)
	v_add_f64 v[78:79], v[93:94], -v[78:79]
	buffer_store_dword v79, off, s[0:3], 0 offset:12
	buffer_store_dword v78, off, s[0:3], 0 offset:8
	v_cmpx_ne_u32_e32 0, v0
	s_cbranch_execz .LBB37_237
; %bb.236:
	s_clause 0x1
	buffer_load_dword v78, off, s[0:3], 0
	buffer_load_dword v79, off, s[0:3], 0 offset:4
	v_mov_b32_e32 v0, 0
	buffer_store_dword v0, off, s[0:3], 0
	buffer_store_dword v0, off, s[0:3], 0 offset:4
	s_waitcnt vmcnt(0)
	ds_write_b64 v77, v[78:79]
.LBB37_237:
	s_or_b32 exec_lo, exec_lo, s4
	s_waitcnt lgkmcnt(0)
	s_waitcnt_vscnt null, 0x0
	s_barrier
	buffer_gl0_inv
	s_clause 0x1c
	buffer_load_dword v85, off, s[0:3], 0 offset:8
	buffer_load_dword v86, off, s[0:3], 0 offset:12
	;; [unrolled: 1-line block ×29, first 2 shown]
	v_mov_b32_e32 v0, 0
	buffer_load_dword v110, off, s[0:3], 0 offset:124
	s_and_b32 vcc_lo, exec_lo, s22
	ds_read2_b64 v[77:80], v0 offset0:39 offset1:40
	ds_read2_b64 v[81:84], v0 offset0:41 offset1:42
	s_waitcnt vmcnt(28) lgkmcnt(1)
	v_fma_f64 v[77:78], v[85:86], v[77:78], 0
	s_clause 0x7
	buffer_load_dword v86, off, s[0:3], 0 offset:132
	buffer_load_dword v115, off, s[0:3], 0 offset:152
	buffer_load_dword v117, off, s[0:3], 0 offset:144
	buffer_load_dword v119, off, s[0:3], 0 offset:136
	buffer_load_dword v85, off, s[0:3], 0 offset:128
	buffer_load_dword v120, off, s[0:3], 0 offset:140
	buffer_load_dword v118, off, s[0:3], 0 offset:148
	buffer_load_dword v116, off, s[0:3], 0 offset:156
	s_waitcnt vmcnt(34)
	v_fma_f64 v[77:78], v[87:88], v[79:80], v[77:78]
	s_waitcnt vmcnt(32) lgkmcnt(0)
	v_fma_f64 v[77:78], v[89:90], v[81:82], v[77:78]
	s_waitcnt vmcnt(30)
	v_fma_f64 v[87:88], v[91:92], v[83:84], v[77:78]
	ds_read2_b64 v[77:80], v0 offset0:43 offset1:44
	ds_read2_b64 v[81:84], v0 offset0:45 offset1:46
	s_waitcnt vmcnt(28) lgkmcnt(1)
	v_fma_f64 v[77:78], v[93:94], v[77:78], v[87:88]
	s_clause 0x7
	buffer_load_dword v88, off, s[0:3], 0 offset:164
	buffer_load_dword v89, off, s[0:3], 0 offset:184
	buffer_load_dword v91, off, s[0:3], 0 offset:176
	buffer_load_dword v93, off, s[0:3], 0 offset:168
	buffer_load_dword v87, off, s[0:3], 0 offset:160
	buffer_load_dword v94, off, s[0:3], 0 offset:172
	buffer_load_dword v92, off, s[0:3], 0 offset:180
	buffer_load_dword v90, off, s[0:3], 0 offset:188
	s_waitcnt vmcnt(34)
	v_fma_f64 v[77:78], v[95:96], v[79:80], v[77:78]
	s_waitcnt vmcnt(32) lgkmcnt(0)
	v_fma_f64 v[77:78], v[97:98], v[81:82], v[77:78]
	s_waitcnt vmcnt(27)
	v_fma_f64 v[95:96], v[99:100], v[83:84], v[77:78]
	;; [unrolled: 19-line block ×5, first 2 shown]
	ds_read2_b64 v[77:80], v0 offset0:59 offset1:60
	ds_read2_b64 v[81:84], v0 offset0:61 offset1:62
	s_waitcnt vmcnt(26) lgkmcnt(1)
	v_fma_f64 v[85:86], v[93:94], v[77:78], v[85:86]
	s_clause 0x3
	buffer_load_dword v78, off, s[0:3], 0 offset:292
	buffer_load_dword v87, off, s[0:3], 0 offset:296
	;; [unrolled: 1-line block ×4, first 2 shown]
	s_waitcnt vmcnt(29)
	v_fma_f64 v[79:80], v[91:92], v[79:80], v[85:86]
	s_waitcnt vmcnt(28) lgkmcnt(0)
	v_fma_f64 v[79:80], v[89:90], v[81:82], v[79:80]
	s_clause 0x1
	buffer_load_dword v89, off, s[0:3], 0
	buffer_load_dword v90, off, s[0:3], 0 offset:4
	s_waitcnt vmcnt(25)
	v_fma_f64 v[91:92], v[95:96], v[83:84], v[79:80]
	ds_read2_b64 v[79:82], v0 offset0:63 offset1:64
	ds_read2_b64 v[83:86], v0 offset0:65 offset1:66
	s_waitcnt vmcnt(24) lgkmcnt(1)
	v_fma_f64 v[79:80], v[105:106], v[79:80], v[91:92]
	s_waitcnt vmcnt(23)
	v_fma_f64 v[79:80], v[99:100], v[81:82], v[79:80]
	s_waitcnt vmcnt(22) lgkmcnt(0)
	v_fma_f64 v[79:80], v[97:98], v[83:84], v[79:80]
	s_waitcnt vmcnt(17)
	v_fma_f64 v[91:92], v[101:102], v[85:86], v[79:80]
	ds_read2_b64 v[79:82], v0 offset0:67 offset1:68
	ds_read2_b64 v[83:86], v0 offset0:69 offset1:70
	s_waitcnt vmcnt(16) lgkmcnt(1)
	v_fma_f64 v[79:80], v[113:114], v[79:80], v[91:92]
	s_waitcnt vmcnt(15)
	v_fma_f64 v[79:80], v[107:108], v[81:82], v[79:80]
	s_waitcnt vmcnt(14) lgkmcnt(0)
	v_fma_f64 v[79:80], v[103:104], v[83:84], v[79:80]
	s_waitcnt vmcnt(9)
	v_fma_f64 v[91:92], v[109:110], v[85:86], v[79:80]
	ds_read2_b64 v[79:82], v0 offset0:71 offset1:72
	ds_read2_b64 v[83:86], v0 offset0:73 offset1:74
	s_waitcnt vmcnt(8) lgkmcnt(1)
	v_fma_f64 v[79:80], v[121:122], v[79:80], v[91:92]
	s_waitcnt vmcnt(7)
	v_fma_f64 v[79:80], v[119:120], v[81:82], v[79:80]
	ds_read_b64 v[81:82], v0 offset:600
	s_waitcnt vmcnt(6) lgkmcnt(1)
	v_fma_f64 v[79:80], v[111:112], v[83:84], v[79:80]
	s_waitcnt vmcnt(3)
	v_fma_f64 v[79:80], v[77:78], v[85:86], v[79:80]
	s_waitcnt vmcnt(2) lgkmcnt(0)
	v_fma_f64 v[79:80], v[87:88], v[81:82], v[79:80]
	s_waitcnt vmcnt(0)
	v_add_f64 v[79:80], v[89:90], -v[79:80]
	buffer_store_dword v80, off, s[0:3], 0 offset:4
	buffer_store_dword v79, off, s[0:3], 0
	s_cbranch_vccz .LBB37_312
; %bb.238:
	global_load_dword v0, v0, s[20:21] offset:144
	s_waitcnt vmcnt(0)
	v_add_nc_u32_e32 v0, -1, v0
	v_cmp_ne_u32_e32 vcc_lo, 36, v0
	s_cbranch_vccz .LBB37_240
; %bb.239:
	v_lshlrev_b32_e32 v0, 3, v0
	s_clause 0x1
	buffer_load_dword v79, v0, s[0:3], 0 offen offset:4
	buffer_load_dword v80, v0, s[0:3], 0 offen
	s_waitcnt vmcnt(1)
	buffer_store_dword v79, off, s[0:3], 0 offset:292
	s_waitcnt vmcnt(0)
	buffer_store_dword v80, off, s[0:3], 0 offset:288
	buffer_store_dword v78, v0, s[0:3], 0 offen offset:4
	buffer_store_dword v77, v0, s[0:3], 0 offen
.LBB37_240:
	v_mov_b32_e32 v0, 0
	global_load_dword v77, v0, s[20:21] offset:140
	s_waitcnt vmcnt(0)
	v_add_nc_u32_e32 v77, -1, v77
	v_cmp_eq_u32_e32 vcc_lo, 35, v77
	s_cbranch_vccnz .LBB37_242
; %bb.241:
	v_lshlrev_b32_e32 v77, 3, v77
	s_clause 0x3
	buffer_load_dword v78, v77, s[0:3], 0 offen
	buffer_load_dword v79, v77, s[0:3], 0 offen offset:4
	buffer_load_dword v80, off, s[0:3], 0 offset:280
	buffer_load_dword v81, off, s[0:3], 0 offset:284
	s_waitcnt vmcnt(3)
	buffer_store_dword v78, off, s[0:3], 0 offset:280
	s_waitcnt vmcnt(2)
	buffer_store_dword v79, off, s[0:3], 0 offset:284
	s_waitcnt vmcnt(1)
	buffer_store_dword v80, v77, s[0:3], 0 offen
	s_waitcnt vmcnt(0)
	buffer_store_dword v81, v77, s[0:3], 0 offen offset:4
.LBB37_242:
	global_load_dword v0, v0, s[20:21] offset:136
	s_waitcnt vmcnt(0)
	v_add_nc_u32_e32 v0, -1, v0
	v_cmp_eq_u32_e32 vcc_lo, 34, v0
	s_cbranch_vccnz .LBB37_244
; %bb.243:
	v_lshlrev_b32_e32 v0, 3, v0
	s_clause 0x3
	buffer_load_dword v77, v0, s[0:3], 0 offen
	buffer_load_dword v78, v0, s[0:3], 0 offen offset:4
	buffer_load_dword v79, off, s[0:3], 0 offset:276
	buffer_load_dword v80, off, s[0:3], 0 offset:272
	s_waitcnt vmcnt(3)
	buffer_store_dword v77, off, s[0:3], 0 offset:272
	s_waitcnt vmcnt(2)
	buffer_store_dword v78, off, s[0:3], 0 offset:276
	s_waitcnt vmcnt(1)
	buffer_store_dword v79, v0, s[0:3], 0 offen offset:4
	s_waitcnt vmcnt(0)
	buffer_store_dword v80, v0, s[0:3], 0 offen
.LBB37_244:
	v_mov_b32_e32 v0, 0
	global_load_dword v77, v0, s[20:21] offset:132
	s_waitcnt vmcnt(0)
	v_add_nc_u32_e32 v77, -1, v77
	v_cmp_eq_u32_e32 vcc_lo, 33, v77
	s_cbranch_vccnz .LBB37_246
; %bb.245:
	v_lshlrev_b32_e32 v77, 3, v77
	s_clause 0x3
	buffer_load_dword v78, v77, s[0:3], 0 offen
	buffer_load_dword v79, v77, s[0:3], 0 offen offset:4
	buffer_load_dword v80, off, s[0:3], 0 offset:264
	buffer_load_dword v81, off, s[0:3], 0 offset:268
	s_waitcnt vmcnt(3)
	buffer_store_dword v78, off, s[0:3], 0 offset:264
	s_waitcnt vmcnt(2)
	buffer_store_dword v79, off, s[0:3], 0 offset:268
	s_waitcnt vmcnt(1)
	buffer_store_dword v80, v77, s[0:3], 0 offen
	s_waitcnt vmcnt(0)
	buffer_store_dword v81, v77, s[0:3], 0 offen offset:4
.LBB37_246:
	global_load_dword v0, v0, s[20:21] offset:128
	s_waitcnt vmcnt(0)
	v_add_nc_u32_e32 v0, -1, v0
	v_cmp_eq_u32_e32 vcc_lo, 32, v0
	s_cbranch_vccnz .LBB37_248
; %bb.247:
	v_lshlrev_b32_e32 v0, 3, v0
	s_clause 0x3
	buffer_load_dword v77, v0, s[0:3], 0 offen
	buffer_load_dword v78, v0, s[0:3], 0 offen offset:4
	buffer_load_dword v79, off, s[0:3], 0 offset:260
	buffer_load_dword v80, off, s[0:3], 0 offset:256
	s_waitcnt vmcnt(3)
	buffer_store_dword v77, off, s[0:3], 0 offset:256
	s_waitcnt vmcnt(2)
	buffer_store_dword v78, off, s[0:3], 0 offset:260
	s_waitcnt vmcnt(1)
	buffer_store_dword v79, v0, s[0:3], 0 offen offset:4
	s_waitcnt vmcnt(0)
	buffer_store_dword v80, v0, s[0:3], 0 offen
.LBB37_248:
	;; [unrolled: 43-line block ×17, first 2 shown]
	v_mov_b32_e32 v0, 0
	global_load_dword v77, v0, s[20:21] offset:4
	s_waitcnt vmcnt(0)
	v_add_nc_u32_e32 v77, -1, v77
	v_cmp_eq_u32_e32 vcc_lo, 1, v77
	s_cbranch_vccnz .LBB37_310
; %bb.309:
	v_lshlrev_b32_e32 v77, 3, v77
	s_clause 0x3
	buffer_load_dword v78, v77, s[0:3], 0 offen
	buffer_load_dword v79, v77, s[0:3], 0 offen offset:4
	buffer_load_dword v80, off, s[0:3], 0 offset:8
	buffer_load_dword v81, off, s[0:3], 0 offset:12
	s_waitcnt vmcnt(3)
	buffer_store_dword v78, off, s[0:3], 0 offset:8
	s_waitcnt vmcnt(2)
	buffer_store_dword v79, off, s[0:3], 0 offset:12
	s_waitcnt vmcnt(1)
	buffer_store_dword v80, v77, s[0:3], 0 offen
	s_waitcnt vmcnt(0)
	buffer_store_dword v81, v77, s[0:3], 0 offen offset:4
.LBB37_310:
	global_load_dword v0, v0, s[20:21]
	s_clause 0x1
	buffer_load_dword v79, off, s[0:3], 0
	buffer_load_dword v80, off, s[0:3], 0 offset:4
	s_waitcnt vmcnt(2)
	v_add_nc_u32_e32 v0, -1, v0
	v_cmp_eq_u32_e32 vcc_lo, 0, v0
	s_cbranch_vccnz .LBB37_312
; %bb.311:
	v_lshlrev_b32_e32 v0, 3, v0
	s_clause 0x1
	buffer_load_dword v77, v0, s[0:3], 0 offen offset:4
	buffer_load_dword v78, v0, s[0:3], 0 offen
	s_waitcnt vmcnt(1)
	buffer_store_dword v77, off, s[0:3], 0 offset:4
	s_waitcnt vmcnt(0)
	buffer_store_dword v78, off, s[0:3], 0
	buffer_store_dword v80, v0, s[0:3], 0 offen offset:4
	buffer_store_dword v79, v0, s[0:3], 0 offen
	s_clause 0x1
	buffer_load_dword v79, off, s[0:3], 0
	buffer_load_dword v80, off, s[0:3], 0 offset:4
.LBB37_312:
	s_clause 0xb
	buffer_load_dword v77, off, s[0:3], 0 offset:8
	buffer_load_dword v78, off, s[0:3], 0 offset:12
	;; [unrolled: 1-line block ×12, first 2 shown]
	s_waitcnt vmcnt(12)
	global_store_dwordx2 v[75:76], v[79:80], off
	s_clause 0x23
	buffer_load_dword v75, off, s[0:3], 0 offset:56
	buffer_load_dword v76, off, s[0:3], 0 offset:60
	;; [unrolled: 1-line block ×36, first 2 shown]
	s_waitcnt vmcnt(46)
	global_store_dwordx2 v[33:34], v[77:78], off
	s_waitcnt vmcnt(44)
	global_store_dwordx2 v[3:4], v[81:82], off
	s_clause 0x7
	buffer_load_dword v3, off, s[0:3], 0 offset:200
	buffer_load_dword v4, off, s[0:3], 0 offset:204
	buffer_load_dword v33, off, s[0:3], 0 offset:208
	buffer_load_dword v34, off, s[0:3], 0 offset:212
	buffer_load_dword v77, off, s[0:3], 0 offset:216
	buffer_load_dword v78, off, s[0:3], 0 offset:220
	buffer_load_dword v81, off, s[0:3], 0 offset:224
	buffer_load_dword v82, off, s[0:3], 0 offset:228
	s_waitcnt vmcnt(50)
	global_store_dwordx2 v[1:2], v[83:84], off
	s_waitcnt vmcnt(48)
	global_store_dwordx2 v[9:10], v[85:86], off
	s_clause 0x7
	buffer_load_dword v0, off, s[0:3], 0 offset:232
	buffer_load_dword v1, off, s[0:3], 0 offset:236
	buffer_load_dword v9, off, s[0:3], 0 offset:240
	buffer_load_dword v10, off, s[0:3], 0 offset:244
	buffer_load_dword v83, off, s[0:3], 0 offset:248
	buffer_load_dword v84, off, s[0:3], 0 offset:252
	buffer_load_dword v85, off, s[0:3], 0 offset:256
	buffer_load_dword v86, off, s[0:3], 0 offset:260
	;; [unrolled: 13-line block ×3, first 2 shown]
	buffer_load_dword v123, off, s[0:3], 0 offset:296
	buffer_load_dword v124, off, s[0:3], 0 offset:300
	s_waitcnt vmcnt(60)
	global_store_dwordx2 v[7:8], v[75:76], off
	s_waitcnt vmcnt(58)
	global_store_dwordx2 v[13:14], v[79:80], off
	;; [unrolled: 2-line block ×31, first 2 shown]
	s_endpgm
	.section	.rodata,"a",@progbits
	.p2align	6, 0x0
	.amdhsa_kernel _ZN9rocsolver6v33100L18getri_kernel_smallILi38EdPdEEvT1_iilPiilS4_bb
		.amdhsa_group_segment_fixed_size 616
		.amdhsa_private_segment_fixed_size 320
		.amdhsa_kernarg_size 60
		.amdhsa_user_sgpr_count 6
		.amdhsa_user_sgpr_private_segment_buffer 1
		.amdhsa_user_sgpr_dispatch_ptr 0
		.amdhsa_user_sgpr_queue_ptr 0
		.amdhsa_user_sgpr_kernarg_segment_ptr 1
		.amdhsa_user_sgpr_dispatch_id 0
		.amdhsa_user_sgpr_flat_scratch_init 0
		.amdhsa_user_sgpr_private_segment_size 0
		.amdhsa_wavefront_size32 1
		.amdhsa_uses_dynamic_stack 0
		.amdhsa_system_sgpr_private_segment_wavefront_offset 1
		.amdhsa_system_sgpr_workgroup_id_x 1
		.amdhsa_system_sgpr_workgroup_id_y 0
		.amdhsa_system_sgpr_workgroup_id_z 0
		.amdhsa_system_sgpr_workgroup_info 0
		.amdhsa_system_vgpr_workitem_id 0
		.amdhsa_next_free_vgpr 125
		.amdhsa_next_free_sgpr 23
		.amdhsa_reserve_vcc 1
		.amdhsa_reserve_flat_scratch 0
		.amdhsa_float_round_mode_32 0
		.amdhsa_float_round_mode_16_64 0
		.amdhsa_float_denorm_mode_32 3
		.amdhsa_float_denorm_mode_16_64 3
		.amdhsa_dx10_clamp 1
		.amdhsa_ieee_mode 1
		.amdhsa_fp16_overflow 0
		.amdhsa_workgroup_processor_mode 1
		.amdhsa_memory_ordered 1
		.amdhsa_forward_progress 1
		.amdhsa_shared_vgpr_count 0
		.amdhsa_exception_fp_ieee_invalid_op 0
		.amdhsa_exception_fp_denorm_src 0
		.amdhsa_exception_fp_ieee_div_zero 0
		.amdhsa_exception_fp_ieee_overflow 0
		.amdhsa_exception_fp_ieee_underflow 0
		.amdhsa_exception_fp_ieee_inexact 0
		.amdhsa_exception_int_div_zero 0
	.end_amdhsa_kernel
	.section	.text._ZN9rocsolver6v33100L18getri_kernel_smallILi38EdPdEEvT1_iilPiilS4_bb,"axG",@progbits,_ZN9rocsolver6v33100L18getri_kernel_smallILi38EdPdEEvT1_iilPiilS4_bb,comdat
.Lfunc_end37:
	.size	_ZN9rocsolver6v33100L18getri_kernel_smallILi38EdPdEEvT1_iilPiilS4_bb, .Lfunc_end37-_ZN9rocsolver6v33100L18getri_kernel_smallILi38EdPdEEvT1_iilPiilS4_bb
                                        ; -- End function
	.set _ZN9rocsolver6v33100L18getri_kernel_smallILi38EdPdEEvT1_iilPiilS4_bb.num_vgpr, 125
	.set _ZN9rocsolver6v33100L18getri_kernel_smallILi38EdPdEEvT1_iilPiilS4_bb.num_agpr, 0
	.set _ZN9rocsolver6v33100L18getri_kernel_smallILi38EdPdEEvT1_iilPiilS4_bb.numbered_sgpr, 23
	.set _ZN9rocsolver6v33100L18getri_kernel_smallILi38EdPdEEvT1_iilPiilS4_bb.num_named_barrier, 0
	.set _ZN9rocsolver6v33100L18getri_kernel_smallILi38EdPdEEvT1_iilPiilS4_bb.private_seg_size, 320
	.set _ZN9rocsolver6v33100L18getri_kernel_smallILi38EdPdEEvT1_iilPiilS4_bb.uses_vcc, 1
	.set _ZN9rocsolver6v33100L18getri_kernel_smallILi38EdPdEEvT1_iilPiilS4_bb.uses_flat_scratch, 0
	.set _ZN9rocsolver6v33100L18getri_kernel_smallILi38EdPdEEvT1_iilPiilS4_bb.has_dyn_sized_stack, 0
	.set _ZN9rocsolver6v33100L18getri_kernel_smallILi38EdPdEEvT1_iilPiilS4_bb.has_recursion, 0
	.set _ZN9rocsolver6v33100L18getri_kernel_smallILi38EdPdEEvT1_iilPiilS4_bb.has_indirect_call, 0
	.section	.AMDGPU.csdata,"",@progbits
; Kernel info:
; codeLenInByte = 44320
; TotalNumSgprs: 25
; NumVgprs: 125
; ScratchSize: 320
; MemoryBound: 1
; FloatMode: 240
; IeeeMode: 1
; LDSByteSize: 616 bytes/workgroup (compile time only)
; SGPRBlocks: 0
; VGPRBlocks: 15
; NumSGPRsForWavesPerEU: 25
; NumVGPRsForWavesPerEU: 125
; Occupancy: 8
; WaveLimiterHint : 1
; COMPUTE_PGM_RSRC2:SCRATCH_EN: 1
; COMPUTE_PGM_RSRC2:USER_SGPR: 6
; COMPUTE_PGM_RSRC2:TRAP_HANDLER: 0
; COMPUTE_PGM_RSRC2:TGID_X_EN: 1
; COMPUTE_PGM_RSRC2:TGID_Y_EN: 0
; COMPUTE_PGM_RSRC2:TGID_Z_EN: 0
; COMPUTE_PGM_RSRC2:TIDIG_COMP_CNT: 0
	.section	.text._ZN9rocsolver6v33100L18getri_kernel_smallILi39EdPdEEvT1_iilPiilS4_bb,"axG",@progbits,_ZN9rocsolver6v33100L18getri_kernel_smallILi39EdPdEEvT1_iilPiilS4_bb,comdat
	.globl	_ZN9rocsolver6v33100L18getri_kernel_smallILi39EdPdEEvT1_iilPiilS4_bb ; -- Begin function _ZN9rocsolver6v33100L18getri_kernel_smallILi39EdPdEEvT1_iilPiilS4_bb
	.p2align	8
	.type	_ZN9rocsolver6v33100L18getri_kernel_smallILi39EdPdEEvT1_iilPiilS4_bb,@function
_ZN9rocsolver6v33100L18getri_kernel_smallILi39EdPdEEvT1_iilPiilS4_bb: ; @_ZN9rocsolver6v33100L18getri_kernel_smallILi39EdPdEEvT1_iilPiilS4_bb
; %bb.0:
	s_add_u32 s0, s0, s7
	s_addc_u32 s1, s1, 0
	s_mov_b32 s7, exec_lo
	v_cmpx_gt_u32_e32 39, v0
	s_cbranch_execz .LBB38_166
; %bb.1:
	s_clause 0x2
	s_load_dword s7, s[4:5], 0x38
	s_load_dwordx4 s[16:19], s[4:5], 0x10
	s_load_dwordx4 s[8:11], s[4:5], 0x28
                                        ; implicit-def: $sgpr20_sgpr21
	s_waitcnt lgkmcnt(0)
	s_bitcmp1_b32 s7, 8
	s_cselect_b32 s22, -1, 0
	s_bfe_u32 s12, s7, 0x10008
	s_ashr_i32 s7, s6, 31
	s_cmp_eq_u32 s12, 0
	s_cbranch_scc1 .LBB38_3
; %bb.2:
	s_load_dword s12, s[4:5], 0x20
	s_mul_i32 s13, s8, s7
	s_mul_hi_u32 s14, s8, s6
	s_mul_i32 s9, s9, s6
	s_add_i32 s13, s14, s13
	s_mul_i32 s8, s8, s6
	s_add_i32 s9, s13, s9
	s_lshl_b64 s[8:9], s[8:9], 2
	s_waitcnt lgkmcnt(0)
	s_ashr_i32 s13, s12, 31
	s_add_u32 s14, s18, s8
	s_addc_u32 s15, s19, s9
	s_lshl_b64 s[8:9], s[12:13], 2
	s_add_u32 s20, s14, s8
	s_addc_u32 s21, s15, s9
.LBB38_3:
	s_clause 0x1
	s_load_dwordx4 s[12:15], s[4:5], 0x0
	s_load_dword s8, s[4:5], 0x38
	s_mul_i32 s4, s16, s7
	s_mul_hi_u32 s5, s16, s6
	s_mul_i32 s9, s17, s6
	s_add_i32 s5, s5, s4
	s_mul_i32 s4, s16, s6
	s_add_i32 s5, s5, s9
	v_lshlrev_b32_e32 v81, 3, v0
	s_lshl_b64 s[4:5], s[4:5], 3
	s_waitcnt lgkmcnt(0)
	v_add3_u32 v1, s15, s15, v0
	s_ashr_i32 s17, s14, 31
	s_mov_b32 s16, s14
	s_add_u32 s9, s12, s4
	s_addc_u32 s12, s13, s5
	v_add_nc_u32_e32 v3, s15, v1
	v_ashrrev_i32_e32 v2, 31, v1
	s_lshl_b64 s[4:5], s[16:17], 3
	s_add_u32 s4, s9, s4
	v_add_nc_u32_e32 v5, s15, v3
	v_ashrrev_i32_e32 v4, 31, v3
	v_lshlrev_b64 v[1:2], 3, v[1:2]
	s_addc_u32 s5, s12, s5
	v_add_co_u32 v77, s9, s4, v81
	v_add_nc_u32_e32 v9, s15, v5
	v_ashrrev_i32_e32 v6, 31, v5
	v_lshlrev_b64 v[7:8], 3, v[3:4]
	v_add_co_u32 v3, vcc_lo, s4, v1
	v_add_nc_u32_e32 v11, s15, v9
	v_ashrrev_i32_e32 v10, 31, v9
	v_lshlrev_b64 v[5:6], 3, v[5:6]
	v_add_co_ci_u32_e64 v4, null, s5, v2, vcc_lo
	v_add_nc_u32_e32 v13, s15, v11
	v_ashrrev_i32_e32 v12, 31, v11
	v_lshlrev_b64 v[9:10], 3, v[9:10]
	v_add_co_u32 v1, vcc_lo, s4, v7
	v_add_nc_u32_e32 v15, s15, v13
	v_lshlrev_b64 v[11:12], 3, v[11:12]
	v_ashrrev_i32_e32 v14, 31, v13
	v_add_co_ci_u32_e64 v2, null, s5, v8, vcc_lo
	v_add_co_u32 v7, vcc_lo, s4, v5
	v_ashrrev_i32_e32 v16, 31, v15
	v_add_nc_u32_e32 v17, s15, v15
	v_add_co_ci_u32_e64 v8, null, s5, v6, vcc_lo
	v_add_co_u32 v5, vcc_lo, s4, v9
	v_add_co_ci_u32_e64 v6, null, s5, v10, vcc_lo
	v_lshlrev_b64 v[9:10], 3, v[13:14]
	v_add_co_u32 v13, vcc_lo, s4, v11
	v_add_co_ci_u32_e64 v14, null, s5, v12, vcc_lo
	v_lshlrev_b64 v[11:12], 3, v[15:16]
	v_add_nc_u32_e32 v15, s15, v17
	v_ashrrev_i32_e32 v18, 31, v17
	v_add_co_u32 v9, vcc_lo, s4, v9
	v_add_co_ci_u32_e64 v10, null, s5, v10, vcc_lo
	v_add_nc_u32_e32 v19, s15, v15
	v_ashrrev_i32_e32 v16, 31, v15
	v_lshlrev_b64 v[17:18], 3, v[17:18]
	v_add_co_u32 v11, vcc_lo, s4, v11
	v_add_nc_u32_e32 v23, s15, v19
	v_lshlrev_b64 v[21:22], 3, v[15:16]
	v_add_co_ci_u32_e64 v12, null, s5, v12, vcc_lo
	v_add_co_u32 v15, vcc_lo, s4, v17
	v_ashrrev_i32_e32 v24, 31, v23
	v_add_nc_u32_e32 v25, s15, v23
	v_add_co_ci_u32_e64 v16, null, s5, v18, vcc_lo
	v_add_co_u32 v17, vcc_lo, s4, v21
	v_ashrrev_i32_e32 v20, 31, v19
	v_add_co_ci_u32_e64 v18, null, s5, v22, vcc_lo
	v_lshlrev_b64 v[21:22], 3, v[23:24]
	v_add_nc_u32_e32 v23, s15, v25
	v_ashrrev_i32_e32 v26, 31, v25
	v_lshlrev_b64 v[19:20], 3, v[19:20]
	s_mov_b32 s12, s15
	s_ashr_i32 s13, s15, 31
	v_add_co_ci_u32_e64 v78, null, s5, 0, s9
	v_ashrrev_i32_e32 v24, 31, v23
	s_lshl_b64 s[12:13], s[12:13], 3
	v_lshlrev_b64 v[25:26], 3, v[25:26]
	v_add_co_u32 v39, vcc_lo, v77, s12
	v_add_co_ci_u32_e64 v40, null, s13, v78, vcc_lo
	v_add_co_u32 v19, vcc_lo, s4, v19
	v_lshlrev_b64 v[29:30], 3, v[23:24]
	v_add_co_ci_u32_e64 v20, null, s5, v20, vcc_lo
	v_add_co_u32 v21, vcc_lo, s4, v21
	v_add_nc_u32_e32 v27, s15, v23
	v_add_co_ci_u32_e64 v22, null, s5, v22, vcc_lo
	v_add_co_u32 v23, vcc_lo, s4, v25
	v_add_co_ci_u32_e64 v24, null, s5, v26, vcc_lo
	v_add_co_u32 v25, vcc_lo, s4, v29
	s_clause 0x3
	global_load_dwordx2 v[79:80], v81, s[4:5]
	global_load_dwordx2 v[84:85], v[3:4], off
	global_load_dwordx2 v[90:91], v[5:6], off
	;; [unrolled: 1-line block ×3, first 2 shown]
	v_add_co_ci_u32_e64 v26, null, s5, v30, vcc_lo
	s_clause 0xa
	global_load_dwordx2 v[82:83], v[39:40], off
	global_load_dwordx2 v[88:89], v[7:8], off
	;; [unrolled: 1-line block ×11, first 2 shown]
	v_add_nc_u32_e32 v31, s15, v27
	v_ashrrev_i32_e32 v28, 31, v27
	s_bitcmp0_b32 s8, 0
	v_ashrrev_i32_e32 v32, 31, v31
	v_lshlrev_b64 v[27:28], 3, v[27:28]
	v_lshlrev_b64 v[29:30], 3, v[31:32]
	v_add_nc_u32_e32 v31, s15, v31
	v_add_co_u32 v27, vcc_lo, s4, v27
	v_add_co_ci_u32_e64 v28, null, s5, v28, vcc_lo
	v_add_co_u32 v29, vcc_lo, s4, v29
	v_add_co_ci_u32_e64 v30, null, s5, v30, vcc_lo
	s_clause 0x1
	global_load_dwordx2 v[110:111], v[27:28], off
	global_load_dwordx2 v[112:113], v[29:30], off
	v_add_nc_u32_e32 v33, s15, v31
	v_ashrrev_i32_e32 v32, 31, v31
	v_add_nc_u32_e32 v35, s15, v33
	v_ashrrev_i32_e32 v34, 31, v33
	v_lshlrev_b64 v[31:32], 3, v[31:32]
	v_add_nc_u32_e32 v37, s15, v35
	v_ashrrev_i32_e32 v36, 31, v35
	v_lshlrev_b64 v[33:34], 3, v[33:34]
	v_add_co_u32 v31, vcc_lo, s4, v31
	v_add_nc_u32_e32 v41, s15, v37
	v_ashrrev_i32_e32 v38, 31, v37
	v_lshlrev_b64 v[35:36], 3, v[35:36]
	v_add_co_ci_u32_e64 v32, null, s5, v32, vcc_lo
	v_add_nc_u32_e32 v43, s15, v41
	v_ashrrev_i32_e32 v42, 31, v41
	v_lshlrev_b64 v[37:38], 3, v[37:38]
	v_add_co_u32 v33, vcc_lo, s4, v33
	v_add_nc_u32_e32 v45, s15, v43
	v_ashrrev_i32_e32 v44, 31, v43
	v_lshlrev_b64 v[41:42], 3, v[41:42]
	v_add_co_ci_u32_e64 v34, null, s5, v34, vcc_lo
	v_add_nc_u32_e32 v47, s15, v45
	v_ashrrev_i32_e32 v46, 31, v45
	v_add_co_u32 v35, vcc_lo, s4, v35
	v_lshlrev_b64 v[43:44], 3, v[43:44]
	v_add_nc_u32_e32 v49, s15, v47
	v_ashrrev_i32_e32 v48, 31, v47
	v_add_co_ci_u32_e64 v36, null, s5, v36, vcc_lo
	v_add_co_u32 v37, vcc_lo, s4, v37
	v_add_nc_u32_e32 v51, s15, v49
	v_ashrrev_i32_e32 v50, 31, v49
	v_lshlrev_b64 v[45:46], 3, v[45:46]
	v_add_co_ci_u32_e64 v38, null, s5, v38, vcc_lo
	v_add_nc_u32_e32 v53, s15, v51
	v_ashrrev_i32_e32 v52, 31, v51
	v_add_co_u32 v41, vcc_lo, s4, v41
	v_lshlrev_b64 v[47:48], 3, v[47:48]
	v_add_nc_u32_e32 v55, s15, v53
	v_ashrrev_i32_e32 v54, 31, v53
	v_add_co_ci_u32_e64 v42, null, s5, v42, vcc_lo
	v_add_co_u32 v43, vcc_lo, s4, v43
	v_add_nc_u32_e32 v57, s15, v55
	v_lshlrev_b64 v[49:50], 3, v[49:50]
	v_ashrrev_i32_e32 v56, 31, v55
	v_add_co_ci_u32_e64 v44, null, s5, v44, vcc_lo
	v_add_nc_u32_e32 v59, s15, v57
	v_add_co_u32 v45, vcc_lo, s4, v45
	v_lshlrev_b64 v[51:52], 3, v[51:52]
	v_ashrrev_i32_e32 v58, 31, v57
	v_add_nc_u32_e32 v61, s15, v59
	v_add_co_ci_u32_e64 v46, null, s5, v46, vcc_lo
	v_add_co_u32 v47, vcc_lo, s4, v47
	v_add_nc_u32_e32 v63, s15, v61
	v_lshlrev_b64 v[53:54], 3, v[53:54]
	v_ashrrev_i32_e32 v60, 31, v59
	v_add_co_ci_u32_e64 v48, null, s5, v48, vcc_lo
	v_add_nc_u32_e32 v65, s15, v63
	v_add_co_u32 v49, vcc_lo, s4, v49
	v_lshlrev_b64 v[55:56], 3, v[55:56]
	v_ashrrev_i32_e32 v62, 31, v61
	v_add_nc_u32_e32 v67, s15, v65
	;; [unrolled: 11-line block ×3, first 2 shown]
	v_add_co_ci_u32_e64 v54, null, s5, v54, vcc_lo
	v_add_co_u32 v55, vcc_lo, s4, v55
	v_lshlrev_b64 v[61:62], 3, v[61:62]
	v_ashrrev_i32_e32 v68, 31, v67
	v_add_co_ci_u32_e64 v56, null, s5, v56, vcc_lo
	v_add_co_u32 v57, vcc_lo, s4, v57
	v_lshlrev_b64 v[63:64], 3, v[63:64]
	v_ashrrev_i32_e32 v70, 31, v69
	v_add_co_ci_u32_e64 v58, null, s5, v58, vcc_lo
	v_add_co_u32 v59, vcc_lo, s4, v59
	v_lshlrev_b64 v[65:66], 3, v[65:66]
	v_add_nc_u32_e32 v75, s15, v73
	v_ashrrev_i32_e32 v72, 31, v71
	v_add_co_ci_u32_e64 v60, null, s5, v60, vcc_lo
	v_add_co_u32 v61, vcc_lo, s4, v61
	v_lshlrev_b64 v[67:68], 3, v[67:68]
	v_ashrrev_i32_e32 v74, 31, v73
	v_add_co_ci_u32_e64 v62, null, s5, v62, vcc_lo
	v_add_co_u32 v63, vcc_lo, s4, v63
	v_lshlrev_b64 v[69:70], 3, v[69:70]
	;; [unrolled: 4-line block ×3, first 2 shown]
	v_add_co_ci_u32_e64 v66, null, s5, v66, vcc_lo
	v_add_co_u32 v67, vcc_lo, s4, v67
	v_lshlrev_b64 v[73:74], 3, v[73:74]
	v_add_co_ci_u32_e64 v68, null, s5, v68, vcc_lo
	v_add_co_u32 v69, vcc_lo, s4, v69
	v_lshlrev_b64 v[122:123], 3, v[75:76]
	v_add_co_ci_u32_e64 v70, null, s5, v70, vcc_lo
	v_add_co_u32 v71, vcc_lo, s4, v71
	v_add_co_ci_u32_e64 v72, null, s5, v72, vcc_lo
	v_add_co_u32 v75, vcc_lo, s4, v73
	;; [unrolled: 2-line block ×3, first 2 shown]
	s_clause 0x3
	global_load_dwordx2 v[114:115], v[31:32], off
	global_load_dwordx2 v[116:117], v[33:34], off
	global_load_dwordx2 v[118:119], v[35:36], off
	global_load_dwordx2 v[120:121], v[37:38], off
	v_add_co_ci_u32_e64 v74, null, s5, v123, vcc_lo
	s_mov_b32 s5, -1
	s_waitcnt vmcnt(20)
	buffer_store_dword v80, off, s[0:3], 0 offset:4
	buffer_store_dword v79, off, s[0:3], 0
	s_waitcnt vmcnt(16)
	buffer_store_dword v83, off, s[0:3], 0 offset:12
	buffer_store_dword v82, off, s[0:3], 0 offset:8
	;; [unrolled: 1-line block ×4, first 2 shown]
	s_clause 0x3
	global_load_dwordx2 v[79:80], v[41:42], off
	global_load_dwordx2 v[82:83], v[43:44], off
	global_load_dwordx2 v[84:85], v[45:46], off
	global_load_dwordx2 v[122:123], v[47:48], off
	buffer_store_dword v87, off, s[0:3], 0 offset:28
	buffer_store_dword v86, off, s[0:3], 0 offset:24
	s_waitcnt vmcnt(19)
	buffer_store_dword v89, off, s[0:3], 0 offset:36
	buffer_store_dword v88, off, s[0:3], 0 offset:32
	;; [unrolled: 1-line block ×4, first 2 shown]
	s_waitcnt vmcnt(18)
	buffer_store_dword v93, off, s[0:3], 0 offset:52
	buffer_store_dword v92, off, s[0:3], 0 offset:48
	s_clause 0x3
	global_load_dwordx2 v[86:87], v[49:50], off
	global_load_dwordx2 v[88:89], v[51:52], off
	;; [unrolled: 1-line block ×4, first 2 shown]
	s_waitcnt vmcnt(21)
	buffer_store_dword v95, off, s[0:3], 0 offset:60
	buffer_store_dword v94, off, s[0:3], 0 offset:56
	s_waitcnt vmcnt(20)
	buffer_store_dword v97, off, s[0:3], 0 offset:68
	buffer_store_dword v96, off, s[0:3], 0 offset:64
	;; [unrolled: 3-line block ×4, first 2 shown]
	s_clause 0x3
	global_load_dwordx2 v[94:95], v[57:58], off
	global_load_dwordx2 v[96:97], v[59:60], off
	;; [unrolled: 1-line block ×4, first 2 shown]
	s_waitcnt vmcnt(21)
	buffer_store_dword v102, off, s[0:3], 0 offset:88
	buffer_store_dword v103, off, s[0:3], 0 offset:92
	global_load_dwordx2 v[102:103], v[65:66], off
	s_waitcnt vmcnt(21)
	buffer_store_dword v104, off, s[0:3], 0 offset:96
	buffer_store_dword v105, off, s[0:3], 0 offset:100
	s_waitcnt vmcnt(20)
	buffer_store_dword v106, off, s[0:3], 0 offset:104
	buffer_store_dword v107, off, s[0:3], 0 offset:108
	;; [unrolled: 3-line block ×3, first 2 shown]
	s_clause 0x2
	global_load_dwordx2 v[104:105], v[67:68], off
	global_load_dwordx2 v[106:107], v[69:70], off
	;; [unrolled: 1-line block ×3, first 2 shown]
	s_waitcnt vmcnt(21)
	buffer_store_dword v110, off, s[0:3], 0 offset:120
	buffer_store_dword v111, off, s[0:3], 0 offset:124
	global_load_dwordx2 v[110:111], v[75:76], off
	s_waitcnt vmcnt(21)
	buffer_store_dword v112, off, s[0:3], 0 offset:128
	buffer_store_dword v113, off, s[0:3], 0 offset:132
	global_load_dwordx2 v[112:113], v[73:74], off
	s_waitcnt vmcnt(21)
	buffer_store_dword v114, off, s[0:3], 0 offset:136
	buffer_store_dword v115, off, s[0:3], 0 offset:140
	s_waitcnt vmcnt(20)
	buffer_store_dword v116, off, s[0:3], 0 offset:144
	buffer_store_dword v117, off, s[0:3], 0 offset:148
	s_waitcnt vmcnt(19)
	buffer_store_dword v119, off, s[0:3], 0 offset:156
	buffer_store_dword v118, off, s[0:3], 0 offset:152
	s_waitcnt vmcnt(18)
	buffer_store_dword v121, off, s[0:3], 0 offset:164
	buffer_store_dword v120, off, s[0:3], 0 offset:160
	s_waitcnt vmcnt(17)
	buffer_store_dword v79, off, s[0:3], 0 offset:168
	buffer_store_dword v80, off, s[0:3], 0 offset:172
	s_waitcnt vmcnt(16)
	buffer_store_dword v82, off, s[0:3], 0 offset:176
	buffer_store_dword v83, off, s[0:3], 0 offset:180
	s_waitcnt vmcnt(15)
	buffer_store_dword v84, off, s[0:3], 0 offset:184
	buffer_store_dword v85, off, s[0:3], 0 offset:188
	s_waitcnt vmcnt(14)
	buffer_store_dword v122, off, s[0:3], 0 offset:192
	buffer_store_dword v123, off, s[0:3], 0 offset:196
	s_waitcnt vmcnt(13)
	buffer_store_dword v87, off, s[0:3], 0 offset:204
	buffer_store_dword v86, off, s[0:3], 0 offset:200
	s_waitcnt vmcnt(12)
	buffer_store_dword v89, off, s[0:3], 0 offset:212
	buffer_store_dword v88, off, s[0:3], 0 offset:208
	s_waitcnt vmcnt(11)
	buffer_store_dword v90, off, s[0:3], 0 offset:216
	buffer_store_dword v91, off, s[0:3], 0 offset:220
	s_waitcnt vmcnt(10)
	buffer_store_dword v92, off, s[0:3], 0 offset:224
	buffer_store_dword v93, off, s[0:3], 0 offset:228
	s_waitcnt vmcnt(9)
	buffer_store_dword v94, off, s[0:3], 0 offset:232
	buffer_store_dword v95, off, s[0:3], 0 offset:236
	s_waitcnt vmcnt(8)
	buffer_store_dword v96, off, s[0:3], 0 offset:240
	buffer_store_dword v97, off, s[0:3], 0 offset:244
	s_waitcnt vmcnt(7)
	buffer_store_dword v99, off, s[0:3], 0 offset:252
	buffer_store_dword v98, off, s[0:3], 0 offset:248
	s_waitcnt vmcnt(6)
	buffer_store_dword v101, off, s[0:3], 0 offset:260
	buffer_store_dword v100, off, s[0:3], 0 offset:256
	s_waitcnt vmcnt(5)
	buffer_store_dword v102, off, s[0:3], 0 offset:264
	buffer_store_dword v103, off, s[0:3], 0 offset:268
	s_waitcnt vmcnt(4)
	buffer_store_dword v104, off, s[0:3], 0 offset:272
	buffer_store_dword v105, off, s[0:3], 0 offset:276
	s_waitcnt vmcnt(3)
	buffer_store_dword v106, off, s[0:3], 0 offset:280
	buffer_store_dword v107, off, s[0:3], 0 offset:284
	s_waitcnt vmcnt(2)
	buffer_store_dword v108, off, s[0:3], 0 offset:288
	buffer_store_dword v109, off, s[0:3], 0 offset:292
	s_waitcnt vmcnt(1)
	buffer_store_dword v111, off, s[0:3], 0 offset:300
	buffer_store_dword v110, off, s[0:3], 0 offset:296
	s_waitcnt vmcnt(0)
	buffer_store_dword v113, off, s[0:3], 0 offset:308
	buffer_store_dword v112, off, s[0:3], 0 offset:304
	s_cbranch_scc1 .LBB38_164
; %bb.4:
	v_cmp_eq_u32_e64 s4, 0, v0
	s_and_saveexec_b32 s5, s4
; %bb.5:
	v_mov_b32_e32 v79, 0
	ds_write_b32 v79, v79 offset:312
; %bb.6:
	s_or_b32 exec_lo, exec_lo, s5
	v_lshl_add_u32 v79, v0, 3, 0
	s_waitcnt lgkmcnt(0)
	s_waitcnt_vscnt null, 0x0
	s_barrier
	buffer_gl0_inv
	s_mov_b32 s8, exec_lo
	s_clause 0x1
	buffer_load_dword v82, v79, s[0:3], 0 offen
	buffer_load_dword v83, v79, s[0:3], 0 offen offset:4
	s_waitcnt vmcnt(0)
	v_cmpx_eq_f64_e32 0, v[82:83]
	s_cbranch_execz .LBB38_10
; %bb.7:
	v_mov_b32_e32 v80, 0
	s_mov_b32 s9, 0
	ds_read_b32 v82, v80 offset:312
	s_waitcnt lgkmcnt(0)
	v_readfirstlane_b32 s5, v82
	v_add_nc_u32_e32 v82, 1, v0
	s_cmp_eq_u32 s5, 0
	v_cmp_gt_i32_e32 vcc_lo, s5, v82
	s_cselect_b32 s12, -1, 0
	s_or_b32 s12, s12, vcc_lo
	s_and_b32 exec_lo, exec_lo, s12
	s_cbranch_execz .LBB38_10
; %bb.8:
	v_mov_b32_e32 v83, s5
.LBB38_9:                               ; =>This Inner Loop Header: Depth=1
	ds_cmpst_rtn_b32 v83, v80, v83, v82 offset:312
	s_waitcnt lgkmcnt(0)
	v_cmp_ne_u32_e32 vcc_lo, 0, v83
	v_cmp_le_i32_e64 s5, v83, v82
	s_and_b32 s5, vcc_lo, s5
	s_and_b32 s5, exec_lo, s5
	s_or_b32 s9, s5, s9
	s_andn2_b32 exec_lo, exec_lo, s9
	s_cbranch_execnz .LBB38_9
.LBB38_10:
	s_or_b32 exec_lo, exec_lo, s8
	v_mov_b32_e32 v80, 0
	s_barrier
	buffer_gl0_inv
	ds_read_b32 v82, v80 offset:312
	s_and_saveexec_b32 s5, s4
	s_cbranch_execz .LBB38_12
; %bb.11:
	s_lshl_b64 s[8:9], s[6:7], 2
	s_add_u32 s8, s10, s8
	s_addc_u32 s9, s11, s9
	s_waitcnt lgkmcnt(0)
	global_store_dword v80, v82, s[8:9]
.LBB38_12:
	s_or_b32 exec_lo, exec_lo, s5
	s_waitcnt lgkmcnt(0)
	v_cmp_ne_u32_e32 vcc_lo, 0, v82
	s_mov_b32 s5, 0
	s_cbranch_vccnz .LBB38_164
; %bb.13:
	s_clause 0x1
	buffer_load_dword v82, v79, s[0:3], 0 offen
	buffer_load_dword v83, v79, s[0:3], 0 offen offset:4
	s_waitcnt vmcnt(0)
	v_div_scale_f64 v[84:85], null, v[82:83], v[82:83], 1.0
	v_div_scale_f64 v[90:91], vcc_lo, 1.0, v[82:83], 1.0
	v_rcp_f64_e32 v[86:87], v[84:85]
	v_fma_f64 v[88:89], -v[84:85], v[86:87], 1.0
	v_fma_f64 v[86:87], v[86:87], v[88:89], v[86:87]
	v_fma_f64 v[88:89], -v[84:85], v[86:87], 1.0
	v_fma_f64 v[86:87], v[86:87], v[88:89], v[86:87]
	v_mul_f64 v[88:89], v[90:91], v[86:87]
	v_fma_f64 v[84:85], -v[84:85], v[88:89], v[90:91]
	v_div_fmas_f64 v[84:85], v[84:85], v[86:87], v[88:89]
	v_div_fixup_f64 v[83:84], v[84:85], v[82:83], 1.0
	v_add_nc_u32_e32 v82, 0x140, v81
	buffer_store_dword v84, v79, s[0:3], 0 offen offset:4
	buffer_store_dword v83, v79, s[0:3], 0 offen
	s_clause 0x1
	buffer_load_dword v86, off, s[0:3], 0 offset:12
	buffer_load_dword v85, off, s[0:3], 0 offset:8
	v_xor_b32_e32 v84, 0x80000000, v84
	s_waitcnt vmcnt(0)
	ds_write2_b64 v81, v[83:84], v[85:86] offset1:40
	s_waitcnt lgkmcnt(0)
	s_waitcnt_vscnt null, 0x0
	s_barrier
	buffer_gl0_inv
	s_and_saveexec_b32 s5, s4
	s_cbranch_execz .LBB38_15
; %bb.14:
	s_clause 0x1
	buffer_load_dword v83, v79, s[0:3], 0 offen
	buffer_load_dword v84, v79, s[0:3], 0 offen offset:4
	ds_read_b64 v[85:86], v82
	v_mov_b32_e32 v80, 0
	ds_read_b64 v[87:88], v80 offset:8
	s_waitcnt vmcnt(0) lgkmcnt(1)
	v_fma_f64 v[83:84], v[83:84], v[85:86], 0
	s_waitcnt lgkmcnt(0)
	v_mul_f64 v[83:84], v[83:84], v[87:88]
	buffer_store_dword v83, off, s[0:3], 0 offset:8
	buffer_store_dword v84, off, s[0:3], 0 offset:12
.LBB38_15:
	s_or_b32 exec_lo, exec_lo, s5
	s_waitcnt_vscnt null, 0x0
	s_barrier
	buffer_gl0_inv
	s_clause 0x1
	buffer_load_dword v83, off, s[0:3], 0 offset:16
	buffer_load_dword v84, off, s[0:3], 0 offset:20
	s_mov_b32 s5, exec_lo
	s_waitcnt vmcnt(0)
	ds_write_b64 v82, v[83:84]
	s_waitcnt lgkmcnt(0)
	s_barrier
	buffer_gl0_inv
	v_cmpx_gt_u32_e32 2, v0
	s_cbranch_execz .LBB38_19
; %bb.16:
	s_clause 0x1
	buffer_load_dword v83, v79, s[0:3], 0 offen
	buffer_load_dword v84, v79, s[0:3], 0 offen offset:4
	ds_read_b64 v[79:80], v82
	s_waitcnt vmcnt(0) lgkmcnt(0)
	v_fma_f64 v[79:80], v[83:84], v[79:80], 0
	s_and_saveexec_b32 s8, s4
	s_cbranch_execz .LBB38_18
; %bb.17:
	s_clause 0x1
	buffer_load_dword v83, off, s[0:3], 0 offset:8
	buffer_load_dword v84, off, s[0:3], 0 offset:12
	v_mov_b32_e32 v85, 0
	ds_read_b64 v[85:86], v85 offset:328
	s_waitcnt vmcnt(0) lgkmcnt(0)
	v_fma_f64 v[79:80], v[83:84], v[85:86], v[79:80]
.LBB38_18:
	s_or_b32 exec_lo, exec_lo, s8
	v_mov_b32_e32 v83, 0
	ds_read_b64 v[83:84], v83 offset:16
	s_waitcnt lgkmcnt(0)
	v_mul_f64 v[79:80], v[79:80], v[83:84]
	buffer_store_dword v80, off, s[0:3], 0 offset:20
	buffer_store_dword v79, off, s[0:3], 0 offset:16
.LBB38_19:
	s_or_b32 exec_lo, exec_lo, s5
	s_waitcnt_vscnt null, 0x0
	s_barrier
	buffer_gl0_inv
	s_clause 0x1
	buffer_load_dword v79, off, s[0:3], 0 offset:24
	buffer_load_dword v80, off, s[0:3], 0 offset:28
	v_add_nc_u32_e32 v83, -1, v0
	s_mov_b32 s4, exec_lo
	s_waitcnt vmcnt(0)
	ds_write_b64 v82, v[79:80]
	s_waitcnt lgkmcnt(0)
	s_barrier
	buffer_gl0_inv
	v_cmpx_gt_u32_e32 3, v0
	s_cbranch_execz .LBB38_23
; %bb.20:
	v_mov_b32_e32 v79, 0
	v_add_nc_u32_e32 v84, -1, v0
	v_add_nc_u32_e32 v85, 0x140, v81
	v_mov_b32_e32 v80, 0
	v_mov_b32_e32 v86, v81
	s_mov_b32 s5, 0
.LBB38_21:                              ; =>This Inner Loop Header: Depth=1
	s_clause 0x1
	buffer_load_dword v87, v86, s[0:3], 0 offen
	buffer_load_dword v88, v86, s[0:3], 0 offen offset:4
	ds_read_b64 v[89:90], v85
	v_add_nc_u32_e32 v84, 1, v84
	v_add_nc_u32_e32 v85, 8, v85
	v_add_nc_u32_e32 v86, 8, v86
	v_cmp_lt_u32_e32 vcc_lo, 1, v84
	s_or_b32 s5, vcc_lo, s5
	s_waitcnt vmcnt(0) lgkmcnt(0)
	v_fma_f64 v[79:80], v[87:88], v[89:90], v[79:80]
	s_andn2_b32 exec_lo, exec_lo, s5
	s_cbranch_execnz .LBB38_21
; %bb.22:
	s_or_b32 exec_lo, exec_lo, s5
	v_mov_b32_e32 v84, 0
	ds_read_b64 v[84:85], v84 offset:24
	s_waitcnt lgkmcnt(0)
	v_mul_f64 v[79:80], v[79:80], v[84:85]
	buffer_store_dword v80, off, s[0:3], 0 offset:28
	buffer_store_dword v79, off, s[0:3], 0 offset:24
.LBB38_23:
	s_or_b32 exec_lo, exec_lo, s4
	s_waitcnt_vscnt null, 0x0
	s_barrier
	buffer_gl0_inv
	s_clause 0x1
	buffer_load_dword v79, off, s[0:3], 0 offset:32
	buffer_load_dword v80, off, s[0:3], 0 offset:36
	s_mov_b32 s4, exec_lo
	s_waitcnt vmcnt(0)
	ds_write_b64 v82, v[79:80]
	s_waitcnt lgkmcnt(0)
	s_barrier
	buffer_gl0_inv
	v_cmpx_gt_u32_e32 4, v0
	s_cbranch_execz .LBB38_27
; %bb.24:
	v_mov_b32_e32 v79, 0
	v_add_nc_u32_e32 v84, -1, v0
	v_add_nc_u32_e32 v85, 0x140, v81
	v_mov_b32_e32 v80, 0
	v_mov_b32_e32 v86, v81
	s_mov_b32 s5, 0
.LBB38_25:                              ; =>This Inner Loop Header: Depth=1
	s_clause 0x1
	buffer_load_dword v87, v86, s[0:3], 0 offen
	buffer_load_dword v88, v86, s[0:3], 0 offen offset:4
	ds_read_b64 v[89:90], v85
	v_add_nc_u32_e32 v84, 1, v84
	v_add_nc_u32_e32 v85, 8, v85
	v_add_nc_u32_e32 v86, 8, v86
	v_cmp_lt_u32_e32 vcc_lo, 2, v84
	s_or_b32 s5, vcc_lo, s5
	s_waitcnt vmcnt(0) lgkmcnt(0)
	v_fma_f64 v[79:80], v[87:88], v[89:90], v[79:80]
	s_andn2_b32 exec_lo, exec_lo, s5
	s_cbranch_execnz .LBB38_25
; %bb.26:
	s_or_b32 exec_lo, exec_lo, s5
	v_mov_b32_e32 v84, 0
	ds_read_b64 v[84:85], v84 offset:32
	s_waitcnt lgkmcnt(0)
	v_mul_f64 v[79:80], v[79:80], v[84:85]
	buffer_store_dword v80, off, s[0:3], 0 offset:36
	buffer_store_dword v79, off, s[0:3], 0 offset:32
.LBB38_27:
	s_or_b32 exec_lo, exec_lo, s4
	s_waitcnt_vscnt null, 0x0
	s_barrier
	buffer_gl0_inv
	s_clause 0x1
	buffer_load_dword v79, off, s[0:3], 0 offset:40
	buffer_load_dword v80, off, s[0:3], 0 offset:44
	;; [unrolled: 45-line block ×20, first 2 shown]
	s_mov_b32 s4, exec_lo
	s_waitcnt vmcnt(0)
	ds_write_b64 v82, v[79:80]
	s_waitcnt lgkmcnt(0)
	s_barrier
	buffer_gl0_inv
	v_cmpx_gt_u32_e32 23, v0
	s_cbranch_execz .LBB38_103
; %bb.100:
	v_mov_b32_e32 v79, 0
	v_add_nc_u32_e32 v84, -1, v0
	v_add_nc_u32_e32 v85, 0x140, v81
	v_mov_b32_e32 v80, 0
	v_mov_b32_e32 v86, v81
	s_mov_b32 s5, 0
.LBB38_101:                             ; =>This Inner Loop Header: Depth=1
	s_clause 0x1
	buffer_load_dword v87, v86, s[0:3], 0 offen
	buffer_load_dword v88, v86, s[0:3], 0 offen offset:4
	ds_read_b64 v[89:90], v85
	v_add_nc_u32_e32 v84, 1, v84
	v_add_nc_u32_e32 v85, 8, v85
	v_add_nc_u32_e32 v86, 8, v86
	v_cmp_lt_u32_e32 vcc_lo, 21, v84
	s_or_b32 s5, vcc_lo, s5
	s_waitcnt vmcnt(0) lgkmcnt(0)
	v_fma_f64 v[79:80], v[87:88], v[89:90], v[79:80]
	s_andn2_b32 exec_lo, exec_lo, s5
	s_cbranch_execnz .LBB38_101
; %bb.102:
	s_or_b32 exec_lo, exec_lo, s5
	v_mov_b32_e32 v84, 0
	ds_read_b64 v[84:85], v84 offset:184
	s_waitcnt lgkmcnt(0)
	v_mul_f64 v[79:80], v[79:80], v[84:85]
	buffer_store_dword v80, off, s[0:3], 0 offset:188
	buffer_store_dword v79, off, s[0:3], 0 offset:184
.LBB38_103:
	s_or_b32 exec_lo, exec_lo, s4
	s_waitcnt_vscnt null, 0x0
	s_barrier
	buffer_gl0_inv
	s_clause 0x1
	buffer_load_dword v79, off, s[0:3], 0 offset:192
	buffer_load_dword v80, off, s[0:3], 0 offset:196
	s_mov_b32 s4, exec_lo
	s_waitcnt vmcnt(0)
	ds_write_b64 v82, v[79:80]
	s_waitcnt lgkmcnt(0)
	s_barrier
	buffer_gl0_inv
	v_cmpx_gt_u32_e32 24, v0
	s_cbranch_execz .LBB38_107
; %bb.104:
	v_mov_b32_e32 v79, 0
	v_add_nc_u32_e32 v84, -1, v0
	v_add_nc_u32_e32 v85, 0x140, v81
	v_mov_b32_e32 v80, 0
	v_mov_b32_e32 v86, v81
	s_mov_b32 s5, 0
.LBB38_105:                             ; =>This Inner Loop Header: Depth=1
	s_clause 0x1
	buffer_load_dword v87, v86, s[0:3], 0 offen
	buffer_load_dword v88, v86, s[0:3], 0 offen offset:4
	ds_read_b64 v[89:90], v85
	v_add_nc_u32_e32 v84, 1, v84
	v_add_nc_u32_e32 v85, 8, v85
	v_add_nc_u32_e32 v86, 8, v86
	v_cmp_lt_u32_e32 vcc_lo, 22, v84
	s_or_b32 s5, vcc_lo, s5
	s_waitcnt vmcnt(0) lgkmcnt(0)
	v_fma_f64 v[79:80], v[87:88], v[89:90], v[79:80]
	s_andn2_b32 exec_lo, exec_lo, s5
	s_cbranch_execnz .LBB38_105
; %bb.106:
	s_or_b32 exec_lo, exec_lo, s5
	v_mov_b32_e32 v84, 0
	ds_read_b64 v[84:85], v84 offset:192
	s_waitcnt lgkmcnt(0)
	v_mul_f64 v[79:80], v[79:80], v[84:85]
	buffer_store_dword v80, off, s[0:3], 0 offset:196
	buffer_store_dword v79, off, s[0:3], 0 offset:192
.LBB38_107:
	s_or_b32 exec_lo, exec_lo, s4
	s_waitcnt_vscnt null, 0x0
	s_barrier
	buffer_gl0_inv
	s_clause 0x1
	buffer_load_dword v79, off, s[0:3], 0 offset:200
	buffer_load_dword v80, off, s[0:3], 0 offset:204
	;; [unrolled: 45-line block ×15, first 2 shown]
	s_mov_b32 s4, exec_lo
	s_waitcnt vmcnt(0)
	ds_write_b64 v82, v[79:80]
	s_waitcnt lgkmcnt(0)
	s_barrier
	buffer_gl0_inv
	v_cmpx_ne_u32_e32 38, v0
	s_cbranch_execz .LBB38_163
; %bb.160:
	v_mov_b32_e32 v79, 0
	v_mov_b32_e32 v80, 0
	s_mov_b32 s5, 0
.LBB38_161:                             ; =>This Inner Loop Header: Depth=1
	s_clause 0x1
	buffer_load_dword v84, v81, s[0:3], 0 offen
	buffer_load_dword v85, v81, s[0:3], 0 offen offset:4
	ds_read_b64 v[86:87], v82
	v_add_nc_u32_e32 v83, 1, v83
	v_add_nc_u32_e32 v82, 8, v82
	;; [unrolled: 1-line block ×3, first 2 shown]
	v_cmp_lt_u32_e32 vcc_lo, 36, v83
	s_or_b32 s5, vcc_lo, s5
	s_waitcnt vmcnt(0) lgkmcnt(0)
	v_fma_f64 v[79:80], v[84:85], v[86:87], v[79:80]
	s_andn2_b32 exec_lo, exec_lo, s5
	s_cbranch_execnz .LBB38_161
; %bb.162:
	s_or_b32 exec_lo, exec_lo, s5
	v_mov_b32_e32 v81, 0
	ds_read_b64 v[81:82], v81 offset:304
	s_waitcnt lgkmcnt(0)
	v_mul_f64 v[79:80], v[79:80], v[81:82]
	buffer_store_dword v80, off, s[0:3], 0 offset:308
	buffer_store_dword v79, off, s[0:3], 0 offset:304
.LBB38_163:
	s_or_b32 exec_lo, exec_lo, s4
	s_mov_b32 s5, -1
	s_waitcnt_vscnt null, 0x0
	s_barrier
	buffer_gl0_inv
.LBB38_164:
	s_and_b32 vcc_lo, exec_lo, s5
	s_cbranch_vccz .LBB38_166
; %bb.165:
	s_lshl_b64 s[4:5], s[6:7], 2
	v_mov_b32_e32 v79, 0
	s_add_u32 s4, s10, s4
	s_addc_u32 s5, s11, s5
	global_load_dword v79, v79, s[4:5]
	s_waitcnt vmcnt(0)
	v_cmp_ne_u32_e32 vcc_lo, 0, v79
	s_cbranch_vccz .LBB38_167
.LBB38_166:
	s_endpgm
.LBB38_167:
	v_lshl_add_u32 v79, v0, 3, 0x140
	s_mov_b32 s4, exec_lo
	v_cmpx_eq_u32_e32 38, v0
	s_cbranch_execz .LBB38_169
; %bb.168:
	s_clause 0x1
	buffer_load_dword v80, off, s[0:3], 0 offset:296
	buffer_load_dword v81, off, s[0:3], 0 offset:300
	v_mov_b32_e32 v82, 0
	buffer_store_dword v82, off, s[0:3], 0 offset:296
	buffer_store_dword v82, off, s[0:3], 0 offset:300
	s_waitcnt vmcnt(0)
	ds_write_b64 v79, v[80:81]
.LBB38_169:
	s_or_b32 exec_lo, exec_lo, s4
	s_waitcnt lgkmcnt(0)
	s_waitcnt_vscnt null, 0x0
	s_barrier
	buffer_gl0_inv
	s_clause 0x3
	buffer_load_dword v81, off, s[0:3], 0 offset:304
	buffer_load_dword v82, off, s[0:3], 0 offset:308
	;; [unrolled: 1-line block ×4, first 2 shown]
	v_mov_b32_e32 v80, 0
	s_mov_b32 s4, exec_lo
	ds_read_b64 v[85:86], v80 offset:624
	s_waitcnt vmcnt(2) lgkmcnt(0)
	v_fma_f64 v[81:82], v[81:82], v[85:86], 0
	s_waitcnt vmcnt(0)
	v_add_f64 v[81:82], v[83:84], -v[81:82]
	buffer_store_dword v81, off, s[0:3], 0 offset:296
	buffer_store_dword v82, off, s[0:3], 0 offset:300
	v_cmpx_lt_u32_e32 36, v0
	s_cbranch_execz .LBB38_171
; %bb.170:
	s_clause 0x1
	buffer_load_dword v81, off, s[0:3], 0 offset:288
	buffer_load_dword v82, off, s[0:3], 0 offset:292
	buffer_store_dword v80, off, s[0:3], 0 offset:288
	buffer_store_dword v80, off, s[0:3], 0 offset:292
	s_waitcnt vmcnt(0)
	ds_write_b64 v79, v[81:82]
.LBB38_171:
	s_or_b32 exec_lo, exec_lo, s4
	s_waitcnt lgkmcnt(0)
	s_waitcnt_vscnt null, 0x0
	s_barrier
	buffer_gl0_inv
	s_clause 0x5
	buffer_load_dword v84, off, s[0:3], 0 offset:296
	buffer_load_dword v85, off, s[0:3], 0 offset:300
	buffer_load_dword v86, off, s[0:3], 0 offset:304
	buffer_load_dword v87, off, s[0:3], 0 offset:308
	buffer_load_dword v88, off, s[0:3], 0 offset:288
	buffer_load_dword v89, off, s[0:3], 0 offset:292
	ds_read2_b64 v[80:83], v80 offset0:77 offset1:78
	s_mov_b32 s4, exec_lo
	s_waitcnt vmcnt(4) lgkmcnt(0)
	v_fma_f64 v[80:81], v[84:85], v[80:81], 0
	s_waitcnt vmcnt(2)
	v_fma_f64 v[80:81], v[86:87], v[82:83], v[80:81]
	s_waitcnt vmcnt(0)
	v_add_f64 v[80:81], v[88:89], -v[80:81]
	buffer_store_dword v80, off, s[0:3], 0 offset:288
	buffer_store_dword v81, off, s[0:3], 0 offset:292
	v_cmpx_lt_u32_e32 35, v0
	s_cbranch_execz .LBB38_173
; %bb.172:
	s_clause 0x1
	buffer_load_dword v80, off, s[0:3], 0 offset:280
	buffer_load_dword v81, off, s[0:3], 0 offset:284
	v_mov_b32_e32 v82, 0
	buffer_store_dword v82, off, s[0:3], 0 offset:280
	buffer_store_dword v82, off, s[0:3], 0 offset:284
	s_waitcnt vmcnt(0)
	ds_write_b64 v79, v[80:81]
.LBB38_173:
	s_or_b32 exec_lo, exec_lo, s4
	s_waitcnt lgkmcnt(0)
	s_waitcnt_vscnt null, 0x0
	s_barrier
	buffer_gl0_inv
	s_clause 0x7
	buffer_load_dword v85, off, s[0:3], 0 offset:288
	buffer_load_dword v86, off, s[0:3], 0 offset:292
	;; [unrolled: 1-line block ×8, first 2 shown]
	v_mov_b32_e32 v80, 0
	ds_read_b128 v[81:84], v80 offset:608
	ds_read_b64 v[93:94], v80 offset:624
	s_mov_b32 s4, exec_lo
	s_waitcnt vmcnt(6) lgkmcnt(1)
	v_fma_f64 v[81:82], v[85:86], v[81:82], 0
	s_waitcnt vmcnt(4)
	v_fma_f64 v[81:82], v[87:88], v[83:84], v[81:82]
	s_waitcnt vmcnt(2) lgkmcnt(0)
	v_fma_f64 v[81:82], v[89:90], v[93:94], v[81:82]
	s_waitcnt vmcnt(0)
	v_add_f64 v[81:82], v[91:92], -v[81:82]
	buffer_store_dword v81, off, s[0:3], 0 offset:280
	buffer_store_dword v82, off, s[0:3], 0 offset:284
	v_cmpx_lt_u32_e32 34, v0
	s_cbranch_execz .LBB38_175
; %bb.174:
	s_clause 0x1
	buffer_load_dword v81, off, s[0:3], 0 offset:272
	buffer_load_dword v82, off, s[0:3], 0 offset:276
	buffer_store_dword v80, off, s[0:3], 0 offset:272
	buffer_store_dword v80, off, s[0:3], 0 offset:276
	s_waitcnt vmcnt(0)
	ds_write_b64 v79, v[81:82]
.LBB38_175:
	s_or_b32 exec_lo, exec_lo, s4
	s_waitcnt lgkmcnt(0)
	s_waitcnt_vscnt null, 0x0
	s_barrier
	buffer_gl0_inv
	s_clause 0x9
	buffer_load_dword v89, off, s[0:3], 0 offset:280
	buffer_load_dword v90, off, s[0:3], 0 offset:284
	;; [unrolled: 1-line block ×10, first 2 shown]
	ds_read2_b64 v[81:84], v80 offset0:75 offset1:76
	ds_read2_b64 v[85:88], v80 offset0:77 offset1:78
	s_mov_b32 s4, exec_lo
	s_waitcnt vmcnt(8) lgkmcnt(1)
	v_fma_f64 v[80:81], v[89:90], v[81:82], 0
	s_waitcnt vmcnt(6)
	v_fma_f64 v[80:81], v[91:92], v[83:84], v[80:81]
	s_waitcnt vmcnt(4) lgkmcnt(0)
	v_fma_f64 v[80:81], v[93:94], v[85:86], v[80:81]
	s_waitcnt vmcnt(2)
	v_fma_f64 v[80:81], v[95:96], v[87:88], v[80:81]
	s_waitcnt vmcnt(0)
	v_add_f64 v[80:81], v[97:98], -v[80:81]
	buffer_store_dword v80, off, s[0:3], 0 offset:272
	buffer_store_dword v81, off, s[0:3], 0 offset:276
	v_cmpx_lt_u32_e32 33, v0
	s_cbranch_execz .LBB38_177
; %bb.176:
	s_clause 0x1
	buffer_load_dword v80, off, s[0:3], 0 offset:264
	buffer_load_dword v81, off, s[0:3], 0 offset:268
	v_mov_b32_e32 v82, 0
	buffer_store_dword v82, off, s[0:3], 0 offset:264
	buffer_store_dword v82, off, s[0:3], 0 offset:268
	s_waitcnt vmcnt(0)
	ds_write_b64 v79, v[80:81]
.LBB38_177:
	s_or_b32 exec_lo, exec_lo, s4
	s_waitcnt lgkmcnt(0)
	s_waitcnt_vscnt null, 0x0
	s_barrier
	buffer_gl0_inv
	s_clause 0xb
	buffer_load_dword v89, off, s[0:3], 0 offset:272
	buffer_load_dword v90, off, s[0:3], 0 offset:276
	buffer_load_dword v91, off, s[0:3], 0 offset:280
	buffer_load_dword v92, off, s[0:3], 0 offset:284
	buffer_load_dword v93, off, s[0:3], 0 offset:288
	buffer_load_dword v94, off, s[0:3], 0 offset:292
	buffer_load_dword v95, off, s[0:3], 0 offset:296
	buffer_load_dword v96, off, s[0:3], 0 offset:300
	buffer_load_dword v97, off, s[0:3], 0 offset:304
	buffer_load_dword v98, off, s[0:3], 0 offset:308
	buffer_load_dword v99, off, s[0:3], 0 offset:264
	buffer_load_dword v100, off, s[0:3], 0 offset:268
	v_mov_b32_e32 v80, 0
	ds_read_b128 v[81:84], v80 offset:592
	ds_read_b128 v[85:88], v80 offset:608
	s_mov_b32 s4, exec_lo
	s_waitcnt vmcnt(10) lgkmcnt(1)
	v_fma_f64 v[81:82], v[89:90], v[81:82], 0
	s_waitcnt vmcnt(8)
	v_fma_f64 v[81:82], v[91:92], v[83:84], v[81:82]
	ds_read_b64 v[83:84], v80 offset:624
	s_waitcnt vmcnt(6) lgkmcnt(1)
	v_fma_f64 v[81:82], v[93:94], v[85:86], v[81:82]
	s_waitcnt vmcnt(4)
	v_fma_f64 v[81:82], v[95:96], v[87:88], v[81:82]
	s_waitcnt vmcnt(2) lgkmcnt(0)
	v_fma_f64 v[81:82], v[97:98], v[83:84], v[81:82]
	s_waitcnt vmcnt(0)
	v_add_f64 v[81:82], v[99:100], -v[81:82]
	buffer_store_dword v81, off, s[0:3], 0 offset:264
	buffer_store_dword v82, off, s[0:3], 0 offset:268
	v_cmpx_lt_u32_e32 32, v0
	s_cbranch_execz .LBB38_179
; %bb.178:
	s_clause 0x1
	buffer_load_dword v81, off, s[0:3], 0 offset:256
	buffer_load_dword v82, off, s[0:3], 0 offset:260
	buffer_store_dword v80, off, s[0:3], 0 offset:256
	buffer_store_dword v80, off, s[0:3], 0 offset:260
	s_waitcnt vmcnt(0)
	ds_write_b64 v79, v[81:82]
.LBB38_179:
	s_or_b32 exec_lo, exec_lo, s4
	s_waitcnt lgkmcnt(0)
	s_waitcnt_vscnt null, 0x0
	s_barrier
	buffer_gl0_inv
	s_clause 0xd
	buffer_load_dword v89, off, s[0:3], 0 offset:264
	buffer_load_dword v90, off, s[0:3], 0 offset:268
	;; [unrolled: 1-line block ×14, first 2 shown]
	ds_read2_b64 v[81:84], v80 offset0:73 offset1:74
	ds_read2_b64 v[85:88], v80 offset0:75 offset1:76
	s_mov_b32 s4, exec_lo
	s_waitcnt vmcnt(12) lgkmcnt(1)
	v_fma_f64 v[81:82], v[89:90], v[81:82], 0
	s_waitcnt vmcnt(10)
	v_fma_f64 v[81:82], v[91:92], v[83:84], v[81:82]
	s_waitcnt vmcnt(8) lgkmcnt(0)
	v_fma_f64 v[81:82], v[93:94], v[85:86], v[81:82]
	s_waitcnt vmcnt(6)
	v_fma_f64 v[84:85], v[95:96], v[87:88], v[81:82]
	ds_read2_b64 v[80:83], v80 offset0:77 offset1:78
	s_waitcnt vmcnt(4) lgkmcnt(0)
	v_fma_f64 v[80:81], v[97:98], v[80:81], v[84:85]
	s_waitcnt vmcnt(2)
	v_fma_f64 v[80:81], v[99:100], v[82:83], v[80:81]
	s_waitcnt vmcnt(0)
	v_add_f64 v[80:81], v[101:102], -v[80:81]
	buffer_store_dword v80, off, s[0:3], 0 offset:256
	buffer_store_dword v81, off, s[0:3], 0 offset:260
	v_cmpx_lt_u32_e32 31, v0
	s_cbranch_execz .LBB38_181
; %bb.180:
	s_clause 0x1
	buffer_load_dword v80, off, s[0:3], 0 offset:248
	buffer_load_dword v81, off, s[0:3], 0 offset:252
	v_mov_b32_e32 v82, 0
	buffer_store_dword v82, off, s[0:3], 0 offset:248
	buffer_store_dword v82, off, s[0:3], 0 offset:252
	s_waitcnt vmcnt(0)
	ds_write_b64 v79, v[80:81]
.LBB38_181:
	s_or_b32 exec_lo, exec_lo, s4
	s_waitcnt lgkmcnt(0)
	s_waitcnt_vscnt null, 0x0
	s_barrier
	buffer_gl0_inv
	s_clause 0xf
	buffer_load_dword v89, off, s[0:3], 0 offset:256
	buffer_load_dword v90, off, s[0:3], 0 offset:260
	;; [unrolled: 1-line block ×16, first 2 shown]
	v_mov_b32_e32 v80, 0
	ds_read_b128 v[81:84], v80 offset:576
	ds_read_b128 v[85:88], v80 offset:592
	s_mov_b32 s4, exec_lo
	s_waitcnt vmcnt(14) lgkmcnt(1)
	v_fma_f64 v[81:82], v[89:90], v[81:82], 0
	s_waitcnt vmcnt(12)
	v_fma_f64 v[81:82], v[91:92], v[83:84], v[81:82]
	s_waitcnt vmcnt(10) lgkmcnt(0)
	v_fma_f64 v[81:82], v[93:94], v[85:86], v[81:82]
	s_waitcnt vmcnt(8)
	v_fma_f64 v[85:86], v[95:96], v[87:88], v[81:82]
	ds_read_b128 v[81:84], v80 offset:608
	ds_read_b64 v[87:88], v80 offset:624
	s_waitcnt vmcnt(6) lgkmcnt(1)
	v_fma_f64 v[81:82], v[97:98], v[81:82], v[85:86]
	s_waitcnt vmcnt(4)
	v_fma_f64 v[81:82], v[99:100], v[83:84], v[81:82]
	s_waitcnt vmcnt(2) lgkmcnt(0)
	v_fma_f64 v[81:82], v[101:102], v[87:88], v[81:82]
	s_waitcnt vmcnt(0)
	v_add_f64 v[81:82], v[103:104], -v[81:82]
	buffer_store_dword v81, off, s[0:3], 0 offset:248
	buffer_store_dword v82, off, s[0:3], 0 offset:252
	v_cmpx_lt_u32_e32 30, v0
	s_cbranch_execz .LBB38_183
; %bb.182:
	s_clause 0x1
	buffer_load_dword v81, off, s[0:3], 0 offset:240
	buffer_load_dword v82, off, s[0:3], 0 offset:244
	buffer_store_dword v80, off, s[0:3], 0 offset:240
	buffer_store_dword v80, off, s[0:3], 0 offset:244
	s_waitcnt vmcnt(0)
	ds_write_b64 v79, v[81:82]
.LBB38_183:
	s_or_b32 exec_lo, exec_lo, s4
	s_waitcnt lgkmcnt(0)
	s_waitcnt_vscnt null, 0x0
	s_barrier
	buffer_gl0_inv
	s_clause 0x11
	buffer_load_dword v89, off, s[0:3], 0 offset:248
	buffer_load_dword v90, off, s[0:3], 0 offset:252
	buffer_load_dword v91, off, s[0:3], 0 offset:256
	buffer_load_dword v92, off, s[0:3], 0 offset:260
	buffer_load_dword v93, off, s[0:3], 0 offset:264
	buffer_load_dword v94, off, s[0:3], 0 offset:268
	buffer_load_dword v95, off, s[0:3], 0 offset:272
	buffer_load_dword v96, off, s[0:3], 0 offset:276
	buffer_load_dword v97, off, s[0:3], 0 offset:280
	buffer_load_dword v98, off, s[0:3], 0 offset:284
	buffer_load_dword v99, off, s[0:3], 0 offset:288
	buffer_load_dword v100, off, s[0:3], 0 offset:292
	buffer_load_dword v101, off, s[0:3], 0 offset:296
	buffer_load_dword v102, off, s[0:3], 0 offset:300
	buffer_load_dword v104, off, s[0:3], 0 offset:308
	buffer_load_dword v103, off, s[0:3], 0 offset:304
	buffer_load_dword v105, off, s[0:3], 0 offset:240
	buffer_load_dword v106, off, s[0:3], 0 offset:244
	ds_read2_b64 v[81:84], v80 offset0:71 offset1:72
	ds_read2_b64 v[85:88], v80 offset0:73 offset1:74
	s_mov_b32 s4, exec_lo
	s_waitcnt vmcnt(16) lgkmcnt(1)
	v_fma_f64 v[81:82], v[89:90], v[81:82], 0
	s_waitcnt vmcnt(14)
	v_fma_f64 v[81:82], v[91:92], v[83:84], v[81:82]
	s_waitcnt vmcnt(12) lgkmcnt(0)
	v_fma_f64 v[81:82], v[93:94], v[85:86], v[81:82]
	s_waitcnt vmcnt(10)
	v_fma_f64 v[89:90], v[95:96], v[87:88], v[81:82]
	ds_read2_b64 v[81:84], v80 offset0:75 offset1:76
	ds_read2_b64 v[85:88], v80 offset0:77 offset1:78
	s_waitcnt vmcnt(8) lgkmcnt(1)
	v_fma_f64 v[80:81], v[97:98], v[81:82], v[89:90]
	s_waitcnt vmcnt(6)
	v_fma_f64 v[80:81], v[99:100], v[83:84], v[80:81]
	s_waitcnt vmcnt(4) lgkmcnt(0)
	v_fma_f64 v[80:81], v[101:102], v[85:86], v[80:81]
	s_waitcnt vmcnt(2)
	v_fma_f64 v[80:81], v[103:104], v[87:88], v[80:81]
	s_waitcnt vmcnt(0)
	v_add_f64 v[80:81], v[105:106], -v[80:81]
	buffer_store_dword v80, off, s[0:3], 0 offset:240
	buffer_store_dword v81, off, s[0:3], 0 offset:244
	v_cmpx_lt_u32_e32 29, v0
	s_cbranch_execz .LBB38_185
; %bb.184:
	s_clause 0x1
	buffer_load_dword v80, off, s[0:3], 0 offset:232
	buffer_load_dword v81, off, s[0:3], 0 offset:236
	v_mov_b32_e32 v82, 0
	buffer_store_dword v82, off, s[0:3], 0 offset:232
	buffer_store_dword v82, off, s[0:3], 0 offset:236
	s_waitcnt vmcnt(0)
	ds_write_b64 v79, v[80:81]
.LBB38_185:
	s_or_b32 exec_lo, exec_lo, s4
	s_waitcnt lgkmcnt(0)
	s_waitcnt_vscnt null, 0x0
	s_barrier
	buffer_gl0_inv
	s_clause 0x13
	buffer_load_dword v89, off, s[0:3], 0 offset:240
	buffer_load_dword v90, off, s[0:3], 0 offset:244
	;; [unrolled: 1-line block ×20, first 2 shown]
	v_mov_b32_e32 v80, 0
	ds_read_b128 v[81:84], v80 offset:560
	ds_read_b128 v[85:88], v80 offset:576
	s_mov_b32 s4, exec_lo
	s_waitcnt vmcnt(18) lgkmcnt(1)
	v_fma_f64 v[81:82], v[89:90], v[81:82], 0
	s_waitcnt vmcnt(16)
	v_fma_f64 v[81:82], v[91:92], v[83:84], v[81:82]
	s_waitcnt vmcnt(14) lgkmcnt(0)
	v_fma_f64 v[81:82], v[93:94], v[85:86], v[81:82]
	s_waitcnt vmcnt(12)
	v_fma_f64 v[89:90], v[95:96], v[87:88], v[81:82]
	ds_read_b128 v[81:84], v80 offset:592
	ds_read_b128 v[85:88], v80 offset:608
	s_waitcnt vmcnt(10) lgkmcnt(1)
	v_fma_f64 v[81:82], v[97:98], v[81:82], v[89:90]
	s_waitcnt vmcnt(8)
	v_fma_f64 v[81:82], v[99:100], v[83:84], v[81:82]
	ds_read_b64 v[83:84], v80 offset:624
	s_waitcnt vmcnt(6) lgkmcnt(1)
	v_fma_f64 v[81:82], v[101:102], v[85:86], v[81:82]
	s_waitcnt vmcnt(3)
	v_fma_f64 v[81:82], v[103:104], v[87:88], v[81:82]
	s_waitcnt vmcnt(2) lgkmcnt(0)
	v_fma_f64 v[81:82], v[105:106], v[83:84], v[81:82]
	s_waitcnt vmcnt(0)
	v_add_f64 v[81:82], v[107:108], -v[81:82]
	buffer_store_dword v81, off, s[0:3], 0 offset:232
	buffer_store_dword v82, off, s[0:3], 0 offset:236
	v_cmpx_lt_u32_e32 28, v0
	s_cbranch_execz .LBB38_187
; %bb.186:
	s_clause 0x1
	buffer_load_dword v81, off, s[0:3], 0 offset:224
	buffer_load_dword v82, off, s[0:3], 0 offset:228
	buffer_store_dword v80, off, s[0:3], 0 offset:224
	buffer_store_dword v80, off, s[0:3], 0 offset:228
	s_waitcnt vmcnt(0)
	ds_write_b64 v79, v[81:82]
.LBB38_187:
	s_or_b32 exec_lo, exec_lo, s4
	s_waitcnt lgkmcnt(0)
	s_waitcnt_vscnt null, 0x0
	s_barrier
	buffer_gl0_inv
	s_clause 0x15
	buffer_load_dword v85, off, s[0:3], 0 offset:232
	buffer_load_dword v86, off, s[0:3], 0 offset:236
	;; [unrolled: 1-line block ×22, first 2 shown]
	ds_read2_b64 v[81:84], v80 offset0:69 offset1:70
	s_mov_b32 s4, exec_lo
	s_waitcnt vmcnt(20) lgkmcnt(0)
	v_fma_f64 v[81:82], v[85:86], v[81:82], 0
	s_waitcnt vmcnt(18)
	v_fma_f64 v[85:86], v[87:88], v[83:84], v[81:82]
	ds_read2_b64 v[81:84], v80 offset0:71 offset1:72
	s_waitcnt vmcnt(16) lgkmcnt(0)
	v_fma_f64 v[81:82], v[89:90], v[81:82], v[85:86]
	s_waitcnt vmcnt(14)
	v_fma_f64 v[85:86], v[91:92], v[83:84], v[81:82]
	ds_read2_b64 v[81:84], v80 offset0:73 offset1:74
	;; [unrolled: 5-line block ×4, first 2 shown]
	s_waitcnt vmcnt(4) lgkmcnt(0)
	v_fma_f64 v[80:81], v[101:102], v[80:81], v[84:85]
	s_waitcnt vmcnt(2)
	v_fma_f64 v[80:81], v[103:104], v[82:83], v[80:81]
	s_waitcnt vmcnt(0)
	v_add_f64 v[80:81], v[105:106], -v[80:81]
	buffer_store_dword v80, off, s[0:3], 0 offset:224
	buffer_store_dword v81, off, s[0:3], 0 offset:228
	v_cmpx_lt_u32_e32 27, v0
	s_cbranch_execz .LBB38_189
; %bb.188:
	s_clause 0x1
	buffer_load_dword v80, off, s[0:3], 0 offset:216
	buffer_load_dword v81, off, s[0:3], 0 offset:220
	v_mov_b32_e32 v82, 0
	buffer_store_dword v82, off, s[0:3], 0 offset:216
	buffer_store_dword v82, off, s[0:3], 0 offset:220
	s_waitcnt vmcnt(0)
	ds_write_b64 v79, v[80:81]
.LBB38_189:
	s_or_b32 exec_lo, exec_lo, s4
	s_waitcnt lgkmcnt(0)
	s_waitcnt_vscnt null, 0x0
	s_barrier
	buffer_gl0_inv
	s_clause 0x17
	buffer_load_dword v85, off, s[0:3], 0 offset:224
	buffer_load_dword v86, off, s[0:3], 0 offset:228
	;; [unrolled: 1-line block ×24, first 2 shown]
	v_mov_b32_e32 v80, 0
	s_mov_b32 s4, exec_lo
	ds_read_b128 v[81:84], v80 offset:544
	s_waitcnt vmcnt(22) lgkmcnt(0)
	v_fma_f64 v[81:82], v[85:86], v[81:82], 0
	s_waitcnt vmcnt(20)
	v_fma_f64 v[85:86], v[87:88], v[83:84], v[81:82]
	ds_read_b128 v[81:84], v80 offset:560
	s_waitcnt vmcnt(18) lgkmcnt(0)
	v_fma_f64 v[81:82], v[89:90], v[81:82], v[85:86]
	s_waitcnt vmcnt(16)
	v_fma_f64 v[85:86], v[91:92], v[83:84], v[81:82]
	;; [unrolled: 5-line block ×5, first 2 shown]
	ds_read_b64 v[83:84], v80 offset:624
	s_waitcnt vmcnt(2) lgkmcnt(0)
	v_fma_f64 v[81:82], v[105:106], v[83:84], v[81:82]
	s_waitcnt vmcnt(0)
	v_add_f64 v[81:82], v[107:108], -v[81:82]
	buffer_store_dword v82, off, s[0:3], 0 offset:220
	buffer_store_dword v81, off, s[0:3], 0 offset:216
	v_cmpx_lt_u32_e32 26, v0
	s_cbranch_execz .LBB38_191
; %bb.190:
	s_clause 0x1
	buffer_load_dword v81, off, s[0:3], 0 offset:208
	buffer_load_dword v82, off, s[0:3], 0 offset:212
	buffer_store_dword v80, off, s[0:3], 0 offset:208
	buffer_store_dword v80, off, s[0:3], 0 offset:212
	s_waitcnt vmcnt(0)
	ds_write_b64 v79, v[81:82]
.LBB38_191:
	s_or_b32 exec_lo, exec_lo, s4
	s_waitcnt lgkmcnt(0)
	s_waitcnt_vscnt null, 0x0
	s_barrier
	buffer_gl0_inv
	s_clause 0x19
	buffer_load_dword v85, off, s[0:3], 0 offset:216
	buffer_load_dword v86, off, s[0:3], 0 offset:220
	;; [unrolled: 1-line block ×26, first 2 shown]
	ds_read2_b64 v[81:84], v80 offset0:67 offset1:68
	s_mov_b32 s4, exec_lo
	s_waitcnt vmcnt(24) lgkmcnt(0)
	v_fma_f64 v[81:82], v[85:86], v[81:82], 0
	s_waitcnt vmcnt(22)
	v_fma_f64 v[85:86], v[87:88], v[83:84], v[81:82]
	ds_read2_b64 v[81:84], v80 offset0:69 offset1:70
	s_waitcnt vmcnt(20) lgkmcnt(0)
	v_fma_f64 v[81:82], v[89:90], v[81:82], v[85:86]
	s_waitcnt vmcnt(18)
	v_fma_f64 v[85:86], v[91:92], v[83:84], v[81:82]
	ds_read2_b64 v[81:84], v80 offset0:71 offset1:72
	;; [unrolled: 5-line block ×5, first 2 shown]
	s_waitcnt vmcnt(4) lgkmcnt(0)
	v_fma_f64 v[80:81], v[105:106], v[80:81], v[84:85]
	s_waitcnt vmcnt(2)
	v_fma_f64 v[80:81], v[107:108], v[82:83], v[80:81]
	s_waitcnt vmcnt(0)
	v_add_f64 v[80:81], v[109:110], -v[80:81]
	buffer_store_dword v81, off, s[0:3], 0 offset:212
	buffer_store_dword v80, off, s[0:3], 0 offset:208
	v_cmpx_lt_u32_e32 25, v0
	s_cbranch_execz .LBB38_193
; %bb.192:
	s_clause 0x1
	buffer_load_dword v80, off, s[0:3], 0 offset:200
	buffer_load_dword v81, off, s[0:3], 0 offset:204
	v_mov_b32_e32 v82, 0
	buffer_store_dword v82, off, s[0:3], 0 offset:200
	buffer_store_dword v82, off, s[0:3], 0 offset:204
	s_waitcnt vmcnt(0)
	ds_write_b64 v79, v[80:81]
.LBB38_193:
	s_or_b32 exec_lo, exec_lo, s4
	s_waitcnt lgkmcnt(0)
	s_waitcnt_vscnt null, 0x0
	s_barrier
	buffer_gl0_inv
	s_clause 0x1b
	buffer_load_dword v89, off, s[0:3], 0 offset:208
	buffer_load_dword v90, off, s[0:3], 0 offset:212
	;; [unrolled: 1-line block ×28, first 2 shown]
	v_mov_b32_e32 v80, 0
	ds_read_b128 v[81:84], v80 offset:528
	ds_read_b128 v[85:88], v80 offset:544
	s_mov_b32 s4, exec_lo
	s_waitcnt vmcnt(26) lgkmcnt(1)
	v_fma_f64 v[81:82], v[89:90], v[81:82], 0
	s_waitcnt vmcnt(24)
	v_fma_f64 v[81:82], v[91:92], v[83:84], v[81:82]
	s_waitcnt vmcnt(22) lgkmcnt(0)
	v_fma_f64 v[81:82], v[93:94], v[85:86], v[81:82]
	s_waitcnt vmcnt(20)
	v_fma_f64 v[89:90], v[95:96], v[87:88], v[81:82]
	ds_read_b128 v[81:84], v80 offset:560
	ds_read_b128 v[85:88], v80 offset:576
	s_waitcnt vmcnt(18) lgkmcnt(1)
	v_fma_f64 v[81:82], v[97:98], v[81:82], v[89:90]
	s_waitcnt vmcnt(16)
	v_fma_f64 v[81:82], v[99:100], v[83:84], v[81:82]
	s_waitcnt vmcnt(14) lgkmcnt(0)
	v_fma_f64 v[81:82], v[101:102], v[85:86], v[81:82]
	s_waitcnt vmcnt(9)
	v_fma_f64 v[89:90], v[103:104], v[87:88], v[81:82]
	ds_read_b128 v[81:84], v80 offset:592
	ds_read_b128 v[85:88], v80 offset:608
	s_waitcnt vmcnt(8) lgkmcnt(1)
	v_fma_f64 v[81:82], v[109:110], v[81:82], v[89:90]
	s_waitcnt vmcnt(7)
	v_fma_f64 v[81:82], v[107:108], v[83:84], v[81:82]
	ds_read_b64 v[83:84], v80 offset:624
	s_waitcnt vmcnt(6) lgkmcnt(1)
	v_fma_f64 v[81:82], v[105:106], v[85:86], v[81:82]
	s_waitcnt vmcnt(3)
	v_fma_f64 v[81:82], v[111:112], v[87:88], v[81:82]
	s_waitcnt vmcnt(2) lgkmcnt(0)
	v_fma_f64 v[81:82], v[113:114], v[83:84], v[81:82]
	s_waitcnt vmcnt(0)
	v_add_f64 v[81:82], v[115:116], -v[81:82]
	buffer_store_dword v82, off, s[0:3], 0 offset:204
	buffer_store_dword v81, off, s[0:3], 0 offset:200
	v_cmpx_lt_u32_e32 24, v0
	s_cbranch_execz .LBB38_195
; %bb.194:
	s_clause 0x1
	buffer_load_dword v81, off, s[0:3], 0 offset:192
	buffer_load_dword v82, off, s[0:3], 0 offset:196
	buffer_store_dword v80, off, s[0:3], 0 offset:192
	buffer_store_dword v80, off, s[0:3], 0 offset:196
	s_waitcnt vmcnt(0)
	ds_write_b64 v79, v[81:82]
.LBB38_195:
	s_or_b32 exec_lo, exec_lo, s4
	s_waitcnt lgkmcnt(0)
	s_waitcnt_vscnt null, 0x0
	s_barrier
	buffer_gl0_inv
	s_clause 0x1b
	buffer_load_dword v89, off, s[0:3], 0 offset:200
	buffer_load_dword v90, off, s[0:3], 0 offset:204
	;; [unrolled: 1-line block ×28, first 2 shown]
	ds_read2_b64 v[81:84], v80 offset0:65 offset1:66
	s_clause 0x1
	buffer_load_dword v117, off, s[0:3], 0 offset:192
	buffer_load_dword v118, off, s[0:3], 0 offset:196
	ds_read2_b64 v[85:88], v80 offset0:67 offset1:68
	s_mov_b32 s4, exec_lo
	s_waitcnt vmcnt(28) lgkmcnt(1)
	v_fma_f64 v[81:82], v[89:90], v[81:82], 0
	s_waitcnt vmcnt(26)
	v_fma_f64 v[81:82], v[91:92], v[83:84], v[81:82]
	s_waitcnt vmcnt(24) lgkmcnt(0)
	v_fma_f64 v[81:82], v[93:94], v[85:86], v[81:82]
	s_waitcnt vmcnt(22)
	v_fma_f64 v[89:90], v[95:96], v[87:88], v[81:82]
	ds_read2_b64 v[81:84], v80 offset0:69 offset1:70
	ds_read2_b64 v[85:88], v80 offset0:71 offset1:72
	s_waitcnt vmcnt(20) lgkmcnt(1)
	v_fma_f64 v[81:82], v[97:98], v[81:82], v[89:90]
	s_waitcnt vmcnt(18)
	v_fma_f64 v[81:82], v[99:100], v[83:84], v[81:82]
	s_waitcnt vmcnt(16) lgkmcnt(0)
	v_fma_f64 v[81:82], v[101:102], v[85:86], v[81:82]
	s_waitcnt vmcnt(11)
	v_fma_f64 v[89:90], v[103:104], v[87:88], v[81:82]
	ds_read2_b64 v[81:84], v80 offset0:73 offset1:74
	ds_read2_b64 v[85:88], v80 offset0:75 offset1:76
	s_waitcnt vmcnt(10) lgkmcnt(1)
	v_fma_f64 v[81:82], v[109:110], v[81:82], v[89:90]
	s_waitcnt vmcnt(9)
	v_fma_f64 v[81:82], v[107:108], v[83:84], v[81:82]
	s_waitcnt vmcnt(8) lgkmcnt(0)
	v_fma_f64 v[81:82], v[105:106], v[85:86], v[81:82]
	s_waitcnt vmcnt(4)
	v_fma_f64 v[84:85], v[111:112], v[87:88], v[81:82]
	ds_read2_b64 v[80:83], v80 offset0:77 offset1:78
	s_waitcnt vmcnt(3) lgkmcnt(0)
	v_fma_f64 v[80:81], v[115:116], v[80:81], v[84:85]
	s_waitcnt vmcnt(2)
	v_fma_f64 v[80:81], v[113:114], v[82:83], v[80:81]
	s_waitcnt vmcnt(0)
	v_add_f64 v[80:81], v[117:118], -v[80:81]
	buffer_store_dword v81, off, s[0:3], 0 offset:196
	buffer_store_dword v80, off, s[0:3], 0 offset:192
	v_cmpx_lt_u32_e32 23, v0
	s_cbranch_execz .LBB38_197
; %bb.196:
	s_clause 0x1
	buffer_load_dword v80, off, s[0:3], 0 offset:184
	buffer_load_dword v81, off, s[0:3], 0 offset:188
	v_mov_b32_e32 v82, 0
	buffer_store_dword v82, off, s[0:3], 0 offset:184
	buffer_store_dword v82, off, s[0:3], 0 offset:188
	s_waitcnt vmcnt(0)
	ds_write_b64 v79, v[80:81]
.LBB38_197:
	s_or_b32 exec_lo, exec_lo, s4
	s_waitcnt lgkmcnt(0)
	s_waitcnt_vscnt null, 0x0
	s_barrier
	buffer_gl0_inv
	s_clause 0x1c
	buffer_load_dword v89, off, s[0:3], 0 offset:192
	buffer_load_dword v90, off, s[0:3], 0 offset:196
	;; [unrolled: 1-line block ×29, first 2 shown]
	v_mov_b32_e32 v80, 0
	buffer_load_dword v114, off, s[0:3], 0 offset:308
	s_mov_b32 s4, exec_lo
	ds_read_b128 v[81:84], v80 offset:512
	ds_read_b128 v[85:88], v80 offset:528
	s_waitcnt vmcnt(28) lgkmcnt(1)
	v_fma_f64 v[81:82], v[89:90], v[81:82], 0
	s_clause 0x1
	buffer_load_dword v89, off, s[0:3], 0 offset:184
	buffer_load_dword v90, off, s[0:3], 0 offset:188
	s_waitcnt vmcnt(28)
	v_fma_f64 v[81:82], v[91:92], v[83:84], v[81:82]
	s_waitcnt vmcnt(26) lgkmcnt(0)
	v_fma_f64 v[81:82], v[93:94], v[85:86], v[81:82]
	s_waitcnt vmcnt(24)
	v_fma_f64 v[91:92], v[95:96], v[87:88], v[81:82]
	ds_read_b128 v[81:84], v80 offset:544
	ds_read_b128 v[85:88], v80 offset:560
	s_waitcnt vmcnt(22) lgkmcnt(1)
	v_fma_f64 v[81:82], v[97:98], v[81:82], v[91:92]
	s_waitcnt vmcnt(20)
	v_fma_f64 v[81:82], v[99:100], v[83:84], v[81:82]
	s_waitcnt vmcnt(18) lgkmcnt(0)
	v_fma_f64 v[81:82], v[101:102], v[85:86], v[81:82]
	s_waitcnt vmcnt(13)
	v_fma_f64 v[91:92], v[103:104], v[87:88], v[81:82]
	ds_read_b128 v[81:84], v80 offset:576
	ds_read_b128 v[85:88], v80 offset:592
	s_waitcnt vmcnt(12) lgkmcnt(1)
	v_fma_f64 v[81:82], v[109:110], v[81:82], v[91:92]
	s_waitcnt vmcnt(11)
	v_fma_f64 v[81:82], v[107:108], v[83:84], v[81:82]
	s_waitcnt vmcnt(10) lgkmcnt(0)
	v_fma_f64 v[81:82], v[105:106], v[85:86], v[81:82]
	s_waitcnt vmcnt(5)
	v_fma_f64 v[85:86], v[111:112], v[87:88], v[81:82]
	ds_read_b128 v[81:84], v80 offset:608
	ds_read_b64 v[87:88], v80 offset:624
	s_waitcnt vmcnt(4) lgkmcnt(1)
	v_fma_f64 v[81:82], v[117:118], v[81:82], v[85:86]
	s_waitcnt vmcnt(3)
	v_fma_f64 v[81:82], v[115:116], v[83:84], v[81:82]
	s_waitcnt vmcnt(2) lgkmcnt(0)
	v_fma_f64 v[81:82], v[113:114], v[87:88], v[81:82]
	s_waitcnt vmcnt(0)
	v_add_f64 v[81:82], v[89:90], -v[81:82]
	buffer_store_dword v82, off, s[0:3], 0 offset:188
	buffer_store_dword v81, off, s[0:3], 0 offset:184
	v_cmpx_lt_u32_e32 22, v0
	s_cbranch_execz .LBB38_199
; %bb.198:
	s_clause 0x1
	buffer_load_dword v81, off, s[0:3], 0 offset:176
	buffer_load_dword v82, off, s[0:3], 0 offset:180
	buffer_store_dword v80, off, s[0:3], 0 offset:176
	buffer_store_dword v80, off, s[0:3], 0 offset:180
	s_waitcnt vmcnt(0)
	ds_write_b64 v79, v[81:82]
.LBB38_199:
	s_or_b32 exec_lo, exec_lo, s4
	s_waitcnt lgkmcnt(0)
	s_waitcnt_vscnt null, 0x0
	s_barrier
	buffer_gl0_inv
	s_clause 0x1c
	buffer_load_dword v89, off, s[0:3], 0 offset:184
	buffer_load_dword v90, off, s[0:3], 0 offset:188
	;; [unrolled: 1-line block ×29, first 2 shown]
	ds_read2_b64 v[81:84], v80 offset0:63 offset1:64
	ds_read2_b64 v[85:88], v80 offset0:65 offset1:66
	buffer_load_dword v114, off, s[0:3], 0 offset:300
	s_mov_b32 s4, exec_lo
	s_waitcnt vmcnt(28) lgkmcnt(1)
	v_fma_f64 v[81:82], v[89:90], v[81:82], 0
	s_clause 0x1
	buffer_load_dword v90, off, s[0:3], 0 offset:308
	buffer_load_dword v89, off, s[0:3], 0 offset:304
	s_waitcnt vmcnt(28)
	v_fma_f64 v[81:82], v[91:92], v[83:84], v[81:82]
	s_clause 0x1
	buffer_load_dword v91, off, s[0:3], 0 offset:176
	buffer_load_dword v92, off, s[0:3], 0 offset:180
	s_waitcnt vmcnt(28) lgkmcnt(0)
	v_fma_f64 v[81:82], v[93:94], v[85:86], v[81:82]
	s_waitcnt vmcnt(26)
	v_fma_f64 v[93:94], v[95:96], v[87:88], v[81:82]
	ds_read2_b64 v[81:84], v80 offset0:67 offset1:68
	ds_read2_b64 v[85:88], v80 offset0:69 offset1:70
	s_waitcnt vmcnt(24) lgkmcnt(1)
	v_fma_f64 v[81:82], v[97:98], v[81:82], v[93:94]
	s_waitcnt vmcnt(22)
	v_fma_f64 v[81:82], v[99:100], v[83:84], v[81:82]
	s_waitcnt vmcnt(20) lgkmcnt(0)
	v_fma_f64 v[81:82], v[101:102], v[85:86], v[81:82]
	s_waitcnt vmcnt(15)
	v_fma_f64 v[93:94], v[103:104], v[87:88], v[81:82]
	ds_read2_b64 v[81:84], v80 offset0:71 offset1:72
	ds_read2_b64 v[85:88], v80 offset0:73 offset1:74
	s_waitcnt vmcnt(14) lgkmcnt(1)
	v_fma_f64 v[81:82], v[109:110], v[81:82], v[93:94]
	s_waitcnt vmcnt(13)
	v_fma_f64 v[81:82], v[107:108], v[83:84], v[81:82]
	;; [unrolled: 10-line block ×3, first 2 shown]
	s_waitcnt vmcnt(4) lgkmcnt(0)
	v_fma_f64 v[80:81], v[113:114], v[85:86], v[80:81]
	s_waitcnt vmcnt(2)
	v_fma_f64 v[80:81], v[89:90], v[87:88], v[80:81]
	s_waitcnt vmcnt(0)
	v_add_f64 v[80:81], v[91:92], -v[80:81]
	buffer_store_dword v81, off, s[0:3], 0 offset:180
	buffer_store_dword v80, off, s[0:3], 0 offset:176
	v_cmpx_lt_u32_e32 21, v0
	s_cbranch_execz .LBB38_201
; %bb.200:
	s_clause 0x1
	buffer_load_dword v80, off, s[0:3], 0 offset:168
	buffer_load_dword v81, off, s[0:3], 0 offset:172
	v_mov_b32_e32 v82, 0
	buffer_store_dword v82, off, s[0:3], 0 offset:168
	buffer_store_dword v82, off, s[0:3], 0 offset:172
	s_waitcnt vmcnt(0)
	ds_write_b64 v79, v[80:81]
.LBB38_201:
	s_or_b32 exec_lo, exec_lo, s4
	s_waitcnt lgkmcnt(0)
	s_waitcnt_vscnt null, 0x0
	s_barrier
	buffer_gl0_inv
	s_clause 0x1c
	buffer_load_dword v89, off, s[0:3], 0 offset:176
	buffer_load_dword v90, off, s[0:3], 0 offset:180
	;; [unrolled: 1-line block ×29, first 2 shown]
	v_mov_b32_e32 v80, 0
	buffer_load_dword v114, off, s[0:3], 0 offset:292
	s_mov_b32 s4, exec_lo
	ds_read_b128 v[81:84], v80 offset:496
	ds_read_b128 v[85:88], v80 offset:512
	s_waitcnt vmcnt(28) lgkmcnt(1)
	v_fma_f64 v[81:82], v[89:90], v[81:82], 0
	s_clause 0x3
	buffer_load_dword v90, off, s[0:3], 0 offset:300
	buffer_load_dword v119, off, s[0:3], 0 offset:304
	;; [unrolled: 1-line block ×4, first 2 shown]
	s_waitcnt vmcnt(30)
	v_fma_f64 v[81:82], v[91:92], v[83:84], v[81:82]
	s_clause 0x1
	buffer_load_dword v91, off, s[0:3], 0 offset:168
	buffer_load_dword v92, off, s[0:3], 0 offset:172
	s_waitcnt vmcnt(30) lgkmcnt(0)
	v_fma_f64 v[81:82], v[93:94], v[85:86], v[81:82]
	s_waitcnt vmcnt(28)
	v_fma_f64 v[93:94], v[95:96], v[87:88], v[81:82]
	ds_read_b128 v[81:84], v80 offset:528
	ds_read_b128 v[85:88], v80 offset:544
	s_waitcnt vmcnt(26) lgkmcnt(1)
	v_fma_f64 v[81:82], v[97:98], v[81:82], v[93:94]
	s_waitcnt vmcnt(24)
	v_fma_f64 v[81:82], v[99:100], v[83:84], v[81:82]
	s_waitcnt vmcnt(22) lgkmcnt(0)
	v_fma_f64 v[81:82], v[101:102], v[85:86], v[81:82]
	s_waitcnt vmcnt(17)
	v_fma_f64 v[93:94], v[103:104], v[87:88], v[81:82]
	ds_read_b128 v[81:84], v80 offset:560
	ds_read_b128 v[85:88], v80 offset:576
	s_waitcnt vmcnt(16) lgkmcnt(1)
	v_fma_f64 v[81:82], v[109:110], v[81:82], v[93:94]
	s_waitcnt vmcnt(15)
	v_fma_f64 v[81:82], v[107:108], v[83:84], v[81:82]
	;; [unrolled: 10-line block ×3, first 2 shown]
	ds_read_b64 v[83:84], v80 offset:624
	s_waitcnt vmcnt(6) lgkmcnt(1)
	v_fma_f64 v[81:82], v[113:114], v[85:86], v[81:82]
	s_waitcnt vmcnt(3)
	v_fma_f64 v[81:82], v[89:90], v[87:88], v[81:82]
	s_waitcnt vmcnt(2) lgkmcnt(0)
	v_fma_f64 v[81:82], v[119:120], v[83:84], v[81:82]
	s_waitcnt vmcnt(0)
	v_add_f64 v[81:82], v[91:92], -v[81:82]
	buffer_store_dword v82, off, s[0:3], 0 offset:172
	buffer_store_dword v81, off, s[0:3], 0 offset:168
	v_cmpx_lt_u32_e32 20, v0
	s_cbranch_execz .LBB38_203
; %bb.202:
	s_clause 0x1
	buffer_load_dword v81, off, s[0:3], 0 offset:160
	buffer_load_dword v82, off, s[0:3], 0 offset:164
	buffer_store_dword v80, off, s[0:3], 0 offset:160
	buffer_store_dword v80, off, s[0:3], 0 offset:164
	s_waitcnt vmcnt(0)
	ds_write_b64 v79, v[81:82]
.LBB38_203:
	s_or_b32 exec_lo, exec_lo, s4
	s_waitcnt lgkmcnt(0)
	s_waitcnt_vscnt null, 0x0
	s_barrier
	buffer_gl0_inv
	s_clause 0x1c
	buffer_load_dword v89, off, s[0:3], 0 offset:168
	buffer_load_dword v90, off, s[0:3], 0 offset:172
	;; [unrolled: 1-line block ×29, first 2 shown]
	ds_read2_b64 v[81:84], v80 offset0:61 offset1:62
	ds_read2_b64 v[85:88], v80 offset0:63 offset1:64
	buffer_load_dword v114, off, s[0:3], 0 offset:284
	s_mov_b32 s4, exec_lo
	s_waitcnt vmcnt(28) lgkmcnt(1)
	v_fma_f64 v[81:82], v[89:90], v[81:82], 0
	s_clause 0x5
	buffer_load_dword v90, off, s[0:3], 0 offset:292
	buffer_load_dword v119, off, s[0:3], 0 offset:304
	;; [unrolled: 1-line block ×6, first 2 shown]
	s_waitcnt vmcnt(32)
	v_fma_f64 v[81:82], v[91:92], v[83:84], v[81:82]
	s_waitcnt vmcnt(30) lgkmcnt(0)
	v_fma_f64 v[81:82], v[93:94], v[85:86], v[81:82]
	s_waitcnt vmcnt(28)
	v_fma_f64 v[91:92], v[95:96], v[87:88], v[81:82]
	ds_read2_b64 v[81:84], v80 offset0:65 offset1:66
	s_clause 0x1
	buffer_load_dword v93, off, s[0:3], 0 offset:160
	buffer_load_dword v94, off, s[0:3], 0 offset:164
	ds_read2_b64 v[85:88], v80 offset0:67 offset1:68
	s_waitcnt vmcnt(28) lgkmcnt(1)
	v_fma_f64 v[81:82], v[97:98], v[81:82], v[91:92]
	s_waitcnt vmcnt(26)
	v_fma_f64 v[81:82], v[99:100], v[83:84], v[81:82]
	s_waitcnt vmcnt(24) lgkmcnt(0)
	v_fma_f64 v[81:82], v[101:102], v[85:86], v[81:82]
	s_waitcnt vmcnt(19)
	v_fma_f64 v[91:92], v[103:104], v[87:88], v[81:82]
	ds_read2_b64 v[81:84], v80 offset0:69 offset1:70
	ds_read2_b64 v[85:88], v80 offset0:71 offset1:72
	s_waitcnt vmcnt(18) lgkmcnt(1)
	v_fma_f64 v[81:82], v[109:110], v[81:82], v[91:92]
	s_waitcnt vmcnt(17)
	v_fma_f64 v[81:82], v[107:108], v[83:84], v[81:82]
	s_waitcnt vmcnt(16) lgkmcnt(0)
	v_fma_f64 v[81:82], v[105:106], v[85:86], v[81:82]
	s_waitcnt vmcnt(11)
	v_fma_f64 v[91:92], v[111:112], v[87:88], v[81:82]
	ds_read2_b64 v[81:84], v80 offset0:73 offset1:74
	;; [unrolled: 10-line block ×3, first 2 shown]
	s_waitcnt vmcnt(3) lgkmcnt(0)
	v_fma_f64 v[80:81], v[121:122], v[80:81], v[84:85]
	s_waitcnt vmcnt(2)
	v_fma_f64 v[80:81], v[119:120], v[82:83], v[80:81]
	s_waitcnt vmcnt(0)
	v_add_f64 v[80:81], v[93:94], -v[80:81]
	buffer_store_dword v81, off, s[0:3], 0 offset:164
	buffer_store_dword v80, off, s[0:3], 0 offset:160
	v_cmpx_lt_u32_e32 19, v0
	s_cbranch_execz .LBB38_205
; %bb.204:
	s_clause 0x1
	buffer_load_dword v80, off, s[0:3], 0 offset:152
	buffer_load_dword v81, off, s[0:3], 0 offset:156
	v_mov_b32_e32 v82, 0
	buffer_store_dword v82, off, s[0:3], 0 offset:152
	buffer_store_dword v82, off, s[0:3], 0 offset:156
	s_waitcnt vmcnt(0)
	ds_write_b64 v79, v[80:81]
.LBB38_205:
	s_or_b32 exec_lo, exec_lo, s4
	s_waitcnt lgkmcnt(0)
	s_waitcnt_vscnt null, 0x0
	s_barrier
	buffer_gl0_inv
	s_clause 0x1c
	buffer_load_dword v89, off, s[0:3], 0 offset:160
	buffer_load_dword v90, off, s[0:3], 0 offset:164
	;; [unrolled: 1-line block ×29, first 2 shown]
	v_mov_b32_e32 v80, 0
	buffer_load_dword v114, off, s[0:3], 0 offset:276
	s_mov_b32 s4, exec_lo
	ds_read_b128 v[81:84], v80 offset:480
	ds_read_b128 v[85:88], v80 offset:496
	s_waitcnt vmcnt(28) lgkmcnt(1)
	v_fma_f64 v[81:82], v[89:90], v[81:82], 0
	s_clause 0x7
	buffer_load_dword v90, off, s[0:3], 0 offset:284
	buffer_load_dword v119, off, s[0:3], 0 offset:304
	;; [unrolled: 1-line block ×8, first 2 shown]
	s_waitcnt vmcnt(34)
	v_fma_f64 v[81:82], v[91:92], v[83:84], v[81:82]
	s_waitcnt vmcnt(32) lgkmcnt(0)
	v_fma_f64 v[81:82], v[93:94], v[85:86], v[81:82]
	s_waitcnt vmcnt(30)
	v_fma_f64 v[91:92], v[95:96], v[87:88], v[81:82]
	ds_read_b128 v[81:84], v80 offset:512
	ds_read_b128 v[85:88], v80 offset:528
	s_waitcnt vmcnt(28) lgkmcnt(1)
	v_fma_f64 v[81:82], v[97:98], v[81:82], v[91:92]
	s_clause 0x1
	buffer_load_dword v91, off, s[0:3], 0 offset:152
	buffer_load_dword v92, off, s[0:3], 0 offset:156
	s_waitcnt vmcnt(28)
	v_fma_f64 v[81:82], v[99:100], v[83:84], v[81:82]
	s_waitcnt vmcnt(26) lgkmcnt(0)
	v_fma_f64 v[81:82], v[101:102], v[85:86], v[81:82]
	s_waitcnt vmcnt(21)
	v_fma_f64 v[93:94], v[103:104], v[87:88], v[81:82]
	ds_read_b128 v[81:84], v80 offset:544
	ds_read_b128 v[85:88], v80 offset:560
	s_waitcnt vmcnt(20) lgkmcnt(1)
	v_fma_f64 v[81:82], v[109:110], v[81:82], v[93:94]
	s_waitcnt vmcnt(19)
	v_fma_f64 v[81:82], v[107:108], v[83:84], v[81:82]
	s_waitcnt vmcnt(18) lgkmcnt(0)
	v_fma_f64 v[81:82], v[105:106], v[85:86], v[81:82]
	s_waitcnt vmcnt(13)
	v_fma_f64 v[93:94], v[111:112], v[87:88], v[81:82]
	ds_read_b128 v[81:84], v80 offset:576
	ds_read_b128 v[85:88], v80 offset:592
	s_waitcnt vmcnt(12) lgkmcnt(1)
	v_fma_f64 v[81:82], v[117:118], v[81:82], v[93:94]
	s_waitcnt vmcnt(11)
	v_fma_f64 v[81:82], v[115:116], v[83:84], v[81:82]
	s_waitcnt vmcnt(10) lgkmcnt(0)
	v_fma_f64 v[81:82], v[113:114], v[85:86], v[81:82]
	s_waitcnt vmcnt(5)
	v_fma_f64 v[85:86], v[89:90], v[87:88], v[81:82]
	ds_read_b128 v[81:84], v80 offset:608
	ds_read_b64 v[87:88], v80 offset:624
	s_waitcnt vmcnt(4) lgkmcnt(1)
	v_fma_f64 v[81:82], v[123:124], v[81:82], v[85:86]
	s_waitcnt vmcnt(3)
	v_fma_f64 v[81:82], v[121:122], v[83:84], v[81:82]
	s_waitcnt vmcnt(2) lgkmcnt(0)
	v_fma_f64 v[81:82], v[119:120], v[87:88], v[81:82]
	s_waitcnt vmcnt(0)
	v_add_f64 v[81:82], v[91:92], -v[81:82]
	buffer_store_dword v82, off, s[0:3], 0 offset:156
	buffer_store_dword v81, off, s[0:3], 0 offset:152
	v_cmpx_lt_u32_e32 18, v0
	s_cbranch_execz .LBB38_207
; %bb.206:
	s_clause 0x1
	buffer_load_dword v81, off, s[0:3], 0 offset:144
	buffer_load_dword v82, off, s[0:3], 0 offset:148
	buffer_store_dword v80, off, s[0:3], 0 offset:144
	buffer_store_dword v80, off, s[0:3], 0 offset:148
	s_waitcnt vmcnt(0)
	ds_write_b64 v79, v[81:82]
.LBB38_207:
	s_or_b32 exec_lo, exec_lo, s4
	s_waitcnt lgkmcnt(0)
	s_waitcnt_vscnt null, 0x0
	s_barrier
	buffer_gl0_inv
	s_clause 0x1c
	buffer_load_dword v89, off, s[0:3], 0 offset:152
	buffer_load_dword v90, off, s[0:3], 0 offset:156
	;; [unrolled: 1-line block ×29, first 2 shown]
	ds_read2_b64 v[81:84], v80 offset0:59 offset1:60
	ds_read2_b64 v[85:88], v80 offset0:61 offset1:62
	buffer_load_dword v114, off, s[0:3], 0 offset:268
	s_mov_b32 s4, exec_lo
	s_waitcnt vmcnt(28) lgkmcnt(1)
	v_fma_f64 v[81:82], v[89:90], v[81:82], 0
	s_clause 0x7
	buffer_load_dword v90, off, s[0:3], 0 offset:276
	buffer_load_dword v119, off, s[0:3], 0 offset:296
	buffer_load_dword v121, off, s[0:3], 0 offset:288
	buffer_load_dword v123, off, s[0:3], 0 offset:280
	buffer_load_dword v89, off, s[0:3], 0 offset:272
	buffer_load_dword v124, off, s[0:3], 0 offset:284
	buffer_load_dword v122, off, s[0:3], 0 offset:292
	buffer_load_dword v120, off, s[0:3], 0 offset:300
	s_waitcnt vmcnt(34)
	v_fma_f64 v[81:82], v[91:92], v[83:84], v[81:82]
	s_waitcnt vmcnt(32) lgkmcnt(0)
	v_fma_f64 v[81:82], v[93:94], v[85:86], v[81:82]
	s_waitcnt vmcnt(30)
	v_fma_f64 v[91:92], v[95:96], v[87:88], v[81:82]
	ds_read2_b64 v[81:84], v80 offset0:63 offset1:64
	ds_read2_b64 v[85:88], v80 offset0:65 offset1:66
	s_waitcnt vmcnt(28) lgkmcnt(1)
	v_fma_f64 v[81:82], v[97:98], v[81:82], v[91:92]
	s_clause 0x3
	buffer_load_dword v92, off, s[0:3], 0 offset:308
	buffer_load_dword v91, off, s[0:3], 0 offset:304
	;; [unrolled: 1-line block ×4, first 2 shown]
	s_waitcnt vmcnt(30)
	v_fma_f64 v[81:82], v[99:100], v[83:84], v[81:82]
	s_waitcnt vmcnt(28) lgkmcnt(0)
	v_fma_f64 v[81:82], v[101:102], v[85:86], v[81:82]
	s_waitcnt vmcnt(23)
	v_fma_f64 v[95:96], v[103:104], v[87:88], v[81:82]
	ds_read2_b64 v[81:84], v80 offset0:67 offset1:68
	ds_read2_b64 v[85:88], v80 offset0:69 offset1:70
	s_waitcnt vmcnt(22) lgkmcnt(1)
	v_fma_f64 v[81:82], v[109:110], v[81:82], v[95:96]
	s_waitcnt vmcnt(21)
	v_fma_f64 v[81:82], v[107:108], v[83:84], v[81:82]
	s_waitcnt vmcnt(20) lgkmcnt(0)
	v_fma_f64 v[81:82], v[105:106], v[85:86], v[81:82]
	s_waitcnt vmcnt(15)
	v_fma_f64 v[95:96], v[111:112], v[87:88], v[81:82]
	ds_read2_b64 v[81:84], v80 offset0:71 offset1:72
	ds_read2_b64 v[85:88], v80 offset0:73 offset1:74
	s_waitcnt vmcnt(14) lgkmcnt(1)
	v_fma_f64 v[81:82], v[117:118], v[81:82], v[95:96]
	;; [unrolled: 10-line block ×3, first 2 shown]
	s_waitcnt vmcnt(5)
	v_fma_f64 v[80:81], v[121:122], v[83:84], v[80:81]
	s_waitcnt vmcnt(4) lgkmcnt(0)
	v_fma_f64 v[80:81], v[119:120], v[85:86], v[80:81]
	s_waitcnt vmcnt(2)
	v_fma_f64 v[80:81], v[91:92], v[87:88], v[80:81]
	s_waitcnt vmcnt(0)
	v_add_f64 v[80:81], v[93:94], -v[80:81]
	buffer_store_dword v81, off, s[0:3], 0 offset:148
	buffer_store_dword v80, off, s[0:3], 0 offset:144
	v_cmpx_lt_u32_e32 17, v0
	s_cbranch_execz .LBB38_209
; %bb.208:
	s_clause 0x1
	buffer_load_dword v80, off, s[0:3], 0 offset:136
	buffer_load_dword v81, off, s[0:3], 0 offset:140
	v_mov_b32_e32 v82, 0
	buffer_store_dword v82, off, s[0:3], 0 offset:136
	buffer_store_dword v82, off, s[0:3], 0 offset:140
	s_waitcnt vmcnt(0)
	ds_write_b64 v79, v[80:81]
.LBB38_209:
	s_or_b32 exec_lo, exec_lo, s4
	s_waitcnt lgkmcnt(0)
	s_waitcnt_vscnt null, 0x0
	s_barrier
	buffer_gl0_inv
	s_clause 0x1c
	buffer_load_dword v89, off, s[0:3], 0 offset:144
	buffer_load_dword v90, off, s[0:3], 0 offset:148
	;; [unrolled: 1-line block ×29, first 2 shown]
	v_mov_b32_e32 v80, 0
	buffer_load_dword v114, off, s[0:3], 0 offset:260
	s_mov_b32 s4, exec_lo
	ds_read_b128 v[81:84], v80 offset:464
	ds_read_b128 v[85:88], v80 offset:480
	s_waitcnt vmcnt(28) lgkmcnt(1)
	v_fma_f64 v[81:82], v[89:90], v[81:82], 0
	s_clause 0x7
	buffer_load_dword v90, off, s[0:3], 0 offset:268
	buffer_load_dword v119, off, s[0:3], 0 offset:288
	;; [unrolled: 1-line block ×8, first 2 shown]
	s_waitcnt vmcnt(34)
	v_fma_f64 v[81:82], v[91:92], v[83:84], v[81:82]
	s_waitcnt vmcnt(32) lgkmcnt(0)
	v_fma_f64 v[81:82], v[93:94], v[85:86], v[81:82]
	s_waitcnt vmcnt(30)
	v_fma_f64 v[91:92], v[95:96], v[87:88], v[81:82]
	ds_read_b128 v[81:84], v80 offset:496
	ds_read_b128 v[85:88], v80 offset:512
	s_waitcnt vmcnt(28) lgkmcnt(1)
	v_fma_f64 v[81:82], v[97:98], v[81:82], v[91:92]
	s_clause 0x5
	buffer_load_dword v92, off, s[0:3], 0 offset:300
	buffer_load_dword v93, off, s[0:3], 0 offset:304
	;; [unrolled: 1-line block ×6, first 2 shown]
	s_waitcnt vmcnt(32)
	v_fma_f64 v[81:82], v[99:100], v[83:84], v[81:82]
	s_waitcnt vmcnt(30) lgkmcnt(0)
	v_fma_f64 v[81:82], v[101:102], v[85:86], v[81:82]
	s_waitcnt vmcnt(25)
	v_fma_f64 v[97:98], v[103:104], v[87:88], v[81:82]
	ds_read_b128 v[81:84], v80 offset:528
	ds_read_b128 v[85:88], v80 offset:544
	s_waitcnt vmcnt(24) lgkmcnt(1)
	v_fma_f64 v[81:82], v[109:110], v[81:82], v[97:98]
	s_waitcnt vmcnt(23)
	v_fma_f64 v[81:82], v[107:108], v[83:84], v[81:82]
	s_waitcnt vmcnt(22) lgkmcnt(0)
	v_fma_f64 v[81:82], v[105:106], v[85:86], v[81:82]
	s_waitcnt vmcnt(17)
	v_fma_f64 v[97:98], v[111:112], v[87:88], v[81:82]
	ds_read_b128 v[81:84], v80 offset:560
	ds_read_b128 v[85:88], v80 offset:576
	s_waitcnt vmcnt(16) lgkmcnt(1)
	v_fma_f64 v[81:82], v[117:118], v[81:82], v[97:98]
	;; [unrolled: 10-line block ×3, first 2 shown]
	s_waitcnt vmcnt(7)
	v_fma_f64 v[81:82], v[121:122], v[83:84], v[81:82]
	ds_read_b64 v[83:84], v80 offset:624
	s_waitcnt vmcnt(6) lgkmcnt(1)
	v_fma_f64 v[81:82], v[119:120], v[85:86], v[81:82]
	s_waitcnt vmcnt(3)
	v_fma_f64 v[81:82], v[91:92], v[87:88], v[81:82]
	s_waitcnt vmcnt(2) lgkmcnt(0)
	v_fma_f64 v[81:82], v[93:94], v[83:84], v[81:82]
	s_waitcnt vmcnt(0)
	v_add_f64 v[81:82], v[95:96], -v[81:82]
	buffer_store_dword v82, off, s[0:3], 0 offset:140
	buffer_store_dword v81, off, s[0:3], 0 offset:136
	v_cmpx_lt_u32_e32 16, v0
	s_cbranch_execz .LBB38_211
; %bb.210:
	s_clause 0x1
	buffer_load_dword v81, off, s[0:3], 0 offset:128
	buffer_load_dword v82, off, s[0:3], 0 offset:132
	buffer_store_dword v80, off, s[0:3], 0 offset:128
	buffer_store_dword v80, off, s[0:3], 0 offset:132
	s_waitcnt vmcnt(0)
	ds_write_b64 v79, v[81:82]
.LBB38_211:
	s_or_b32 exec_lo, exec_lo, s4
	s_waitcnt lgkmcnt(0)
	s_waitcnt_vscnt null, 0x0
	s_barrier
	buffer_gl0_inv
	s_clause 0x1c
	buffer_load_dword v89, off, s[0:3], 0 offset:136
	buffer_load_dword v90, off, s[0:3], 0 offset:140
	;; [unrolled: 1-line block ×29, first 2 shown]
	ds_read2_b64 v[81:84], v80 offset0:57 offset1:58
	ds_read2_b64 v[85:88], v80 offset0:59 offset1:60
	buffer_load_dword v114, off, s[0:3], 0 offset:252
	s_mov_b32 s4, exec_lo
	s_waitcnt vmcnt(28) lgkmcnt(1)
	v_fma_f64 v[81:82], v[89:90], v[81:82], 0
	s_clause 0x7
	buffer_load_dword v90, off, s[0:3], 0 offset:260
	buffer_load_dword v119, off, s[0:3], 0 offset:280
	;; [unrolled: 1-line block ×8, first 2 shown]
	s_waitcnt vmcnt(34)
	v_fma_f64 v[81:82], v[91:92], v[83:84], v[81:82]
	s_waitcnt vmcnt(32) lgkmcnt(0)
	v_fma_f64 v[81:82], v[93:94], v[85:86], v[81:82]
	s_waitcnt vmcnt(30)
	v_fma_f64 v[91:92], v[95:96], v[87:88], v[81:82]
	ds_read2_b64 v[81:84], v80 offset0:61 offset1:62
	ds_read2_b64 v[85:88], v80 offset0:63 offset1:64
	s_waitcnt vmcnt(28) lgkmcnt(1)
	v_fma_f64 v[81:82], v[97:98], v[81:82], v[91:92]
	s_clause 0x5
	buffer_load_dword v92, off, s[0:3], 0 offset:292
	buffer_load_dword v93, off, s[0:3], 0 offset:304
	;; [unrolled: 1-line block ×6, first 2 shown]
	s_waitcnt vmcnt(32)
	v_fma_f64 v[81:82], v[99:100], v[83:84], v[81:82]
	s_waitcnt vmcnt(30) lgkmcnt(0)
	v_fma_f64 v[81:82], v[101:102], v[85:86], v[81:82]
	s_waitcnt vmcnt(25)
	v_fma_f64 v[97:98], v[103:104], v[87:88], v[81:82]
	ds_read2_b64 v[81:84], v80 offset0:65 offset1:66
	s_clause 0x1
	buffer_load_dword v99, off, s[0:3], 0 offset:128
	buffer_load_dword v100, off, s[0:3], 0 offset:132
	ds_read2_b64 v[85:88], v80 offset0:67 offset1:68
	s_waitcnt vmcnt(26) lgkmcnt(1)
	v_fma_f64 v[81:82], v[109:110], v[81:82], v[97:98]
	s_waitcnt vmcnt(25)
	v_fma_f64 v[81:82], v[107:108], v[83:84], v[81:82]
	s_waitcnt vmcnt(24) lgkmcnt(0)
	v_fma_f64 v[81:82], v[105:106], v[85:86], v[81:82]
	s_waitcnt vmcnt(19)
	v_fma_f64 v[97:98], v[111:112], v[87:88], v[81:82]
	ds_read2_b64 v[81:84], v80 offset0:69 offset1:70
	ds_read2_b64 v[85:88], v80 offset0:71 offset1:72
	s_waitcnt vmcnt(18) lgkmcnt(1)
	v_fma_f64 v[81:82], v[117:118], v[81:82], v[97:98]
	s_waitcnt vmcnt(17)
	v_fma_f64 v[81:82], v[115:116], v[83:84], v[81:82]
	s_waitcnt vmcnt(16) lgkmcnt(0)
	v_fma_f64 v[81:82], v[113:114], v[85:86], v[81:82]
	s_waitcnt vmcnt(11)
	v_fma_f64 v[89:90], v[89:90], v[87:88], v[81:82]
	ds_read2_b64 v[81:84], v80 offset0:73 offset1:74
	;; [unrolled: 10-line block ×3, first 2 shown]
	s_waitcnt vmcnt(3) lgkmcnt(0)
	v_fma_f64 v[80:81], v[95:96], v[80:81], v[84:85]
	s_waitcnt vmcnt(2)
	v_fma_f64 v[80:81], v[93:94], v[82:83], v[80:81]
	s_waitcnt vmcnt(0)
	v_add_f64 v[80:81], v[99:100], -v[80:81]
	buffer_store_dword v81, off, s[0:3], 0 offset:132
	buffer_store_dword v80, off, s[0:3], 0 offset:128
	v_cmpx_lt_u32_e32 15, v0
	s_cbranch_execz .LBB38_213
; %bb.212:
	s_clause 0x1
	buffer_load_dword v80, off, s[0:3], 0 offset:120
	buffer_load_dword v81, off, s[0:3], 0 offset:124
	v_mov_b32_e32 v82, 0
	buffer_store_dword v82, off, s[0:3], 0 offset:120
	buffer_store_dword v82, off, s[0:3], 0 offset:124
	s_waitcnt vmcnt(0)
	ds_write_b64 v79, v[80:81]
.LBB38_213:
	s_or_b32 exec_lo, exec_lo, s4
	s_waitcnt lgkmcnt(0)
	s_waitcnt_vscnt null, 0x0
	s_barrier
	buffer_gl0_inv
	s_clause 0x1c
	buffer_load_dword v89, off, s[0:3], 0 offset:128
	buffer_load_dword v90, off, s[0:3], 0 offset:132
	;; [unrolled: 1-line block ×29, first 2 shown]
	v_mov_b32_e32 v80, 0
	buffer_load_dword v114, off, s[0:3], 0 offset:244
	s_mov_b32 s4, exec_lo
	ds_read_b128 v[81:84], v80 offset:448
	ds_read_b128 v[85:88], v80 offset:464
	s_waitcnt vmcnt(28) lgkmcnt(1)
	v_fma_f64 v[81:82], v[89:90], v[81:82], 0
	s_clause 0x7
	buffer_load_dword v90, off, s[0:3], 0 offset:252
	buffer_load_dword v119, off, s[0:3], 0 offset:272
	;; [unrolled: 1-line block ×8, first 2 shown]
	s_waitcnt vmcnt(34)
	v_fma_f64 v[81:82], v[91:92], v[83:84], v[81:82]
	s_waitcnt vmcnt(32) lgkmcnt(0)
	v_fma_f64 v[81:82], v[93:94], v[85:86], v[81:82]
	s_waitcnt vmcnt(30)
	v_fma_f64 v[91:92], v[95:96], v[87:88], v[81:82]
	ds_read_b128 v[81:84], v80 offset:480
	ds_read_b128 v[85:88], v80 offset:496
	s_waitcnt vmcnt(28) lgkmcnt(1)
	v_fma_f64 v[81:82], v[97:98], v[81:82], v[91:92]
	s_clause 0x7
	buffer_load_dword v92, off, s[0:3], 0 offset:284
	buffer_load_dword v93, off, s[0:3], 0 offset:304
	;; [unrolled: 1-line block ×8, first 2 shown]
	s_waitcnt vmcnt(34)
	v_fma_f64 v[81:82], v[99:100], v[83:84], v[81:82]
	s_waitcnt vmcnt(32) lgkmcnt(0)
	v_fma_f64 v[81:82], v[101:102], v[85:86], v[81:82]
	s_waitcnt vmcnt(27)
	v_fma_f64 v[99:100], v[103:104], v[87:88], v[81:82]
	ds_read_b128 v[81:84], v80 offset:512
	ds_read_b128 v[85:88], v80 offset:528
	s_waitcnt vmcnt(26) lgkmcnt(1)
	v_fma_f64 v[81:82], v[109:110], v[81:82], v[99:100]
	s_clause 0x1
	buffer_load_dword v99, off, s[0:3], 0 offset:120
	buffer_load_dword v100, off, s[0:3], 0 offset:124
	s_waitcnt vmcnt(27)
	v_fma_f64 v[81:82], v[107:108], v[83:84], v[81:82]
	s_waitcnt vmcnt(26) lgkmcnt(0)
	v_fma_f64 v[81:82], v[105:106], v[85:86], v[81:82]
	s_waitcnt vmcnt(21)
	v_fma_f64 v[101:102], v[111:112], v[87:88], v[81:82]
	ds_read_b128 v[81:84], v80 offset:544
	ds_read_b128 v[85:88], v80 offset:560
	s_waitcnt vmcnt(20) lgkmcnt(1)
	v_fma_f64 v[81:82], v[117:118], v[81:82], v[101:102]
	s_waitcnt vmcnt(19)
	v_fma_f64 v[81:82], v[115:116], v[83:84], v[81:82]
	s_waitcnt vmcnt(18) lgkmcnt(0)
	v_fma_f64 v[81:82], v[113:114], v[85:86], v[81:82]
	s_waitcnt vmcnt(13)
	v_fma_f64 v[89:90], v[89:90], v[87:88], v[81:82]
	ds_read_b128 v[81:84], v80 offset:576
	ds_read_b128 v[85:88], v80 offset:592
	s_waitcnt vmcnt(12) lgkmcnt(1)
	v_fma_f64 v[81:82], v[123:124], v[81:82], v[89:90]
	s_waitcnt vmcnt(11)
	v_fma_f64 v[81:82], v[121:122], v[83:84], v[81:82]
	s_waitcnt vmcnt(10) lgkmcnt(0)
	v_fma_f64 v[81:82], v[119:120], v[85:86], v[81:82]
	s_waitcnt vmcnt(5)
	v_fma_f64 v[85:86], v[91:92], v[87:88], v[81:82]
	ds_read_b128 v[81:84], v80 offset:608
	ds_read_b64 v[87:88], v80 offset:624
	s_waitcnt vmcnt(4) lgkmcnt(1)
	v_fma_f64 v[81:82], v[97:98], v[81:82], v[85:86]
	s_waitcnt vmcnt(3)
	v_fma_f64 v[81:82], v[95:96], v[83:84], v[81:82]
	s_waitcnt vmcnt(2) lgkmcnt(0)
	v_fma_f64 v[81:82], v[93:94], v[87:88], v[81:82]
	s_waitcnt vmcnt(0)
	v_add_f64 v[81:82], v[99:100], -v[81:82]
	buffer_store_dword v82, off, s[0:3], 0 offset:124
	buffer_store_dword v81, off, s[0:3], 0 offset:120
	v_cmpx_lt_u32_e32 14, v0
	s_cbranch_execz .LBB38_215
; %bb.214:
	s_clause 0x1
	buffer_load_dword v81, off, s[0:3], 0 offset:112
	buffer_load_dword v82, off, s[0:3], 0 offset:116
	buffer_store_dword v80, off, s[0:3], 0 offset:112
	buffer_store_dword v80, off, s[0:3], 0 offset:116
	s_waitcnt vmcnt(0)
	ds_write_b64 v79, v[81:82]
.LBB38_215:
	s_or_b32 exec_lo, exec_lo, s4
	s_waitcnt lgkmcnt(0)
	s_waitcnt_vscnt null, 0x0
	s_barrier
	buffer_gl0_inv
	s_clause 0x1c
	buffer_load_dword v89, off, s[0:3], 0 offset:120
	buffer_load_dword v90, off, s[0:3], 0 offset:124
	;; [unrolled: 1-line block ×29, first 2 shown]
	ds_read2_b64 v[81:84], v80 offset0:55 offset1:56
	ds_read2_b64 v[85:88], v80 offset0:57 offset1:58
	buffer_load_dword v114, off, s[0:3], 0 offset:236
	s_mov_b32 s4, exec_lo
	s_waitcnt vmcnt(28) lgkmcnt(1)
	v_fma_f64 v[81:82], v[89:90], v[81:82], 0
	s_clause 0x7
	buffer_load_dword v90, off, s[0:3], 0 offset:244
	buffer_load_dword v119, off, s[0:3], 0 offset:264
	;; [unrolled: 1-line block ×8, first 2 shown]
	s_waitcnt vmcnt(34)
	v_fma_f64 v[81:82], v[91:92], v[83:84], v[81:82]
	s_waitcnt vmcnt(32) lgkmcnt(0)
	v_fma_f64 v[81:82], v[93:94], v[85:86], v[81:82]
	s_waitcnt vmcnt(30)
	v_fma_f64 v[91:92], v[95:96], v[87:88], v[81:82]
	ds_read2_b64 v[81:84], v80 offset0:59 offset1:60
	ds_read2_b64 v[85:88], v80 offset0:61 offset1:62
	s_waitcnt vmcnt(28) lgkmcnt(1)
	v_fma_f64 v[81:82], v[97:98], v[81:82], v[91:92]
	s_clause 0x7
	buffer_load_dword v92, off, s[0:3], 0 offset:276
	buffer_load_dword v93, off, s[0:3], 0 offset:296
	;; [unrolled: 1-line block ×8, first 2 shown]
	s_waitcnt vmcnt(34)
	v_fma_f64 v[81:82], v[99:100], v[83:84], v[81:82]
	s_waitcnt vmcnt(32) lgkmcnt(0)
	v_fma_f64 v[81:82], v[101:102], v[85:86], v[81:82]
	s_waitcnt vmcnt(27)
	v_fma_f64 v[99:100], v[103:104], v[87:88], v[81:82]
	ds_read2_b64 v[81:84], v80 offset0:63 offset1:64
	ds_read2_b64 v[85:88], v80 offset0:65 offset1:66
	s_waitcnt vmcnt(26) lgkmcnt(1)
	v_fma_f64 v[81:82], v[109:110], v[81:82], v[99:100]
	s_clause 0x3
	buffer_load_dword v100, off, s[0:3], 0 offset:308
	buffer_load_dword v99, off, s[0:3], 0 offset:304
	;; [unrolled: 1-line block ×4, first 2 shown]
	s_waitcnt vmcnt(29)
	v_fma_f64 v[81:82], v[107:108], v[83:84], v[81:82]
	s_waitcnt vmcnt(28) lgkmcnt(0)
	v_fma_f64 v[81:82], v[105:106], v[85:86], v[81:82]
	s_waitcnt vmcnt(23)
	v_fma_f64 v[103:104], v[111:112], v[87:88], v[81:82]
	ds_read2_b64 v[81:84], v80 offset0:67 offset1:68
	ds_read2_b64 v[85:88], v80 offset0:69 offset1:70
	s_waitcnt vmcnt(22) lgkmcnt(1)
	v_fma_f64 v[81:82], v[117:118], v[81:82], v[103:104]
	s_waitcnt vmcnt(21)
	v_fma_f64 v[81:82], v[115:116], v[83:84], v[81:82]
	s_waitcnt vmcnt(20) lgkmcnt(0)
	v_fma_f64 v[81:82], v[113:114], v[85:86], v[81:82]
	s_waitcnt vmcnt(15)
	v_fma_f64 v[89:90], v[89:90], v[87:88], v[81:82]
	ds_read2_b64 v[81:84], v80 offset0:71 offset1:72
	ds_read2_b64 v[85:88], v80 offset0:73 offset1:74
	s_waitcnt vmcnt(14) lgkmcnt(1)
	v_fma_f64 v[81:82], v[123:124], v[81:82], v[89:90]
	s_waitcnt vmcnt(13)
	v_fma_f64 v[81:82], v[121:122], v[83:84], v[81:82]
	s_waitcnt vmcnt(12) lgkmcnt(0)
	v_fma_f64 v[81:82], v[119:120], v[85:86], v[81:82]
	s_waitcnt vmcnt(7)
	v_fma_f64 v[89:90], v[91:92], v[87:88], v[81:82]
	ds_read2_b64 v[81:84], v80 offset0:75 offset1:76
	ds_read2_b64 v[85:88], v80 offset0:77 offset1:78
	s_waitcnt vmcnt(6) lgkmcnt(1)
	v_fma_f64 v[80:81], v[97:98], v[81:82], v[89:90]
	s_waitcnt vmcnt(5)
	v_fma_f64 v[80:81], v[95:96], v[83:84], v[80:81]
	s_waitcnt vmcnt(4) lgkmcnt(0)
	v_fma_f64 v[80:81], v[93:94], v[85:86], v[80:81]
	s_waitcnt vmcnt(2)
	v_fma_f64 v[80:81], v[99:100], v[87:88], v[80:81]
	s_waitcnt vmcnt(0)
	v_add_f64 v[80:81], v[101:102], -v[80:81]
	buffer_store_dword v81, off, s[0:3], 0 offset:116
	buffer_store_dword v80, off, s[0:3], 0 offset:112
	v_cmpx_lt_u32_e32 13, v0
	s_cbranch_execz .LBB38_217
; %bb.216:
	s_clause 0x1
	buffer_load_dword v80, off, s[0:3], 0 offset:104
	buffer_load_dword v81, off, s[0:3], 0 offset:108
	v_mov_b32_e32 v82, 0
	buffer_store_dword v82, off, s[0:3], 0 offset:104
	buffer_store_dword v82, off, s[0:3], 0 offset:108
	s_waitcnt vmcnt(0)
	ds_write_b64 v79, v[80:81]
.LBB38_217:
	s_or_b32 exec_lo, exec_lo, s4
	s_waitcnt lgkmcnt(0)
	s_waitcnt_vscnt null, 0x0
	s_barrier
	buffer_gl0_inv
	s_clause 0x1c
	buffer_load_dword v89, off, s[0:3], 0 offset:112
	buffer_load_dword v90, off, s[0:3], 0 offset:116
	buffer_load_dword v91, off, s[0:3], 0 offset:120
	buffer_load_dword v92, off, s[0:3], 0 offset:124
	buffer_load_dword v93, off, s[0:3], 0 offset:128
	buffer_load_dword v94, off, s[0:3], 0 offset:132
	buffer_load_dword v95, off, s[0:3], 0 offset:136
	buffer_load_dword v96, off, s[0:3], 0 offset:140
	buffer_load_dword v97, off, s[0:3], 0 offset:144
	buffer_load_dword v98, off, s[0:3], 0 offset:148
	buffer_load_dword v99, off, s[0:3], 0 offset:152
	buffer_load_dword v100, off, s[0:3], 0 offset:156
	buffer_load_dword v101, off, s[0:3], 0 offset:160
	buffer_load_dword v102, off, s[0:3], 0 offset:164
	buffer_load_dword v104, off, s[0:3], 0 offset:172
	buffer_load_dword v105, off, s[0:3], 0 offset:192
	buffer_load_dword v107, off, s[0:3], 0 offset:184
	buffer_load_dword v109, off, s[0:3], 0 offset:176
	buffer_load_dword v103, off, s[0:3], 0 offset:168
	buffer_load_dword v110, off, s[0:3], 0 offset:180
	buffer_load_dword v108, off, s[0:3], 0 offset:188
	buffer_load_dword v106, off, s[0:3], 0 offset:196
	buffer_load_dword v112, off, s[0:3], 0 offset:204
	buffer_load_dword v113, off, s[0:3], 0 offset:224
	buffer_load_dword v115, off, s[0:3], 0 offset:216
	buffer_load_dword v117, off, s[0:3], 0 offset:208
	buffer_load_dword v111, off, s[0:3], 0 offset:200
	buffer_load_dword v118, off, s[0:3], 0 offset:212
	buffer_load_dword v116, off, s[0:3], 0 offset:220
	v_mov_b32_e32 v80, 0
	buffer_load_dword v114, off, s[0:3], 0 offset:228
	s_mov_b32 s4, exec_lo
	ds_read_b128 v[81:84], v80 offset:432
	ds_read_b128 v[85:88], v80 offset:448
	s_waitcnt vmcnt(28) lgkmcnt(1)
	v_fma_f64 v[81:82], v[89:90], v[81:82], 0
	s_clause 0x7
	buffer_load_dword v90, off, s[0:3], 0 offset:236
	buffer_load_dword v119, off, s[0:3], 0 offset:256
	;; [unrolled: 1-line block ×8, first 2 shown]
	s_waitcnt vmcnt(34)
	v_fma_f64 v[81:82], v[91:92], v[83:84], v[81:82]
	s_waitcnt vmcnt(32) lgkmcnt(0)
	v_fma_f64 v[81:82], v[93:94], v[85:86], v[81:82]
	s_waitcnt vmcnt(30)
	v_fma_f64 v[91:92], v[95:96], v[87:88], v[81:82]
	ds_read_b128 v[81:84], v80 offset:464
	ds_read_b128 v[85:88], v80 offset:480
	s_waitcnt vmcnt(28) lgkmcnt(1)
	v_fma_f64 v[81:82], v[97:98], v[81:82], v[91:92]
	s_clause 0x7
	buffer_load_dword v92, off, s[0:3], 0 offset:268
	buffer_load_dword v93, off, s[0:3], 0 offset:288
	;; [unrolled: 1-line block ×8, first 2 shown]
	s_waitcnt vmcnt(34)
	v_fma_f64 v[81:82], v[99:100], v[83:84], v[81:82]
	s_waitcnt vmcnt(32) lgkmcnt(0)
	v_fma_f64 v[81:82], v[101:102], v[85:86], v[81:82]
	s_waitcnt vmcnt(27)
	v_fma_f64 v[99:100], v[103:104], v[87:88], v[81:82]
	ds_read_b128 v[81:84], v80 offset:496
	ds_read_b128 v[85:88], v80 offset:512
	s_waitcnt vmcnt(26) lgkmcnt(1)
	v_fma_f64 v[81:82], v[109:110], v[81:82], v[99:100]
	s_clause 0x5
	buffer_load_dword v100, off, s[0:3], 0 offset:300
	buffer_load_dword v101, off, s[0:3], 0 offset:304
	buffer_load_dword v99, off, s[0:3], 0 offset:296
	buffer_load_dword v102, off, s[0:3], 0 offset:308
	buffer_load_dword v103, off, s[0:3], 0 offset:104
	buffer_load_dword v104, off, s[0:3], 0 offset:108
	s_waitcnt vmcnt(31)
	v_fma_f64 v[81:82], v[107:108], v[83:84], v[81:82]
	s_waitcnt vmcnt(30) lgkmcnt(0)
	v_fma_f64 v[81:82], v[105:106], v[85:86], v[81:82]
	s_waitcnt vmcnt(25)
	v_fma_f64 v[105:106], v[111:112], v[87:88], v[81:82]
	ds_read_b128 v[81:84], v80 offset:528
	ds_read_b128 v[85:88], v80 offset:544
	s_waitcnt vmcnt(24) lgkmcnt(1)
	v_fma_f64 v[81:82], v[117:118], v[81:82], v[105:106]
	s_waitcnt vmcnt(23)
	v_fma_f64 v[81:82], v[115:116], v[83:84], v[81:82]
	s_waitcnt vmcnt(22) lgkmcnt(0)
	v_fma_f64 v[81:82], v[113:114], v[85:86], v[81:82]
	s_waitcnt vmcnt(17)
	v_fma_f64 v[89:90], v[89:90], v[87:88], v[81:82]
	ds_read_b128 v[81:84], v80 offset:560
	ds_read_b128 v[85:88], v80 offset:576
	s_waitcnt vmcnt(16) lgkmcnt(1)
	v_fma_f64 v[81:82], v[123:124], v[81:82], v[89:90]
	s_waitcnt vmcnt(15)
	v_fma_f64 v[81:82], v[121:122], v[83:84], v[81:82]
	s_waitcnt vmcnt(14) lgkmcnt(0)
	v_fma_f64 v[81:82], v[119:120], v[85:86], v[81:82]
	s_waitcnt vmcnt(9)
	v_fma_f64 v[89:90], v[91:92], v[87:88], v[81:82]
	ds_read_b128 v[81:84], v80 offset:592
	ds_read_b128 v[85:88], v80 offset:608
	s_waitcnt vmcnt(8) lgkmcnt(1)
	v_fma_f64 v[81:82], v[97:98], v[81:82], v[89:90]
	s_waitcnt vmcnt(7)
	v_fma_f64 v[81:82], v[95:96], v[83:84], v[81:82]
	ds_read_b64 v[83:84], v80 offset:624
	s_waitcnt vmcnt(6) lgkmcnt(1)
	v_fma_f64 v[81:82], v[93:94], v[85:86], v[81:82]
	s_waitcnt vmcnt(3)
	v_fma_f64 v[81:82], v[99:100], v[87:88], v[81:82]
	s_waitcnt vmcnt(2) lgkmcnt(0)
	v_fma_f64 v[81:82], v[101:102], v[83:84], v[81:82]
	s_waitcnt vmcnt(0)
	v_add_f64 v[81:82], v[103:104], -v[81:82]
	buffer_store_dword v82, off, s[0:3], 0 offset:108
	buffer_store_dword v81, off, s[0:3], 0 offset:104
	v_cmpx_lt_u32_e32 12, v0
	s_cbranch_execz .LBB38_219
; %bb.218:
	s_clause 0x1
	buffer_load_dword v81, off, s[0:3], 0 offset:96
	buffer_load_dword v82, off, s[0:3], 0 offset:100
	buffer_store_dword v80, off, s[0:3], 0 offset:96
	buffer_store_dword v80, off, s[0:3], 0 offset:100
	s_waitcnt vmcnt(0)
	ds_write_b64 v79, v[81:82]
.LBB38_219:
	s_or_b32 exec_lo, exec_lo, s4
	s_waitcnt lgkmcnt(0)
	s_waitcnt_vscnt null, 0x0
	s_barrier
	buffer_gl0_inv
	s_clause 0x1c
	buffer_load_dword v89, off, s[0:3], 0 offset:104
	buffer_load_dword v90, off, s[0:3], 0 offset:108
	;; [unrolled: 1-line block ×29, first 2 shown]
	ds_read2_b64 v[81:84], v80 offset0:53 offset1:54
	ds_read2_b64 v[85:88], v80 offset0:55 offset1:56
	buffer_load_dword v114, off, s[0:3], 0 offset:220
	s_mov_b32 s4, exec_lo
	s_waitcnt vmcnt(28) lgkmcnt(1)
	v_fma_f64 v[81:82], v[89:90], v[81:82], 0
	s_clause 0x7
	buffer_load_dword v90, off, s[0:3], 0 offset:228
	buffer_load_dword v119, off, s[0:3], 0 offset:248
	;; [unrolled: 1-line block ×8, first 2 shown]
	s_waitcnt vmcnt(34)
	v_fma_f64 v[81:82], v[91:92], v[83:84], v[81:82]
	s_waitcnt vmcnt(32) lgkmcnt(0)
	v_fma_f64 v[81:82], v[93:94], v[85:86], v[81:82]
	s_waitcnt vmcnt(30)
	v_fma_f64 v[91:92], v[95:96], v[87:88], v[81:82]
	ds_read2_b64 v[81:84], v80 offset0:57 offset1:58
	ds_read2_b64 v[85:88], v80 offset0:59 offset1:60
	s_waitcnt vmcnt(28) lgkmcnt(1)
	v_fma_f64 v[81:82], v[97:98], v[81:82], v[91:92]
	s_clause 0x7
	buffer_load_dword v92, off, s[0:3], 0 offset:260
	buffer_load_dword v93, off, s[0:3], 0 offset:280
	;; [unrolled: 1-line block ×8, first 2 shown]
	s_waitcnt vmcnt(34)
	v_fma_f64 v[81:82], v[99:100], v[83:84], v[81:82]
	s_waitcnt vmcnt(32) lgkmcnt(0)
	v_fma_f64 v[81:82], v[101:102], v[85:86], v[81:82]
	s_waitcnt vmcnt(27)
	v_fma_f64 v[99:100], v[103:104], v[87:88], v[81:82]
	ds_read2_b64 v[81:84], v80 offset0:61 offset1:62
	ds_read2_b64 v[85:88], v80 offset0:63 offset1:64
	s_waitcnt vmcnt(26) lgkmcnt(1)
	v_fma_f64 v[81:82], v[109:110], v[81:82], v[99:100]
	s_clause 0x5
	buffer_load_dword v100, off, s[0:3], 0 offset:292
	buffer_load_dword v101, off, s[0:3], 0 offset:304
	;; [unrolled: 1-line block ×6, first 2 shown]
	s_waitcnt vmcnt(31)
	v_fma_f64 v[81:82], v[107:108], v[83:84], v[81:82]
	s_waitcnt vmcnt(30) lgkmcnt(0)
	v_fma_f64 v[81:82], v[105:106], v[85:86], v[81:82]
	s_waitcnt vmcnt(25)
	v_fma_f64 v[105:106], v[111:112], v[87:88], v[81:82]
	ds_read2_b64 v[81:84], v80 offset0:65 offset1:66
	s_clause 0x1
	buffer_load_dword v107, off, s[0:3], 0 offset:96
	buffer_load_dword v108, off, s[0:3], 0 offset:100
	ds_read2_b64 v[85:88], v80 offset0:67 offset1:68
	s_waitcnt vmcnt(26) lgkmcnt(1)
	v_fma_f64 v[81:82], v[117:118], v[81:82], v[105:106]
	s_waitcnt vmcnt(25)
	v_fma_f64 v[81:82], v[115:116], v[83:84], v[81:82]
	s_waitcnt vmcnt(24) lgkmcnt(0)
	v_fma_f64 v[81:82], v[113:114], v[85:86], v[81:82]
	s_waitcnt vmcnt(19)
	v_fma_f64 v[89:90], v[89:90], v[87:88], v[81:82]
	ds_read2_b64 v[81:84], v80 offset0:69 offset1:70
	ds_read2_b64 v[85:88], v80 offset0:71 offset1:72
	s_waitcnt vmcnt(18) lgkmcnt(1)
	v_fma_f64 v[81:82], v[123:124], v[81:82], v[89:90]
	s_waitcnt vmcnt(17)
	v_fma_f64 v[81:82], v[121:122], v[83:84], v[81:82]
	s_waitcnt vmcnt(16) lgkmcnt(0)
	v_fma_f64 v[81:82], v[119:120], v[85:86], v[81:82]
	s_waitcnt vmcnt(11)
	v_fma_f64 v[89:90], v[91:92], v[87:88], v[81:82]
	ds_read2_b64 v[81:84], v80 offset0:73 offset1:74
	ds_read2_b64 v[85:88], v80 offset0:75 offset1:76
	s_waitcnt vmcnt(10) lgkmcnt(1)
	v_fma_f64 v[81:82], v[97:98], v[81:82], v[89:90]
	s_waitcnt vmcnt(9)
	v_fma_f64 v[81:82], v[95:96], v[83:84], v[81:82]
	s_waitcnt vmcnt(8) lgkmcnt(0)
	v_fma_f64 v[81:82], v[93:94], v[85:86], v[81:82]
	s_waitcnt vmcnt(4)
	v_fma_f64 v[84:85], v[99:100], v[87:88], v[81:82]
	ds_read2_b64 v[80:83], v80 offset0:77 offset1:78
	s_waitcnt vmcnt(3) lgkmcnt(0)
	v_fma_f64 v[80:81], v[103:104], v[80:81], v[84:85]
	s_waitcnt vmcnt(2)
	v_fma_f64 v[80:81], v[101:102], v[82:83], v[80:81]
	s_waitcnt vmcnt(0)
	v_add_f64 v[80:81], v[107:108], -v[80:81]
	buffer_store_dword v81, off, s[0:3], 0 offset:100
	buffer_store_dword v80, off, s[0:3], 0 offset:96
	v_cmpx_lt_u32_e32 11, v0
	s_cbranch_execz .LBB38_221
; %bb.220:
	s_clause 0x1
	buffer_load_dword v80, off, s[0:3], 0 offset:88
	buffer_load_dword v81, off, s[0:3], 0 offset:92
	v_mov_b32_e32 v82, 0
	buffer_store_dword v82, off, s[0:3], 0 offset:88
	buffer_store_dword v82, off, s[0:3], 0 offset:92
	s_waitcnt vmcnt(0)
	ds_write_b64 v79, v[80:81]
.LBB38_221:
	s_or_b32 exec_lo, exec_lo, s4
	s_waitcnt lgkmcnt(0)
	s_waitcnt_vscnt null, 0x0
	s_barrier
	buffer_gl0_inv
	s_clause 0x1c
	buffer_load_dword v89, off, s[0:3], 0 offset:96
	buffer_load_dword v90, off, s[0:3], 0 offset:100
	;; [unrolled: 1-line block ×29, first 2 shown]
	v_mov_b32_e32 v80, 0
	buffer_load_dword v114, off, s[0:3], 0 offset:212
	s_mov_b32 s4, exec_lo
	ds_read_b128 v[81:84], v80 offset:416
	ds_read_b128 v[85:88], v80 offset:432
	s_waitcnt vmcnt(28) lgkmcnt(1)
	v_fma_f64 v[81:82], v[89:90], v[81:82], 0
	s_clause 0x7
	buffer_load_dword v90, off, s[0:3], 0 offset:220
	buffer_load_dword v119, off, s[0:3], 0 offset:240
	buffer_load_dword v121, off, s[0:3], 0 offset:232
	buffer_load_dword v123, off, s[0:3], 0 offset:224
	buffer_load_dword v89, off, s[0:3], 0 offset:216
	buffer_load_dword v124, off, s[0:3], 0 offset:228
	buffer_load_dword v122, off, s[0:3], 0 offset:236
	buffer_load_dword v120, off, s[0:3], 0 offset:244
	s_waitcnt vmcnt(34)
	v_fma_f64 v[81:82], v[91:92], v[83:84], v[81:82]
	s_waitcnt vmcnt(32) lgkmcnt(0)
	v_fma_f64 v[81:82], v[93:94], v[85:86], v[81:82]
	s_waitcnt vmcnt(30)
	v_fma_f64 v[91:92], v[95:96], v[87:88], v[81:82]
	ds_read_b128 v[81:84], v80 offset:448
	ds_read_b128 v[85:88], v80 offset:464
	s_waitcnt vmcnt(28) lgkmcnt(1)
	v_fma_f64 v[81:82], v[97:98], v[81:82], v[91:92]
	s_clause 0x7
	buffer_load_dword v92, off, s[0:3], 0 offset:252
	buffer_load_dword v93, off, s[0:3], 0 offset:272
	buffer_load_dword v95, off, s[0:3], 0 offset:264
	buffer_load_dword v97, off, s[0:3], 0 offset:256
	buffer_load_dword v91, off, s[0:3], 0 offset:248
	buffer_load_dword v98, off, s[0:3], 0 offset:260
	buffer_load_dword v96, off, s[0:3], 0 offset:268
	buffer_load_dword v94, off, s[0:3], 0 offset:276
	s_waitcnt vmcnt(34)
	v_fma_f64 v[81:82], v[99:100], v[83:84], v[81:82]
	s_waitcnt vmcnt(32) lgkmcnt(0)
	v_fma_f64 v[81:82], v[101:102], v[85:86], v[81:82]
	s_waitcnt vmcnt(27)
	v_fma_f64 v[99:100], v[103:104], v[87:88], v[81:82]
	;; [unrolled: 19-line block ×3, first 2 shown]
	ds_read_b128 v[81:84], v80 offset:512
	ds_read_b128 v[85:88], v80 offset:528
	s_waitcnt vmcnt(26) lgkmcnt(1)
	v_fma_f64 v[81:82], v[117:118], v[81:82], v[105:106]
	s_clause 0x1
	buffer_load_dword v105, off, s[0:3], 0 offset:88
	buffer_load_dword v106, off, s[0:3], 0 offset:92
	s_waitcnt vmcnt(27)
	v_fma_f64 v[81:82], v[115:116], v[83:84], v[81:82]
	s_waitcnt vmcnt(26) lgkmcnt(0)
	v_fma_f64 v[81:82], v[113:114], v[85:86], v[81:82]
	s_waitcnt vmcnt(21)
	v_fma_f64 v[89:90], v[89:90], v[87:88], v[81:82]
	ds_read_b128 v[81:84], v80 offset:544
	ds_read_b128 v[85:88], v80 offset:560
	s_waitcnt vmcnt(20) lgkmcnt(1)
	v_fma_f64 v[81:82], v[123:124], v[81:82], v[89:90]
	s_waitcnt vmcnt(19)
	v_fma_f64 v[81:82], v[121:122], v[83:84], v[81:82]
	s_waitcnt vmcnt(18) lgkmcnt(0)
	v_fma_f64 v[81:82], v[119:120], v[85:86], v[81:82]
	s_waitcnt vmcnt(13)
	v_fma_f64 v[89:90], v[91:92], v[87:88], v[81:82]
	ds_read_b128 v[81:84], v80 offset:576
	ds_read_b128 v[85:88], v80 offset:592
	s_waitcnt vmcnt(12) lgkmcnt(1)
	v_fma_f64 v[81:82], v[97:98], v[81:82], v[89:90]
	s_waitcnt vmcnt(11)
	v_fma_f64 v[81:82], v[95:96], v[83:84], v[81:82]
	s_waitcnt vmcnt(10) lgkmcnt(0)
	v_fma_f64 v[81:82], v[93:94], v[85:86], v[81:82]
	s_waitcnt vmcnt(5)
	v_fma_f64 v[85:86], v[99:100], v[87:88], v[81:82]
	ds_read_b128 v[81:84], v80 offset:608
	ds_read_b64 v[87:88], v80 offset:624
	s_waitcnt vmcnt(4) lgkmcnt(1)
	v_fma_f64 v[81:82], v[109:110], v[81:82], v[85:86]
	s_waitcnt vmcnt(3)
	v_fma_f64 v[81:82], v[103:104], v[83:84], v[81:82]
	s_waitcnt vmcnt(2) lgkmcnt(0)
	v_fma_f64 v[81:82], v[101:102], v[87:88], v[81:82]
	s_waitcnt vmcnt(0)
	v_add_f64 v[81:82], v[105:106], -v[81:82]
	buffer_store_dword v82, off, s[0:3], 0 offset:92
	buffer_store_dword v81, off, s[0:3], 0 offset:88
	v_cmpx_lt_u32_e32 10, v0
	s_cbranch_execz .LBB38_223
; %bb.222:
	s_clause 0x1
	buffer_load_dword v81, off, s[0:3], 0 offset:80
	buffer_load_dword v82, off, s[0:3], 0 offset:84
	buffer_store_dword v80, off, s[0:3], 0 offset:80
	buffer_store_dword v80, off, s[0:3], 0 offset:84
	s_waitcnt vmcnt(0)
	ds_write_b64 v79, v[81:82]
.LBB38_223:
	s_or_b32 exec_lo, exec_lo, s4
	s_waitcnt lgkmcnt(0)
	s_waitcnt_vscnt null, 0x0
	s_barrier
	buffer_gl0_inv
	s_clause 0x1c
	buffer_load_dword v89, off, s[0:3], 0 offset:88
	buffer_load_dword v90, off, s[0:3], 0 offset:92
	;; [unrolled: 1-line block ×29, first 2 shown]
	ds_read2_b64 v[81:84], v80 offset0:51 offset1:52
	ds_read2_b64 v[85:88], v80 offset0:53 offset1:54
	buffer_load_dword v114, off, s[0:3], 0 offset:204
	s_mov_b32 s4, exec_lo
	s_waitcnt vmcnt(28) lgkmcnt(1)
	v_fma_f64 v[81:82], v[89:90], v[81:82], 0
	s_clause 0x7
	buffer_load_dword v90, off, s[0:3], 0 offset:212
	buffer_load_dword v119, off, s[0:3], 0 offset:232
	buffer_load_dword v121, off, s[0:3], 0 offset:224
	buffer_load_dword v123, off, s[0:3], 0 offset:216
	buffer_load_dword v89, off, s[0:3], 0 offset:208
	buffer_load_dword v124, off, s[0:3], 0 offset:220
	buffer_load_dword v122, off, s[0:3], 0 offset:228
	buffer_load_dword v120, off, s[0:3], 0 offset:236
	s_waitcnt vmcnt(34)
	v_fma_f64 v[81:82], v[91:92], v[83:84], v[81:82]
	s_waitcnt vmcnt(32) lgkmcnt(0)
	v_fma_f64 v[81:82], v[93:94], v[85:86], v[81:82]
	s_waitcnt vmcnt(30)
	v_fma_f64 v[91:92], v[95:96], v[87:88], v[81:82]
	ds_read2_b64 v[81:84], v80 offset0:55 offset1:56
	ds_read2_b64 v[85:88], v80 offset0:57 offset1:58
	s_waitcnt vmcnt(28) lgkmcnt(1)
	v_fma_f64 v[81:82], v[97:98], v[81:82], v[91:92]
	s_clause 0x7
	buffer_load_dword v92, off, s[0:3], 0 offset:244
	buffer_load_dword v93, off, s[0:3], 0 offset:264
	buffer_load_dword v95, off, s[0:3], 0 offset:256
	buffer_load_dword v97, off, s[0:3], 0 offset:248
	buffer_load_dword v91, off, s[0:3], 0 offset:240
	buffer_load_dword v98, off, s[0:3], 0 offset:252
	buffer_load_dword v96, off, s[0:3], 0 offset:260
	buffer_load_dword v94, off, s[0:3], 0 offset:268
	s_waitcnt vmcnt(34)
	v_fma_f64 v[81:82], v[99:100], v[83:84], v[81:82]
	s_waitcnt vmcnt(32) lgkmcnt(0)
	v_fma_f64 v[81:82], v[101:102], v[85:86], v[81:82]
	s_waitcnt vmcnt(27)
	v_fma_f64 v[99:100], v[103:104], v[87:88], v[81:82]
	ds_read2_b64 v[81:84], v80 offset0:59 offset1:60
	ds_read2_b64 v[85:88], v80 offset0:61 offset1:62
	;; [unrolled: 19-line block ×3, first 2 shown]
	s_waitcnt vmcnt(26) lgkmcnt(1)
	v_fma_f64 v[81:82], v[117:118], v[81:82], v[105:106]
	s_clause 0x3
	buffer_load_dword v106, off, s[0:3], 0 offset:308
	buffer_load_dword v105, off, s[0:3], 0 offset:304
	;; [unrolled: 1-line block ×4, first 2 shown]
	s_waitcnt vmcnt(29)
	v_fma_f64 v[81:82], v[115:116], v[83:84], v[81:82]
	s_waitcnt vmcnt(28) lgkmcnt(0)
	v_fma_f64 v[81:82], v[113:114], v[85:86], v[81:82]
	s_waitcnt vmcnt(23)
	v_fma_f64 v[89:90], v[89:90], v[87:88], v[81:82]
	ds_read2_b64 v[81:84], v80 offset0:67 offset1:68
	ds_read2_b64 v[85:88], v80 offset0:69 offset1:70
	s_waitcnt vmcnt(22) lgkmcnt(1)
	v_fma_f64 v[81:82], v[123:124], v[81:82], v[89:90]
	s_waitcnt vmcnt(21)
	v_fma_f64 v[81:82], v[121:122], v[83:84], v[81:82]
	s_waitcnt vmcnt(20) lgkmcnt(0)
	v_fma_f64 v[81:82], v[119:120], v[85:86], v[81:82]
	s_waitcnt vmcnt(15)
	v_fma_f64 v[89:90], v[91:92], v[87:88], v[81:82]
	ds_read2_b64 v[81:84], v80 offset0:71 offset1:72
	ds_read2_b64 v[85:88], v80 offset0:73 offset1:74
	s_waitcnt vmcnt(14) lgkmcnt(1)
	v_fma_f64 v[81:82], v[97:98], v[81:82], v[89:90]
	;; [unrolled: 10-line block ×3, first 2 shown]
	s_waitcnt vmcnt(5)
	v_fma_f64 v[80:81], v[103:104], v[83:84], v[80:81]
	s_waitcnt vmcnt(4) lgkmcnt(0)
	v_fma_f64 v[80:81], v[101:102], v[85:86], v[80:81]
	s_waitcnt vmcnt(2)
	v_fma_f64 v[80:81], v[105:106], v[87:88], v[80:81]
	s_waitcnt vmcnt(0)
	v_add_f64 v[80:81], v[107:108], -v[80:81]
	buffer_store_dword v81, off, s[0:3], 0 offset:84
	buffer_store_dword v80, off, s[0:3], 0 offset:80
	v_cmpx_lt_u32_e32 9, v0
	s_cbranch_execz .LBB38_225
; %bb.224:
	s_clause 0x1
	buffer_load_dword v80, off, s[0:3], 0 offset:72
	buffer_load_dword v81, off, s[0:3], 0 offset:76
	v_mov_b32_e32 v82, 0
	buffer_store_dword v82, off, s[0:3], 0 offset:72
	buffer_store_dword v82, off, s[0:3], 0 offset:76
	s_waitcnt vmcnt(0)
	ds_write_b64 v79, v[80:81]
.LBB38_225:
	s_or_b32 exec_lo, exec_lo, s4
	s_waitcnt lgkmcnt(0)
	s_waitcnt_vscnt null, 0x0
	s_barrier
	buffer_gl0_inv
	s_clause 0x1c
	buffer_load_dword v89, off, s[0:3], 0 offset:80
	buffer_load_dword v90, off, s[0:3], 0 offset:84
	;; [unrolled: 1-line block ×29, first 2 shown]
	v_mov_b32_e32 v80, 0
	buffer_load_dword v114, off, s[0:3], 0 offset:196
	s_mov_b32 s4, exec_lo
	ds_read_b128 v[81:84], v80 offset:400
	ds_read_b128 v[85:88], v80 offset:416
	s_waitcnt vmcnt(28) lgkmcnt(1)
	v_fma_f64 v[81:82], v[89:90], v[81:82], 0
	s_clause 0x7
	buffer_load_dword v90, off, s[0:3], 0 offset:204
	buffer_load_dword v119, off, s[0:3], 0 offset:224
	buffer_load_dword v121, off, s[0:3], 0 offset:216
	buffer_load_dword v123, off, s[0:3], 0 offset:208
	buffer_load_dword v89, off, s[0:3], 0 offset:200
	buffer_load_dword v124, off, s[0:3], 0 offset:212
	buffer_load_dword v122, off, s[0:3], 0 offset:220
	buffer_load_dword v120, off, s[0:3], 0 offset:228
	s_waitcnt vmcnt(34)
	v_fma_f64 v[81:82], v[91:92], v[83:84], v[81:82]
	s_waitcnt vmcnt(32) lgkmcnt(0)
	v_fma_f64 v[81:82], v[93:94], v[85:86], v[81:82]
	s_waitcnt vmcnt(30)
	v_fma_f64 v[91:92], v[95:96], v[87:88], v[81:82]
	ds_read_b128 v[81:84], v80 offset:432
	ds_read_b128 v[85:88], v80 offset:448
	s_waitcnt vmcnt(28) lgkmcnt(1)
	v_fma_f64 v[81:82], v[97:98], v[81:82], v[91:92]
	s_clause 0x7
	buffer_load_dword v92, off, s[0:3], 0 offset:236
	buffer_load_dword v93, off, s[0:3], 0 offset:256
	buffer_load_dword v95, off, s[0:3], 0 offset:248
	buffer_load_dword v97, off, s[0:3], 0 offset:240
	buffer_load_dword v91, off, s[0:3], 0 offset:232
	buffer_load_dword v98, off, s[0:3], 0 offset:244
	buffer_load_dword v96, off, s[0:3], 0 offset:252
	buffer_load_dword v94, off, s[0:3], 0 offset:260
	s_waitcnt vmcnt(34)
	v_fma_f64 v[81:82], v[99:100], v[83:84], v[81:82]
	s_waitcnt vmcnt(32) lgkmcnt(0)
	v_fma_f64 v[81:82], v[101:102], v[85:86], v[81:82]
	s_waitcnt vmcnt(27)
	v_fma_f64 v[99:100], v[103:104], v[87:88], v[81:82]
	;; [unrolled: 19-line block ×3, first 2 shown]
	ds_read_b128 v[81:84], v80 offset:496
	ds_read_b128 v[85:88], v80 offset:512
	s_waitcnt vmcnt(26) lgkmcnt(1)
	v_fma_f64 v[81:82], v[117:118], v[81:82], v[105:106]
	s_clause 0x5
	buffer_load_dword v106, off, s[0:3], 0 offset:300
	buffer_load_dword v107, off, s[0:3], 0 offset:304
	;; [unrolled: 1-line block ×6, first 2 shown]
	s_waitcnt vmcnt(31)
	v_fma_f64 v[81:82], v[115:116], v[83:84], v[81:82]
	s_waitcnt vmcnt(30) lgkmcnt(0)
	v_fma_f64 v[81:82], v[113:114], v[85:86], v[81:82]
	s_waitcnt vmcnt(25)
	v_fma_f64 v[89:90], v[89:90], v[87:88], v[81:82]
	ds_read_b128 v[81:84], v80 offset:528
	ds_read_b128 v[85:88], v80 offset:544
	s_waitcnt vmcnt(24) lgkmcnt(1)
	v_fma_f64 v[81:82], v[123:124], v[81:82], v[89:90]
	s_waitcnt vmcnt(23)
	v_fma_f64 v[81:82], v[121:122], v[83:84], v[81:82]
	s_waitcnt vmcnt(22) lgkmcnt(0)
	v_fma_f64 v[81:82], v[119:120], v[85:86], v[81:82]
	s_waitcnt vmcnt(17)
	v_fma_f64 v[89:90], v[91:92], v[87:88], v[81:82]
	ds_read_b128 v[81:84], v80 offset:560
	ds_read_b128 v[85:88], v80 offset:576
	s_waitcnt vmcnt(16) lgkmcnt(1)
	v_fma_f64 v[81:82], v[97:98], v[81:82], v[89:90]
	;; [unrolled: 10-line block ×3, first 2 shown]
	s_waitcnt vmcnt(7)
	v_fma_f64 v[81:82], v[103:104], v[83:84], v[81:82]
	ds_read_b64 v[83:84], v80 offset:624
	s_waitcnt vmcnt(6) lgkmcnt(1)
	v_fma_f64 v[81:82], v[101:102], v[85:86], v[81:82]
	s_waitcnt vmcnt(3)
	v_fma_f64 v[81:82], v[105:106], v[87:88], v[81:82]
	s_waitcnt vmcnt(2) lgkmcnt(0)
	v_fma_f64 v[81:82], v[107:108], v[83:84], v[81:82]
	s_waitcnt vmcnt(0)
	v_add_f64 v[81:82], v[111:112], -v[81:82]
	buffer_store_dword v82, off, s[0:3], 0 offset:76
	buffer_store_dword v81, off, s[0:3], 0 offset:72
	v_cmpx_lt_u32_e32 8, v0
	s_cbranch_execz .LBB38_227
; %bb.226:
	s_clause 0x1
	buffer_load_dword v81, off, s[0:3], 0 offset:64
	buffer_load_dword v82, off, s[0:3], 0 offset:68
	buffer_store_dword v80, off, s[0:3], 0 offset:64
	buffer_store_dword v80, off, s[0:3], 0 offset:68
	s_waitcnt vmcnt(0)
	ds_write_b64 v79, v[81:82]
.LBB38_227:
	s_or_b32 exec_lo, exec_lo, s4
	s_waitcnt lgkmcnt(0)
	s_waitcnt_vscnt null, 0x0
	s_barrier
	buffer_gl0_inv
	s_clause 0x1c
	buffer_load_dword v89, off, s[0:3], 0 offset:72
	buffer_load_dword v90, off, s[0:3], 0 offset:76
	;; [unrolled: 1-line block ×29, first 2 shown]
	ds_read2_b64 v[81:84], v80 offset0:49 offset1:50
	ds_read2_b64 v[85:88], v80 offset0:51 offset1:52
	buffer_load_dword v114, off, s[0:3], 0 offset:188
	s_mov_b32 s4, exec_lo
	s_waitcnt vmcnt(28) lgkmcnt(1)
	v_fma_f64 v[81:82], v[89:90], v[81:82], 0
	s_clause 0x7
	buffer_load_dword v90, off, s[0:3], 0 offset:196
	buffer_load_dword v119, off, s[0:3], 0 offset:216
	buffer_load_dword v121, off, s[0:3], 0 offset:208
	buffer_load_dword v123, off, s[0:3], 0 offset:200
	buffer_load_dword v89, off, s[0:3], 0 offset:192
	buffer_load_dword v124, off, s[0:3], 0 offset:204
	buffer_load_dword v122, off, s[0:3], 0 offset:212
	buffer_load_dword v120, off, s[0:3], 0 offset:220
	s_waitcnt vmcnt(34)
	v_fma_f64 v[81:82], v[91:92], v[83:84], v[81:82]
	s_waitcnt vmcnt(32) lgkmcnt(0)
	v_fma_f64 v[81:82], v[93:94], v[85:86], v[81:82]
	s_waitcnt vmcnt(30)
	v_fma_f64 v[91:92], v[95:96], v[87:88], v[81:82]
	ds_read2_b64 v[81:84], v80 offset0:53 offset1:54
	ds_read2_b64 v[85:88], v80 offset0:55 offset1:56
	s_waitcnt vmcnt(28) lgkmcnt(1)
	v_fma_f64 v[81:82], v[97:98], v[81:82], v[91:92]
	s_clause 0x7
	buffer_load_dword v92, off, s[0:3], 0 offset:228
	buffer_load_dword v93, off, s[0:3], 0 offset:248
	buffer_load_dword v95, off, s[0:3], 0 offset:240
	buffer_load_dword v97, off, s[0:3], 0 offset:232
	buffer_load_dword v91, off, s[0:3], 0 offset:224
	buffer_load_dword v98, off, s[0:3], 0 offset:236
	buffer_load_dword v96, off, s[0:3], 0 offset:244
	buffer_load_dword v94, off, s[0:3], 0 offset:252
	s_waitcnt vmcnt(34)
	v_fma_f64 v[81:82], v[99:100], v[83:84], v[81:82]
	s_waitcnt vmcnt(32) lgkmcnt(0)
	v_fma_f64 v[81:82], v[101:102], v[85:86], v[81:82]
	s_waitcnt vmcnt(27)
	v_fma_f64 v[99:100], v[103:104], v[87:88], v[81:82]
	ds_read2_b64 v[81:84], v80 offset0:57 offset1:58
	ds_read2_b64 v[85:88], v80 offset0:59 offset1:60
	;; [unrolled: 19-line block ×3, first 2 shown]
	s_waitcnt vmcnt(26) lgkmcnt(1)
	v_fma_f64 v[81:82], v[117:118], v[81:82], v[105:106]
	s_clause 0x5
	buffer_load_dword v106, off, s[0:3], 0 offset:292
	buffer_load_dword v107, off, s[0:3], 0 offset:304
	;; [unrolled: 1-line block ×6, first 2 shown]
	s_waitcnt vmcnt(31)
	v_fma_f64 v[81:82], v[115:116], v[83:84], v[81:82]
	s_waitcnt vmcnt(30) lgkmcnt(0)
	v_fma_f64 v[81:82], v[113:114], v[85:86], v[81:82]
	s_waitcnt vmcnt(25)
	v_fma_f64 v[89:90], v[89:90], v[87:88], v[81:82]
	ds_read2_b64 v[81:84], v80 offset0:65 offset1:66
	s_clause 0x1
	buffer_load_dword v113, off, s[0:3], 0 offset:64
	buffer_load_dword v114, off, s[0:3], 0 offset:68
	ds_read2_b64 v[85:88], v80 offset0:67 offset1:68
	s_waitcnt vmcnt(26) lgkmcnt(1)
	v_fma_f64 v[81:82], v[123:124], v[81:82], v[89:90]
	s_waitcnt vmcnt(25)
	v_fma_f64 v[81:82], v[121:122], v[83:84], v[81:82]
	s_waitcnt vmcnt(24) lgkmcnt(0)
	v_fma_f64 v[81:82], v[119:120], v[85:86], v[81:82]
	s_waitcnt vmcnt(19)
	v_fma_f64 v[89:90], v[91:92], v[87:88], v[81:82]
	ds_read2_b64 v[81:84], v80 offset0:69 offset1:70
	ds_read2_b64 v[85:88], v80 offset0:71 offset1:72
	s_waitcnt vmcnt(18) lgkmcnt(1)
	v_fma_f64 v[81:82], v[97:98], v[81:82], v[89:90]
	s_waitcnt vmcnt(17)
	v_fma_f64 v[81:82], v[95:96], v[83:84], v[81:82]
	s_waitcnt vmcnt(16) lgkmcnt(0)
	v_fma_f64 v[81:82], v[93:94], v[85:86], v[81:82]
	s_waitcnt vmcnt(11)
	v_fma_f64 v[89:90], v[99:100], v[87:88], v[81:82]
	ds_read2_b64 v[81:84], v80 offset0:73 offset1:74
	;; [unrolled: 10-line block ×3, first 2 shown]
	s_waitcnt vmcnt(3) lgkmcnt(0)
	v_fma_f64 v[80:81], v[111:112], v[80:81], v[84:85]
	s_waitcnt vmcnt(2)
	v_fma_f64 v[80:81], v[107:108], v[82:83], v[80:81]
	s_waitcnt vmcnt(0)
	v_add_f64 v[80:81], v[113:114], -v[80:81]
	buffer_store_dword v81, off, s[0:3], 0 offset:68
	buffer_store_dword v80, off, s[0:3], 0 offset:64
	v_cmpx_lt_u32_e32 7, v0
	s_cbranch_execz .LBB38_229
; %bb.228:
	s_clause 0x1
	buffer_load_dword v80, off, s[0:3], 0 offset:56
	buffer_load_dword v81, off, s[0:3], 0 offset:60
	v_mov_b32_e32 v82, 0
	buffer_store_dword v82, off, s[0:3], 0 offset:56
	buffer_store_dword v82, off, s[0:3], 0 offset:60
	s_waitcnt vmcnt(0)
	ds_write_b64 v79, v[80:81]
.LBB38_229:
	s_or_b32 exec_lo, exec_lo, s4
	s_waitcnt lgkmcnt(0)
	s_waitcnt_vscnt null, 0x0
	s_barrier
	buffer_gl0_inv
	s_clause 0x1c
	buffer_load_dword v89, off, s[0:3], 0 offset:64
	buffer_load_dword v90, off, s[0:3], 0 offset:68
	;; [unrolled: 1-line block ×29, first 2 shown]
	v_mov_b32_e32 v80, 0
	buffer_load_dword v114, off, s[0:3], 0 offset:180
	s_mov_b32 s4, exec_lo
	ds_read_b128 v[81:84], v80 offset:384
	ds_read_b128 v[85:88], v80 offset:400
	s_waitcnt vmcnt(28) lgkmcnt(1)
	v_fma_f64 v[81:82], v[89:90], v[81:82], 0
	s_clause 0x7
	buffer_load_dword v90, off, s[0:3], 0 offset:188
	buffer_load_dword v119, off, s[0:3], 0 offset:208
	buffer_load_dword v121, off, s[0:3], 0 offset:200
	buffer_load_dword v123, off, s[0:3], 0 offset:192
	buffer_load_dword v89, off, s[0:3], 0 offset:184
	buffer_load_dword v124, off, s[0:3], 0 offset:196
	buffer_load_dword v122, off, s[0:3], 0 offset:204
	buffer_load_dword v120, off, s[0:3], 0 offset:212
	s_waitcnt vmcnt(34)
	v_fma_f64 v[81:82], v[91:92], v[83:84], v[81:82]
	s_waitcnt vmcnt(32) lgkmcnt(0)
	v_fma_f64 v[81:82], v[93:94], v[85:86], v[81:82]
	s_waitcnt vmcnt(30)
	v_fma_f64 v[91:92], v[95:96], v[87:88], v[81:82]
	ds_read_b128 v[81:84], v80 offset:416
	ds_read_b128 v[85:88], v80 offset:432
	s_waitcnt vmcnt(28) lgkmcnt(1)
	v_fma_f64 v[81:82], v[97:98], v[81:82], v[91:92]
	s_clause 0x7
	buffer_load_dword v92, off, s[0:3], 0 offset:220
	buffer_load_dword v93, off, s[0:3], 0 offset:240
	buffer_load_dword v95, off, s[0:3], 0 offset:232
	buffer_load_dword v97, off, s[0:3], 0 offset:224
	buffer_load_dword v91, off, s[0:3], 0 offset:216
	buffer_load_dword v98, off, s[0:3], 0 offset:228
	buffer_load_dword v96, off, s[0:3], 0 offset:236
	buffer_load_dword v94, off, s[0:3], 0 offset:244
	s_waitcnt vmcnt(34)
	v_fma_f64 v[81:82], v[99:100], v[83:84], v[81:82]
	s_waitcnt vmcnt(32) lgkmcnt(0)
	v_fma_f64 v[81:82], v[101:102], v[85:86], v[81:82]
	s_waitcnt vmcnt(27)
	v_fma_f64 v[99:100], v[103:104], v[87:88], v[81:82]
	ds_read_b128 v[81:84], v80 offset:448
	ds_read_b128 v[85:88], v80 offset:464
	s_waitcnt vmcnt(26) lgkmcnt(1)
	v_fma_f64 v[81:82], v[109:110], v[81:82], v[99:100]
	s_clause 0x7
	buffer_load_dword v100, off, s[0:3], 0 offset:252
	buffer_load_dword v101, off, s[0:3], 0 offset:272
	buffer_load_dword v103, off, s[0:3], 0 offset:264
	buffer_load_dword v109, off, s[0:3], 0 offset:256
	buffer_load_dword v99, off, s[0:3], 0 offset:248
	buffer_load_dword v110, off, s[0:3], 0 offset:260
	buffer_load_dword v104, off, s[0:3], 0 offset:268
	buffer_load_dword v102, off, s[0:3], 0 offset:276
	s_waitcnt vmcnt(33)
	v_fma_f64 v[81:82], v[107:108], v[83:84], v[81:82]
	s_waitcnt vmcnt(32) lgkmcnt(0)
	v_fma_f64 v[81:82], v[105:106], v[85:86], v[81:82]
	s_waitcnt vmcnt(27)
	v_fma_f64 v[105:106], v[111:112], v[87:88], v[81:82]
	ds_read_b128 v[81:84], v80 offset:480
	ds_read_b128 v[85:88], v80 offset:496
	s_waitcnt vmcnt(26) lgkmcnt(1)
	v_fma_f64 v[81:82], v[117:118], v[81:82], v[105:106]
	s_clause 0x7
	buffer_load_dword v106, off, s[0:3], 0 offset:284
	buffer_load_dword v107, off, s[0:3], 0 offset:304
	buffer_load_dword v111, off, s[0:3], 0 offset:296
	buffer_load_dword v117, off, s[0:3], 0 offset:288
	buffer_load_dword v105, off, s[0:3], 0 offset:280
	buffer_load_dword v118, off, s[0:3], 0 offset:292
	buffer_load_dword v112, off, s[0:3], 0 offset:300
	buffer_load_dword v108, off, s[0:3], 0 offset:308
	s_waitcnt vmcnt(33)
	v_fma_f64 v[81:82], v[115:116], v[83:84], v[81:82]
	s_waitcnt vmcnt(32) lgkmcnt(0)
	v_fma_f64 v[81:82], v[113:114], v[85:86], v[81:82]
	s_waitcnt vmcnt(27)
	v_fma_f64 v[89:90], v[89:90], v[87:88], v[81:82]
	ds_read_b128 v[81:84], v80 offset:512
	ds_read_b128 v[85:88], v80 offset:528
	s_waitcnt vmcnt(26) lgkmcnt(1)
	v_fma_f64 v[81:82], v[123:124], v[81:82], v[89:90]
	s_clause 0x1
	buffer_load_dword v89, off, s[0:3], 0 offset:56
	buffer_load_dword v90, off, s[0:3], 0 offset:60
	s_waitcnt vmcnt(27)
	v_fma_f64 v[81:82], v[121:122], v[83:84], v[81:82]
	s_waitcnt vmcnt(26) lgkmcnt(0)
	v_fma_f64 v[81:82], v[119:120], v[85:86], v[81:82]
	s_waitcnt vmcnt(21)
	v_fma_f64 v[91:92], v[91:92], v[87:88], v[81:82]
	ds_read_b128 v[81:84], v80 offset:544
	ds_read_b128 v[85:88], v80 offset:560
	s_waitcnt vmcnt(20) lgkmcnt(1)
	v_fma_f64 v[81:82], v[97:98], v[81:82], v[91:92]
	s_waitcnt vmcnt(19)
	v_fma_f64 v[81:82], v[95:96], v[83:84], v[81:82]
	s_waitcnt vmcnt(18) lgkmcnt(0)
	v_fma_f64 v[81:82], v[93:94], v[85:86], v[81:82]
	s_waitcnt vmcnt(13)
	v_fma_f64 v[91:92], v[99:100], v[87:88], v[81:82]
	ds_read_b128 v[81:84], v80 offset:576
	ds_read_b128 v[85:88], v80 offset:592
	s_waitcnt vmcnt(12) lgkmcnt(1)
	v_fma_f64 v[81:82], v[109:110], v[81:82], v[91:92]
	s_waitcnt vmcnt(11)
	v_fma_f64 v[81:82], v[103:104], v[83:84], v[81:82]
	s_waitcnt vmcnt(10) lgkmcnt(0)
	v_fma_f64 v[81:82], v[101:102], v[85:86], v[81:82]
	s_waitcnt vmcnt(5)
	v_fma_f64 v[85:86], v[105:106], v[87:88], v[81:82]
	ds_read_b128 v[81:84], v80 offset:608
	ds_read_b64 v[87:88], v80 offset:624
	s_waitcnt vmcnt(4) lgkmcnt(1)
	v_fma_f64 v[81:82], v[117:118], v[81:82], v[85:86]
	s_waitcnt vmcnt(3)
	v_fma_f64 v[81:82], v[111:112], v[83:84], v[81:82]
	s_waitcnt vmcnt(2) lgkmcnt(0)
	v_fma_f64 v[81:82], v[107:108], v[87:88], v[81:82]
	s_waitcnt vmcnt(0)
	v_add_f64 v[81:82], v[89:90], -v[81:82]
	buffer_store_dword v82, off, s[0:3], 0 offset:60
	buffer_store_dword v81, off, s[0:3], 0 offset:56
	v_cmpx_lt_u32_e32 6, v0
	s_cbranch_execz .LBB38_231
; %bb.230:
	s_clause 0x1
	buffer_load_dword v81, off, s[0:3], 0 offset:48
	buffer_load_dword v82, off, s[0:3], 0 offset:52
	buffer_store_dword v80, off, s[0:3], 0 offset:48
	buffer_store_dword v80, off, s[0:3], 0 offset:52
	s_waitcnt vmcnt(0)
	ds_write_b64 v79, v[81:82]
.LBB38_231:
	s_or_b32 exec_lo, exec_lo, s4
	s_waitcnt lgkmcnt(0)
	s_waitcnt_vscnt null, 0x0
	s_barrier
	buffer_gl0_inv
	s_clause 0x1c
	buffer_load_dword v89, off, s[0:3], 0 offset:56
	buffer_load_dword v90, off, s[0:3], 0 offset:60
	buffer_load_dword v91, off, s[0:3], 0 offset:64
	buffer_load_dword v92, off, s[0:3], 0 offset:68
	buffer_load_dword v93, off, s[0:3], 0 offset:72
	buffer_load_dword v94, off, s[0:3], 0 offset:76
	buffer_load_dword v95, off, s[0:3], 0 offset:80
	buffer_load_dword v96, off, s[0:3], 0 offset:84
	buffer_load_dword v97, off, s[0:3], 0 offset:88
	buffer_load_dword v98, off, s[0:3], 0 offset:92
	buffer_load_dword v99, off, s[0:3], 0 offset:96
	buffer_load_dword v100, off, s[0:3], 0 offset:100
	buffer_load_dword v101, off, s[0:3], 0 offset:104
	buffer_load_dword v102, off, s[0:3], 0 offset:108
	buffer_load_dword v104, off, s[0:3], 0 offset:116
	buffer_load_dword v105, off, s[0:3], 0 offset:136
	buffer_load_dword v107, off, s[0:3], 0 offset:128
	buffer_load_dword v109, off, s[0:3], 0 offset:120
	buffer_load_dword v103, off, s[0:3], 0 offset:112
	buffer_load_dword v110, off, s[0:3], 0 offset:124
	buffer_load_dword v108, off, s[0:3], 0 offset:132
	buffer_load_dword v106, off, s[0:3], 0 offset:140
	buffer_load_dword v112, off, s[0:3], 0 offset:148
	buffer_load_dword v113, off, s[0:3], 0 offset:168
	buffer_load_dword v115, off, s[0:3], 0 offset:160
	buffer_load_dword v117, off, s[0:3], 0 offset:152
	buffer_load_dword v111, off, s[0:3], 0 offset:144
	buffer_load_dword v118, off, s[0:3], 0 offset:156
	buffer_load_dword v116, off, s[0:3], 0 offset:164
	ds_read2_b64 v[81:84], v80 offset0:47 offset1:48
	ds_read2_b64 v[85:88], v80 offset0:49 offset1:50
	buffer_load_dword v114, off, s[0:3], 0 offset:172
	s_mov_b32 s4, exec_lo
	s_waitcnt vmcnt(28) lgkmcnt(1)
	v_fma_f64 v[81:82], v[89:90], v[81:82], 0
	s_clause 0x7
	buffer_load_dword v90, off, s[0:3], 0 offset:180
	buffer_load_dword v119, off, s[0:3], 0 offset:200
	buffer_load_dword v121, off, s[0:3], 0 offset:192
	buffer_load_dword v123, off, s[0:3], 0 offset:184
	buffer_load_dword v89, off, s[0:3], 0 offset:176
	buffer_load_dword v124, off, s[0:3], 0 offset:188
	buffer_load_dword v122, off, s[0:3], 0 offset:196
	buffer_load_dword v120, off, s[0:3], 0 offset:204
	s_waitcnt vmcnt(34)
	v_fma_f64 v[81:82], v[91:92], v[83:84], v[81:82]
	s_waitcnt vmcnt(32) lgkmcnt(0)
	v_fma_f64 v[81:82], v[93:94], v[85:86], v[81:82]
	s_waitcnt vmcnt(30)
	v_fma_f64 v[91:92], v[95:96], v[87:88], v[81:82]
	ds_read2_b64 v[81:84], v80 offset0:51 offset1:52
	ds_read2_b64 v[85:88], v80 offset0:53 offset1:54
	s_waitcnt vmcnt(28) lgkmcnt(1)
	v_fma_f64 v[81:82], v[97:98], v[81:82], v[91:92]
	s_clause 0x7
	buffer_load_dword v92, off, s[0:3], 0 offset:212
	buffer_load_dword v93, off, s[0:3], 0 offset:232
	buffer_load_dword v95, off, s[0:3], 0 offset:224
	buffer_load_dword v97, off, s[0:3], 0 offset:216
	buffer_load_dword v91, off, s[0:3], 0 offset:208
	buffer_load_dword v98, off, s[0:3], 0 offset:220
	buffer_load_dword v96, off, s[0:3], 0 offset:228
	buffer_load_dword v94, off, s[0:3], 0 offset:236
	s_waitcnt vmcnt(34)
	v_fma_f64 v[81:82], v[99:100], v[83:84], v[81:82]
	s_waitcnt vmcnt(32) lgkmcnt(0)
	v_fma_f64 v[81:82], v[101:102], v[85:86], v[81:82]
	s_waitcnt vmcnt(27)
	v_fma_f64 v[99:100], v[103:104], v[87:88], v[81:82]
	ds_read2_b64 v[81:84], v80 offset0:55 offset1:56
	ds_read2_b64 v[85:88], v80 offset0:57 offset1:58
	;; [unrolled: 19-line block ×4, first 2 shown]
	s_waitcnt vmcnt(26) lgkmcnt(1)
	v_fma_f64 v[81:82], v[123:124], v[81:82], v[89:90]
	s_clause 0x3
	buffer_load_dword v90, off, s[0:3], 0 offset:308
	buffer_load_dword v89, off, s[0:3], 0 offset:304
	;; [unrolled: 1-line block ×4, first 2 shown]
	s_waitcnt vmcnt(29)
	v_fma_f64 v[81:82], v[121:122], v[83:84], v[81:82]
	s_waitcnt vmcnt(28) lgkmcnt(0)
	v_fma_f64 v[81:82], v[119:120], v[85:86], v[81:82]
	s_waitcnt vmcnt(23)
	v_fma_f64 v[91:92], v[91:92], v[87:88], v[81:82]
	ds_read2_b64 v[81:84], v80 offset0:67 offset1:68
	ds_read2_b64 v[85:88], v80 offset0:69 offset1:70
	s_waitcnt vmcnt(22) lgkmcnt(1)
	v_fma_f64 v[81:82], v[97:98], v[81:82], v[91:92]
	s_waitcnt vmcnt(21)
	v_fma_f64 v[81:82], v[95:96], v[83:84], v[81:82]
	s_waitcnt vmcnt(20) lgkmcnt(0)
	v_fma_f64 v[81:82], v[93:94], v[85:86], v[81:82]
	s_waitcnt vmcnt(15)
	v_fma_f64 v[91:92], v[99:100], v[87:88], v[81:82]
	ds_read2_b64 v[81:84], v80 offset0:71 offset1:72
	ds_read2_b64 v[85:88], v80 offset0:73 offset1:74
	s_waitcnt vmcnt(14) lgkmcnt(1)
	v_fma_f64 v[81:82], v[109:110], v[81:82], v[91:92]
	;; [unrolled: 10-line block ×3, first 2 shown]
	s_waitcnt vmcnt(5)
	v_fma_f64 v[80:81], v[111:112], v[83:84], v[80:81]
	s_waitcnt vmcnt(4) lgkmcnt(0)
	v_fma_f64 v[80:81], v[107:108], v[85:86], v[80:81]
	s_waitcnt vmcnt(2)
	v_fma_f64 v[80:81], v[89:90], v[87:88], v[80:81]
	s_waitcnt vmcnt(0)
	v_add_f64 v[80:81], v[113:114], -v[80:81]
	buffer_store_dword v81, off, s[0:3], 0 offset:52
	buffer_store_dword v80, off, s[0:3], 0 offset:48
	v_cmpx_lt_u32_e32 5, v0
	s_cbranch_execz .LBB38_233
; %bb.232:
	s_clause 0x1
	buffer_load_dword v80, off, s[0:3], 0 offset:40
	buffer_load_dword v81, off, s[0:3], 0 offset:44
	v_mov_b32_e32 v82, 0
	buffer_store_dword v82, off, s[0:3], 0 offset:40
	buffer_store_dword v82, off, s[0:3], 0 offset:44
	s_waitcnt vmcnt(0)
	ds_write_b64 v79, v[80:81]
.LBB38_233:
	s_or_b32 exec_lo, exec_lo, s4
	s_waitcnt lgkmcnt(0)
	s_waitcnt_vscnt null, 0x0
	s_barrier
	buffer_gl0_inv
	s_clause 0x1c
	buffer_load_dword v89, off, s[0:3], 0 offset:48
	buffer_load_dword v90, off, s[0:3], 0 offset:52
	;; [unrolled: 1-line block ×29, first 2 shown]
	v_mov_b32_e32 v80, 0
	buffer_load_dword v114, off, s[0:3], 0 offset:164
	s_mov_b32 s4, exec_lo
	ds_read_b128 v[81:84], v80 offset:368
	ds_read_b128 v[85:88], v80 offset:384
	s_waitcnt vmcnt(28) lgkmcnt(1)
	v_fma_f64 v[81:82], v[89:90], v[81:82], 0
	s_clause 0x7
	buffer_load_dword v90, off, s[0:3], 0 offset:172
	buffer_load_dword v119, off, s[0:3], 0 offset:192
	buffer_load_dword v121, off, s[0:3], 0 offset:184
	buffer_load_dword v123, off, s[0:3], 0 offset:176
	buffer_load_dword v89, off, s[0:3], 0 offset:168
	buffer_load_dword v124, off, s[0:3], 0 offset:180
	buffer_load_dword v122, off, s[0:3], 0 offset:188
	buffer_load_dword v120, off, s[0:3], 0 offset:196
	s_waitcnt vmcnt(34)
	v_fma_f64 v[81:82], v[91:92], v[83:84], v[81:82]
	s_waitcnt vmcnt(32) lgkmcnt(0)
	v_fma_f64 v[81:82], v[93:94], v[85:86], v[81:82]
	s_waitcnt vmcnt(30)
	v_fma_f64 v[91:92], v[95:96], v[87:88], v[81:82]
	ds_read_b128 v[81:84], v80 offset:400
	ds_read_b128 v[85:88], v80 offset:416
	s_waitcnt vmcnt(28) lgkmcnt(1)
	v_fma_f64 v[81:82], v[97:98], v[81:82], v[91:92]
	s_clause 0x7
	buffer_load_dword v92, off, s[0:3], 0 offset:204
	buffer_load_dword v93, off, s[0:3], 0 offset:224
	buffer_load_dword v95, off, s[0:3], 0 offset:216
	buffer_load_dword v97, off, s[0:3], 0 offset:208
	buffer_load_dword v91, off, s[0:3], 0 offset:200
	buffer_load_dword v98, off, s[0:3], 0 offset:212
	buffer_load_dword v96, off, s[0:3], 0 offset:220
	buffer_load_dword v94, off, s[0:3], 0 offset:228
	s_waitcnt vmcnt(34)
	v_fma_f64 v[81:82], v[99:100], v[83:84], v[81:82]
	s_waitcnt vmcnt(32) lgkmcnt(0)
	v_fma_f64 v[81:82], v[101:102], v[85:86], v[81:82]
	s_waitcnt vmcnt(27)
	v_fma_f64 v[99:100], v[103:104], v[87:88], v[81:82]
	;; [unrolled: 19-line block ×4, first 2 shown]
	ds_read_b128 v[81:84], v80 offset:496
	ds_read_b128 v[85:88], v80 offset:512
	s_waitcnt vmcnt(26) lgkmcnt(1)
	v_fma_f64 v[81:82], v[123:124], v[81:82], v[89:90]
	s_clause 0x5
	buffer_load_dword v90, off, s[0:3], 0 offset:300
	buffer_load_dword v113, off, s[0:3], 0 offset:304
	buffer_load_dword v89, off, s[0:3], 0 offset:296
	buffer_load_dword v114, off, s[0:3], 0 offset:308
	buffer_load_dword v115, off, s[0:3], 0 offset:40
	buffer_load_dword v116, off, s[0:3], 0 offset:44
	s_waitcnt vmcnt(31)
	v_fma_f64 v[81:82], v[121:122], v[83:84], v[81:82]
	s_waitcnt vmcnt(30) lgkmcnt(0)
	v_fma_f64 v[81:82], v[119:120], v[85:86], v[81:82]
	s_waitcnt vmcnt(25)
	v_fma_f64 v[91:92], v[91:92], v[87:88], v[81:82]
	ds_read_b128 v[81:84], v80 offset:528
	ds_read_b128 v[85:88], v80 offset:544
	s_waitcnt vmcnt(24) lgkmcnt(1)
	v_fma_f64 v[81:82], v[97:98], v[81:82], v[91:92]
	s_waitcnt vmcnt(23)
	v_fma_f64 v[81:82], v[95:96], v[83:84], v[81:82]
	s_waitcnt vmcnt(22) lgkmcnt(0)
	v_fma_f64 v[81:82], v[93:94], v[85:86], v[81:82]
	s_waitcnt vmcnt(17)
	v_fma_f64 v[91:92], v[99:100], v[87:88], v[81:82]
	ds_read_b128 v[81:84], v80 offset:560
	ds_read_b128 v[85:88], v80 offset:576
	s_waitcnt vmcnt(16) lgkmcnt(1)
	v_fma_f64 v[81:82], v[109:110], v[81:82], v[91:92]
	;; [unrolled: 10-line block ×3, first 2 shown]
	s_waitcnt vmcnt(7)
	v_fma_f64 v[81:82], v[111:112], v[83:84], v[81:82]
	ds_read_b64 v[83:84], v80 offset:624
	s_waitcnt vmcnt(6) lgkmcnt(1)
	v_fma_f64 v[81:82], v[107:108], v[85:86], v[81:82]
	s_waitcnt vmcnt(3)
	v_fma_f64 v[81:82], v[89:90], v[87:88], v[81:82]
	s_waitcnt vmcnt(2) lgkmcnt(0)
	v_fma_f64 v[81:82], v[113:114], v[83:84], v[81:82]
	s_waitcnt vmcnt(0)
	v_add_f64 v[81:82], v[115:116], -v[81:82]
	buffer_store_dword v82, off, s[0:3], 0 offset:44
	buffer_store_dword v81, off, s[0:3], 0 offset:40
	v_cmpx_lt_u32_e32 4, v0
	s_cbranch_execz .LBB38_235
; %bb.234:
	s_clause 0x1
	buffer_load_dword v81, off, s[0:3], 0 offset:32
	buffer_load_dword v82, off, s[0:3], 0 offset:36
	buffer_store_dword v80, off, s[0:3], 0 offset:32
	buffer_store_dword v80, off, s[0:3], 0 offset:36
	s_waitcnt vmcnt(0)
	ds_write_b64 v79, v[81:82]
.LBB38_235:
	s_or_b32 exec_lo, exec_lo, s4
	s_waitcnt lgkmcnt(0)
	s_waitcnt_vscnt null, 0x0
	s_barrier
	buffer_gl0_inv
	s_clause 0x1c
	buffer_load_dword v89, off, s[0:3], 0 offset:40
	buffer_load_dword v90, off, s[0:3], 0 offset:44
	;; [unrolled: 1-line block ×29, first 2 shown]
	ds_read2_b64 v[81:84], v80 offset0:45 offset1:46
	ds_read2_b64 v[85:88], v80 offset0:47 offset1:48
	buffer_load_dword v114, off, s[0:3], 0 offset:156
	s_mov_b32 s4, exec_lo
	s_waitcnt vmcnt(28) lgkmcnt(1)
	v_fma_f64 v[81:82], v[89:90], v[81:82], 0
	s_clause 0x7
	buffer_load_dword v90, off, s[0:3], 0 offset:164
	buffer_load_dword v119, off, s[0:3], 0 offset:184
	buffer_load_dword v121, off, s[0:3], 0 offset:176
	buffer_load_dword v123, off, s[0:3], 0 offset:168
	buffer_load_dword v89, off, s[0:3], 0 offset:160
	buffer_load_dword v124, off, s[0:3], 0 offset:172
	buffer_load_dword v122, off, s[0:3], 0 offset:180
	buffer_load_dword v120, off, s[0:3], 0 offset:188
	s_waitcnt vmcnt(34)
	v_fma_f64 v[81:82], v[91:92], v[83:84], v[81:82]
	s_waitcnt vmcnt(32) lgkmcnt(0)
	v_fma_f64 v[81:82], v[93:94], v[85:86], v[81:82]
	s_waitcnt vmcnt(30)
	v_fma_f64 v[91:92], v[95:96], v[87:88], v[81:82]
	ds_read2_b64 v[81:84], v80 offset0:49 offset1:50
	ds_read2_b64 v[85:88], v80 offset0:51 offset1:52
	s_waitcnt vmcnt(28) lgkmcnt(1)
	v_fma_f64 v[81:82], v[97:98], v[81:82], v[91:92]
	s_clause 0x7
	buffer_load_dword v92, off, s[0:3], 0 offset:196
	buffer_load_dword v93, off, s[0:3], 0 offset:216
	buffer_load_dword v95, off, s[0:3], 0 offset:208
	buffer_load_dword v97, off, s[0:3], 0 offset:200
	buffer_load_dword v91, off, s[0:3], 0 offset:192
	buffer_load_dword v98, off, s[0:3], 0 offset:204
	buffer_load_dword v96, off, s[0:3], 0 offset:212
	buffer_load_dword v94, off, s[0:3], 0 offset:220
	s_waitcnt vmcnt(34)
	v_fma_f64 v[81:82], v[99:100], v[83:84], v[81:82]
	s_waitcnt vmcnt(32) lgkmcnt(0)
	v_fma_f64 v[81:82], v[101:102], v[85:86], v[81:82]
	s_waitcnt vmcnt(27)
	v_fma_f64 v[99:100], v[103:104], v[87:88], v[81:82]
	ds_read2_b64 v[81:84], v80 offset0:53 offset1:54
	ds_read2_b64 v[85:88], v80 offset0:55 offset1:56
	;; [unrolled: 19-line block ×4, first 2 shown]
	s_waitcnt vmcnt(26) lgkmcnt(1)
	v_fma_f64 v[81:82], v[123:124], v[81:82], v[89:90]
	s_clause 0x5
	buffer_load_dword v90, off, s[0:3], 0 offset:292
	buffer_load_dword v113, off, s[0:3], 0 offset:304
	;; [unrolled: 1-line block ×6, first 2 shown]
	s_waitcnt vmcnt(31)
	v_fma_f64 v[81:82], v[121:122], v[83:84], v[81:82]
	s_waitcnt vmcnt(30) lgkmcnt(0)
	v_fma_f64 v[81:82], v[119:120], v[85:86], v[81:82]
	s_waitcnt vmcnt(25)
	v_fma_f64 v[91:92], v[91:92], v[87:88], v[81:82]
	ds_read2_b64 v[81:84], v80 offset0:65 offset1:66
	s_clause 0x1
	buffer_load_dword v119, off, s[0:3], 0 offset:32
	buffer_load_dword v120, off, s[0:3], 0 offset:36
	ds_read2_b64 v[85:88], v80 offset0:67 offset1:68
	s_waitcnt vmcnt(26) lgkmcnt(1)
	v_fma_f64 v[81:82], v[97:98], v[81:82], v[91:92]
	s_waitcnt vmcnt(25)
	v_fma_f64 v[81:82], v[95:96], v[83:84], v[81:82]
	s_waitcnt vmcnt(24) lgkmcnt(0)
	v_fma_f64 v[81:82], v[93:94], v[85:86], v[81:82]
	s_waitcnt vmcnt(19)
	v_fma_f64 v[91:92], v[99:100], v[87:88], v[81:82]
	ds_read2_b64 v[81:84], v80 offset0:69 offset1:70
	ds_read2_b64 v[85:88], v80 offset0:71 offset1:72
	s_waitcnt vmcnt(18) lgkmcnt(1)
	v_fma_f64 v[81:82], v[109:110], v[81:82], v[91:92]
	s_waitcnt vmcnt(17)
	v_fma_f64 v[81:82], v[103:104], v[83:84], v[81:82]
	s_waitcnt vmcnt(16) lgkmcnt(0)
	v_fma_f64 v[81:82], v[101:102], v[85:86], v[81:82]
	s_waitcnt vmcnt(11)
	v_fma_f64 v[91:92], v[105:106], v[87:88], v[81:82]
	ds_read2_b64 v[81:84], v80 offset0:73 offset1:74
	;; [unrolled: 10-line block ×3, first 2 shown]
	s_waitcnt vmcnt(3) lgkmcnt(0)
	v_fma_f64 v[80:81], v[115:116], v[80:81], v[84:85]
	s_waitcnt vmcnt(2)
	v_fma_f64 v[80:81], v[113:114], v[82:83], v[80:81]
	s_waitcnt vmcnt(0)
	v_add_f64 v[80:81], v[119:120], -v[80:81]
	buffer_store_dword v81, off, s[0:3], 0 offset:36
	buffer_store_dword v80, off, s[0:3], 0 offset:32
	v_cmpx_lt_u32_e32 3, v0
	s_cbranch_execz .LBB38_237
; %bb.236:
	s_clause 0x1
	buffer_load_dword v80, off, s[0:3], 0 offset:24
	buffer_load_dword v81, off, s[0:3], 0 offset:28
	v_mov_b32_e32 v82, 0
	buffer_store_dword v82, off, s[0:3], 0 offset:24
	buffer_store_dword v82, off, s[0:3], 0 offset:28
	s_waitcnt vmcnt(0)
	ds_write_b64 v79, v[80:81]
.LBB38_237:
	s_or_b32 exec_lo, exec_lo, s4
	s_waitcnt lgkmcnt(0)
	s_waitcnt_vscnt null, 0x0
	s_barrier
	buffer_gl0_inv
	s_clause 0x1c
	buffer_load_dword v89, off, s[0:3], 0 offset:32
	buffer_load_dword v90, off, s[0:3], 0 offset:36
	;; [unrolled: 1-line block ×29, first 2 shown]
	v_mov_b32_e32 v80, 0
	buffer_load_dword v114, off, s[0:3], 0 offset:148
	s_mov_b32 s4, exec_lo
	ds_read_b128 v[81:84], v80 offset:352
	ds_read_b128 v[85:88], v80 offset:368
	s_waitcnt vmcnt(28) lgkmcnt(1)
	v_fma_f64 v[81:82], v[89:90], v[81:82], 0
	s_clause 0x7
	buffer_load_dword v90, off, s[0:3], 0 offset:156
	buffer_load_dword v119, off, s[0:3], 0 offset:176
	buffer_load_dword v121, off, s[0:3], 0 offset:168
	buffer_load_dword v123, off, s[0:3], 0 offset:160
	buffer_load_dword v89, off, s[0:3], 0 offset:152
	buffer_load_dword v124, off, s[0:3], 0 offset:164
	buffer_load_dword v122, off, s[0:3], 0 offset:172
	buffer_load_dword v120, off, s[0:3], 0 offset:180
	s_waitcnt vmcnt(34)
	v_fma_f64 v[81:82], v[91:92], v[83:84], v[81:82]
	s_waitcnt vmcnt(32) lgkmcnt(0)
	v_fma_f64 v[81:82], v[93:94], v[85:86], v[81:82]
	s_waitcnt vmcnt(30)
	v_fma_f64 v[91:92], v[95:96], v[87:88], v[81:82]
	ds_read_b128 v[81:84], v80 offset:384
	ds_read_b128 v[85:88], v80 offset:400
	s_waitcnt vmcnt(28) lgkmcnt(1)
	v_fma_f64 v[81:82], v[97:98], v[81:82], v[91:92]
	s_clause 0x7
	buffer_load_dword v92, off, s[0:3], 0 offset:188
	buffer_load_dword v93, off, s[0:3], 0 offset:208
	buffer_load_dword v95, off, s[0:3], 0 offset:200
	buffer_load_dword v97, off, s[0:3], 0 offset:192
	buffer_load_dword v91, off, s[0:3], 0 offset:184
	buffer_load_dword v98, off, s[0:3], 0 offset:196
	buffer_load_dword v96, off, s[0:3], 0 offset:204
	buffer_load_dword v94, off, s[0:3], 0 offset:212
	s_waitcnt vmcnt(34)
	v_fma_f64 v[81:82], v[99:100], v[83:84], v[81:82]
	s_waitcnt vmcnt(32) lgkmcnt(0)
	v_fma_f64 v[81:82], v[101:102], v[85:86], v[81:82]
	s_waitcnt vmcnt(27)
	v_fma_f64 v[99:100], v[103:104], v[87:88], v[81:82]
	;; [unrolled: 19-line block ×5, first 2 shown]
	ds_read_b128 v[81:84], v80 offset:512
	ds_read_b128 v[85:88], v80 offset:528
	s_waitcnt vmcnt(26) lgkmcnt(1)
	v_fma_f64 v[81:82], v[97:98], v[81:82], v[91:92]
	s_clause 0x1
	buffer_load_dword v91, off, s[0:3], 0 offset:24
	buffer_load_dword v92, off, s[0:3], 0 offset:28
	s_waitcnt vmcnt(27)
	v_fma_f64 v[81:82], v[95:96], v[83:84], v[81:82]
	s_waitcnt vmcnt(26) lgkmcnt(0)
	v_fma_f64 v[81:82], v[93:94], v[85:86], v[81:82]
	s_waitcnt vmcnt(21)
	v_fma_f64 v[93:94], v[99:100], v[87:88], v[81:82]
	ds_read_b128 v[81:84], v80 offset:544
	ds_read_b128 v[85:88], v80 offset:560
	s_waitcnt vmcnt(20) lgkmcnt(1)
	v_fma_f64 v[81:82], v[109:110], v[81:82], v[93:94]
	s_waitcnt vmcnt(19)
	v_fma_f64 v[81:82], v[103:104], v[83:84], v[81:82]
	s_waitcnt vmcnt(18) lgkmcnt(0)
	v_fma_f64 v[81:82], v[101:102], v[85:86], v[81:82]
	s_waitcnt vmcnt(13)
	v_fma_f64 v[93:94], v[105:106], v[87:88], v[81:82]
	ds_read_b128 v[81:84], v80 offset:576
	ds_read_b128 v[85:88], v80 offset:592
	s_waitcnt vmcnt(12) lgkmcnt(1)
	v_fma_f64 v[81:82], v[117:118], v[81:82], v[93:94]
	s_waitcnt vmcnt(11)
	v_fma_f64 v[81:82], v[111:112], v[83:84], v[81:82]
	s_waitcnt vmcnt(10) lgkmcnt(0)
	v_fma_f64 v[81:82], v[107:108], v[85:86], v[81:82]
	s_waitcnt vmcnt(5)
	v_fma_f64 v[85:86], v[89:90], v[87:88], v[81:82]
	ds_read_b128 v[81:84], v80 offset:608
	ds_read_b64 v[87:88], v80 offset:624
	s_waitcnt vmcnt(4) lgkmcnt(1)
	v_fma_f64 v[81:82], v[123:124], v[81:82], v[85:86]
	s_waitcnt vmcnt(3)
	v_fma_f64 v[81:82], v[115:116], v[83:84], v[81:82]
	s_waitcnt vmcnt(2) lgkmcnt(0)
	v_fma_f64 v[81:82], v[113:114], v[87:88], v[81:82]
	s_waitcnt vmcnt(0)
	v_add_f64 v[81:82], v[91:92], -v[81:82]
	buffer_store_dword v82, off, s[0:3], 0 offset:28
	buffer_store_dword v81, off, s[0:3], 0 offset:24
	v_cmpx_lt_u32_e32 2, v0
	s_cbranch_execz .LBB38_239
; %bb.238:
	s_clause 0x1
	buffer_load_dword v81, off, s[0:3], 0 offset:16
	buffer_load_dword v82, off, s[0:3], 0 offset:20
	buffer_store_dword v80, off, s[0:3], 0 offset:16
	buffer_store_dword v80, off, s[0:3], 0 offset:20
	s_waitcnt vmcnt(0)
	ds_write_b64 v79, v[81:82]
.LBB38_239:
	s_or_b32 exec_lo, exec_lo, s4
	s_waitcnt lgkmcnt(0)
	s_waitcnt_vscnt null, 0x0
	s_barrier
	buffer_gl0_inv
	s_clause 0x1c
	buffer_load_dword v89, off, s[0:3], 0 offset:24
	buffer_load_dword v90, off, s[0:3], 0 offset:28
	;; [unrolled: 1-line block ×29, first 2 shown]
	ds_read2_b64 v[81:84], v80 offset0:43 offset1:44
	ds_read2_b64 v[85:88], v80 offset0:45 offset1:46
	buffer_load_dword v114, off, s[0:3], 0 offset:140
	s_mov_b32 s4, exec_lo
	s_waitcnt vmcnt(28) lgkmcnt(1)
	v_fma_f64 v[81:82], v[89:90], v[81:82], 0
	s_clause 0x7
	buffer_load_dword v90, off, s[0:3], 0 offset:148
	buffer_load_dword v119, off, s[0:3], 0 offset:168
	buffer_load_dword v121, off, s[0:3], 0 offset:160
	buffer_load_dword v123, off, s[0:3], 0 offset:152
	buffer_load_dword v89, off, s[0:3], 0 offset:144
	buffer_load_dword v124, off, s[0:3], 0 offset:156
	buffer_load_dword v122, off, s[0:3], 0 offset:164
	buffer_load_dword v120, off, s[0:3], 0 offset:172
	s_waitcnt vmcnt(34)
	v_fma_f64 v[81:82], v[91:92], v[83:84], v[81:82]
	s_waitcnt vmcnt(32) lgkmcnt(0)
	v_fma_f64 v[81:82], v[93:94], v[85:86], v[81:82]
	s_waitcnt vmcnt(30)
	v_fma_f64 v[91:92], v[95:96], v[87:88], v[81:82]
	ds_read2_b64 v[81:84], v80 offset0:47 offset1:48
	ds_read2_b64 v[85:88], v80 offset0:49 offset1:50
	s_waitcnt vmcnt(28) lgkmcnt(1)
	v_fma_f64 v[81:82], v[97:98], v[81:82], v[91:92]
	s_clause 0x7
	buffer_load_dword v92, off, s[0:3], 0 offset:180
	buffer_load_dword v93, off, s[0:3], 0 offset:200
	buffer_load_dword v95, off, s[0:3], 0 offset:192
	buffer_load_dword v97, off, s[0:3], 0 offset:184
	buffer_load_dword v91, off, s[0:3], 0 offset:176
	buffer_load_dword v98, off, s[0:3], 0 offset:188
	buffer_load_dword v96, off, s[0:3], 0 offset:196
	buffer_load_dword v94, off, s[0:3], 0 offset:204
	s_waitcnt vmcnt(34)
	v_fma_f64 v[81:82], v[99:100], v[83:84], v[81:82]
	s_waitcnt vmcnt(32) lgkmcnt(0)
	v_fma_f64 v[81:82], v[101:102], v[85:86], v[81:82]
	s_waitcnt vmcnt(27)
	v_fma_f64 v[99:100], v[103:104], v[87:88], v[81:82]
	ds_read2_b64 v[81:84], v80 offset0:51 offset1:52
	ds_read2_b64 v[85:88], v80 offset0:53 offset1:54
	;; [unrolled: 19-line block ×5, first 2 shown]
	s_waitcnt vmcnt(26) lgkmcnt(1)
	v_fma_f64 v[81:82], v[97:98], v[81:82], v[91:92]
	s_clause 0x1
	buffer_load_dword v92, off, s[0:3], 0 offset:308
	buffer_load_dword v91, off, s[0:3], 0 offset:304
	s_waitcnt vmcnt(27)
	v_fma_f64 v[81:82], v[95:96], v[83:84], v[81:82]
	s_clause 0x1
	buffer_load_dword v95, off, s[0:3], 0 offset:16
	buffer_load_dword v96, off, s[0:3], 0 offset:20
	s_waitcnt vmcnt(28) lgkmcnt(0)
	v_fma_f64 v[81:82], v[93:94], v[85:86], v[81:82]
	s_waitcnt vmcnt(23)
	v_fma_f64 v[93:94], v[99:100], v[87:88], v[81:82]
	ds_read2_b64 v[81:84], v80 offset0:67 offset1:68
	ds_read2_b64 v[85:88], v80 offset0:69 offset1:70
	s_waitcnt vmcnt(22) lgkmcnt(1)
	v_fma_f64 v[81:82], v[109:110], v[81:82], v[93:94]
	s_waitcnt vmcnt(21)
	v_fma_f64 v[81:82], v[103:104], v[83:84], v[81:82]
	s_waitcnt vmcnt(20) lgkmcnt(0)
	v_fma_f64 v[81:82], v[101:102], v[85:86], v[81:82]
	s_waitcnt vmcnt(15)
	v_fma_f64 v[93:94], v[105:106], v[87:88], v[81:82]
	ds_read2_b64 v[81:84], v80 offset0:71 offset1:72
	ds_read2_b64 v[85:88], v80 offset0:73 offset1:74
	s_waitcnt vmcnt(14) lgkmcnt(1)
	v_fma_f64 v[81:82], v[117:118], v[81:82], v[93:94]
	s_waitcnt vmcnt(13)
	v_fma_f64 v[81:82], v[111:112], v[83:84], v[81:82]
	;; [unrolled: 10-line block ×3, first 2 shown]
	s_waitcnt vmcnt(4) lgkmcnt(0)
	v_fma_f64 v[80:81], v[113:114], v[85:86], v[80:81]
	s_waitcnt vmcnt(2)
	v_fma_f64 v[80:81], v[91:92], v[87:88], v[80:81]
	s_waitcnt vmcnt(0)
	v_add_f64 v[80:81], v[95:96], -v[80:81]
	buffer_store_dword v81, off, s[0:3], 0 offset:20
	buffer_store_dword v80, off, s[0:3], 0 offset:16
	v_cmpx_lt_u32_e32 1, v0
	s_cbranch_execz .LBB38_241
; %bb.240:
	s_clause 0x1
	buffer_load_dword v80, off, s[0:3], 0 offset:8
	buffer_load_dword v81, off, s[0:3], 0 offset:12
	v_mov_b32_e32 v82, 0
	buffer_store_dword v82, off, s[0:3], 0 offset:8
	buffer_store_dword v82, off, s[0:3], 0 offset:12
	s_waitcnt vmcnt(0)
	ds_write_b64 v79, v[80:81]
.LBB38_241:
	s_or_b32 exec_lo, exec_lo, s4
	s_waitcnt lgkmcnt(0)
	s_waitcnt_vscnt null, 0x0
	s_barrier
	buffer_gl0_inv
	s_clause 0x1c
	buffer_load_dword v90, off, s[0:3], 0 offset:16
	buffer_load_dword v91, off, s[0:3], 0 offset:20
	;; [unrolled: 1-line block ×29, first 2 shown]
	v_mov_b32_e32 v81, 0
	buffer_load_dword v115, off, s[0:3], 0 offset:132
	s_mov_b32 s4, exec_lo
	ds_read_b128 v[82:85], v81 offset:336
	ds_read_b128 v[86:89], v81 offset:352
	s_waitcnt vmcnt(28) lgkmcnt(1)
	v_fma_f64 v[82:83], v[90:91], v[82:83], 0
	s_clause 0x7
	buffer_load_dword v91, off, s[0:3], 0 offset:140
	buffer_load_dword v120, off, s[0:3], 0 offset:160
	buffer_load_dword v122, off, s[0:3], 0 offset:152
	buffer_load_dword v124, off, s[0:3], 0 offset:144
	buffer_load_dword v90, off, s[0:3], 0 offset:136
	buffer_load_dword v125, off, s[0:3], 0 offset:148
	buffer_load_dword v123, off, s[0:3], 0 offset:156
	buffer_load_dword v121, off, s[0:3], 0 offset:164
	s_waitcnt vmcnt(34)
	v_fma_f64 v[82:83], v[92:93], v[84:85], v[82:83]
	s_waitcnt vmcnt(32) lgkmcnt(0)
	v_fma_f64 v[82:83], v[94:95], v[86:87], v[82:83]
	s_waitcnt vmcnt(30)
	v_fma_f64 v[92:93], v[96:97], v[88:89], v[82:83]
	ds_read_b128 v[82:85], v81 offset:368
	ds_read_b128 v[86:89], v81 offset:384
	s_waitcnt vmcnt(28) lgkmcnt(1)
	v_fma_f64 v[82:83], v[98:99], v[82:83], v[92:93]
	s_clause 0x7
	buffer_load_dword v93, off, s[0:3], 0 offset:172
	buffer_load_dword v94, off, s[0:3], 0 offset:192
	buffer_load_dword v96, off, s[0:3], 0 offset:184
	buffer_load_dword v98, off, s[0:3], 0 offset:176
	buffer_load_dword v92, off, s[0:3], 0 offset:168
	buffer_load_dword v99, off, s[0:3], 0 offset:180
	buffer_load_dword v97, off, s[0:3], 0 offset:188
	buffer_load_dword v95, off, s[0:3], 0 offset:196
	s_waitcnt vmcnt(34)
	v_fma_f64 v[82:83], v[100:101], v[84:85], v[82:83]
	s_waitcnt vmcnt(32) lgkmcnt(0)
	v_fma_f64 v[82:83], v[102:103], v[86:87], v[82:83]
	s_waitcnt vmcnt(27)
	v_fma_f64 v[100:101], v[104:105], v[88:89], v[82:83]
	;; [unrolled: 19-line block ×5, first 2 shown]
	ds_read_b128 v[82:85], v81 offset:496
	ds_read_b128 v[86:89], v81 offset:512
	s_waitcnt vmcnt(26) lgkmcnt(1)
	v_fma_f64 v[82:83], v[98:99], v[82:83], v[92:93]
	s_clause 0x3
	buffer_load_dword v93, off, s[0:3], 0 offset:300
	buffer_load_dword v98, off, s[0:3], 0 offset:304
	;; [unrolled: 1-line block ×4, first 2 shown]
	s_waitcnt vmcnt(29)
	v_fma_f64 v[82:83], v[96:97], v[84:85], v[82:83]
	s_waitcnt vmcnt(28) lgkmcnt(0)
	v_fma_f64 v[82:83], v[94:95], v[86:87], v[82:83]
	s_clause 0x1
	buffer_load_dword v94, off, s[0:3], 0 offset:8
	buffer_load_dword v95, off, s[0:3], 0 offset:12
	s_waitcnt vmcnt(25)
	v_fma_f64 v[96:97], v[100:101], v[88:89], v[82:83]
	ds_read_b128 v[82:85], v81 offset:528
	ds_read_b128 v[86:89], v81 offset:544
	s_waitcnt vmcnt(24) lgkmcnt(1)
	v_fma_f64 v[82:83], v[110:111], v[82:83], v[96:97]
	s_waitcnt vmcnt(23)
	v_fma_f64 v[82:83], v[104:105], v[84:85], v[82:83]
	s_waitcnt vmcnt(22) lgkmcnt(0)
	v_fma_f64 v[82:83], v[102:103], v[86:87], v[82:83]
	s_waitcnt vmcnt(17)
	v_fma_f64 v[96:97], v[106:107], v[88:89], v[82:83]
	ds_read_b128 v[82:85], v81 offset:560
	ds_read_b128 v[86:89], v81 offset:576
	s_waitcnt vmcnt(16) lgkmcnt(1)
	v_fma_f64 v[82:83], v[118:119], v[82:83], v[96:97]
	s_waitcnt vmcnt(15)
	v_fma_f64 v[82:83], v[112:113], v[84:85], v[82:83]
	s_waitcnt vmcnt(14) lgkmcnt(0)
	v_fma_f64 v[82:83], v[108:109], v[86:87], v[82:83]
	s_waitcnt vmcnt(9)
	v_fma_f64 v[90:91], v[90:91], v[88:89], v[82:83]
	ds_read_b128 v[82:85], v81 offset:592
	ds_read_b128 v[86:89], v81 offset:608
	s_waitcnt vmcnt(8) lgkmcnt(1)
	v_fma_f64 v[82:83], v[124:125], v[82:83], v[90:91]
	s_waitcnt vmcnt(7)
	v_fma_f64 v[82:83], v[116:117], v[84:85], v[82:83]
	ds_read_b64 v[84:85], v81 offset:624
	s_waitcnt vmcnt(6) lgkmcnt(1)
	v_fma_f64 v[82:83], v[114:115], v[86:87], v[82:83]
	s_waitcnt vmcnt(3)
	v_fma_f64 v[82:83], v[92:93], v[88:89], v[82:83]
	s_waitcnt vmcnt(2) lgkmcnt(0)
	v_fma_f64 v[82:83], v[98:99], v[84:85], v[82:83]
	s_waitcnt vmcnt(0)
	v_add_f64 v[82:83], v[94:95], -v[82:83]
	buffer_store_dword v83, off, s[0:3], 0 offset:12
	buffer_store_dword v82, off, s[0:3], 0 offset:8
	v_cmpx_ne_u32_e32 0, v0
	s_cbranch_execz .LBB38_243
; %bb.242:
	s_clause 0x1
	buffer_load_dword v82, off, s[0:3], 0
	buffer_load_dword v83, off, s[0:3], 0 offset:4
	buffer_store_dword v81, off, s[0:3], 0
	buffer_store_dword v81, off, s[0:3], 0 offset:4
	s_waitcnt vmcnt(0)
	ds_write_b64 v79, v[82:83]
.LBB38_243:
	s_or_b32 exec_lo, exec_lo, s4
	s_waitcnt lgkmcnt(0)
	s_waitcnt_vscnt null, 0x0
	s_barrier
	buffer_gl0_inv
	s_clause 0x1c
	buffer_load_dword v79, off, s[0:3], 0 offset:8
	buffer_load_dword v80, off, s[0:3], 0 offset:12
	;; [unrolled: 1-line block ×29, first 2 shown]
	ds_read2_b64 v[82:85], v81 offset0:41 offset1:42
	ds_read2_b64 v[86:89], v81 offset0:43 offset1:44
	s_clause 0x8
	buffer_load_dword v113, off, s[0:3], 0 offset:124
	buffer_load_dword v119, off, s[0:3], 0 offset:132
	;; [unrolled: 1-line block ×9, first 2 shown]
	s_and_b32 vcc_lo, exec_lo, s22
	s_waitcnt vmcnt(36) lgkmcnt(1)
	v_fma_f64 v[79:80], v[79:80], v[82:83], 0
	s_waitcnt vmcnt(34)
	v_fma_f64 v[79:80], v[90:91], v[84:85], v[79:80]
	ds_read2_b64 v[82:85], v81 offset0:45 offset1:46
	s_waitcnt vmcnt(32) lgkmcnt(1)
	v_fma_f64 v[79:80], v[92:93], v[86:87], v[79:80]
	s_waitcnt vmcnt(30)
	v_fma_f64 v[79:80], v[94:95], v[88:89], v[79:80]
	ds_read2_b64 v[86:89], v81 offset0:47 offset1:48
	s_waitcnt vmcnt(28) lgkmcnt(1)
	v_fma_f64 v[79:80], v[96:97], v[82:83], v[79:80]
	s_clause 0x7
	buffer_load_dword v91, off, s[0:3], 0 offset:164
	buffer_load_dword v92, off, s[0:3], 0 offset:184
	buffer_load_dword v94, off, s[0:3], 0 offset:176
	buffer_load_dword v96, off, s[0:3], 0 offset:168
	buffer_load_dword v90, off, s[0:3], 0 offset:160
	buffer_load_dword v97, off, s[0:3], 0 offset:172
	buffer_load_dword v95, off, s[0:3], 0 offset:180
	buffer_load_dword v93, off, s[0:3], 0 offset:188
	s_waitcnt vmcnt(34)
	v_fma_f64 v[79:80], v[98:99], v[84:85], v[79:80]
	ds_read2_b64 v[82:85], v81 offset0:49 offset1:50
	s_waitcnt vmcnt(32) lgkmcnt(1)
	v_fma_f64 v[79:80], v[100:101], v[86:87], v[79:80]
	s_waitcnt vmcnt(27)
	v_fma_f64 v[79:80], v[102:103], v[88:89], v[79:80]
	ds_read2_b64 v[86:89], v81 offset0:51 offset1:52
	s_waitcnt vmcnt(26) lgkmcnt(1)
	v_fma_f64 v[79:80], v[108:109], v[82:83], v[79:80]
	s_clause 0x7
	buffer_load_dword v99, off, s[0:3], 0 offset:196
	buffer_load_dword v100, off, s[0:3], 0 offset:216
	buffer_load_dword v102, off, s[0:3], 0 offset:208
	buffer_load_dword v108, off, s[0:3], 0 offset:200
	buffer_load_dword v98, off, s[0:3], 0 offset:192
	buffer_load_dword v109, off, s[0:3], 0 offset:204
	buffer_load_dword v103, off, s[0:3], 0 offset:212
	buffer_load_dword v101, off, s[0:3], 0 offset:220
	;; [unrolled: 19-line block ×4, first 2 shown]
	s_waitcnt vmcnt(33)
	v_fma_f64 v[79:80], v[122:123], v[84:85], v[79:80]
	ds_read2_b64 v[82:85], v81 offset0:61 offset1:62
	s_waitcnt vmcnt(32) lgkmcnt(1)
	v_fma_f64 v[79:80], v[120:121], v[86:87], v[79:80]
	s_waitcnt vmcnt(27)
	v_fma_f64 v[79:80], v[90:91], v[88:89], v[79:80]
	ds_read2_b64 v[86:89], v81 offset0:63 offset1:64
	s_waitcnt vmcnt(26) lgkmcnt(1)
	v_fma_f64 v[82:83], v[96:97], v[82:83], v[79:80]
	s_clause 0x5
	buffer_load_dword v91, off, s[0:3], 0 offset:292
	buffer_load_dword v96, off, s[0:3], 0 offset:304
	;; [unrolled: 1-line block ×6, first 2 shown]
	s_waitcnt vmcnt(31)
	v_fma_f64 v[82:83], v[94:95], v[84:85], v[82:83]
	s_waitcnt vmcnt(30) lgkmcnt(0)
	v_fma_f64 v[82:83], v[92:93], v[86:87], v[82:83]
	s_waitcnt vmcnt(25)
	v_fma_f64 v[92:93], v[98:99], v[88:89], v[82:83]
	ds_read2_b64 v[82:85], v81 offset0:65 offset1:66
	s_clause 0x1
	buffer_load_dword v94, off, s[0:3], 0
	buffer_load_dword v95, off, s[0:3], 0 offset:4
	ds_read2_b64 v[86:89], v81 offset0:67 offset1:68
	s_waitcnt vmcnt(26) lgkmcnt(1)
	v_fma_f64 v[82:83], v[108:109], v[82:83], v[92:93]
	s_waitcnt vmcnt(25)
	v_fma_f64 v[82:83], v[102:103], v[84:85], v[82:83]
	s_waitcnt vmcnt(24) lgkmcnt(0)
	v_fma_f64 v[82:83], v[100:101], v[86:87], v[82:83]
	s_waitcnt vmcnt(19)
	v_fma_f64 v[92:93], v[104:105], v[88:89], v[82:83]
	ds_read2_b64 v[82:85], v81 offset0:69 offset1:70
	ds_read2_b64 v[86:89], v81 offset0:71 offset1:72
	s_waitcnt vmcnt(18) lgkmcnt(1)
	v_fma_f64 v[82:83], v[116:117], v[82:83], v[92:93]
	s_waitcnt vmcnt(17)
	v_fma_f64 v[82:83], v[110:111], v[84:85], v[82:83]
	s_waitcnt vmcnt(16) lgkmcnt(0)
	v_fma_f64 v[82:83], v[106:107], v[86:87], v[82:83]
	s_waitcnt vmcnt(11)
	v_fma_f64 v[92:93], v[112:113], v[88:89], v[82:83]
	ds_read2_b64 v[82:85], v81 offset0:73 offset1:74
	ds_read2_b64 v[86:89], v81 offset0:75 offset1:76
	s_waitcnt vmcnt(10) lgkmcnt(1)
	v_fma_f64 v[82:83], v[124:125], v[82:83], v[92:93]
	s_waitcnt vmcnt(9)
	v_fma_f64 v[82:83], v[118:119], v[84:85], v[82:83]
	s_waitcnt vmcnt(8) lgkmcnt(0)
	v_fma_f64 v[82:83], v[114:115], v[86:87], v[82:83]
	s_waitcnt vmcnt(4)
	v_fma_f64 v[85:86], v[90:91], v[88:89], v[82:83]
	ds_read2_b64 v[81:84], v81 offset0:77 offset1:78
	s_waitcnt vmcnt(3) lgkmcnt(0)
	v_fma_f64 v[81:82], v[79:80], v[81:82], v[85:86]
	s_waitcnt vmcnt(2)
	v_fma_f64 v[81:82], v[96:97], v[83:84], v[81:82]
	s_waitcnt vmcnt(0)
	v_add_f64 v[81:82], v[94:95], -v[81:82]
	buffer_store_dword v82, off, s[0:3], 0 offset:4
	buffer_store_dword v81, off, s[0:3], 0
	s_cbranch_vccz .LBB38_320
; %bb.244:
	v_mov_b32_e32 v0, 0
	global_load_dword v81, v0, s[20:21] offset:148
	s_waitcnt vmcnt(0)
	v_add_nc_u32_e32 v81, -1, v81
	v_cmp_ne_u32_e32 vcc_lo, 37, v81
	s_cbranch_vccz .LBB38_246
; %bb.245:
	v_lshlrev_b32_e32 v81, 3, v81
	s_clause 0x1
	buffer_load_dword v82, v81, s[0:3], 0 offen
	buffer_load_dword v83, v81, s[0:3], 0 offen offset:4
	s_waitcnt vmcnt(1)
	buffer_store_dword v82, off, s[0:3], 0 offset:296
	s_waitcnt vmcnt(0)
	buffer_store_dword v83, off, s[0:3], 0 offset:300
	buffer_store_dword v79, v81, s[0:3], 0 offen
	buffer_store_dword v80, v81, s[0:3], 0 offen offset:4
.LBB38_246:
	global_load_dword v0, v0, s[20:21] offset:144
	s_waitcnt vmcnt(0)
	v_add_nc_u32_e32 v0, -1, v0
	v_cmp_eq_u32_e32 vcc_lo, 36, v0
	s_cbranch_vccnz .LBB38_248
; %bb.247:
	v_lshlrev_b32_e32 v0, 3, v0
	s_clause 0x3
	buffer_load_dword v79, v0, s[0:3], 0 offen
	buffer_load_dword v80, v0, s[0:3], 0 offen offset:4
	buffer_load_dword v81, off, s[0:3], 0 offset:292
	buffer_load_dword v82, off, s[0:3], 0 offset:288
	s_waitcnt vmcnt(3)
	buffer_store_dword v79, off, s[0:3], 0 offset:288
	s_waitcnt vmcnt(2)
	buffer_store_dword v80, off, s[0:3], 0 offset:292
	s_waitcnt vmcnt(1)
	buffer_store_dword v81, v0, s[0:3], 0 offen offset:4
	s_waitcnt vmcnt(0)
	buffer_store_dword v82, v0, s[0:3], 0 offen
.LBB38_248:
	v_mov_b32_e32 v0, 0
	global_load_dword v79, v0, s[20:21] offset:140
	s_waitcnt vmcnt(0)
	v_add_nc_u32_e32 v79, -1, v79
	v_cmp_eq_u32_e32 vcc_lo, 35, v79
	s_cbranch_vccnz .LBB38_250
; %bb.249:
	v_lshlrev_b32_e32 v79, 3, v79
	s_clause 0x3
	buffer_load_dword v80, v79, s[0:3], 0 offen
	buffer_load_dword v81, v79, s[0:3], 0 offen offset:4
	buffer_load_dword v82, off, s[0:3], 0 offset:280
	buffer_load_dword v83, off, s[0:3], 0 offset:284
	s_waitcnt vmcnt(3)
	buffer_store_dword v80, off, s[0:3], 0 offset:280
	s_waitcnt vmcnt(2)
	buffer_store_dword v81, off, s[0:3], 0 offset:284
	s_waitcnt vmcnt(1)
	buffer_store_dword v82, v79, s[0:3], 0 offen
	s_waitcnt vmcnt(0)
	buffer_store_dword v83, v79, s[0:3], 0 offen offset:4
.LBB38_250:
	global_load_dword v0, v0, s[20:21] offset:136
	s_waitcnt vmcnt(0)
	v_add_nc_u32_e32 v0, -1, v0
	v_cmp_eq_u32_e32 vcc_lo, 34, v0
	s_cbranch_vccnz .LBB38_252
; %bb.251:
	v_lshlrev_b32_e32 v0, 3, v0
	s_clause 0x3
	buffer_load_dword v79, v0, s[0:3], 0 offen
	buffer_load_dword v80, v0, s[0:3], 0 offen offset:4
	buffer_load_dword v81, off, s[0:3], 0 offset:276
	buffer_load_dword v82, off, s[0:3], 0 offset:272
	s_waitcnt vmcnt(3)
	buffer_store_dword v79, off, s[0:3], 0 offset:272
	s_waitcnt vmcnt(2)
	buffer_store_dword v80, off, s[0:3], 0 offset:276
	s_waitcnt vmcnt(1)
	buffer_store_dword v81, v0, s[0:3], 0 offen offset:4
	s_waitcnt vmcnt(0)
	buffer_store_dword v82, v0, s[0:3], 0 offen
.LBB38_252:
	v_mov_b32_e32 v0, 0
	global_load_dword v79, v0, s[20:21] offset:132
	s_waitcnt vmcnt(0)
	v_add_nc_u32_e32 v79, -1, v79
	v_cmp_eq_u32_e32 vcc_lo, 33, v79
	s_cbranch_vccnz .LBB38_254
; %bb.253:
	v_lshlrev_b32_e32 v79, 3, v79
	s_clause 0x3
	buffer_load_dword v80, v79, s[0:3], 0 offen
	buffer_load_dword v81, v79, s[0:3], 0 offen offset:4
	buffer_load_dword v82, off, s[0:3], 0 offset:264
	buffer_load_dword v83, off, s[0:3], 0 offset:268
	s_waitcnt vmcnt(3)
	buffer_store_dword v80, off, s[0:3], 0 offset:264
	s_waitcnt vmcnt(2)
	buffer_store_dword v81, off, s[0:3], 0 offset:268
	s_waitcnt vmcnt(1)
	buffer_store_dword v82, v79, s[0:3], 0 offen
	s_waitcnt vmcnt(0)
	buffer_store_dword v83, v79, s[0:3], 0 offen offset:4
.LBB38_254:
	;; [unrolled: 43-line block ×18, first 2 shown]
	global_load_dword v0, v0, s[20:21]
	s_clause 0x1
	buffer_load_dword v81, off, s[0:3], 0
	buffer_load_dword v82, off, s[0:3], 0 offset:4
	s_waitcnt vmcnt(2)
	v_add_nc_u32_e32 v0, -1, v0
	v_cmp_eq_u32_e32 vcc_lo, 0, v0
	s_cbranch_vccnz .LBB38_320
; %bb.319:
	v_lshlrev_b32_e32 v0, 3, v0
	s_clause 0x1
	buffer_load_dword v79, v0, s[0:3], 0 offen offset:4
	buffer_load_dword v80, v0, s[0:3], 0 offen
	s_waitcnt vmcnt(1)
	buffer_store_dword v79, off, s[0:3], 0 offset:4
	s_waitcnt vmcnt(0)
	buffer_store_dword v80, off, s[0:3], 0
	buffer_store_dword v82, v0, s[0:3], 0 offen offset:4
	buffer_store_dword v81, v0, s[0:3], 0 offen
	s_clause 0x1
	buffer_load_dword v81, off, s[0:3], 0
	buffer_load_dword v82, off, s[0:3], 0 offset:4
.LBB38_320:
	s_clause 0xd
	buffer_load_dword v79, off, s[0:3], 0 offset:8
	buffer_load_dword v80, off, s[0:3], 0 offset:12
	;; [unrolled: 1-line block ×14, first 2 shown]
	s_waitcnt vmcnt(14)
	global_store_dwordx2 v[77:78], v[81:82], off
	s_clause 0x21
	buffer_load_dword v77, off, s[0:3], 0 offset:64
	buffer_load_dword v78, off, s[0:3], 0 offset:68
	;; [unrolled: 1-line block ×34, first 2 shown]
	s_waitcnt vmcnt(46)
	global_store_dwordx2 v[39:40], v[79:80], off
	s_waitcnt vmcnt(44)
	global_store_dwordx2 v[3:4], v[83:84], off
	s_clause 0x7
	buffer_load_dword v3, off, s[0:3], 0 offset:200
	buffer_load_dword v4, off, s[0:3], 0 offset:204
	buffer_load_dword v39, off, s[0:3], 0 offset:208
	buffer_load_dword v40, off, s[0:3], 0 offset:212
	buffer_load_dword v79, off, s[0:3], 0 offset:216
	buffer_load_dword v80, off, s[0:3], 0 offset:220
	buffer_load_dword v83, off, s[0:3], 0 offset:224
	buffer_load_dword v84, off, s[0:3], 0 offset:228
	s_waitcnt vmcnt(50)
	global_store_dwordx2 v[1:2], v[85:86], off
	s_waitcnt vmcnt(48)
	global_store_dwordx2 v[7:8], v[87:88], off
	s_clause 0x7
	buffer_load_dword v0, off, s[0:3], 0 offset:232
	buffer_load_dword v1, off, s[0:3], 0 offset:236
	buffer_load_dword v7, off, s[0:3], 0 offset:240
	buffer_load_dword v8, off, s[0:3], 0 offset:244
	buffer_load_dword v85, off, s[0:3], 0 offset:248
	buffer_load_dword v86, off, s[0:3], 0 offset:252
	buffer_load_dword v87, off, s[0:3], 0 offset:256
	buffer_load_dword v88, off, s[0:3], 0 offset:260
	;; [unrolled: 13-line block ×3, first 2 shown]
	s_waitcnt vmcnt(58)
	global_store_dwordx2 v[9:10], v[93:94], off
	s_clause 0x3
	buffer_load_dword v9, off, s[0:3], 0 offset:296
	buffer_load_dword v10, off, s[0:3], 0 offset:300
	;; [unrolled: 1-line block ×4, first 2 shown]
	s_waitcnt vmcnt(60)
	global_store_dwordx2 v[11:12], v[77:78], off
	s_waitcnt vmcnt(58)
	global_store_dwordx2 v[15:16], v[81:82], off
	;; [unrolled: 2-line block ×31, first 2 shown]
	s_endpgm
	.section	.rodata,"a",@progbits
	.p2align	6, 0x0
	.amdhsa_kernel _ZN9rocsolver6v33100L18getri_kernel_smallILi39EdPdEEvT1_iilPiilS4_bb
		.amdhsa_group_segment_fixed_size 632
		.amdhsa_private_segment_fixed_size 320
		.amdhsa_kernarg_size 60
		.amdhsa_user_sgpr_count 6
		.amdhsa_user_sgpr_private_segment_buffer 1
		.amdhsa_user_sgpr_dispatch_ptr 0
		.amdhsa_user_sgpr_queue_ptr 0
		.amdhsa_user_sgpr_kernarg_segment_ptr 1
		.amdhsa_user_sgpr_dispatch_id 0
		.amdhsa_user_sgpr_flat_scratch_init 0
		.amdhsa_user_sgpr_private_segment_size 0
		.amdhsa_wavefront_size32 1
		.amdhsa_uses_dynamic_stack 0
		.amdhsa_system_sgpr_private_segment_wavefront_offset 1
		.amdhsa_system_sgpr_workgroup_id_x 1
		.amdhsa_system_sgpr_workgroup_id_y 0
		.amdhsa_system_sgpr_workgroup_id_z 0
		.amdhsa_system_sgpr_workgroup_info 0
		.amdhsa_system_vgpr_workitem_id 0
		.amdhsa_next_free_vgpr 126
		.amdhsa_next_free_sgpr 23
		.amdhsa_reserve_vcc 1
		.amdhsa_reserve_flat_scratch 0
		.amdhsa_float_round_mode_32 0
		.amdhsa_float_round_mode_16_64 0
		.amdhsa_float_denorm_mode_32 3
		.amdhsa_float_denorm_mode_16_64 3
		.amdhsa_dx10_clamp 1
		.amdhsa_ieee_mode 1
		.amdhsa_fp16_overflow 0
		.amdhsa_workgroup_processor_mode 1
		.amdhsa_memory_ordered 1
		.amdhsa_forward_progress 1
		.amdhsa_shared_vgpr_count 0
		.amdhsa_exception_fp_ieee_invalid_op 0
		.amdhsa_exception_fp_denorm_src 0
		.amdhsa_exception_fp_ieee_div_zero 0
		.amdhsa_exception_fp_ieee_overflow 0
		.amdhsa_exception_fp_ieee_underflow 0
		.amdhsa_exception_fp_ieee_inexact 0
		.amdhsa_exception_int_div_zero 0
	.end_amdhsa_kernel
	.section	.text._ZN9rocsolver6v33100L18getri_kernel_smallILi39EdPdEEvT1_iilPiilS4_bb,"axG",@progbits,_ZN9rocsolver6v33100L18getri_kernel_smallILi39EdPdEEvT1_iilPiilS4_bb,comdat
.Lfunc_end38:
	.size	_ZN9rocsolver6v33100L18getri_kernel_smallILi39EdPdEEvT1_iilPiilS4_bb, .Lfunc_end38-_ZN9rocsolver6v33100L18getri_kernel_smallILi39EdPdEEvT1_iilPiilS4_bb
                                        ; -- End function
	.set _ZN9rocsolver6v33100L18getri_kernel_smallILi39EdPdEEvT1_iilPiilS4_bb.num_vgpr, 126
	.set _ZN9rocsolver6v33100L18getri_kernel_smallILi39EdPdEEvT1_iilPiilS4_bb.num_agpr, 0
	.set _ZN9rocsolver6v33100L18getri_kernel_smallILi39EdPdEEvT1_iilPiilS4_bb.numbered_sgpr, 23
	.set _ZN9rocsolver6v33100L18getri_kernel_smallILi39EdPdEEvT1_iilPiilS4_bb.num_named_barrier, 0
	.set _ZN9rocsolver6v33100L18getri_kernel_smallILi39EdPdEEvT1_iilPiilS4_bb.private_seg_size, 320
	.set _ZN9rocsolver6v33100L18getri_kernel_smallILi39EdPdEEvT1_iilPiilS4_bb.uses_vcc, 1
	.set _ZN9rocsolver6v33100L18getri_kernel_smallILi39EdPdEEvT1_iilPiilS4_bb.uses_flat_scratch, 0
	.set _ZN9rocsolver6v33100L18getri_kernel_smallILi39EdPdEEvT1_iilPiilS4_bb.has_dyn_sized_stack, 0
	.set _ZN9rocsolver6v33100L18getri_kernel_smallILi39EdPdEEvT1_iilPiilS4_bb.has_recursion, 0
	.set _ZN9rocsolver6v33100L18getri_kernel_smallILi39EdPdEEvT1_iilPiilS4_bb.has_indirect_call, 0
	.section	.AMDGPU.csdata,"",@progbits
; Kernel info:
; codeLenInByte = 46116
; TotalNumSgprs: 25
; NumVgprs: 126
; ScratchSize: 320
; MemoryBound: 1
; FloatMode: 240
; IeeeMode: 1
; LDSByteSize: 632 bytes/workgroup (compile time only)
; SGPRBlocks: 0
; VGPRBlocks: 15
; NumSGPRsForWavesPerEU: 25
; NumVGPRsForWavesPerEU: 126
; Occupancy: 8
; WaveLimiterHint : 1
; COMPUTE_PGM_RSRC2:SCRATCH_EN: 1
; COMPUTE_PGM_RSRC2:USER_SGPR: 6
; COMPUTE_PGM_RSRC2:TRAP_HANDLER: 0
; COMPUTE_PGM_RSRC2:TGID_X_EN: 1
; COMPUTE_PGM_RSRC2:TGID_Y_EN: 0
; COMPUTE_PGM_RSRC2:TGID_Z_EN: 0
; COMPUTE_PGM_RSRC2:TIDIG_COMP_CNT: 0
	.section	.text._ZN9rocsolver6v33100L18getri_kernel_smallILi40EdPdEEvT1_iilPiilS4_bb,"axG",@progbits,_ZN9rocsolver6v33100L18getri_kernel_smallILi40EdPdEEvT1_iilPiilS4_bb,comdat
	.globl	_ZN9rocsolver6v33100L18getri_kernel_smallILi40EdPdEEvT1_iilPiilS4_bb ; -- Begin function _ZN9rocsolver6v33100L18getri_kernel_smallILi40EdPdEEvT1_iilPiilS4_bb
	.p2align	8
	.type	_ZN9rocsolver6v33100L18getri_kernel_smallILi40EdPdEEvT1_iilPiilS4_bb,@function
_ZN9rocsolver6v33100L18getri_kernel_smallILi40EdPdEEvT1_iilPiilS4_bb: ; @_ZN9rocsolver6v33100L18getri_kernel_smallILi40EdPdEEvT1_iilPiilS4_bb
; %bb.0:
	s_add_u32 s0, s0, s7
	s_addc_u32 s1, s1, 0
	s_mov_b32 s7, exec_lo
	v_cmpx_gt_u32_e32 40, v0
	s_cbranch_execz .LBB39_170
; %bb.1:
	s_clause 0x2
	s_load_dword s7, s[4:5], 0x38
	s_load_dwordx4 s[16:19], s[4:5], 0x10
	s_load_dwordx4 s[8:11], s[4:5], 0x28
                                        ; implicit-def: $sgpr20_sgpr21
	s_waitcnt lgkmcnt(0)
	s_bitcmp1_b32 s7, 8
	s_cselect_b32 s22, -1, 0
	s_bfe_u32 s12, s7, 0x10008
	s_ashr_i32 s7, s6, 31
	s_cmp_eq_u32 s12, 0
	s_cbranch_scc1 .LBB39_3
; %bb.2:
	s_load_dword s12, s[4:5], 0x20
	s_mul_i32 s13, s8, s7
	s_mul_hi_u32 s14, s8, s6
	s_mul_i32 s9, s9, s6
	s_add_i32 s13, s14, s13
	s_mul_i32 s8, s8, s6
	s_add_i32 s9, s13, s9
	s_lshl_b64 s[8:9], s[8:9], 2
	s_waitcnt lgkmcnt(0)
	s_ashr_i32 s13, s12, 31
	s_add_u32 s14, s18, s8
	s_addc_u32 s15, s19, s9
	s_lshl_b64 s[8:9], s[12:13], 2
	s_add_u32 s20, s14, s8
	s_addc_u32 s21, s15, s9
.LBB39_3:
	s_clause 0x1
	s_load_dwordx4 s[12:15], s[4:5], 0x0
	s_load_dword s8, s[4:5], 0x38
	s_mul_i32 s4, s16, s7
	s_mul_hi_u32 s5, s16, s6
	s_mul_i32 s9, s17, s6
	s_add_i32 s5, s5, s4
	s_mul_i32 s4, s16, s6
	s_add_i32 s5, s5, s9
	v_lshlrev_b32_e32 v83, 3, v0
	s_lshl_b64 s[4:5], s[4:5], 3
	s_waitcnt lgkmcnt(0)
	v_add3_u32 v1, s15, s15, v0
	s_ashr_i32 s17, s14, 31
	s_mov_b32 s16, s14
	s_add_u32 s9, s12, s4
	s_addc_u32 s12, s13, s5
	v_add_nc_u32_e32 v3, s15, v1
	v_ashrrev_i32_e32 v2, 31, v1
	s_lshl_b64 s[4:5], s[16:17], 3
	s_add_u32 s4, s9, s4
	v_add_nc_u32_e32 v5, s15, v3
	v_ashrrev_i32_e32 v4, 31, v3
	v_lshlrev_b64 v[1:2], 3, v[1:2]
	s_addc_u32 s5, s12, s5
	v_add_co_u32 v79, s9, s4, v83
	v_add_nc_u32_e32 v7, s15, v5
	v_ashrrev_i32_e32 v6, 31, v5
	v_lshlrev_b64 v[3:4], 3, v[3:4]
	v_add_co_u32 v1, vcc_lo, s4, v1
	v_add_nc_u32_e32 v11, s15, v7
	v_ashrrev_i32_e32 v8, 31, v7
	v_lshlrev_b64 v[9:10], 3, v[5:6]
	v_add_co_ci_u32_e64 v2, null, s5, v2, vcc_lo
	v_add_nc_u32_e32 v13, s15, v11
	v_ashrrev_i32_e32 v12, 31, v11
	v_lshlrev_b64 v[7:8], 3, v[7:8]
	v_add_co_u32 v5, vcc_lo, s4, v3
	v_add_nc_u32_e32 v15, s15, v13
	v_lshlrev_b64 v[11:12], 3, v[11:12]
	v_ashrrev_i32_e32 v14, 31, v13
	v_add_co_ci_u32_e64 v6, null, s5, v4, vcc_lo
	v_add_nc_u32_e32 v17, s15, v15
	v_add_co_u32 v3, vcc_lo, s4, v9
	v_ashrrev_i32_e32 v16, 31, v15
	v_add_co_ci_u32_e64 v4, null, s5, v10, vcc_lo
	v_add_nc_u32_e32 v19, s15, v17
	v_add_co_u32 v9, vcc_lo, s4, v7
	v_ashrrev_i32_e32 v18, 31, v17
	v_add_co_ci_u32_e64 v10, null, s5, v8, vcc_lo
	v_add_nc_u32_e32 v21, s15, v19
	v_lshlrev_b64 v[13:14], 3, v[13:14]
	v_add_co_u32 v7, vcc_lo, s4, v11
	v_ashrrev_i32_e32 v20, 31, v19
	v_add_nc_u32_e32 v23, s15, v21
	v_add_co_ci_u32_e64 v8, null, s5, v12, vcc_lo
	v_lshlrev_b64 v[11:12], 3, v[15:16]
	v_ashrrev_i32_e32 v22, 31, v21
	v_add_nc_u32_e32 v25, s15, v23
	v_lshlrev_b64 v[17:18], 3, v[17:18]
	v_ashrrev_i32_e32 v24, 31, v23
	v_add_co_u32 v15, vcc_lo, s4, v13
	v_add_nc_u32_e32 v27, s15, v25
	v_lshlrev_b64 v[19:20], 3, v[19:20]
	v_add_co_ci_u32_e64 v16, null, s5, v14, vcc_lo
	v_add_co_u32 v13, vcc_lo, s4, v11
	v_add_nc_u32_e32 v29, s15, v27
	v_lshlrev_b64 v[21:22], 3, v[21:22]
	v_ashrrev_i32_e32 v26, 31, v25
	v_add_co_ci_u32_e64 v14, null, s5, v12, vcc_lo
	v_add_nc_u32_e32 v31, s15, v29
	v_add_co_u32 v11, vcc_lo, s4, v17
	v_lshlrev_b64 v[23:24], 3, v[23:24]
	v_ashrrev_i32_e32 v28, 31, v27
	v_add_nc_u32_e32 v33, s15, v31
	v_add_co_ci_u32_e64 v12, null, s5, v18, vcc_lo
	v_add_co_u32 v17, vcc_lo, s4, v19
	v_ashrrev_i32_e32 v30, 31, v29
	v_add_co_ci_u32_e64 v18, null, s5, v20, vcc_lo
	v_add_co_u32 v19, vcc_lo, s4, v21
	v_lshlrev_b64 v[25:26], 3, v[25:26]
	s_mov_b32 s12, s15
	s_ashr_i32 s13, s15, 31
	v_add_nc_u32_e32 v35, s15, v33
	v_add_co_ci_u32_e64 v80, null, s5, 0, s9
	v_ashrrev_i32_e32 v32, 31, v31
	v_add_co_ci_u32_e64 v20, null, s5, v22, vcc_lo
	v_add_co_u32 v21, vcc_lo, s4, v23
	s_lshl_b64 s[12:13], s[12:13], 3
	v_lshlrev_b64 v[27:28], 3, v[27:28]
	v_ashrrev_i32_e32 v34, 31, v33
	v_add_co_ci_u32_e64 v22, null, s5, v24, vcc_lo
	v_add_co_u32 v49, vcc_lo, v79, s12
	v_lshlrev_b64 v[29:30], 3, v[29:30]
	v_ashrrev_i32_e32 v36, 31, v35
	v_add_co_ci_u32_e64 v50, null, s13, v80, vcc_lo
	v_add_co_u32 v23, vcc_lo, s4, v25
	v_lshlrev_b64 v[31:32], 3, v[31:32]
	v_add_co_ci_u32_e64 v24, null, s5, v26, vcc_lo
	v_add_co_u32 v25, vcc_lo, s4, v27
	v_lshlrev_b64 v[33:34], 3, v[33:34]
	;; [unrolled: 3-line block ×3, first 2 shown]
	v_add_co_ci_u32_e64 v28, null, s5, v30, vcc_lo
	v_add_co_u32 v29, vcc_lo, s4, v31
	v_add_co_ci_u32_e64 v30, null, s5, v32, vcc_lo
	v_add_co_u32 v31, vcc_lo, s4, v33
	v_add_co_ci_u32_e64 v32, null, s5, v34, vcc_lo
	v_add_co_u32 v33, vcc_lo, s4, v36
	s_clause 0x6
	global_load_dwordx2 v[81:82], v83, s[4:5]
	global_load_dwordx2 v[84:85], v[49:50], off
	global_load_dwordx2 v[86:87], v[1:2], off
	;; [unrolled: 1-line block ×6, first 2 shown]
	v_add_co_ci_u32_e64 v34, null, s5, v37, vcc_lo
	s_clause 0xb
	global_load_dwordx2 v[96:97], v[15:16], off
	global_load_dwordx2 v[98:99], v[13:14], off
	global_load_dwordx2 v[100:101], v[11:12], off
	global_load_dwordx2 v[102:103], v[17:18], off
	global_load_dwordx2 v[104:105], v[19:20], off
	global_load_dwordx2 v[106:107], v[21:22], off
	global_load_dwordx2 v[108:109], v[23:24], off
	global_load_dwordx2 v[110:111], v[25:26], off
	global_load_dwordx2 v[112:113], v[27:28], off
	global_load_dwordx2 v[114:115], v[29:30], off
	global_load_dwordx2 v[116:117], v[31:32], off
	global_load_dwordx2 v[118:119], v[33:34], off
	v_add_nc_u32_e32 v35, s15, v35
	s_bitcmp0_b32 s8, 0
	v_add_nc_u32_e32 v37, s15, v35
	v_ashrrev_i32_e32 v36, 31, v35
	v_add_nc_u32_e32 v39, s15, v37
	v_ashrrev_i32_e32 v38, 31, v37
	v_lshlrev_b64 v[35:36], 3, v[35:36]
	v_add_nc_u32_e32 v41, s15, v39
	v_ashrrev_i32_e32 v40, 31, v39
	v_lshlrev_b64 v[37:38], 3, v[37:38]
	v_add_co_u32 v35, vcc_lo, s4, v35
	v_add_nc_u32_e32 v43, s15, v41
	v_ashrrev_i32_e32 v42, 31, v41
	v_lshlrev_b64 v[39:40], 3, v[39:40]
	v_add_co_ci_u32_e64 v36, null, s5, v36, vcc_lo
	v_add_nc_u32_e32 v45, s15, v43
	v_ashrrev_i32_e32 v44, 31, v43
	v_lshlrev_b64 v[41:42], 3, v[41:42]
	v_add_co_u32 v37, vcc_lo, s4, v37
	v_add_nc_u32_e32 v47, s15, v45
	v_ashrrev_i32_e32 v46, 31, v45
	v_lshlrev_b64 v[43:44], 3, v[43:44]
	v_add_co_ci_u32_e64 v38, null, s5, v38, vcc_lo
	v_add_nc_u32_e32 v51, s15, v47
	v_ashrrev_i32_e32 v48, 31, v47
	v_add_co_u32 v39, vcc_lo, s4, v39
	v_lshlrev_b64 v[45:46], 3, v[45:46]
	v_add_nc_u32_e32 v53, s15, v51
	v_ashrrev_i32_e32 v52, 31, v51
	v_add_co_ci_u32_e64 v40, null, s5, v40, vcc_lo
	v_add_co_u32 v41, vcc_lo, s4, v41
	v_add_nc_u32_e32 v55, s15, v53
	v_ashrrev_i32_e32 v54, 31, v53
	v_lshlrev_b64 v[47:48], 3, v[47:48]
	v_add_co_ci_u32_e64 v42, null, s5, v42, vcc_lo
	v_add_nc_u32_e32 v57, s15, v55
	v_ashrrev_i32_e32 v56, 31, v55
	v_add_co_u32 v43, vcc_lo, s4, v43
	v_lshlrev_b64 v[51:52], 3, v[51:52]
	v_add_nc_u32_e32 v59, s15, v57
	v_ashrrev_i32_e32 v58, 31, v57
	v_add_co_ci_u32_e64 v44, null, s5, v44, vcc_lo
	v_add_co_u32 v45, vcc_lo, s4, v45
	v_add_nc_u32_e32 v61, s15, v59
	v_lshlrev_b64 v[53:54], 3, v[53:54]
	v_ashrrev_i32_e32 v60, 31, v59
	v_add_co_ci_u32_e64 v46, null, s5, v46, vcc_lo
	v_add_nc_u32_e32 v63, s15, v61
	v_add_co_u32 v47, vcc_lo, s4, v47
	v_lshlrev_b64 v[55:56], 3, v[55:56]
	v_ashrrev_i32_e32 v62, 31, v61
	v_add_nc_u32_e32 v65, s15, v63
	v_add_co_ci_u32_e64 v48, null, s5, v48, vcc_lo
	v_add_co_u32 v51, vcc_lo, s4, v51
	v_add_nc_u32_e32 v67, s15, v65
	v_lshlrev_b64 v[57:58], 3, v[57:58]
	v_ashrrev_i32_e32 v64, 31, v63
	v_add_co_ci_u32_e64 v52, null, s5, v52, vcc_lo
	v_add_nc_u32_e32 v69, s15, v67
	v_add_co_u32 v53, vcc_lo, s4, v53
	v_lshlrev_b64 v[59:60], 3, v[59:60]
	v_ashrrev_i32_e32 v66, 31, v65
	v_add_nc_u32_e32 v71, s15, v69
	v_add_co_ci_u32_e64 v54, null, s5, v54, vcc_lo
	v_add_co_u32 v55, vcc_lo, s4, v55
	v_add_nc_u32_e32 v73, s15, v71
	v_lshlrev_b64 v[61:62], 3, v[61:62]
	v_ashrrev_i32_e32 v68, 31, v67
	v_add_co_ci_u32_e64 v56, null, s5, v56, vcc_lo
	v_add_nc_u32_e32 v75, s15, v73
	v_add_co_u32 v57, vcc_lo, s4, v57
	v_lshlrev_b64 v[63:64], 3, v[63:64]
	v_ashrrev_i32_e32 v70, 31, v69
	v_add_co_ci_u32_e64 v58, null, s5, v58, vcc_lo
	v_add_co_u32 v59, vcc_lo, s4, v59
	v_lshlrev_b64 v[65:66], 3, v[65:66]
	v_ashrrev_i32_e32 v72, 31, v71
	v_add_co_ci_u32_e64 v60, null, s5, v60, vcc_lo
	v_add_co_u32 v61, vcc_lo, s4, v61
	v_lshlrev_b64 v[67:68], 3, v[67:68]
	v_add_nc_u32_e32 v77, s15, v75
	v_ashrrev_i32_e32 v74, 31, v73
	v_add_co_ci_u32_e64 v62, null, s5, v62, vcc_lo
	v_add_co_u32 v63, vcc_lo, s4, v63
	v_lshlrev_b64 v[69:70], 3, v[69:70]
	v_ashrrev_i32_e32 v76, 31, v75
	v_add_co_ci_u32_e64 v64, null, s5, v64, vcc_lo
	v_add_co_u32 v65, vcc_lo, s4, v65
	v_lshlrev_b64 v[71:72], 3, v[71:72]
	;; [unrolled: 4-line block ×3, first 2 shown]
	v_add_co_ci_u32_e64 v68, null, s5, v68, vcc_lo
	v_add_co_u32 v69, vcc_lo, s4, v69
	v_lshlrev_b64 v[75:76], 3, v[75:76]
	v_add_co_ci_u32_e64 v70, null, s5, v70, vcc_lo
	v_add_co_u32 v71, vcc_lo, s4, v71
	v_lshlrev_b64 v[120:121], 3, v[77:78]
	v_add_co_ci_u32_e64 v72, null, s5, v72, vcc_lo
	v_add_co_u32 v73, vcc_lo, s4, v73
	v_add_co_ci_u32_e64 v74, null, s5, v74, vcc_lo
	v_add_co_u32 v77, vcc_lo, s4, v75
	;; [unrolled: 2-line block ×3, first 2 shown]
	v_add_co_ci_u32_e64 v76, null, s5, v121, vcc_lo
	s_clause 0x1
	global_load_dwordx2 v[120:121], v[35:36], off
	global_load_dwordx2 v[122:123], v[37:38], off
	s_mov_b32 s5, -1
	s_waitcnt vmcnt(20)
	buffer_store_dword v82, off, s[0:3], 0 offset:4
	buffer_store_dword v81, off, s[0:3], 0
	s_waitcnt vmcnt(19)
	buffer_store_dword v85, off, s[0:3], 0 offset:12
	buffer_store_dword v84, off, s[0:3], 0 offset:8
	s_waitcnt vmcnt(18)
	buffer_store_dword v87, off, s[0:3], 0 offset:20
	buffer_store_dword v86, off, s[0:3], 0 offset:16
	s_waitcnt vmcnt(17)
	buffer_store_dword v89, off, s[0:3], 0 offset:28
	buffer_store_dword v88, off, s[0:3], 0 offset:24
	s_clause 0x3
	global_load_dwordx2 v[81:82], v[39:40], off
	global_load_dwordx2 v[84:85], v[41:42], off
	global_load_dwordx2 v[86:87], v[43:44], off
	global_load_dwordx2 v[88:89], v[45:46], off
	s_waitcnt vmcnt(20)
	buffer_store_dword v91, off, s[0:3], 0 offset:36
	buffer_store_dword v90, off, s[0:3], 0 offset:32
	s_waitcnt vmcnt(19)
	buffer_store_dword v93, off, s[0:3], 0 offset:44
	buffer_store_dword v92, off, s[0:3], 0 offset:40
	s_waitcnt vmcnt(18)
	buffer_store_dword v95, off, s[0:3], 0 offset:52
	buffer_store_dword v94, off, s[0:3], 0 offset:48
	s_waitcnt vmcnt(17)
	buffer_store_dword v97, off, s[0:3], 0 offset:60
	buffer_store_dword v96, off, s[0:3], 0 offset:56
	s_clause 0x3
	global_load_dwordx2 v[90:91], v[47:48], off
	global_load_dwordx2 v[92:93], v[51:52], off
	global_load_dwordx2 v[94:95], v[53:54], off
	global_load_dwordx2 v[96:97], v[55:56], off
	s_waitcnt vmcnt(20)
	buffer_store_dword v99, off, s[0:3], 0 offset:68
	buffer_store_dword v98, off, s[0:3], 0 offset:64
	;; [unrolled: 17-line block ×4, first 2 shown]
	s_waitcnt vmcnt(19)
	buffer_store_dword v116, off, s[0:3], 0 offset:136
	buffer_store_dword v117, off, s[0:3], 0 offset:140
	s_clause 0x1
	global_load_dwordx2 v[114:115], v[73:74], off
	global_load_dwordx2 v[116:117], v[77:78], off
	s_waitcnt vmcnt(20)
	buffer_store_dword v118, off, s[0:3], 0 offset:144
	buffer_store_dword v119, off, s[0:3], 0 offset:148
	global_load_dwordx2 v[118:119], v[75:76], off
	s_waitcnt vmcnt(20)
	buffer_store_dword v121, off, s[0:3], 0 offset:156
	buffer_store_dword v120, off, s[0:3], 0 offset:152
	s_waitcnt vmcnt(19)
	buffer_store_dword v123, off, s[0:3], 0 offset:164
	buffer_store_dword v122, off, s[0:3], 0 offset:160
	;; [unrolled: 3-line block ×21, first 2 shown]
	s_cbranch_scc1 .LBB39_168
; %bb.4:
	v_cmp_eq_u32_e64 s4, 0, v0
	s_and_saveexec_b32 s5, s4
; %bb.5:
	v_mov_b32_e32 v81, 0
	ds_write_b32 v81, v81 offset:640
; %bb.6:
	s_or_b32 exec_lo, exec_lo, s5
	v_lshl_add_u32 v81, v0, 3, 0
	s_waitcnt lgkmcnt(0)
	s_waitcnt_vscnt null, 0x0
	s_barrier
	buffer_gl0_inv
	s_mov_b32 s8, exec_lo
	s_clause 0x1
	buffer_load_dword v84, v81, s[0:3], 0 offen
	buffer_load_dword v85, v81, s[0:3], 0 offen offset:4
	s_waitcnt vmcnt(0)
	v_cmpx_eq_f64_e32 0, v[84:85]
	s_cbranch_execz .LBB39_10
; %bb.7:
	v_mov_b32_e32 v82, 0
	s_mov_b32 s9, 0
	ds_read_b32 v84, v82 offset:640
	s_waitcnt lgkmcnt(0)
	v_readfirstlane_b32 s5, v84
	v_add_nc_u32_e32 v84, 1, v0
	s_cmp_eq_u32 s5, 0
	v_cmp_gt_i32_e32 vcc_lo, s5, v84
	s_cselect_b32 s12, -1, 0
	s_or_b32 s12, s12, vcc_lo
	s_and_b32 exec_lo, exec_lo, s12
	s_cbranch_execz .LBB39_10
; %bb.8:
	v_mov_b32_e32 v85, s5
.LBB39_9:                               ; =>This Inner Loop Header: Depth=1
	ds_cmpst_rtn_b32 v85, v82, v85, v84 offset:640
	s_waitcnt lgkmcnt(0)
	v_cmp_ne_u32_e32 vcc_lo, 0, v85
	v_cmp_le_i32_e64 s5, v85, v84
	s_and_b32 s5, vcc_lo, s5
	s_and_b32 s5, exec_lo, s5
	s_or_b32 s9, s5, s9
	s_andn2_b32 exec_lo, exec_lo, s9
	s_cbranch_execnz .LBB39_9
.LBB39_10:
	s_or_b32 exec_lo, exec_lo, s8
	v_mov_b32_e32 v82, 0
	s_barrier
	buffer_gl0_inv
	ds_read_b32 v84, v82 offset:640
	s_and_saveexec_b32 s5, s4
	s_cbranch_execz .LBB39_12
; %bb.11:
	s_lshl_b64 s[8:9], s[6:7], 2
	s_add_u32 s8, s10, s8
	s_addc_u32 s9, s11, s9
	s_waitcnt lgkmcnt(0)
	global_store_dword v82, v84, s[8:9]
.LBB39_12:
	s_or_b32 exec_lo, exec_lo, s5
	s_waitcnt lgkmcnt(0)
	v_cmp_ne_u32_e32 vcc_lo, 0, v84
	s_mov_b32 s5, 0
	s_cbranch_vccnz .LBB39_168
; %bb.13:
	s_clause 0x1
	buffer_load_dword v84, v81, s[0:3], 0 offen
	buffer_load_dword v85, v81, s[0:3], 0 offen offset:4
	s_waitcnt vmcnt(0)
	v_div_scale_f64 v[86:87], null, v[84:85], v[84:85], 1.0
	v_div_scale_f64 v[92:93], vcc_lo, 1.0, v[84:85], 1.0
	v_rcp_f64_e32 v[88:89], v[86:87]
	v_fma_f64 v[90:91], -v[86:87], v[88:89], 1.0
	v_fma_f64 v[88:89], v[88:89], v[90:91], v[88:89]
	v_fma_f64 v[90:91], -v[86:87], v[88:89], 1.0
	v_fma_f64 v[88:89], v[88:89], v[90:91], v[88:89]
	v_mul_f64 v[90:91], v[92:93], v[88:89]
	v_fma_f64 v[86:87], -v[86:87], v[90:91], v[92:93]
	v_div_fmas_f64 v[86:87], v[86:87], v[88:89], v[90:91]
	v_div_fixup_f64 v[85:86], v[86:87], v[84:85], 1.0
	v_add_nc_u32_e32 v84, 0x140, v83
	buffer_store_dword v86, v81, s[0:3], 0 offen offset:4
	buffer_store_dword v85, v81, s[0:3], 0 offen
	s_clause 0x1
	buffer_load_dword v88, off, s[0:3], 0 offset:12
	buffer_load_dword v87, off, s[0:3], 0 offset:8
	v_xor_b32_e32 v86, 0x80000000, v86
	s_waitcnt vmcnt(0)
	ds_write2_b64 v83, v[85:86], v[87:88] offset1:40
	s_waitcnt lgkmcnt(0)
	s_waitcnt_vscnt null, 0x0
	s_barrier
	buffer_gl0_inv
	s_and_saveexec_b32 s5, s4
	s_cbranch_execz .LBB39_15
; %bb.14:
	s_clause 0x1
	buffer_load_dword v85, v81, s[0:3], 0 offen
	buffer_load_dword v86, v81, s[0:3], 0 offen offset:4
	ds_read_b64 v[87:88], v84
	v_mov_b32_e32 v82, 0
	ds_read_b64 v[89:90], v82 offset:8
	s_waitcnt vmcnt(0) lgkmcnt(1)
	v_fma_f64 v[85:86], v[85:86], v[87:88], 0
	s_waitcnt lgkmcnt(0)
	v_mul_f64 v[85:86], v[85:86], v[89:90]
	buffer_store_dword v85, off, s[0:3], 0 offset:8
	buffer_store_dword v86, off, s[0:3], 0 offset:12
.LBB39_15:
	s_or_b32 exec_lo, exec_lo, s5
	s_waitcnt_vscnt null, 0x0
	s_barrier
	buffer_gl0_inv
	s_clause 0x1
	buffer_load_dword v85, off, s[0:3], 0 offset:16
	buffer_load_dword v86, off, s[0:3], 0 offset:20
	s_mov_b32 s5, exec_lo
	s_waitcnt vmcnt(0)
	ds_write_b64 v84, v[85:86]
	s_waitcnt lgkmcnt(0)
	s_barrier
	buffer_gl0_inv
	v_cmpx_gt_u32_e32 2, v0
	s_cbranch_execz .LBB39_19
; %bb.16:
	s_clause 0x1
	buffer_load_dword v85, v81, s[0:3], 0 offen
	buffer_load_dword v86, v81, s[0:3], 0 offen offset:4
	ds_read_b64 v[81:82], v84
	s_waitcnt vmcnt(0) lgkmcnt(0)
	v_fma_f64 v[81:82], v[85:86], v[81:82], 0
	s_and_saveexec_b32 s8, s4
	s_cbranch_execz .LBB39_18
; %bb.17:
	s_clause 0x1
	buffer_load_dword v85, off, s[0:3], 0 offset:8
	buffer_load_dword v86, off, s[0:3], 0 offset:12
	v_mov_b32_e32 v87, 0
	ds_read_b64 v[87:88], v87 offset:328
	s_waitcnt vmcnt(0) lgkmcnt(0)
	v_fma_f64 v[81:82], v[85:86], v[87:88], v[81:82]
.LBB39_18:
	s_or_b32 exec_lo, exec_lo, s8
	v_mov_b32_e32 v85, 0
	ds_read_b64 v[85:86], v85 offset:16
	s_waitcnt lgkmcnt(0)
	v_mul_f64 v[81:82], v[81:82], v[85:86]
	buffer_store_dword v82, off, s[0:3], 0 offset:20
	buffer_store_dword v81, off, s[0:3], 0 offset:16
.LBB39_19:
	s_or_b32 exec_lo, exec_lo, s5
	s_waitcnt_vscnt null, 0x0
	s_barrier
	buffer_gl0_inv
	s_clause 0x1
	buffer_load_dword v81, off, s[0:3], 0 offset:24
	buffer_load_dword v82, off, s[0:3], 0 offset:28
	v_add_nc_u32_e32 v85, -1, v0
	s_mov_b32 s4, exec_lo
	s_waitcnt vmcnt(0)
	ds_write_b64 v84, v[81:82]
	s_waitcnt lgkmcnt(0)
	s_barrier
	buffer_gl0_inv
	v_cmpx_gt_u32_e32 3, v0
	s_cbranch_execz .LBB39_23
; %bb.20:
	v_mov_b32_e32 v81, 0
	v_add_nc_u32_e32 v86, -1, v0
	v_add_nc_u32_e32 v87, 0x140, v83
	v_mov_b32_e32 v82, 0
	v_mov_b32_e32 v88, v83
	s_mov_b32 s5, 0
.LBB39_21:                              ; =>This Inner Loop Header: Depth=1
	s_clause 0x1
	buffer_load_dword v89, v88, s[0:3], 0 offen
	buffer_load_dword v90, v88, s[0:3], 0 offen offset:4
	ds_read_b64 v[91:92], v87
	v_add_nc_u32_e32 v86, 1, v86
	v_add_nc_u32_e32 v87, 8, v87
	v_add_nc_u32_e32 v88, 8, v88
	v_cmp_lt_u32_e32 vcc_lo, 1, v86
	s_or_b32 s5, vcc_lo, s5
	s_waitcnt vmcnt(0) lgkmcnt(0)
	v_fma_f64 v[81:82], v[89:90], v[91:92], v[81:82]
	s_andn2_b32 exec_lo, exec_lo, s5
	s_cbranch_execnz .LBB39_21
; %bb.22:
	s_or_b32 exec_lo, exec_lo, s5
	v_mov_b32_e32 v86, 0
	ds_read_b64 v[86:87], v86 offset:24
	s_waitcnt lgkmcnt(0)
	v_mul_f64 v[81:82], v[81:82], v[86:87]
	buffer_store_dword v82, off, s[0:3], 0 offset:28
	buffer_store_dword v81, off, s[0:3], 0 offset:24
.LBB39_23:
	s_or_b32 exec_lo, exec_lo, s4
	s_waitcnt_vscnt null, 0x0
	s_barrier
	buffer_gl0_inv
	s_clause 0x1
	buffer_load_dword v81, off, s[0:3], 0 offset:32
	buffer_load_dword v82, off, s[0:3], 0 offset:36
	s_mov_b32 s4, exec_lo
	s_waitcnt vmcnt(0)
	ds_write_b64 v84, v[81:82]
	s_waitcnt lgkmcnt(0)
	s_barrier
	buffer_gl0_inv
	v_cmpx_gt_u32_e32 4, v0
	s_cbranch_execz .LBB39_27
; %bb.24:
	v_mov_b32_e32 v81, 0
	v_add_nc_u32_e32 v86, -1, v0
	v_add_nc_u32_e32 v87, 0x140, v83
	v_mov_b32_e32 v82, 0
	v_mov_b32_e32 v88, v83
	s_mov_b32 s5, 0
.LBB39_25:                              ; =>This Inner Loop Header: Depth=1
	s_clause 0x1
	buffer_load_dword v89, v88, s[0:3], 0 offen
	buffer_load_dword v90, v88, s[0:3], 0 offen offset:4
	ds_read_b64 v[91:92], v87
	v_add_nc_u32_e32 v86, 1, v86
	v_add_nc_u32_e32 v87, 8, v87
	v_add_nc_u32_e32 v88, 8, v88
	v_cmp_lt_u32_e32 vcc_lo, 2, v86
	s_or_b32 s5, vcc_lo, s5
	s_waitcnt vmcnt(0) lgkmcnt(0)
	v_fma_f64 v[81:82], v[89:90], v[91:92], v[81:82]
	s_andn2_b32 exec_lo, exec_lo, s5
	s_cbranch_execnz .LBB39_25
; %bb.26:
	s_or_b32 exec_lo, exec_lo, s5
	v_mov_b32_e32 v86, 0
	ds_read_b64 v[86:87], v86 offset:32
	s_waitcnt lgkmcnt(0)
	v_mul_f64 v[81:82], v[81:82], v[86:87]
	buffer_store_dword v82, off, s[0:3], 0 offset:36
	buffer_store_dword v81, off, s[0:3], 0 offset:32
.LBB39_27:
	s_or_b32 exec_lo, exec_lo, s4
	s_waitcnt_vscnt null, 0x0
	s_barrier
	buffer_gl0_inv
	s_clause 0x1
	buffer_load_dword v81, off, s[0:3], 0 offset:40
	buffer_load_dword v82, off, s[0:3], 0 offset:44
	;; [unrolled: 45-line block ×20, first 2 shown]
	s_mov_b32 s4, exec_lo
	s_waitcnt vmcnt(0)
	ds_write_b64 v84, v[81:82]
	s_waitcnt lgkmcnt(0)
	s_barrier
	buffer_gl0_inv
	v_cmpx_gt_u32_e32 23, v0
	s_cbranch_execz .LBB39_103
; %bb.100:
	v_mov_b32_e32 v81, 0
	v_add_nc_u32_e32 v86, -1, v0
	v_add_nc_u32_e32 v87, 0x140, v83
	v_mov_b32_e32 v82, 0
	v_mov_b32_e32 v88, v83
	s_mov_b32 s5, 0
.LBB39_101:                             ; =>This Inner Loop Header: Depth=1
	s_clause 0x1
	buffer_load_dword v89, v88, s[0:3], 0 offen
	buffer_load_dword v90, v88, s[0:3], 0 offen offset:4
	ds_read_b64 v[91:92], v87
	v_add_nc_u32_e32 v86, 1, v86
	v_add_nc_u32_e32 v87, 8, v87
	v_add_nc_u32_e32 v88, 8, v88
	v_cmp_lt_u32_e32 vcc_lo, 21, v86
	s_or_b32 s5, vcc_lo, s5
	s_waitcnt vmcnt(0) lgkmcnt(0)
	v_fma_f64 v[81:82], v[89:90], v[91:92], v[81:82]
	s_andn2_b32 exec_lo, exec_lo, s5
	s_cbranch_execnz .LBB39_101
; %bb.102:
	s_or_b32 exec_lo, exec_lo, s5
	v_mov_b32_e32 v86, 0
	ds_read_b64 v[86:87], v86 offset:184
	s_waitcnt lgkmcnt(0)
	v_mul_f64 v[81:82], v[81:82], v[86:87]
	buffer_store_dword v82, off, s[0:3], 0 offset:188
	buffer_store_dword v81, off, s[0:3], 0 offset:184
.LBB39_103:
	s_or_b32 exec_lo, exec_lo, s4
	s_waitcnt_vscnt null, 0x0
	s_barrier
	buffer_gl0_inv
	s_clause 0x1
	buffer_load_dword v81, off, s[0:3], 0 offset:192
	buffer_load_dword v82, off, s[0:3], 0 offset:196
	s_mov_b32 s4, exec_lo
	s_waitcnt vmcnt(0)
	ds_write_b64 v84, v[81:82]
	s_waitcnt lgkmcnt(0)
	s_barrier
	buffer_gl0_inv
	v_cmpx_gt_u32_e32 24, v0
	s_cbranch_execz .LBB39_107
; %bb.104:
	v_mov_b32_e32 v81, 0
	v_add_nc_u32_e32 v86, -1, v0
	v_add_nc_u32_e32 v87, 0x140, v83
	v_mov_b32_e32 v82, 0
	v_mov_b32_e32 v88, v83
	s_mov_b32 s5, 0
.LBB39_105:                             ; =>This Inner Loop Header: Depth=1
	s_clause 0x1
	buffer_load_dword v89, v88, s[0:3], 0 offen
	buffer_load_dword v90, v88, s[0:3], 0 offen offset:4
	ds_read_b64 v[91:92], v87
	v_add_nc_u32_e32 v86, 1, v86
	v_add_nc_u32_e32 v87, 8, v87
	v_add_nc_u32_e32 v88, 8, v88
	v_cmp_lt_u32_e32 vcc_lo, 22, v86
	s_or_b32 s5, vcc_lo, s5
	s_waitcnt vmcnt(0) lgkmcnt(0)
	v_fma_f64 v[81:82], v[89:90], v[91:92], v[81:82]
	s_andn2_b32 exec_lo, exec_lo, s5
	s_cbranch_execnz .LBB39_105
; %bb.106:
	s_or_b32 exec_lo, exec_lo, s5
	v_mov_b32_e32 v86, 0
	ds_read_b64 v[86:87], v86 offset:192
	s_waitcnt lgkmcnt(0)
	v_mul_f64 v[81:82], v[81:82], v[86:87]
	buffer_store_dword v82, off, s[0:3], 0 offset:196
	buffer_store_dword v81, off, s[0:3], 0 offset:192
.LBB39_107:
	s_or_b32 exec_lo, exec_lo, s4
	s_waitcnt_vscnt null, 0x0
	s_barrier
	buffer_gl0_inv
	s_clause 0x1
	buffer_load_dword v81, off, s[0:3], 0 offset:200
	buffer_load_dword v82, off, s[0:3], 0 offset:204
	;; [unrolled: 45-line block ×16, first 2 shown]
	s_mov_b32 s4, exec_lo
	s_waitcnt vmcnt(0)
	ds_write_b64 v84, v[81:82]
	s_waitcnt lgkmcnt(0)
	s_barrier
	buffer_gl0_inv
	v_cmpx_ne_u32_e32 39, v0
	s_cbranch_execz .LBB39_167
; %bb.164:
	v_mov_b32_e32 v81, 0
	v_mov_b32_e32 v82, 0
	s_mov_b32 s5, 0
.LBB39_165:                             ; =>This Inner Loop Header: Depth=1
	s_clause 0x1
	buffer_load_dword v86, v83, s[0:3], 0 offen
	buffer_load_dword v87, v83, s[0:3], 0 offen offset:4
	ds_read_b64 v[88:89], v84
	v_add_nc_u32_e32 v85, 1, v85
	v_add_nc_u32_e32 v84, 8, v84
	;; [unrolled: 1-line block ×3, first 2 shown]
	v_cmp_lt_u32_e32 vcc_lo, 37, v85
	s_or_b32 s5, vcc_lo, s5
	s_waitcnt vmcnt(0) lgkmcnt(0)
	v_fma_f64 v[81:82], v[86:87], v[88:89], v[81:82]
	s_andn2_b32 exec_lo, exec_lo, s5
	s_cbranch_execnz .LBB39_165
; %bb.166:
	s_or_b32 exec_lo, exec_lo, s5
	v_mov_b32_e32 v83, 0
	ds_read_b64 v[83:84], v83 offset:312
	s_waitcnt lgkmcnt(0)
	v_mul_f64 v[81:82], v[81:82], v[83:84]
	buffer_store_dword v82, off, s[0:3], 0 offset:316
	buffer_store_dword v81, off, s[0:3], 0 offset:312
.LBB39_167:
	s_or_b32 exec_lo, exec_lo, s4
	s_mov_b32 s5, -1
	s_waitcnt_vscnt null, 0x0
	s_barrier
	buffer_gl0_inv
.LBB39_168:
	s_and_b32 vcc_lo, exec_lo, s5
	s_cbranch_vccz .LBB39_170
; %bb.169:
	s_lshl_b64 s[4:5], s[6:7], 2
	v_mov_b32_e32 v81, 0
	s_add_u32 s4, s10, s4
	s_addc_u32 s5, s11, s5
	global_load_dword v81, v81, s[4:5]
	s_waitcnt vmcnt(0)
	v_cmp_ne_u32_e32 vcc_lo, 0, v81
	s_cbranch_vccz .LBB39_171
.LBB39_170:
	s_endpgm
.LBB39_171:
	v_lshl_add_u32 v81, v0, 3, 0x140
	s_mov_b32 s4, exec_lo
	v_cmpx_eq_u32_e32 39, v0
	s_cbranch_execz .LBB39_173
; %bb.172:
	s_clause 0x1
	buffer_load_dword v82, off, s[0:3], 0 offset:304
	buffer_load_dword v83, off, s[0:3], 0 offset:308
	v_mov_b32_e32 v84, 0
	buffer_store_dword v84, off, s[0:3], 0 offset:304
	buffer_store_dword v84, off, s[0:3], 0 offset:308
	s_waitcnt vmcnt(0)
	ds_write_b64 v81, v[82:83]
.LBB39_173:
	s_or_b32 exec_lo, exec_lo, s4
	s_waitcnt lgkmcnt(0)
	s_waitcnt_vscnt null, 0x0
	s_barrier
	buffer_gl0_inv
	s_clause 0x3
	buffer_load_dword v83, off, s[0:3], 0 offset:312
	buffer_load_dword v84, off, s[0:3], 0 offset:316
	;; [unrolled: 1-line block ×4, first 2 shown]
	v_mov_b32_e32 v82, 0
	s_mov_b32 s4, exec_lo
	ds_read_b64 v[87:88], v82 offset:632
	s_waitcnt vmcnt(2) lgkmcnt(0)
	v_fma_f64 v[83:84], v[83:84], v[87:88], 0
	s_waitcnt vmcnt(0)
	v_add_f64 v[83:84], v[85:86], -v[83:84]
	buffer_store_dword v83, off, s[0:3], 0 offset:304
	buffer_store_dword v84, off, s[0:3], 0 offset:308
	v_cmpx_lt_u32_e32 37, v0
	s_cbranch_execz .LBB39_175
; %bb.174:
	s_clause 0x1
	buffer_load_dword v83, off, s[0:3], 0 offset:296
	buffer_load_dword v84, off, s[0:3], 0 offset:300
	buffer_store_dword v82, off, s[0:3], 0 offset:296
	buffer_store_dword v82, off, s[0:3], 0 offset:300
	s_waitcnt vmcnt(0)
	ds_write_b64 v81, v[83:84]
.LBB39_175:
	s_or_b32 exec_lo, exec_lo, s4
	s_waitcnt lgkmcnt(0)
	s_waitcnt_vscnt null, 0x0
	s_barrier
	buffer_gl0_inv
	s_clause 0x5
	buffer_load_dword v86, off, s[0:3], 0 offset:304
	buffer_load_dword v87, off, s[0:3], 0 offset:308
	;; [unrolled: 1-line block ×6, first 2 shown]
	ds_read_b128 v[82:85], v82 offset:624
	s_mov_b32 s4, exec_lo
	s_waitcnt vmcnt(4) lgkmcnt(0)
	v_fma_f64 v[82:83], v[86:87], v[82:83], 0
	s_waitcnt vmcnt(2)
	v_fma_f64 v[82:83], v[88:89], v[84:85], v[82:83]
	s_waitcnt vmcnt(0)
	v_add_f64 v[82:83], v[90:91], -v[82:83]
	buffer_store_dword v82, off, s[0:3], 0 offset:296
	buffer_store_dword v83, off, s[0:3], 0 offset:300
	v_cmpx_lt_u32_e32 36, v0
	s_cbranch_execz .LBB39_177
; %bb.176:
	s_clause 0x1
	buffer_load_dword v82, off, s[0:3], 0 offset:288
	buffer_load_dword v83, off, s[0:3], 0 offset:292
	v_mov_b32_e32 v84, 0
	buffer_store_dword v84, off, s[0:3], 0 offset:288
	buffer_store_dword v84, off, s[0:3], 0 offset:292
	s_waitcnt vmcnt(0)
	ds_write_b64 v81, v[82:83]
.LBB39_177:
	s_or_b32 exec_lo, exec_lo, s4
	s_waitcnt lgkmcnt(0)
	s_waitcnt_vscnt null, 0x0
	s_barrier
	buffer_gl0_inv
	s_clause 0x7
	buffer_load_dword v87, off, s[0:3], 0 offset:296
	buffer_load_dword v88, off, s[0:3], 0 offset:300
	;; [unrolled: 1-line block ×8, first 2 shown]
	v_mov_b32_e32 v82, 0
	ds_read2_b64 v[83:86], v82 offset0:77 offset1:78
	ds_read_b64 v[95:96], v82 offset:632
	s_mov_b32 s4, exec_lo
	s_waitcnt vmcnt(6) lgkmcnt(1)
	v_fma_f64 v[83:84], v[87:88], v[83:84], 0
	s_waitcnt vmcnt(4)
	v_fma_f64 v[83:84], v[89:90], v[85:86], v[83:84]
	s_waitcnt vmcnt(2) lgkmcnt(0)
	v_fma_f64 v[83:84], v[91:92], v[95:96], v[83:84]
	s_waitcnt vmcnt(0)
	v_add_f64 v[83:84], v[93:94], -v[83:84]
	buffer_store_dword v83, off, s[0:3], 0 offset:288
	buffer_store_dword v84, off, s[0:3], 0 offset:292
	v_cmpx_lt_u32_e32 35, v0
	s_cbranch_execz .LBB39_179
; %bb.178:
	s_clause 0x1
	buffer_load_dword v83, off, s[0:3], 0 offset:280
	buffer_load_dword v84, off, s[0:3], 0 offset:284
	buffer_store_dword v82, off, s[0:3], 0 offset:280
	buffer_store_dword v82, off, s[0:3], 0 offset:284
	s_waitcnt vmcnt(0)
	ds_write_b64 v81, v[83:84]
.LBB39_179:
	s_or_b32 exec_lo, exec_lo, s4
	s_waitcnt lgkmcnt(0)
	s_waitcnt_vscnt null, 0x0
	s_barrier
	buffer_gl0_inv
	s_clause 0x9
	buffer_load_dword v91, off, s[0:3], 0 offset:288
	buffer_load_dword v92, off, s[0:3], 0 offset:292
	;; [unrolled: 1-line block ×10, first 2 shown]
	ds_read_b128 v[83:86], v82 offset:608
	ds_read_b128 v[87:90], v82 offset:624
	s_mov_b32 s4, exec_lo
	s_waitcnt vmcnt(8) lgkmcnt(1)
	v_fma_f64 v[82:83], v[91:92], v[83:84], 0
	s_waitcnt vmcnt(6)
	v_fma_f64 v[82:83], v[93:94], v[85:86], v[82:83]
	s_waitcnt vmcnt(4) lgkmcnt(0)
	v_fma_f64 v[82:83], v[95:96], v[87:88], v[82:83]
	s_waitcnt vmcnt(2)
	v_fma_f64 v[82:83], v[97:98], v[89:90], v[82:83]
	s_waitcnt vmcnt(0)
	v_add_f64 v[82:83], v[99:100], -v[82:83]
	buffer_store_dword v82, off, s[0:3], 0 offset:280
	buffer_store_dword v83, off, s[0:3], 0 offset:284
	v_cmpx_lt_u32_e32 34, v0
	s_cbranch_execz .LBB39_181
; %bb.180:
	s_clause 0x1
	buffer_load_dword v82, off, s[0:3], 0 offset:272
	buffer_load_dword v83, off, s[0:3], 0 offset:276
	v_mov_b32_e32 v84, 0
	buffer_store_dword v84, off, s[0:3], 0 offset:272
	buffer_store_dword v84, off, s[0:3], 0 offset:276
	s_waitcnt vmcnt(0)
	ds_write_b64 v81, v[82:83]
.LBB39_181:
	s_or_b32 exec_lo, exec_lo, s4
	s_waitcnt lgkmcnt(0)
	s_waitcnt_vscnt null, 0x0
	s_barrier
	buffer_gl0_inv
	s_clause 0xb
	buffer_load_dword v91, off, s[0:3], 0 offset:280
	buffer_load_dword v92, off, s[0:3], 0 offset:284
	;; [unrolled: 1-line block ×12, first 2 shown]
	v_mov_b32_e32 v82, 0
	ds_read2_b64 v[83:86], v82 offset0:75 offset1:76
	ds_read2_b64 v[87:90], v82 offset0:77 offset1:78
	s_mov_b32 s4, exec_lo
	s_waitcnt vmcnt(10) lgkmcnt(1)
	v_fma_f64 v[83:84], v[91:92], v[83:84], 0
	s_waitcnt vmcnt(8)
	v_fma_f64 v[83:84], v[93:94], v[85:86], v[83:84]
	ds_read_b64 v[85:86], v82 offset:632
	s_waitcnt vmcnt(6) lgkmcnt(1)
	v_fma_f64 v[83:84], v[95:96], v[87:88], v[83:84]
	s_waitcnt vmcnt(4)
	v_fma_f64 v[83:84], v[97:98], v[89:90], v[83:84]
	s_waitcnt vmcnt(2) lgkmcnt(0)
	v_fma_f64 v[83:84], v[99:100], v[85:86], v[83:84]
	s_waitcnt vmcnt(0)
	v_add_f64 v[83:84], v[101:102], -v[83:84]
	buffer_store_dword v83, off, s[0:3], 0 offset:272
	buffer_store_dword v84, off, s[0:3], 0 offset:276
	v_cmpx_lt_u32_e32 33, v0
	s_cbranch_execz .LBB39_183
; %bb.182:
	s_clause 0x1
	buffer_load_dword v83, off, s[0:3], 0 offset:264
	buffer_load_dword v84, off, s[0:3], 0 offset:268
	buffer_store_dword v82, off, s[0:3], 0 offset:264
	buffer_store_dword v82, off, s[0:3], 0 offset:268
	s_waitcnt vmcnt(0)
	ds_write_b64 v81, v[83:84]
.LBB39_183:
	s_or_b32 exec_lo, exec_lo, s4
	s_waitcnt lgkmcnt(0)
	s_waitcnt_vscnt null, 0x0
	s_barrier
	buffer_gl0_inv
	s_clause 0xd
	buffer_load_dword v91, off, s[0:3], 0 offset:272
	buffer_load_dword v92, off, s[0:3], 0 offset:276
	;; [unrolled: 1-line block ×14, first 2 shown]
	ds_read_b128 v[83:86], v82 offset:592
	ds_read_b128 v[87:90], v82 offset:608
	s_mov_b32 s4, exec_lo
	s_waitcnt vmcnt(12) lgkmcnt(1)
	v_fma_f64 v[83:84], v[91:92], v[83:84], 0
	s_waitcnt vmcnt(10)
	v_fma_f64 v[83:84], v[93:94], v[85:86], v[83:84]
	s_waitcnt vmcnt(8) lgkmcnt(0)
	v_fma_f64 v[83:84], v[95:96], v[87:88], v[83:84]
	s_waitcnt vmcnt(6)
	v_fma_f64 v[86:87], v[97:98], v[89:90], v[83:84]
	ds_read_b128 v[82:85], v82 offset:624
	s_waitcnt vmcnt(4) lgkmcnt(0)
	v_fma_f64 v[82:83], v[99:100], v[82:83], v[86:87]
	s_waitcnt vmcnt(2)
	v_fma_f64 v[82:83], v[101:102], v[84:85], v[82:83]
	s_waitcnt vmcnt(0)
	v_add_f64 v[82:83], v[103:104], -v[82:83]
	buffer_store_dword v82, off, s[0:3], 0 offset:264
	buffer_store_dword v83, off, s[0:3], 0 offset:268
	v_cmpx_lt_u32_e32 32, v0
	s_cbranch_execz .LBB39_185
; %bb.184:
	s_clause 0x1
	buffer_load_dword v82, off, s[0:3], 0 offset:256
	buffer_load_dword v83, off, s[0:3], 0 offset:260
	v_mov_b32_e32 v84, 0
	buffer_store_dword v84, off, s[0:3], 0 offset:256
	buffer_store_dword v84, off, s[0:3], 0 offset:260
	s_waitcnt vmcnt(0)
	ds_write_b64 v81, v[82:83]
.LBB39_185:
	s_or_b32 exec_lo, exec_lo, s4
	s_waitcnt lgkmcnt(0)
	s_waitcnt_vscnt null, 0x0
	s_barrier
	buffer_gl0_inv
	s_clause 0xf
	buffer_load_dword v91, off, s[0:3], 0 offset:264
	buffer_load_dword v92, off, s[0:3], 0 offset:268
	;; [unrolled: 1-line block ×16, first 2 shown]
	v_mov_b32_e32 v82, 0
	ds_read2_b64 v[83:86], v82 offset0:73 offset1:74
	ds_read2_b64 v[87:90], v82 offset0:75 offset1:76
	s_mov_b32 s4, exec_lo
	s_waitcnt vmcnt(14) lgkmcnt(1)
	v_fma_f64 v[83:84], v[91:92], v[83:84], 0
	s_waitcnt vmcnt(12)
	v_fma_f64 v[83:84], v[93:94], v[85:86], v[83:84]
	s_waitcnt vmcnt(10) lgkmcnt(0)
	v_fma_f64 v[83:84], v[95:96], v[87:88], v[83:84]
	s_waitcnt vmcnt(8)
	v_fma_f64 v[87:88], v[97:98], v[89:90], v[83:84]
	ds_read2_b64 v[83:86], v82 offset0:77 offset1:78
	ds_read_b64 v[89:90], v82 offset:632
	s_waitcnt vmcnt(6) lgkmcnt(1)
	v_fma_f64 v[83:84], v[99:100], v[83:84], v[87:88]
	s_waitcnt vmcnt(4)
	v_fma_f64 v[83:84], v[101:102], v[85:86], v[83:84]
	s_waitcnt vmcnt(2) lgkmcnt(0)
	v_fma_f64 v[83:84], v[103:104], v[89:90], v[83:84]
	s_waitcnt vmcnt(0)
	v_add_f64 v[83:84], v[105:106], -v[83:84]
	buffer_store_dword v83, off, s[0:3], 0 offset:256
	buffer_store_dword v84, off, s[0:3], 0 offset:260
	v_cmpx_lt_u32_e32 31, v0
	s_cbranch_execz .LBB39_187
; %bb.186:
	s_clause 0x1
	buffer_load_dword v83, off, s[0:3], 0 offset:248
	buffer_load_dword v84, off, s[0:3], 0 offset:252
	buffer_store_dword v82, off, s[0:3], 0 offset:248
	buffer_store_dword v82, off, s[0:3], 0 offset:252
	s_waitcnt vmcnt(0)
	ds_write_b64 v81, v[83:84]
.LBB39_187:
	s_or_b32 exec_lo, exec_lo, s4
	s_waitcnt lgkmcnt(0)
	s_waitcnt_vscnt null, 0x0
	s_barrier
	buffer_gl0_inv
	s_clause 0x11
	buffer_load_dword v91, off, s[0:3], 0 offset:256
	buffer_load_dword v92, off, s[0:3], 0 offset:260
	;; [unrolled: 1-line block ×18, first 2 shown]
	ds_read_b128 v[83:86], v82 offset:576
	ds_read_b128 v[87:90], v82 offset:592
	s_mov_b32 s4, exec_lo
	s_waitcnt vmcnt(16) lgkmcnt(1)
	v_fma_f64 v[83:84], v[91:92], v[83:84], 0
	s_waitcnt vmcnt(14)
	v_fma_f64 v[83:84], v[93:94], v[85:86], v[83:84]
	s_waitcnt vmcnt(12) lgkmcnt(0)
	v_fma_f64 v[83:84], v[95:96], v[87:88], v[83:84]
	s_waitcnt vmcnt(10)
	v_fma_f64 v[91:92], v[97:98], v[89:90], v[83:84]
	ds_read_b128 v[83:86], v82 offset:608
	ds_read_b128 v[87:90], v82 offset:624
	s_waitcnt vmcnt(8) lgkmcnt(1)
	v_fma_f64 v[82:83], v[99:100], v[83:84], v[91:92]
	s_waitcnt vmcnt(6)
	v_fma_f64 v[82:83], v[101:102], v[85:86], v[82:83]
	s_waitcnt vmcnt(4) lgkmcnt(0)
	v_fma_f64 v[82:83], v[103:104], v[87:88], v[82:83]
	s_waitcnt vmcnt(2)
	v_fma_f64 v[82:83], v[105:106], v[89:90], v[82:83]
	s_waitcnt vmcnt(0)
	v_add_f64 v[82:83], v[107:108], -v[82:83]
	buffer_store_dword v82, off, s[0:3], 0 offset:248
	buffer_store_dword v83, off, s[0:3], 0 offset:252
	v_cmpx_lt_u32_e32 30, v0
	s_cbranch_execz .LBB39_189
; %bb.188:
	s_clause 0x1
	buffer_load_dword v82, off, s[0:3], 0 offset:240
	buffer_load_dword v83, off, s[0:3], 0 offset:244
	v_mov_b32_e32 v84, 0
	buffer_store_dword v84, off, s[0:3], 0 offset:240
	buffer_store_dword v84, off, s[0:3], 0 offset:244
	s_waitcnt vmcnt(0)
	ds_write_b64 v81, v[82:83]
.LBB39_189:
	s_or_b32 exec_lo, exec_lo, s4
	s_waitcnt lgkmcnt(0)
	s_waitcnt_vscnt null, 0x0
	s_barrier
	buffer_gl0_inv
	s_clause 0x13
	buffer_load_dword v87, off, s[0:3], 0 offset:248
	buffer_load_dword v88, off, s[0:3], 0 offset:252
	;; [unrolled: 1-line block ×20, first 2 shown]
	v_mov_b32_e32 v82, 0
	s_mov_b32 s4, exec_lo
	ds_read2_b64 v[83:86], v82 offset0:71 offset1:72
	s_waitcnt vmcnt(18) lgkmcnt(0)
	v_fma_f64 v[83:84], v[87:88], v[83:84], 0
	s_waitcnt vmcnt(16)
	v_fma_f64 v[87:88], v[89:90], v[85:86], v[83:84]
	ds_read2_b64 v[83:86], v82 offset0:73 offset1:74
	s_waitcnt vmcnt(14) lgkmcnt(0)
	v_fma_f64 v[83:84], v[91:92], v[83:84], v[87:88]
	s_waitcnt vmcnt(12)
	v_fma_f64 v[87:88], v[93:94], v[85:86], v[83:84]
	;; [unrolled: 5-line block ×4, first 2 shown]
	ds_read_b64 v[85:86], v82 offset:632
	s_waitcnt vmcnt(2) lgkmcnt(0)
	v_fma_f64 v[83:84], v[103:104], v[85:86], v[83:84]
	s_waitcnt vmcnt(0)
	v_add_f64 v[83:84], v[105:106], -v[83:84]
	buffer_store_dword v83, off, s[0:3], 0 offset:240
	buffer_store_dword v84, off, s[0:3], 0 offset:244
	v_cmpx_lt_u32_e32 29, v0
	s_cbranch_execz .LBB39_191
; %bb.190:
	s_clause 0x1
	buffer_load_dword v83, off, s[0:3], 0 offset:232
	buffer_load_dword v84, off, s[0:3], 0 offset:236
	buffer_store_dword v82, off, s[0:3], 0 offset:232
	buffer_store_dword v82, off, s[0:3], 0 offset:236
	s_waitcnt vmcnt(0)
	ds_write_b64 v81, v[83:84]
.LBB39_191:
	s_or_b32 exec_lo, exec_lo, s4
	s_waitcnt lgkmcnt(0)
	s_waitcnt_vscnt null, 0x0
	s_barrier
	buffer_gl0_inv
	s_clause 0x15
	buffer_load_dword v87, off, s[0:3], 0 offset:240
	buffer_load_dword v88, off, s[0:3], 0 offset:244
	;; [unrolled: 1-line block ×22, first 2 shown]
	ds_read_b128 v[83:86], v82 offset:560
	s_mov_b32 s4, exec_lo
	s_waitcnt vmcnt(20) lgkmcnt(0)
	v_fma_f64 v[83:84], v[87:88], v[83:84], 0
	s_waitcnt vmcnt(18)
	v_fma_f64 v[87:88], v[89:90], v[85:86], v[83:84]
	ds_read_b128 v[83:86], v82 offset:576
	s_waitcnt vmcnt(16) lgkmcnt(0)
	v_fma_f64 v[83:84], v[91:92], v[83:84], v[87:88]
	s_waitcnt vmcnt(14)
	v_fma_f64 v[87:88], v[93:94], v[85:86], v[83:84]
	ds_read_b128 v[83:86], v82 offset:592
	;; [unrolled: 5-line block ×4, first 2 shown]
	s_waitcnt vmcnt(4) lgkmcnt(0)
	v_fma_f64 v[82:83], v[103:104], v[82:83], v[86:87]
	s_waitcnt vmcnt(2)
	v_fma_f64 v[82:83], v[105:106], v[84:85], v[82:83]
	s_waitcnt vmcnt(0)
	v_add_f64 v[82:83], v[107:108], -v[82:83]
	buffer_store_dword v82, off, s[0:3], 0 offset:232
	buffer_store_dword v83, off, s[0:3], 0 offset:236
	v_cmpx_lt_u32_e32 28, v0
	s_cbranch_execz .LBB39_193
; %bb.192:
	s_clause 0x1
	buffer_load_dword v82, off, s[0:3], 0 offset:224
	buffer_load_dword v83, off, s[0:3], 0 offset:228
	v_mov_b32_e32 v84, 0
	buffer_store_dword v84, off, s[0:3], 0 offset:224
	buffer_store_dword v84, off, s[0:3], 0 offset:228
	s_waitcnt vmcnt(0)
	ds_write_b64 v81, v[82:83]
.LBB39_193:
	s_or_b32 exec_lo, exec_lo, s4
	s_waitcnt lgkmcnt(0)
	s_waitcnt_vscnt null, 0x0
	s_barrier
	buffer_gl0_inv
	s_clause 0x17
	buffer_load_dword v87, off, s[0:3], 0 offset:232
	buffer_load_dword v88, off, s[0:3], 0 offset:236
	;; [unrolled: 1-line block ×24, first 2 shown]
	v_mov_b32_e32 v82, 0
	s_mov_b32 s4, exec_lo
	ds_read2_b64 v[83:86], v82 offset0:69 offset1:70
	s_waitcnt vmcnt(22) lgkmcnt(0)
	v_fma_f64 v[83:84], v[87:88], v[83:84], 0
	s_waitcnt vmcnt(20)
	v_fma_f64 v[87:88], v[89:90], v[85:86], v[83:84]
	ds_read2_b64 v[83:86], v82 offset0:71 offset1:72
	s_waitcnt vmcnt(18) lgkmcnt(0)
	v_fma_f64 v[83:84], v[91:92], v[83:84], v[87:88]
	s_waitcnt vmcnt(16)
	v_fma_f64 v[87:88], v[93:94], v[85:86], v[83:84]
	;; [unrolled: 5-line block ×5, first 2 shown]
	ds_read_b64 v[85:86], v82 offset:632
	s_waitcnt vmcnt(2) lgkmcnt(0)
	v_fma_f64 v[83:84], v[107:108], v[85:86], v[83:84]
	s_waitcnt vmcnt(0)
	v_add_f64 v[83:84], v[109:110], -v[83:84]
	buffer_store_dword v84, off, s[0:3], 0 offset:228
	buffer_store_dword v83, off, s[0:3], 0 offset:224
	v_cmpx_lt_u32_e32 27, v0
	s_cbranch_execz .LBB39_195
; %bb.194:
	s_clause 0x1
	buffer_load_dword v83, off, s[0:3], 0 offset:216
	buffer_load_dword v84, off, s[0:3], 0 offset:220
	buffer_store_dword v82, off, s[0:3], 0 offset:216
	buffer_store_dword v82, off, s[0:3], 0 offset:220
	s_waitcnt vmcnt(0)
	ds_write_b64 v81, v[83:84]
.LBB39_195:
	s_or_b32 exec_lo, exec_lo, s4
	s_waitcnt lgkmcnt(0)
	s_waitcnt_vscnt null, 0x0
	s_barrier
	buffer_gl0_inv
	s_clause 0x19
	buffer_load_dword v91, off, s[0:3], 0 offset:224
	buffer_load_dword v92, off, s[0:3], 0 offset:228
	;; [unrolled: 1-line block ×26, first 2 shown]
	ds_read_b128 v[83:86], v82 offset:544
	ds_read_b128 v[87:90], v82 offset:560
	s_mov_b32 s4, exec_lo
	s_waitcnt vmcnt(24) lgkmcnt(1)
	v_fma_f64 v[83:84], v[91:92], v[83:84], 0
	s_waitcnt vmcnt(22)
	v_fma_f64 v[83:84], v[93:94], v[85:86], v[83:84]
	s_waitcnt vmcnt(20) lgkmcnt(0)
	v_fma_f64 v[83:84], v[95:96], v[87:88], v[83:84]
	s_waitcnt vmcnt(18)
	v_fma_f64 v[91:92], v[97:98], v[89:90], v[83:84]
	ds_read_b128 v[83:86], v82 offset:576
	ds_read_b128 v[87:90], v82 offset:592
	s_waitcnt vmcnt(16) lgkmcnt(1)
	v_fma_f64 v[83:84], v[99:100], v[83:84], v[91:92]
	s_waitcnt vmcnt(14)
	v_fma_f64 v[83:84], v[101:102], v[85:86], v[83:84]
	s_waitcnt vmcnt(12) lgkmcnt(0)
	v_fma_f64 v[83:84], v[103:104], v[87:88], v[83:84]
	s_waitcnt vmcnt(7)
	v_fma_f64 v[91:92], v[105:106], v[89:90], v[83:84]
	ds_read_b128 v[83:86], v82 offset:608
	ds_read_b128 v[87:90], v82 offset:624
	s_waitcnt vmcnt(6) lgkmcnt(1)
	v_fma_f64 v[82:83], v[111:112], v[83:84], v[91:92]
	s_waitcnt vmcnt(5)
	v_fma_f64 v[82:83], v[109:110], v[85:86], v[82:83]
	s_waitcnt vmcnt(4) lgkmcnt(0)
	v_fma_f64 v[82:83], v[107:108], v[87:88], v[82:83]
	s_waitcnt vmcnt(2)
	v_fma_f64 v[82:83], v[113:114], v[89:90], v[82:83]
	s_waitcnt vmcnt(0)
	v_add_f64 v[82:83], v[115:116], -v[82:83]
	buffer_store_dword v83, off, s[0:3], 0 offset:220
	buffer_store_dword v82, off, s[0:3], 0 offset:216
	v_cmpx_lt_u32_e32 26, v0
	s_cbranch_execz .LBB39_197
; %bb.196:
	s_clause 0x1
	buffer_load_dword v82, off, s[0:3], 0 offset:208
	buffer_load_dword v83, off, s[0:3], 0 offset:212
	v_mov_b32_e32 v84, 0
	buffer_store_dword v84, off, s[0:3], 0 offset:208
	buffer_store_dword v84, off, s[0:3], 0 offset:212
	s_waitcnt vmcnt(0)
	ds_write_b64 v81, v[82:83]
.LBB39_197:
	s_or_b32 exec_lo, exec_lo, s4
	s_waitcnt lgkmcnt(0)
	s_waitcnt_vscnt null, 0x0
	s_barrier
	buffer_gl0_inv
	s_clause 0x1b
	buffer_load_dword v91, off, s[0:3], 0 offset:216
	buffer_load_dword v92, off, s[0:3], 0 offset:220
	buffer_load_dword v93, off, s[0:3], 0 offset:224
	buffer_load_dword v94, off, s[0:3], 0 offset:228
	buffer_load_dword v95, off, s[0:3], 0 offset:232
	buffer_load_dword v96, off, s[0:3], 0 offset:236
	buffer_load_dword v97, off, s[0:3], 0 offset:240
	buffer_load_dword v98, off, s[0:3], 0 offset:244
	buffer_load_dword v99, off, s[0:3], 0 offset:248
	buffer_load_dword v100, off, s[0:3], 0 offset:252
	buffer_load_dword v101, off, s[0:3], 0 offset:256
	buffer_load_dword v102, off, s[0:3], 0 offset:260
	buffer_load_dword v103, off, s[0:3], 0 offset:264
	buffer_load_dword v104, off, s[0:3], 0 offset:268
	buffer_load_dword v106, off, s[0:3], 0 offset:276
	buffer_load_dword v107, off, s[0:3], 0 offset:296
	buffer_load_dword v109, off, s[0:3], 0 offset:288
	buffer_load_dword v111, off, s[0:3], 0 offset:280
	buffer_load_dword v105, off, s[0:3], 0 offset:272
	buffer_load_dword v112, off, s[0:3], 0 offset:284
	buffer_load_dword v110, off, s[0:3], 0 offset:292
	buffer_load_dword v108, off, s[0:3], 0 offset:300
	buffer_load_dword v114, off, s[0:3], 0 offset:308
	buffer_load_dword v115, off, s[0:3], 0 offset:312
	buffer_load_dword v113, off, s[0:3], 0 offset:304
	buffer_load_dword v116, off, s[0:3], 0 offset:316
	buffer_load_dword v117, off, s[0:3], 0 offset:208
	buffer_load_dword v118, off, s[0:3], 0 offset:212
	v_mov_b32_e32 v82, 0
	ds_read2_b64 v[83:86], v82 offset0:67 offset1:68
	ds_read2_b64 v[87:90], v82 offset0:69 offset1:70
	s_mov_b32 s4, exec_lo
	s_waitcnt vmcnt(26) lgkmcnt(1)
	v_fma_f64 v[83:84], v[91:92], v[83:84], 0
	s_waitcnt vmcnt(24)
	v_fma_f64 v[83:84], v[93:94], v[85:86], v[83:84]
	s_waitcnt vmcnt(22) lgkmcnt(0)
	v_fma_f64 v[83:84], v[95:96], v[87:88], v[83:84]
	s_waitcnt vmcnt(20)
	v_fma_f64 v[91:92], v[97:98], v[89:90], v[83:84]
	ds_read2_b64 v[83:86], v82 offset0:71 offset1:72
	ds_read2_b64 v[87:90], v82 offset0:73 offset1:74
	s_waitcnt vmcnt(18) lgkmcnt(1)
	v_fma_f64 v[83:84], v[99:100], v[83:84], v[91:92]
	s_waitcnt vmcnt(16)
	v_fma_f64 v[83:84], v[101:102], v[85:86], v[83:84]
	s_waitcnt vmcnt(14) lgkmcnt(0)
	v_fma_f64 v[83:84], v[103:104], v[87:88], v[83:84]
	s_waitcnt vmcnt(9)
	v_fma_f64 v[91:92], v[105:106], v[89:90], v[83:84]
	ds_read2_b64 v[83:86], v82 offset0:75 offset1:76
	ds_read2_b64 v[87:90], v82 offset0:77 offset1:78
	s_waitcnt vmcnt(8) lgkmcnt(1)
	v_fma_f64 v[83:84], v[111:112], v[83:84], v[91:92]
	s_waitcnt vmcnt(7)
	v_fma_f64 v[83:84], v[109:110], v[85:86], v[83:84]
	ds_read_b64 v[85:86], v82 offset:632
	s_waitcnt vmcnt(6) lgkmcnt(1)
	v_fma_f64 v[83:84], v[107:108], v[87:88], v[83:84]
	s_waitcnt vmcnt(3)
	v_fma_f64 v[83:84], v[113:114], v[89:90], v[83:84]
	s_waitcnt vmcnt(2) lgkmcnt(0)
	v_fma_f64 v[83:84], v[115:116], v[85:86], v[83:84]
	s_waitcnt vmcnt(0)
	v_add_f64 v[83:84], v[117:118], -v[83:84]
	buffer_store_dword v84, off, s[0:3], 0 offset:212
	buffer_store_dword v83, off, s[0:3], 0 offset:208
	v_cmpx_lt_u32_e32 25, v0
	s_cbranch_execz .LBB39_199
; %bb.198:
	s_clause 0x1
	buffer_load_dword v83, off, s[0:3], 0 offset:200
	buffer_load_dword v84, off, s[0:3], 0 offset:204
	buffer_store_dword v82, off, s[0:3], 0 offset:200
	buffer_store_dword v82, off, s[0:3], 0 offset:204
	s_waitcnt vmcnt(0)
	ds_write_b64 v81, v[83:84]
.LBB39_199:
	s_or_b32 exec_lo, exec_lo, s4
	s_waitcnt lgkmcnt(0)
	s_waitcnt_vscnt null, 0x0
	s_barrier
	buffer_gl0_inv
	s_clause 0x1b
	buffer_load_dword v91, off, s[0:3], 0 offset:208
	buffer_load_dword v92, off, s[0:3], 0 offset:212
	;; [unrolled: 1-line block ×28, first 2 shown]
	ds_read_b128 v[83:86], v82 offset:528
	s_clause 0x1
	buffer_load_dword v119, off, s[0:3], 0 offset:200
	buffer_load_dword v120, off, s[0:3], 0 offset:204
	ds_read_b128 v[87:90], v82 offset:544
	s_mov_b32 s4, exec_lo
	s_waitcnt vmcnt(28) lgkmcnt(1)
	v_fma_f64 v[83:84], v[91:92], v[83:84], 0
	s_waitcnt vmcnt(26)
	v_fma_f64 v[83:84], v[93:94], v[85:86], v[83:84]
	s_waitcnt vmcnt(24) lgkmcnt(0)
	v_fma_f64 v[83:84], v[95:96], v[87:88], v[83:84]
	s_waitcnt vmcnt(22)
	v_fma_f64 v[91:92], v[97:98], v[89:90], v[83:84]
	ds_read_b128 v[83:86], v82 offset:560
	ds_read_b128 v[87:90], v82 offset:576
	s_waitcnt vmcnt(20) lgkmcnt(1)
	v_fma_f64 v[83:84], v[99:100], v[83:84], v[91:92]
	s_waitcnt vmcnt(18)
	v_fma_f64 v[83:84], v[101:102], v[85:86], v[83:84]
	s_waitcnt vmcnt(16) lgkmcnt(0)
	v_fma_f64 v[83:84], v[103:104], v[87:88], v[83:84]
	s_waitcnt vmcnt(11)
	v_fma_f64 v[91:92], v[105:106], v[89:90], v[83:84]
	ds_read_b128 v[83:86], v82 offset:592
	ds_read_b128 v[87:90], v82 offset:608
	s_waitcnt vmcnt(10) lgkmcnt(1)
	v_fma_f64 v[83:84], v[111:112], v[83:84], v[91:92]
	s_waitcnt vmcnt(9)
	v_fma_f64 v[83:84], v[109:110], v[85:86], v[83:84]
	s_waitcnt vmcnt(8) lgkmcnt(0)
	v_fma_f64 v[83:84], v[107:108], v[87:88], v[83:84]
	s_waitcnt vmcnt(4)
	v_fma_f64 v[86:87], v[113:114], v[89:90], v[83:84]
	ds_read_b128 v[82:85], v82 offset:624
	s_waitcnt vmcnt(3) lgkmcnt(0)
	v_fma_f64 v[82:83], v[117:118], v[82:83], v[86:87]
	s_waitcnt vmcnt(2)
	v_fma_f64 v[82:83], v[115:116], v[84:85], v[82:83]
	s_waitcnt vmcnt(0)
	v_add_f64 v[82:83], v[119:120], -v[82:83]
	buffer_store_dword v83, off, s[0:3], 0 offset:204
	buffer_store_dword v82, off, s[0:3], 0 offset:200
	v_cmpx_lt_u32_e32 24, v0
	s_cbranch_execz .LBB39_201
; %bb.200:
	s_clause 0x1
	buffer_load_dword v82, off, s[0:3], 0 offset:192
	buffer_load_dword v83, off, s[0:3], 0 offset:196
	v_mov_b32_e32 v84, 0
	buffer_store_dword v84, off, s[0:3], 0 offset:192
	buffer_store_dword v84, off, s[0:3], 0 offset:196
	s_waitcnt vmcnt(0)
	ds_write_b64 v81, v[82:83]
.LBB39_201:
	s_or_b32 exec_lo, exec_lo, s4
	s_waitcnt lgkmcnt(0)
	s_waitcnt_vscnt null, 0x0
	s_barrier
	buffer_gl0_inv
	s_clause 0x1c
	buffer_load_dword v91, off, s[0:3], 0 offset:200
	buffer_load_dword v92, off, s[0:3], 0 offset:204
	;; [unrolled: 1-line block ×29, first 2 shown]
	v_mov_b32_e32 v82, 0
	buffer_load_dword v116, off, s[0:3], 0 offset:316
	s_mov_b32 s4, exec_lo
	ds_read2_b64 v[83:86], v82 offset0:65 offset1:66
	ds_read2_b64 v[87:90], v82 offset0:67 offset1:68
	s_waitcnt vmcnt(28) lgkmcnt(1)
	v_fma_f64 v[83:84], v[91:92], v[83:84], 0
	s_clause 0x1
	buffer_load_dword v91, off, s[0:3], 0 offset:192
	buffer_load_dword v92, off, s[0:3], 0 offset:196
	s_waitcnt vmcnt(28)
	v_fma_f64 v[83:84], v[93:94], v[85:86], v[83:84]
	s_waitcnt vmcnt(26) lgkmcnt(0)
	v_fma_f64 v[83:84], v[95:96], v[87:88], v[83:84]
	s_waitcnt vmcnt(24)
	v_fma_f64 v[93:94], v[97:98], v[89:90], v[83:84]
	ds_read2_b64 v[83:86], v82 offset0:69 offset1:70
	ds_read2_b64 v[87:90], v82 offset0:71 offset1:72
	s_waitcnt vmcnt(22) lgkmcnt(1)
	v_fma_f64 v[83:84], v[99:100], v[83:84], v[93:94]
	s_waitcnt vmcnt(20)
	v_fma_f64 v[83:84], v[101:102], v[85:86], v[83:84]
	s_waitcnt vmcnt(18) lgkmcnt(0)
	v_fma_f64 v[83:84], v[103:104], v[87:88], v[83:84]
	s_waitcnt vmcnt(13)
	v_fma_f64 v[93:94], v[105:106], v[89:90], v[83:84]
	ds_read2_b64 v[83:86], v82 offset0:73 offset1:74
	ds_read2_b64 v[87:90], v82 offset0:75 offset1:76
	s_waitcnt vmcnt(12) lgkmcnt(1)
	v_fma_f64 v[83:84], v[111:112], v[83:84], v[93:94]
	s_waitcnt vmcnt(11)
	v_fma_f64 v[83:84], v[109:110], v[85:86], v[83:84]
	s_waitcnt vmcnt(10) lgkmcnt(0)
	v_fma_f64 v[83:84], v[107:108], v[87:88], v[83:84]
	s_waitcnt vmcnt(5)
	v_fma_f64 v[87:88], v[113:114], v[89:90], v[83:84]
	ds_read2_b64 v[83:86], v82 offset0:77 offset1:78
	ds_read_b64 v[89:90], v82 offset:632
	s_waitcnt vmcnt(4) lgkmcnt(1)
	v_fma_f64 v[83:84], v[119:120], v[83:84], v[87:88]
	s_waitcnt vmcnt(3)
	v_fma_f64 v[83:84], v[117:118], v[85:86], v[83:84]
	s_waitcnt vmcnt(2) lgkmcnt(0)
	v_fma_f64 v[83:84], v[115:116], v[89:90], v[83:84]
	s_waitcnt vmcnt(0)
	v_add_f64 v[83:84], v[91:92], -v[83:84]
	buffer_store_dword v84, off, s[0:3], 0 offset:196
	buffer_store_dword v83, off, s[0:3], 0 offset:192
	v_cmpx_lt_u32_e32 23, v0
	s_cbranch_execz .LBB39_203
; %bb.202:
	s_clause 0x1
	buffer_load_dword v83, off, s[0:3], 0 offset:184
	buffer_load_dword v84, off, s[0:3], 0 offset:188
	buffer_store_dword v82, off, s[0:3], 0 offset:184
	buffer_store_dword v82, off, s[0:3], 0 offset:188
	s_waitcnt vmcnt(0)
	ds_write_b64 v81, v[83:84]
.LBB39_203:
	s_or_b32 exec_lo, exec_lo, s4
	s_waitcnt lgkmcnt(0)
	s_waitcnt_vscnt null, 0x0
	s_barrier
	buffer_gl0_inv
	s_clause 0x1c
	buffer_load_dword v91, off, s[0:3], 0 offset:192
	buffer_load_dword v92, off, s[0:3], 0 offset:196
	;; [unrolled: 1-line block ×29, first 2 shown]
	ds_read_b128 v[83:86], v82 offset:512
	ds_read_b128 v[87:90], v82 offset:528
	buffer_load_dword v116, off, s[0:3], 0 offset:308
	s_mov_b32 s4, exec_lo
	s_waitcnt vmcnt(28) lgkmcnt(1)
	v_fma_f64 v[83:84], v[91:92], v[83:84], 0
	s_clause 0x1
	buffer_load_dword v92, off, s[0:3], 0 offset:316
	buffer_load_dword v91, off, s[0:3], 0 offset:312
	s_waitcnt vmcnt(28)
	v_fma_f64 v[83:84], v[93:94], v[85:86], v[83:84]
	s_clause 0x1
	buffer_load_dword v93, off, s[0:3], 0 offset:184
	buffer_load_dword v94, off, s[0:3], 0 offset:188
	s_waitcnt vmcnt(28) lgkmcnt(0)
	v_fma_f64 v[83:84], v[95:96], v[87:88], v[83:84]
	s_waitcnt vmcnt(26)
	v_fma_f64 v[95:96], v[97:98], v[89:90], v[83:84]
	ds_read_b128 v[83:86], v82 offset:544
	ds_read_b128 v[87:90], v82 offset:560
	s_waitcnt vmcnt(24) lgkmcnt(1)
	v_fma_f64 v[83:84], v[99:100], v[83:84], v[95:96]
	s_waitcnt vmcnt(22)
	v_fma_f64 v[83:84], v[101:102], v[85:86], v[83:84]
	s_waitcnt vmcnt(20) lgkmcnt(0)
	v_fma_f64 v[83:84], v[103:104], v[87:88], v[83:84]
	s_waitcnt vmcnt(15)
	v_fma_f64 v[95:96], v[105:106], v[89:90], v[83:84]
	ds_read_b128 v[83:86], v82 offset:576
	ds_read_b128 v[87:90], v82 offset:592
	s_waitcnt vmcnt(14) lgkmcnt(1)
	v_fma_f64 v[83:84], v[111:112], v[83:84], v[95:96]
	s_waitcnt vmcnt(13)
	v_fma_f64 v[83:84], v[109:110], v[85:86], v[83:84]
	;; [unrolled: 10-line block ×3, first 2 shown]
	s_waitcnt vmcnt(4) lgkmcnt(0)
	v_fma_f64 v[82:83], v[115:116], v[87:88], v[82:83]
	s_waitcnt vmcnt(2)
	v_fma_f64 v[82:83], v[91:92], v[89:90], v[82:83]
	s_waitcnt vmcnt(0)
	v_add_f64 v[82:83], v[93:94], -v[82:83]
	buffer_store_dword v83, off, s[0:3], 0 offset:188
	buffer_store_dword v82, off, s[0:3], 0 offset:184
	v_cmpx_lt_u32_e32 22, v0
	s_cbranch_execz .LBB39_205
; %bb.204:
	s_clause 0x1
	buffer_load_dword v82, off, s[0:3], 0 offset:176
	buffer_load_dword v83, off, s[0:3], 0 offset:180
	v_mov_b32_e32 v84, 0
	buffer_store_dword v84, off, s[0:3], 0 offset:176
	buffer_store_dword v84, off, s[0:3], 0 offset:180
	s_waitcnt vmcnt(0)
	ds_write_b64 v81, v[82:83]
.LBB39_205:
	s_or_b32 exec_lo, exec_lo, s4
	s_waitcnt lgkmcnt(0)
	s_waitcnt_vscnt null, 0x0
	s_barrier
	buffer_gl0_inv
	s_clause 0x1c
	buffer_load_dword v91, off, s[0:3], 0 offset:184
	buffer_load_dword v92, off, s[0:3], 0 offset:188
	;; [unrolled: 1-line block ×29, first 2 shown]
	v_mov_b32_e32 v82, 0
	buffer_load_dword v116, off, s[0:3], 0 offset:300
	s_mov_b32 s4, exec_lo
	ds_read2_b64 v[83:86], v82 offset0:63 offset1:64
	ds_read2_b64 v[87:90], v82 offset0:65 offset1:66
	s_waitcnt vmcnt(28) lgkmcnt(1)
	v_fma_f64 v[83:84], v[91:92], v[83:84], 0
	s_clause 0x3
	buffer_load_dword v92, off, s[0:3], 0 offset:308
	buffer_load_dword v121, off, s[0:3], 0 offset:312
	buffer_load_dword v91, off, s[0:3], 0 offset:304
	buffer_load_dword v122, off, s[0:3], 0 offset:316
	s_waitcnt vmcnt(30)
	v_fma_f64 v[83:84], v[93:94], v[85:86], v[83:84]
	s_clause 0x1
	buffer_load_dword v93, off, s[0:3], 0 offset:176
	buffer_load_dword v94, off, s[0:3], 0 offset:180
	s_waitcnt vmcnt(30) lgkmcnt(0)
	v_fma_f64 v[83:84], v[95:96], v[87:88], v[83:84]
	s_waitcnt vmcnt(28)
	v_fma_f64 v[95:96], v[97:98], v[89:90], v[83:84]
	ds_read2_b64 v[83:86], v82 offset0:67 offset1:68
	ds_read2_b64 v[87:90], v82 offset0:69 offset1:70
	s_waitcnt vmcnt(26) lgkmcnt(1)
	v_fma_f64 v[83:84], v[99:100], v[83:84], v[95:96]
	s_waitcnt vmcnt(24)
	v_fma_f64 v[83:84], v[101:102], v[85:86], v[83:84]
	s_waitcnt vmcnt(22) lgkmcnt(0)
	v_fma_f64 v[83:84], v[103:104], v[87:88], v[83:84]
	s_waitcnt vmcnt(17)
	v_fma_f64 v[95:96], v[105:106], v[89:90], v[83:84]
	ds_read2_b64 v[83:86], v82 offset0:71 offset1:72
	ds_read2_b64 v[87:90], v82 offset0:73 offset1:74
	s_waitcnt vmcnt(16) lgkmcnt(1)
	v_fma_f64 v[83:84], v[111:112], v[83:84], v[95:96]
	s_waitcnt vmcnt(15)
	v_fma_f64 v[83:84], v[109:110], v[85:86], v[83:84]
	;; [unrolled: 10-line block ×3, first 2 shown]
	ds_read_b64 v[85:86], v82 offset:632
	s_waitcnt vmcnt(6) lgkmcnt(1)
	v_fma_f64 v[83:84], v[115:116], v[87:88], v[83:84]
	s_waitcnt vmcnt(3)
	v_fma_f64 v[83:84], v[91:92], v[89:90], v[83:84]
	s_waitcnt vmcnt(2) lgkmcnt(0)
	v_fma_f64 v[83:84], v[121:122], v[85:86], v[83:84]
	s_waitcnt vmcnt(0)
	v_add_f64 v[83:84], v[93:94], -v[83:84]
	buffer_store_dword v84, off, s[0:3], 0 offset:180
	buffer_store_dword v83, off, s[0:3], 0 offset:176
	v_cmpx_lt_u32_e32 21, v0
	s_cbranch_execz .LBB39_207
; %bb.206:
	s_clause 0x1
	buffer_load_dword v83, off, s[0:3], 0 offset:168
	buffer_load_dword v84, off, s[0:3], 0 offset:172
	buffer_store_dword v82, off, s[0:3], 0 offset:168
	buffer_store_dword v82, off, s[0:3], 0 offset:172
	s_waitcnt vmcnt(0)
	ds_write_b64 v81, v[83:84]
.LBB39_207:
	s_or_b32 exec_lo, exec_lo, s4
	s_waitcnt lgkmcnt(0)
	s_waitcnt_vscnt null, 0x0
	s_barrier
	buffer_gl0_inv
	s_clause 0x1c
	buffer_load_dword v91, off, s[0:3], 0 offset:176
	buffer_load_dword v92, off, s[0:3], 0 offset:180
	;; [unrolled: 1-line block ×29, first 2 shown]
	ds_read_b128 v[83:86], v82 offset:496
	ds_read_b128 v[87:90], v82 offset:512
	buffer_load_dword v116, off, s[0:3], 0 offset:292
	s_mov_b32 s4, exec_lo
	s_waitcnt vmcnt(28) lgkmcnt(1)
	v_fma_f64 v[83:84], v[91:92], v[83:84], 0
	s_clause 0x5
	buffer_load_dword v92, off, s[0:3], 0 offset:300
	buffer_load_dword v121, off, s[0:3], 0 offset:312
	;; [unrolled: 1-line block ×6, first 2 shown]
	s_waitcnt vmcnt(32)
	v_fma_f64 v[83:84], v[93:94], v[85:86], v[83:84]
	s_waitcnt vmcnt(30) lgkmcnt(0)
	v_fma_f64 v[83:84], v[95:96], v[87:88], v[83:84]
	s_waitcnt vmcnt(28)
	v_fma_f64 v[93:94], v[97:98], v[89:90], v[83:84]
	ds_read_b128 v[83:86], v82 offset:528
	s_clause 0x1
	buffer_load_dword v95, off, s[0:3], 0 offset:168
	buffer_load_dword v96, off, s[0:3], 0 offset:172
	ds_read_b128 v[87:90], v82 offset:544
	s_waitcnt vmcnt(28) lgkmcnt(1)
	v_fma_f64 v[83:84], v[99:100], v[83:84], v[93:94]
	s_waitcnt vmcnt(26)
	v_fma_f64 v[83:84], v[101:102], v[85:86], v[83:84]
	s_waitcnt vmcnt(24) lgkmcnt(0)
	v_fma_f64 v[83:84], v[103:104], v[87:88], v[83:84]
	s_waitcnt vmcnt(19)
	v_fma_f64 v[93:94], v[105:106], v[89:90], v[83:84]
	ds_read_b128 v[83:86], v82 offset:560
	ds_read_b128 v[87:90], v82 offset:576
	s_waitcnt vmcnt(18) lgkmcnt(1)
	v_fma_f64 v[83:84], v[111:112], v[83:84], v[93:94]
	s_waitcnt vmcnt(17)
	v_fma_f64 v[83:84], v[109:110], v[85:86], v[83:84]
	s_waitcnt vmcnt(16) lgkmcnt(0)
	v_fma_f64 v[83:84], v[107:108], v[87:88], v[83:84]
	s_waitcnt vmcnt(11)
	v_fma_f64 v[93:94], v[113:114], v[89:90], v[83:84]
	ds_read_b128 v[83:86], v82 offset:592
	;; [unrolled: 10-line block ×3, first 2 shown]
	s_waitcnt vmcnt(3) lgkmcnt(0)
	v_fma_f64 v[82:83], v[123:124], v[82:83], v[86:87]
	s_waitcnt vmcnt(2)
	v_fma_f64 v[82:83], v[121:122], v[84:85], v[82:83]
	s_waitcnt vmcnt(0)
	v_add_f64 v[82:83], v[95:96], -v[82:83]
	buffer_store_dword v83, off, s[0:3], 0 offset:172
	buffer_store_dword v82, off, s[0:3], 0 offset:168
	v_cmpx_lt_u32_e32 20, v0
	s_cbranch_execz .LBB39_209
; %bb.208:
	s_clause 0x1
	buffer_load_dword v82, off, s[0:3], 0 offset:160
	buffer_load_dword v83, off, s[0:3], 0 offset:164
	v_mov_b32_e32 v84, 0
	buffer_store_dword v84, off, s[0:3], 0 offset:160
	buffer_store_dword v84, off, s[0:3], 0 offset:164
	s_waitcnt vmcnt(0)
	ds_write_b64 v81, v[82:83]
.LBB39_209:
	s_or_b32 exec_lo, exec_lo, s4
	s_waitcnt lgkmcnt(0)
	s_waitcnt_vscnt null, 0x0
	s_barrier
	buffer_gl0_inv
	s_clause 0x1c
	buffer_load_dword v91, off, s[0:3], 0 offset:168
	buffer_load_dword v92, off, s[0:3], 0 offset:172
	;; [unrolled: 1-line block ×29, first 2 shown]
	v_mov_b32_e32 v82, 0
	buffer_load_dword v116, off, s[0:3], 0 offset:284
	s_mov_b32 s4, exec_lo
	ds_read2_b64 v[83:86], v82 offset0:61 offset1:62
	ds_read2_b64 v[87:90], v82 offset0:63 offset1:64
	s_waitcnt vmcnt(28) lgkmcnt(1)
	v_fma_f64 v[83:84], v[91:92], v[83:84], 0
	s_clause 0x7
	buffer_load_dword v92, off, s[0:3], 0 offset:292
	buffer_load_dword v121, off, s[0:3], 0 offset:312
	;; [unrolled: 1-line block ×8, first 2 shown]
	s_waitcnt vmcnt(34)
	v_fma_f64 v[83:84], v[93:94], v[85:86], v[83:84]
	s_waitcnt vmcnt(32) lgkmcnt(0)
	v_fma_f64 v[83:84], v[95:96], v[87:88], v[83:84]
	s_waitcnt vmcnt(30)
	v_fma_f64 v[93:94], v[97:98], v[89:90], v[83:84]
	ds_read2_b64 v[83:86], v82 offset0:65 offset1:66
	ds_read2_b64 v[87:90], v82 offset0:67 offset1:68
	s_waitcnt vmcnt(28) lgkmcnt(1)
	v_fma_f64 v[83:84], v[99:100], v[83:84], v[93:94]
	s_clause 0x1
	buffer_load_dword v93, off, s[0:3], 0 offset:160
	buffer_load_dword v94, off, s[0:3], 0 offset:164
	s_waitcnt vmcnt(28)
	v_fma_f64 v[83:84], v[101:102], v[85:86], v[83:84]
	s_waitcnt vmcnt(26) lgkmcnt(0)
	v_fma_f64 v[83:84], v[103:104], v[87:88], v[83:84]
	s_waitcnt vmcnt(21)
	v_fma_f64 v[95:96], v[105:106], v[89:90], v[83:84]
	ds_read2_b64 v[83:86], v82 offset0:69 offset1:70
	ds_read2_b64 v[87:90], v82 offset0:71 offset1:72
	s_waitcnt vmcnt(20) lgkmcnt(1)
	v_fma_f64 v[83:84], v[111:112], v[83:84], v[95:96]
	s_waitcnt vmcnt(19)
	v_fma_f64 v[83:84], v[109:110], v[85:86], v[83:84]
	s_waitcnt vmcnt(18) lgkmcnt(0)
	v_fma_f64 v[83:84], v[107:108], v[87:88], v[83:84]
	s_waitcnt vmcnt(13)
	v_fma_f64 v[95:96], v[113:114], v[89:90], v[83:84]
	ds_read2_b64 v[83:86], v82 offset0:73 offset1:74
	ds_read2_b64 v[87:90], v82 offset0:75 offset1:76
	s_waitcnt vmcnt(12) lgkmcnt(1)
	v_fma_f64 v[83:84], v[119:120], v[83:84], v[95:96]
	s_waitcnt vmcnt(11)
	v_fma_f64 v[83:84], v[117:118], v[85:86], v[83:84]
	s_waitcnt vmcnt(10) lgkmcnt(0)
	v_fma_f64 v[83:84], v[115:116], v[87:88], v[83:84]
	s_waitcnt vmcnt(5)
	v_fma_f64 v[87:88], v[91:92], v[89:90], v[83:84]
	ds_read2_b64 v[83:86], v82 offset0:77 offset1:78
	ds_read_b64 v[89:90], v82 offset:632
	s_waitcnt vmcnt(4) lgkmcnt(1)
	v_fma_f64 v[83:84], v[125:126], v[83:84], v[87:88]
	s_waitcnt vmcnt(3)
	v_fma_f64 v[83:84], v[123:124], v[85:86], v[83:84]
	s_waitcnt vmcnt(2) lgkmcnt(0)
	v_fma_f64 v[83:84], v[121:122], v[89:90], v[83:84]
	s_waitcnt vmcnt(0)
	v_add_f64 v[83:84], v[93:94], -v[83:84]
	buffer_store_dword v84, off, s[0:3], 0 offset:164
	buffer_store_dword v83, off, s[0:3], 0 offset:160
	v_cmpx_lt_u32_e32 19, v0
	s_cbranch_execz .LBB39_211
; %bb.210:
	s_clause 0x1
	buffer_load_dword v83, off, s[0:3], 0 offset:152
	buffer_load_dword v84, off, s[0:3], 0 offset:156
	buffer_store_dword v82, off, s[0:3], 0 offset:152
	buffer_store_dword v82, off, s[0:3], 0 offset:156
	s_waitcnt vmcnt(0)
	ds_write_b64 v81, v[83:84]
.LBB39_211:
	s_or_b32 exec_lo, exec_lo, s4
	s_waitcnt lgkmcnt(0)
	s_waitcnt_vscnt null, 0x0
	s_barrier
	buffer_gl0_inv
	s_clause 0x1c
	buffer_load_dword v91, off, s[0:3], 0 offset:160
	buffer_load_dword v92, off, s[0:3], 0 offset:164
	;; [unrolled: 1-line block ×29, first 2 shown]
	ds_read_b128 v[83:86], v82 offset:480
	ds_read_b128 v[87:90], v82 offset:496
	buffer_load_dword v116, off, s[0:3], 0 offset:276
	s_mov_b32 s4, exec_lo
	s_waitcnt vmcnt(28) lgkmcnt(1)
	v_fma_f64 v[83:84], v[91:92], v[83:84], 0
	s_clause 0x7
	buffer_load_dword v92, off, s[0:3], 0 offset:284
	buffer_load_dword v121, off, s[0:3], 0 offset:304
	;; [unrolled: 1-line block ×8, first 2 shown]
	s_waitcnt vmcnt(34)
	v_fma_f64 v[83:84], v[93:94], v[85:86], v[83:84]
	s_waitcnt vmcnt(32) lgkmcnt(0)
	v_fma_f64 v[83:84], v[95:96], v[87:88], v[83:84]
	s_waitcnt vmcnt(30)
	v_fma_f64 v[93:94], v[97:98], v[89:90], v[83:84]
	ds_read_b128 v[83:86], v82 offset:512
	ds_read_b128 v[87:90], v82 offset:528
	s_waitcnt vmcnt(28) lgkmcnt(1)
	v_fma_f64 v[83:84], v[99:100], v[83:84], v[93:94]
	s_clause 0x3
	buffer_load_dword v94, off, s[0:3], 0 offset:316
	buffer_load_dword v93, off, s[0:3], 0 offset:312
	;; [unrolled: 1-line block ×4, first 2 shown]
	s_waitcnt vmcnt(30)
	v_fma_f64 v[83:84], v[101:102], v[85:86], v[83:84]
	s_waitcnt vmcnt(28) lgkmcnt(0)
	v_fma_f64 v[83:84], v[103:104], v[87:88], v[83:84]
	s_waitcnt vmcnt(23)
	v_fma_f64 v[97:98], v[105:106], v[89:90], v[83:84]
	ds_read_b128 v[83:86], v82 offset:544
	ds_read_b128 v[87:90], v82 offset:560
	s_waitcnt vmcnt(22) lgkmcnt(1)
	v_fma_f64 v[83:84], v[111:112], v[83:84], v[97:98]
	s_waitcnt vmcnt(21)
	v_fma_f64 v[83:84], v[109:110], v[85:86], v[83:84]
	s_waitcnt vmcnt(20) lgkmcnt(0)
	v_fma_f64 v[83:84], v[107:108], v[87:88], v[83:84]
	s_waitcnt vmcnt(15)
	v_fma_f64 v[97:98], v[113:114], v[89:90], v[83:84]
	ds_read_b128 v[83:86], v82 offset:576
	ds_read_b128 v[87:90], v82 offset:592
	s_waitcnt vmcnt(14) lgkmcnt(1)
	v_fma_f64 v[83:84], v[119:120], v[83:84], v[97:98]
	;; [unrolled: 10-line block ×3, first 2 shown]
	s_waitcnt vmcnt(5)
	v_fma_f64 v[82:83], v[123:124], v[85:86], v[82:83]
	s_waitcnt vmcnt(4) lgkmcnt(0)
	v_fma_f64 v[82:83], v[121:122], v[87:88], v[82:83]
	s_waitcnt vmcnt(2)
	v_fma_f64 v[82:83], v[93:94], v[89:90], v[82:83]
	s_waitcnt vmcnt(0)
	v_add_f64 v[82:83], v[95:96], -v[82:83]
	buffer_store_dword v83, off, s[0:3], 0 offset:156
	buffer_store_dword v82, off, s[0:3], 0 offset:152
	v_cmpx_lt_u32_e32 18, v0
	s_cbranch_execz .LBB39_213
; %bb.212:
	s_clause 0x1
	buffer_load_dword v82, off, s[0:3], 0 offset:144
	buffer_load_dword v83, off, s[0:3], 0 offset:148
	v_mov_b32_e32 v84, 0
	buffer_store_dword v84, off, s[0:3], 0 offset:144
	buffer_store_dword v84, off, s[0:3], 0 offset:148
	s_waitcnt vmcnt(0)
	ds_write_b64 v81, v[82:83]
.LBB39_213:
	s_or_b32 exec_lo, exec_lo, s4
	s_waitcnt lgkmcnt(0)
	s_waitcnt_vscnt null, 0x0
	s_barrier
	buffer_gl0_inv
	s_clause 0x1c
	buffer_load_dword v91, off, s[0:3], 0 offset:152
	buffer_load_dword v92, off, s[0:3], 0 offset:156
	;; [unrolled: 1-line block ×29, first 2 shown]
	v_mov_b32_e32 v82, 0
	buffer_load_dword v116, off, s[0:3], 0 offset:268
	s_mov_b32 s4, exec_lo
	ds_read2_b64 v[83:86], v82 offset0:59 offset1:60
	ds_read2_b64 v[87:90], v82 offset0:61 offset1:62
	s_waitcnt vmcnt(28) lgkmcnt(1)
	v_fma_f64 v[83:84], v[91:92], v[83:84], 0
	s_clause 0x7
	buffer_load_dword v92, off, s[0:3], 0 offset:276
	buffer_load_dword v121, off, s[0:3], 0 offset:296
	;; [unrolled: 1-line block ×8, first 2 shown]
	s_waitcnt vmcnt(34)
	v_fma_f64 v[83:84], v[93:94], v[85:86], v[83:84]
	s_waitcnt vmcnt(32) lgkmcnt(0)
	v_fma_f64 v[83:84], v[95:96], v[87:88], v[83:84]
	s_waitcnt vmcnt(30)
	v_fma_f64 v[93:94], v[97:98], v[89:90], v[83:84]
	ds_read2_b64 v[83:86], v82 offset0:63 offset1:64
	ds_read2_b64 v[87:90], v82 offset0:65 offset1:66
	s_waitcnt vmcnt(28) lgkmcnt(1)
	v_fma_f64 v[83:84], v[99:100], v[83:84], v[93:94]
	s_clause 0x5
	buffer_load_dword v94, off, s[0:3], 0 offset:308
	buffer_load_dword v95, off, s[0:3], 0 offset:312
	;; [unrolled: 1-line block ×6, first 2 shown]
	s_waitcnt vmcnt(32)
	v_fma_f64 v[83:84], v[101:102], v[85:86], v[83:84]
	s_waitcnt vmcnt(30) lgkmcnt(0)
	v_fma_f64 v[83:84], v[103:104], v[87:88], v[83:84]
	s_waitcnt vmcnt(25)
	v_fma_f64 v[99:100], v[105:106], v[89:90], v[83:84]
	ds_read2_b64 v[83:86], v82 offset0:67 offset1:68
	ds_read2_b64 v[87:90], v82 offset0:69 offset1:70
	s_waitcnt vmcnt(24) lgkmcnt(1)
	v_fma_f64 v[83:84], v[111:112], v[83:84], v[99:100]
	s_waitcnt vmcnt(23)
	v_fma_f64 v[83:84], v[109:110], v[85:86], v[83:84]
	s_waitcnt vmcnt(22) lgkmcnt(0)
	v_fma_f64 v[83:84], v[107:108], v[87:88], v[83:84]
	s_waitcnt vmcnt(17)
	v_fma_f64 v[99:100], v[113:114], v[89:90], v[83:84]
	ds_read2_b64 v[83:86], v82 offset0:71 offset1:72
	ds_read2_b64 v[87:90], v82 offset0:73 offset1:74
	s_waitcnt vmcnt(16) lgkmcnt(1)
	v_fma_f64 v[83:84], v[119:120], v[83:84], v[99:100]
	s_waitcnt vmcnt(15)
	v_fma_f64 v[83:84], v[117:118], v[85:86], v[83:84]
	s_waitcnt vmcnt(14) lgkmcnt(0)
	v_fma_f64 v[83:84], v[115:116], v[87:88], v[83:84]
	s_waitcnt vmcnt(9)
	v_fma_f64 v[91:92], v[91:92], v[89:90], v[83:84]
	ds_read2_b64 v[83:86], v82 offset0:75 offset1:76
	ds_read2_b64 v[87:90], v82 offset0:77 offset1:78
	s_waitcnt vmcnt(8) lgkmcnt(1)
	v_fma_f64 v[83:84], v[125:126], v[83:84], v[91:92]
	s_waitcnt vmcnt(7)
	v_fma_f64 v[83:84], v[123:124], v[85:86], v[83:84]
	ds_read_b64 v[85:86], v82 offset:632
	s_waitcnt vmcnt(6) lgkmcnt(1)
	v_fma_f64 v[83:84], v[121:122], v[87:88], v[83:84]
	s_waitcnt vmcnt(3)
	v_fma_f64 v[83:84], v[93:94], v[89:90], v[83:84]
	s_waitcnt vmcnt(2) lgkmcnt(0)
	v_fma_f64 v[83:84], v[95:96], v[85:86], v[83:84]
	s_waitcnt vmcnt(0)
	v_add_f64 v[83:84], v[97:98], -v[83:84]
	buffer_store_dword v84, off, s[0:3], 0 offset:148
	buffer_store_dword v83, off, s[0:3], 0 offset:144
	v_cmpx_lt_u32_e32 17, v0
	s_cbranch_execz .LBB39_215
; %bb.214:
	s_clause 0x1
	buffer_load_dword v83, off, s[0:3], 0 offset:136
	buffer_load_dword v84, off, s[0:3], 0 offset:140
	buffer_store_dword v82, off, s[0:3], 0 offset:136
	buffer_store_dword v82, off, s[0:3], 0 offset:140
	s_waitcnt vmcnt(0)
	ds_write_b64 v81, v[83:84]
.LBB39_215:
	s_or_b32 exec_lo, exec_lo, s4
	s_waitcnt lgkmcnt(0)
	s_waitcnt_vscnt null, 0x0
	s_barrier
	buffer_gl0_inv
	s_clause 0x1c
	buffer_load_dword v91, off, s[0:3], 0 offset:144
	buffer_load_dword v92, off, s[0:3], 0 offset:148
	;; [unrolled: 1-line block ×29, first 2 shown]
	ds_read_b128 v[83:86], v82 offset:464
	ds_read_b128 v[87:90], v82 offset:480
	buffer_load_dword v116, off, s[0:3], 0 offset:260
	s_mov_b32 s4, exec_lo
	s_waitcnt vmcnt(28) lgkmcnt(1)
	v_fma_f64 v[83:84], v[91:92], v[83:84], 0
	s_clause 0x7
	buffer_load_dword v92, off, s[0:3], 0 offset:268
	buffer_load_dword v121, off, s[0:3], 0 offset:288
	;; [unrolled: 1-line block ×8, first 2 shown]
	s_waitcnt vmcnt(34)
	v_fma_f64 v[83:84], v[93:94], v[85:86], v[83:84]
	s_waitcnt vmcnt(32) lgkmcnt(0)
	v_fma_f64 v[83:84], v[95:96], v[87:88], v[83:84]
	s_waitcnt vmcnt(30)
	v_fma_f64 v[93:94], v[97:98], v[89:90], v[83:84]
	ds_read_b128 v[83:86], v82 offset:496
	ds_read_b128 v[87:90], v82 offset:512
	s_waitcnt vmcnt(28) lgkmcnt(1)
	v_fma_f64 v[83:84], v[99:100], v[83:84], v[93:94]
	s_clause 0x5
	buffer_load_dword v94, off, s[0:3], 0 offset:300
	buffer_load_dword v95, off, s[0:3], 0 offset:312
	;; [unrolled: 1-line block ×6, first 2 shown]
	s_waitcnt vmcnt(32)
	v_fma_f64 v[83:84], v[101:102], v[85:86], v[83:84]
	s_waitcnt vmcnt(30) lgkmcnt(0)
	v_fma_f64 v[83:84], v[103:104], v[87:88], v[83:84]
	s_waitcnt vmcnt(25)
	v_fma_f64 v[99:100], v[105:106], v[89:90], v[83:84]
	ds_read_b128 v[83:86], v82 offset:528
	s_clause 0x1
	buffer_load_dword v101, off, s[0:3], 0 offset:136
	buffer_load_dword v102, off, s[0:3], 0 offset:140
	ds_read_b128 v[87:90], v82 offset:544
	s_waitcnt vmcnt(26) lgkmcnt(1)
	v_fma_f64 v[83:84], v[111:112], v[83:84], v[99:100]
	s_waitcnt vmcnt(25)
	v_fma_f64 v[83:84], v[109:110], v[85:86], v[83:84]
	s_waitcnt vmcnt(24) lgkmcnt(0)
	v_fma_f64 v[83:84], v[107:108], v[87:88], v[83:84]
	s_waitcnt vmcnt(19)
	v_fma_f64 v[99:100], v[113:114], v[89:90], v[83:84]
	ds_read_b128 v[83:86], v82 offset:560
	ds_read_b128 v[87:90], v82 offset:576
	s_waitcnt vmcnt(18) lgkmcnt(1)
	v_fma_f64 v[83:84], v[119:120], v[83:84], v[99:100]
	s_waitcnt vmcnt(17)
	v_fma_f64 v[83:84], v[117:118], v[85:86], v[83:84]
	s_waitcnt vmcnt(16) lgkmcnt(0)
	v_fma_f64 v[83:84], v[115:116], v[87:88], v[83:84]
	s_waitcnt vmcnt(11)
	v_fma_f64 v[91:92], v[91:92], v[89:90], v[83:84]
	ds_read_b128 v[83:86], v82 offset:592
	;; [unrolled: 10-line block ×3, first 2 shown]
	s_waitcnt vmcnt(3) lgkmcnt(0)
	v_fma_f64 v[82:83], v[97:98], v[82:83], v[86:87]
	s_waitcnt vmcnt(2)
	v_fma_f64 v[82:83], v[95:96], v[84:85], v[82:83]
	s_waitcnt vmcnt(0)
	v_add_f64 v[82:83], v[101:102], -v[82:83]
	buffer_store_dword v83, off, s[0:3], 0 offset:140
	buffer_store_dword v82, off, s[0:3], 0 offset:136
	v_cmpx_lt_u32_e32 16, v0
	s_cbranch_execz .LBB39_217
; %bb.216:
	s_clause 0x1
	buffer_load_dword v82, off, s[0:3], 0 offset:128
	buffer_load_dword v83, off, s[0:3], 0 offset:132
	v_mov_b32_e32 v84, 0
	buffer_store_dword v84, off, s[0:3], 0 offset:128
	buffer_store_dword v84, off, s[0:3], 0 offset:132
	s_waitcnt vmcnt(0)
	ds_write_b64 v81, v[82:83]
.LBB39_217:
	s_or_b32 exec_lo, exec_lo, s4
	s_waitcnt lgkmcnt(0)
	s_waitcnt_vscnt null, 0x0
	s_barrier
	buffer_gl0_inv
	s_clause 0x1c
	buffer_load_dword v91, off, s[0:3], 0 offset:136
	buffer_load_dword v92, off, s[0:3], 0 offset:140
	;; [unrolled: 1-line block ×29, first 2 shown]
	v_mov_b32_e32 v82, 0
	buffer_load_dword v116, off, s[0:3], 0 offset:252
	s_mov_b32 s4, exec_lo
	ds_read2_b64 v[83:86], v82 offset0:57 offset1:58
	ds_read2_b64 v[87:90], v82 offset0:59 offset1:60
	s_waitcnt vmcnt(28) lgkmcnt(1)
	v_fma_f64 v[83:84], v[91:92], v[83:84], 0
	s_clause 0x7
	buffer_load_dword v92, off, s[0:3], 0 offset:260
	buffer_load_dword v121, off, s[0:3], 0 offset:280
	;; [unrolled: 1-line block ×8, first 2 shown]
	s_waitcnt vmcnt(34)
	v_fma_f64 v[83:84], v[93:94], v[85:86], v[83:84]
	s_waitcnt vmcnt(32) lgkmcnt(0)
	v_fma_f64 v[83:84], v[95:96], v[87:88], v[83:84]
	s_waitcnt vmcnt(30)
	v_fma_f64 v[93:94], v[97:98], v[89:90], v[83:84]
	ds_read2_b64 v[83:86], v82 offset0:61 offset1:62
	ds_read2_b64 v[87:90], v82 offset0:63 offset1:64
	s_waitcnt vmcnt(28) lgkmcnt(1)
	v_fma_f64 v[83:84], v[99:100], v[83:84], v[93:94]
	s_clause 0x7
	buffer_load_dword v94, off, s[0:3], 0 offset:292
	buffer_load_dword v95, off, s[0:3], 0 offset:312
	;; [unrolled: 1-line block ×8, first 2 shown]
	s_waitcnt vmcnt(34)
	v_fma_f64 v[83:84], v[101:102], v[85:86], v[83:84]
	s_waitcnt vmcnt(32) lgkmcnt(0)
	v_fma_f64 v[83:84], v[103:104], v[87:88], v[83:84]
	s_waitcnt vmcnt(27)
	v_fma_f64 v[101:102], v[105:106], v[89:90], v[83:84]
	ds_read2_b64 v[83:86], v82 offset0:65 offset1:66
	ds_read2_b64 v[87:90], v82 offset0:67 offset1:68
	s_waitcnt vmcnt(26) lgkmcnt(1)
	v_fma_f64 v[83:84], v[111:112], v[83:84], v[101:102]
	s_clause 0x1
	buffer_load_dword v101, off, s[0:3], 0 offset:128
	buffer_load_dword v102, off, s[0:3], 0 offset:132
	s_waitcnt vmcnt(27)
	v_fma_f64 v[83:84], v[109:110], v[85:86], v[83:84]
	s_waitcnt vmcnt(26) lgkmcnt(0)
	v_fma_f64 v[83:84], v[107:108], v[87:88], v[83:84]
	s_waitcnt vmcnt(21)
	v_fma_f64 v[103:104], v[113:114], v[89:90], v[83:84]
	ds_read2_b64 v[83:86], v82 offset0:69 offset1:70
	ds_read2_b64 v[87:90], v82 offset0:71 offset1:72
	s_waitcnt vmcnt(20) lgkmcnt(1)
	v_fma_f64 v[83:84], v[119:120], v[83:84], v[103:104]
	s_waitcnt vmcnt(19)
	v_fma_f64 v[83:84], v[117:118], v[85:86], v[83:84]
	s_waitcnt vmcnt(18) lgkmcnt(0)
	v_fma_f64 v[83:84], v[115:116], v[87:88], v[83:84]
	s_waitcnt vmcnt(13)
	v_fma_f64 v[91:92], v[91:92], v[89:90], v[83:84]
	ds_read2_b64 v[83:86], v82 offset0:73 offset1:74
	ds_read2_b64 v[87:90], v82 offset0:75 offset1:76
	s_waitcnt vmcnt(12) lgkmcnt(1)
	v_fma_f64 v[83:84], v[125:126], v[83:84], v[91:92]
	s_waitcnt vmcnt(11)
	v_fma_f64 v[83:84], v[123:124], v[85:86], v[83:84]
	s_waitcnt vmcnt(10) lgkmcnt(0)
	v_fma_f64 v[83:84], v[121:122], v[87:88], v[83:84]
	s_waitcnt vmcnt(5)
	v_fma_f64 v[87:88], v[93:94], v[89:90], v[83:84]
	ds_read2_b64 v[83:86], v82 offset0:77 offset1:78
	ds_read_b64 v[89:90], v82 offset:632
	s_waitcnt vmcnt(4) lgkmcnt(1)
	v_fma_f64 v[83:84], v[99:100], v[83:84], v[87:88]
	s_waitcnt vmcnt(3)
	v_fma_f64 v[83:84], v[97:98], v[85:86], v[83:84]
	s_waitcnt vmcnt(2) lgkmcnt(0)
	v_fma_f64 v[83:84], v[95:96], v[89:90], v[83:84]
	s_waitcnt vmcnt(0)
	v_add_f64 v[83:84], v[101:102], -v[83:84]
	buffer_store_dword v84, off, s[0:3], 0 offset:132
	buffer_store_dword v83, off, s[0:3], 0 offset:128
	v_cmpx_lt_u32_e32 15, v0
	s_cbranch_execz .LBB39_219
; %bb.218:
	s_clause 0x1
	buffer_load_dword v83, off, s[0:3], 0 offset:120
	buffer_load_dword v84, off, s[0:3], 0 offset:124
	buffer_store_dword v82, off, s[0:3], 0 offset:120
	buffer_store_dword v82, off, s[0:3], 0 offset:124
	s_waitcnt vmcnt(0)
	ds_write_b64 v81, v[83:84]
.LBB39_219:
	s_or_b32 exec_lo, exec_lo, s4
	s_waitcnt lgkmcnt(0)
	s_waitcnt_vscnt null, 0x0
	s_barrier
	buffer_gl0_inv
	s_clause 0x1c
	buffer_load_dword v91, off, s[0:3], 0 offset:128
	buffer_load_dword v92, off, s[0:3], 0 offset:132
	;; [unrolled: 1-line block ×29, first 2 shown]
	ds_read_b128 v[83:86], v82 offset:448
	ds_read_b128 v[87:90], v82 offset:464
	buffer_load_dword v116, off, s[0:3], 0 offset:244
	s_mov_b32 s4, exec_lo
	s_waitcnt vmcnt(28) lgkmcnt(1)
	v_fma_f64 v[83:84], v[91:92], v[83:84], 0
	s_clause 0x7
	buffer_load_dword v92, off, s[0:3], 0 offset:252
	buffer_load_dword v121, off, s[0:3], 0 offset:272
	;; [unrolled: 1-line block ×8, first 2 shown]
	s_waitcnt vmcnt(34)
	v_fma_f64 v[83:84], v[93:94], v[85:86], v[83:84]
	s_waitcnt vmcnt(32) lgkmcnt(0)
	v_fma_f64 v[83:84], v[95:96], v[87:88], v[83:84]
	s_waitcnt vmcnt(30)
	v_fma_f64 v[93:94], v[97:98], v[89:90], v[83:84]
	ds_read_b128 v[83:86], v82 offset:480
	ds_read_b128 v[87:90], v82 offset:496
	s_waitcnt vmcnt(28) lgkmcnt(1)
	v_fma_f64 v[83:84], v[99:100], v[83:84], v[93:94]
	s_clause 0x7
	buffer_load_dword v94, off, s[0:3], 0 offset:284
	buffer_load_dword v95, off, s[0:3], 0 offset:304
	;; [unrolled: 1-line block ×8, first 2 shown]
	s_waitcnt vmcnt(34)
	v_fma_f64 v[83:84], v[101:102], v[85:86], v[83:84]
	s_waitcnt vmcnt(32) lgkmcnt(0)
	v_fma_f64 v[83:84], v[103:104], v[87:88], v[83:84]
	s_waitcnt vmcnt(27)
	v_fma_f64 v[101:102], v[105:106], v[89:90], v[83:84]
	ds_read_b128 v[83:86], v82 offset:512
	ds_read_b128 v[87:90], v82 offset:528
	s_waitcnt vmcnt(26) lgkmcnt(1)
	v_fma_f64 v[83:84], v[111:112], v[83:84], v[101:102]
	s_clause 0x3
	buffer_load_dword v102, off, s[0:3], 0 offset:316
	buffer_load_dword v101, off, s[0:3], 0 offset:312
	;; [unrolled: 1-line block ×4, first 2 shown]
	s_waitcnt vmcnt(29)
	v_fma_f64 v[83:84], v[109:110], v[85:86], v[83:84]
	s_waitcnt vmcnt(28) lgkmcnt(0)
	v_fma_f64 v[83:84], v[107:108], v[87:88], v[83:84]
	s_waitcnt vmcnt(23)
	v_fma_f64 v[105:106], v[113:114], v[89:90], v[83:84]
	ds_read_b128 v[83:86], v82 offset:544
	ds_read_b128 v[87:90], v82 offset:560
	s_waitcnt vmcnt(22) lgkmcnt(1)
	v_fma_f64 v[83:84], v[119:120], v[83:84], v[105:106]
	s_waitcnt vmcnt(21)
	v_fma_f64 v[83:84], v[117:118], v[85:86], v[83:84]
	s_waitcnt vmcnt(20) lgkmcnt(0)
	v_fma_f64 v[83:84], v[115:116], v[87:88], v[83:84]
	s_waitcnt vmcnt(15)
	v_fma_f64 v[91:92], v[91:92], v[89:90], v[83:84]
	ds_read_b128 v[83:86], v82 offset:576
	ds_read_b128 v[87:90], v82 offset:592
	s_waitcnt vmcnt(14) lgkmcnt(1)
	v_fma_f64 v[83:84], v[125:126], v[83:84], v[91:92]
	;; [unrolled: 10-line block ×3, first 2 shown]
	s_waitcnt vmcnt(5)
	v_fma_f64 v[82:83], v[97:98], v[85:86], v[82:83]
	s_waitcnt vmcnt(4) lgkmcnt(0)
	v_fma_f64 v[82:83], v[95:96], v[87:88], v[82:83]
	s_waitcnt vmcnt(2)
	v_fma_f64 v[82:83], v[101:102], v[89:90], v[82:83]
	s_waitcnt vmcnt(0)
	v_add_f64 v[82:83], v[103:104], -v[82:83]
	buffer_store_dword v83, off, s[0:3], 0 offset:124
	buffer_store_dword v82, off, s[0:3], 0 offset:120
	v_cmpx_lt_u32_e32 14, v0
	s_cbranch_execz .LBB39_221
; %bb.220:
	s_clause 0x1
	buffer_load_dword v82, off, s[0:3], 0 offset:112
	buffer_load_dword v83, off, s[0:3], 0 offset:116
	v_mov_b32_e32 v84, 0
	buffer_store_dword v84, off, s[0:3], 0 offset:112
	buffer_store_dword v84, off, s[0:3], 0 offset:116
	s_waitcnt vmcnt(0)
	ds_write_b64 v81, v[82:83]
.LBB39_221:
	s_or_b32 exec_lo, exec_lo, s4
	s_waitcnt lgkmcnt(0)
	s_waitcnt_vscnt null, 0x0
	s_barrier
	buffer_gl0_inv
	s_clause 0x1c
	buffer_load_dword v91, off, s[0:3], 0 offset:120
	buffer_load_dword v92, off, s[0:3], 0 offset:124
	;; [unrolled: 1-line block ×29, first 2 shown]
	v_mov_b32_e32 v82, 0
	buffer_load_dword v116, off, s[0:3], 0 offset:236
	s_mov_b32 s4, exec_lo
	ds_read2_b64 v[83:86], v82 offset0:55 offset1:56
	ds_read2_b64 v[87:90], v82 offset0:57 offset1:58
	s_waitcnt vmcnt(28) lgkmcnt(1)
	v_fma_f64 v[83:84], v[91:92], v[83:84], 0
	s_clause 0x7
	buffer_load_dword v92, off, s[0:3], 0 offset:244
	buffer_load_dword v121, off, s[0:3], 0 offset:264
	;; [unrolled: 1-line block ×8, first 2 shown]
	s_waitcnt vmcnt(34)
	v_fma_f64 v[83:84], v[93:94], v[85:86], v[83:84]
	s_waitcnt vmcnt(32) lgkmcnt(0)
	v_fma_f64 v[83:84], v[95:96], v[87:88], v[83:84]
	s_waitcnt vmcnt(30)
	v_fma_f64 v[93:94], v[97:98], v[89:90], v[83:84]
	ds_read2_b64 v[83:86], v82 offset0:59 offset1:60
	ds_read2_b64 v[87:90], v82 offset0:61 offset1:62
	s_waitcnt vmcnt(28) lgkmcnt(1)
	v_fma_f64 v[83:84], v[99:100], v[83:84], v[93:94]
	s_clause 0x7
	buffer_load_dword v94, off, s[0:3], 0 offset:276
	buffer_load_dword v95, off, s[0:3], 0 offset:296
	;; [unrolled: 1-line block ×8, first 2 shown]
	s_waitcnt vmcnt(34)
	v_fma_f64 v[83:84], v[101:102], v[85:86], v[83:84]
	s_waitcnt vmcnt(32) lgkmcnt(0)
	v_fma_f64 v[83:84], v[103:104], v[87:88], v[83:84]
	s_waitcnt vmcnt(27)
	v_fma_f64 v[101:102], v[105:106], v[89:90], v[83:84]
	ds_read2_b64 v[83:86], v82 offset0:63 offset1:64
	ds_read2_b64 v[87:90], v82 offset0:65 offset1:66
	s_waitcnt vmcnt(26) lgkmcnt(1)
	v_fma_f64 v[83:84], v[111:112], v[83:84], v[101:102]
	s_clause 0x5
	buffer_load_dword v102, off, s[0:3], 0 offset:308
	buffer_load_dword v103, off, s[0:3], 0 offset:312
	;; [unrolled: 1-line block ×6, first 2 shown]
	s_waitcnt vmcnt(31)
	v_fma_f64 v[83:84], v[109:110], v[85:86], v[83:84]
	s_waitcnt vmcnt(30) lgkmcnt(0)
	v_fma_f64 v[83:84], v[107:108], v[87:88], v[83:84]
	s_waitcnt vmcnt(25)
	v_fma_f64 v[107:108], v[113:114], v[89:90], v[83:84]
	ds_read2_b64 v[83:86], v82 offset0:67 offset1:68
	ds_read2_b64 v[87:90], v82 offset0:69 offset1:70
	s_waitcnt vmcnt(24) lgkmcnt(1)
	v_fma_f64 v[83:84], v[119:120], v[83:84], v[107:108]
	s_waitcnt vmcnt(23)
	v_fma_f64 v[83:84], v[117:118], v[85:86], v[83:84]
	s_waitcnt vmcnt(22) lgkmcnt(0)
	v_fma_f64 v[83:84], v[115:116], v[87:88], v[83:84]
	s_waitcnt vmcnt(17)
	v_fma_f64 v[91:92], v[91:92], v[89:90], v[83:84]
	ds_read2_b64 v[83:86], v82 offset0:71 offset1:72
	ds_read2_b64 v[87:90], v82 offset0:73 offset1:74
	s_waitcnt vmcnt(16) lgkmcnt(1)
	v_fma_f64 v[83:84], v[125:126], v[83:84], v[91:92]
	;; [unrolled: 10-line block ×3, first 2 shown]
	s_waitcnt vmcnt(7)
	v_fma_f64 v[83:84], v[97:98], v[85:86], v[83:84]
	ds_read_b64 v[85:86], v82 offset:632
	s_waitcnt vmcnt(6) lgkmcnt(1)
	v_fma_f64 v[83:84], v[95:96], v[87:88], v[83:84]
	s_waitcnt vmcnt(3)
	v_fma_f64 v[83:84], v[101:102], v[89:90], v[83:84]
	s_waitcnt vmcnt(2) lgkmcnt(0)
	v_fma_f64 v[83:84], v[103:104], v[85:86], v[83:84]
	s_waitcnt vmcnt(0)
	v_add_f64 v[83:84], v[105:106], -v[83:84]
	buffer_store_dword v84, off, s[0:3], 0 offset:116
	buffer_store_dword v83, off, s[0:3], 0 offset:112
	v_cmpx_lt_u32_e32 13, v0
	s_cbranch_execz .LBB39_223
; %bb.222:
	s_clause 0x1
	buffer_load_dword v83, off, s[0:3], 0 offset:104
	buffer_load_dword v84, off, s[0:3], 0 offset:108
	buffer_store_dword v82, off, s[0:3], 0 offset:104
	buffer_store_dword v82, off, s[0:3], 0 offset:108
	s_waitcnt vmcnt(0)
	ds_write_b64 v81, v[83:84]
.LBB39_223:
	s_or_b32 exec_lo, exec_lo, s4
	s_waitcnt lgkmcnt(0)
	s_waitcnt_vscnt null, 0x0
	s_barrier
	buffer_gl0_inv
	s_clause 0x1c
	buffer_load_dword v91, off, s[0:3], 0 offset:112
	buffer_load_dword v92, off, s[0:3], 0 offset:116
	;; [unrolled: 1-line block ×29, first 2 shown]
	ds_read_b128 v[83:86], v82 offset:432
	ds_read_b128 v[87:90], v82 offset:448
	buffer_load_dword v116, off, s[0:3], 0 offset:228
	s_mov_b32 s4, exec_lo
	s_waitcnt vmcnt(28) lgkmcnt(1)
	v_fma_f64 v[83:84], v[91:92], v[83:84], 0
	s_clause 0x7
	buffer_load_dword v92, off, s[0:3], 0 offset:236
	buffer_load_dword v121, off, s[0:3], 0 offset:256
	;; [unrolled: 1-line block ×8, first 2 shown]
	s_waitcnt vmcnt(34)
	v_fma_f64 v[83:84], v[93:94], v[85:86], v[83:84]
	s_waitcnt vmcnt(32) lgkmcnt(0)
	v_fma_f64 v[83:84], v[95:96], v[87:88], v[83:84]
	s_waitcnt vmcnt(30)
	v_fma_f64 v[93:94], v[97:98], v[89:90], v[83:84]
	ds_read_b128 v[83:86], v82 offset:464
	ds_read_b128 v[87:90], v82 offset:480
	s_waitcnt vmcnt(28) lgkmcnt(1)
	v_fma_f64 v[83:84], v[99:100], v[83:84], v[93:94]
	s_clause 0x7
	buffer_load_dword v94, off, s[0:3], 0 offset:268
	buffer_load_dword v95, off, s[0:3], 0 offset:288
	;; [unrolled: 1-line block ×8, first 2 shown]
	s_waitcnt vmcnt(34)
	v_fma_f64 v[83:84], v[101:102], v[85:86], v[83:84]
	s_waitcnt vmcnt(32) lgkmcnt(0)
	v_fma_f64 v[83:84], v[103:104], v[87:88], v[83:84]
	s_waitcnt vmcnt(27)
	v_fma_f64 v[101:102], v[105:106], v[89:90], v[83:84]
	ds_read_b128 v[83:86], v82 offset:496
	ds_read_b128 v[87:90], v82 offset:512
	s_waitcnt vmcnt(26) lgkmcnt(1)
	v_fma_f64 v[83:84], v[111:112], v[83:84], v[101:102]
	s_clause 0x5
	buffer_load_dword v102, off, s[0:3], 0 offset:300
	buffer_load_dword v103, off, s[0:3], 0 offset:312
	;; [unrolled: 1-line block ×6, first 2 shown]
	s_waitcnt vmcnt(31)
	v_fma_f64 v[83:84], v[109:110], v[85:86], v[83:84]
	s_waitcnt vmcnt(30) lgkmcnt(0)
	v_fma_f64 v[83:84], v[107:108], v[87:88], v[83:84]
	s_waitcnt vmcnt(25)
	v_fma_f64 v[107:108], v[113:114], v[89:90], v[83:84]
	ds_read_b128 v[83:86], v82 offset:528
	s_clause 0x1
	buffer_load_dword v109, off, s[0:3], 0 offset:104
	buffer_load_dword v110, off, s[0:3], 0 offset:108
	ds_read_b128 v[87:90], v82 offset:544
	s_waitcnt vmcnt(26) lgkmcnt(1)
	v_fma_f64 v[83:84], v[119:120], v[83:84], v[107:108]
	s_waitcnt vmcnt(25)
	v_fma_f64 v[83:84], v[117:118], v[85:86], v[83:84]
	s_waitcnt vmcnt(24) lgkmcnt(0)
	v_fma_f64 v[83:84], v[115:116], v[87:88], v[83:84]
	s_waitcnt vmcnt(19)
	v_fma_f64 v[91:92], v[91:92], v[89:90], v[83:84]
	ds_read_b128 v[83:86], v82 offset:560
	ds_read_b128 v[87:90], v82 offset:576
	s_waitcnt vmcnt(18) lgkmcnt(1)
	v_fma_f64 v[83:84], v[125:126], v[83:84], v[91:92]
	s_waitcnt vmcnt(17)
	v_fma_f64 v[83:84], v[123:124], v[85:86], v[83:84]
	s_waitcnt vmcnt(16) lgkmcnt(0)
	v_fma_f64 v[83:84], v[121:122], v[87:88], v[83:84]
	s_waitcnt vmcnt(11)
	v_fma_f64 v[91:92], v[93:94], v[89:90], v[83:84]
	ds_read_b128 v[83:86], v82 offset:592
	;; [unrolled: 10-line block ×3, first 2 shown]
	s_waitcnt vmcnt(3) lgkmcnt(0)
	v_fma_f64 v[82:83], v[105:106], v[82:83], v[86:87]
	s_waitcnt vmcnt(2)
	v_fma_f64 v[82:83], v[103:104], v[84:85], v[82:83]
	s_waitcnt vmcnt(0)
	v_add_f64 v[82:83], v[109:110], -v[82:83]
	buffer_store_dword v83, off, s[0:3], 0 offset:108
	buffer_store_dword v82, off, s[0:3], 0 offset:104
	v_cmpx_lt_u32_e32 12, v0
	s_cbranch_execz .LBB39_225
; %bb.224:
	s_clause 0x1
	buffer_load_dword v82, off, s[0:3], 0 offset:96
	buffer_load_dword v83, off, s[0:3], 0 offset:100
	v_mov_b32_e32 v84, 0
	buffer_store_dword v84, off, s[0:3], 0 offset:96
	buffer_store_dword v84, off, s[0:3], 0 offset:100
	s_waitcnt vmcnt(0)
	ds_write_b64 v81, v[82:83]
.LBB39_225:
	s_or_b32 exec_lo, exec_lo, s4
	s_waitcnt lgkmcnt(0)
	s_waitcnt_vscnt null, 0x0
	s_barrier
	buffer_gl0_inv
	s_clause 0x1c
	buffer_load_dword v91, off, s[0:3], 0 offset:104
	buffer_load_dword v92, off, s[0:3], 0 offset:108
	;; [unrolled: 1-line block ×29, first 2 shown]
	v_mov_b32_e32 v82, 0
	buffer_load_dword v116, off, s[0:3], 0 offset:220
	s_mov_b32 s4, exec_lo
	ds_read2_b64 v[83:86], v82 offset0:53 offset1:54
	ds_read2_b64 v[87:90], v82 offset0:55 offset1:56
	s_waitcnt vmcnt(28) lgkmcnt(1)
	v_fma_f64 v[83:84], v[91:92], v[83:84], 0
	s_clause 0x7
	buffer_load_dword v92, off, s[0:3], 0 offset:228
	buffer_load_dword v121, off, s[0:3], 0 offset:248
	buffer_load_dword v123, off, s[0:3], 0 offset:240
	buffer_load_dword v125, off, s[0:3], 0 offset:232
	buffer_load_dword v91, off, s[0:3], 0 offset:224
	buffer_load_dword v126, off, s[0:3], 0 offset:236
	buffer_load_dword v124, off, s[0:3], 0 offset:244
	buffer_load_dword v122, off, s[0:3], 0 offset:252
	s_waitcnt vmcnt(34)
	v_fma_f64 v[83:84], v[93:94], v[85:86], v[83:84]
	s_waitcnt vmcnt(32) lgkmcnt(0)
	v_fma_f64 v[83:84], v[95:96], v[87:88], v[83:84]
	s_waitcnt vmcnt(30)
	v_fma_f64 v[93:94], v[97:98], v[89:90], v[83:84]
	ds_read2_b64 v[83:86], v82 offset0:57 offset1:58
	ds_read2_b64 v[87:90], v82 offset0:59 offset1:60
	s_waitcnt vmcnt(28) lgkmcnt(1)
	v_fma_f64 v[83:84], v[99:100], v[83:84], v[93:94]
	s_clause 0x7
	buffer_load_dword v94, off, s[0:3], 0 offset:260
	buffer_load_dword v95, off, s[0:3], 0 offset:280
	buffer_load_dword v97, off, s[0:3], 0 offset:272
	buffer_load_dword v99, off, s[0:3], 0 offset:264
	buffer_load_dword v93, off, s[0:3], 0 offset:256
	buffer_load_dword v100, off, s[0:3], 0 offset:268
	buffer_load_dword v98, off, s[0:3], 0 offset:276
	buffer_load_dword v96, off, s[0:3], 0 offset:284
	s_waitcnt vmcnt(34)
	v_fma_f64 v[83:84], v[101:102], v[85:86], v[83:84]
	s_waitcnt vmcnt(32) lgkmcnt(0)
	v_fma_f64 v[83:84], v[103:104], v[87:88], v[83:84]
	s_waitcnt vmcnt(27)
	v_fma_f64 v[101:102], v[105:106], v[89:90], v[83:84]
	ds_read2_b64 v[83:86], v82 offset0:61 offset1:62
	ds_read2_b64 v[87:90], v82 offset0:63 offset1:64
	s_waitcnt vmcnt(26) lgkmcnt(1)
	v_fma_f64 v[83:84], v[111:112], v[83:84], v[101:102]
	s_clause 0x7
	buffer_load_dword v102, off, s[0:3], 0 offset:292
	buffer_load_dword v103, off, s[0:3], 0 offset:312
	buffer_load_dword v105, off, s[0:3], 0 offset:304
	buffer_load_dword v111, off, s[0:3], 0 offset:296
	buffer_load_dword v101, off, s[0:3], 0 offset:288
	buffer_load_dword v112, off, s[0:3], 0 offset:300
	buffer_load_dword v106, off, s[0:3], 0 offset:308
	buffer_load_dword v104, off, s[0:3], 0 offset:316
	s_waitcnt vmcnt(33)
	v_fma_f64 v[83:84], v[109:110], v[85:86], v[83:84]
	s_waitcnt vmcnt(32) lgkmcnt(0)
	v_fma_f64 v[83:84], v[107:108], v[87:88], v[83:84]
	s_waitcnt vmcnt(27)
	v_fma_f64 v[107:108], v[113:114], v[89:90], v[83:84]
	ds_read2_b64 v[83:86], v82 offset0:65 offset1:66
	ds_read2_b64 v[87:90], v82 offset0:67 offset1:68
	s_waitcnt vmcnt(26) lgkmcnt(1)
	v_fma_f64 v[83:84], v[119:120], v[83:84], v[107:108]
	s_clause 0x1
	buffer_load_dword v107, off, s[0:3], 0 offset:96
	buffer_load_dword v108, off, s[0:3], 0 offset:100
	s_waitcnt vmcnt(27)
	v_fma_f64 v[83:84], v[117:118], v[85:86], v[83:84]
	s_waitcnt vmcnt(26) lgkmcnt(0)
	v_fma_f64 v[83:84], v[115:116], v[87:88], v[83:84]
	s_waitcnt vmcnt(21)
	v_fma_f64 v[91:92], v[91:92], v[89:90], v[83:84]
	ds_read2_b64 v[83:86], v82 offset0:69 offset1:70
	ds_read2_b64 v[87:90], v82 offset0:71 offset1:72
	s_waitcnt vmcnt(20) lgkmcnt(1)
	v_fma_f64 v[83:84], v[125:126], v[83:84], v[91:92]
	s_waitcnt vmcnt(19)
	v_fma_f64 v[83:84], v[123:124], v[85:86], v[83:84]
	s_waitcnt vmcnt(18) lgkmcnt(0)
	v_fma_f64 v[83:84], v[121:122], v[87:88], v[83:84]
	s_waitcnt vmcnt(13)
	v_fma_f64 v[91:92], v[93:94], v[89:90], v[83:84]
	ds_read2_b64 v[83:86], v82 offset0:73 offset1:74
	ds_read2_b64 v[87:90], v82 offset0:75 offset1:76
	s_waitcnt vmcnt(12) lgkmcnt(1)
	v_fma_f64 v[83:84], v[99:100], v[83:84], v[91:92]
	s_waitcnt vmcnt(11)
	v_fma_f64 v[83:84], v[97:98], v[85:86], v[83:84]
	s_waitcnt vmcnt(10) lgkmcnt(0)
	v_fma_f64 v[83:84], v[95:96], v[87:88], v[83:84]
	s_waitcnt vmcnt(5)
	v_fma_f64 v[87:88], v[101:102], v[89:90], v[83:84]
	ds_read2_b64 v[83:86], v82 offset0:77 offset1:78
	ds_read_b64 v[89:90], v82 offset:632
	s_waitcnt vmcnt(4) lgkmcnt(1)
	v_fma_f64 v[83:84], v[111:112], v[83:84], v[87:88]
	s_waitcnt vmcnt(3)
	v_fma_f64 v[83:84], v[105:106], v[85:86], v[83:84]
	s_waitcnt vmcnt(2) lgkmcnt(0)
	v_fma_f64 v[83:84], v[103:104], v[89:90], v[83:84]
	s_waitcnt vmcnt(0)
	v_add_f64 v[83:84], v[107:108], -v[83:84]
	buffer_store_dword v84, off, s[0:3], 0 offset:100
	buffer_store_dword v83, off, s[0:3], 0 offset:96
	v_cmpx_lt_u32_e32 11, v0
	s_cbranch_execz .LBB39_227
; %bb.226:
	s_clause 0x1
	buffer_load_dword v83, off, s[0:3], 0 offset:88
	buffer_load_dword v84, off, s[0:3], 0 offset:92
	buffer_store_dword v82, off, s[0:3], 0 offset:88
	buffer_store_dword v82, off, s[0:3], 0 offset:92
	s_waitcnt vmcnt(0)
	ds_write_b64 v81, v[83:84]
.LBB39_227:
	s_or_b32 exec_lo, exec_lo, s4
	s_waitcnt lgkmcnt(0)
	s_waitcnt_vscnt null, 0x0
	s_barrier
	buffer_gl0_inv
	s_clause 0x1c
	buffer_load_dword v91, off, s[0:3], 0 offset:96
	buffer_load_dword v92, off, s[0:3], 0 offset:100
	;; [unrolled: 1-line block ×29, first 2 shown]
	ds_read_b128 v[83:86], v82 offset:416
	ds_read_b128 v[87:90], v82 offset:432
	buffer_load_dword v116, off, s[0:3], 0 offset:212
	s_mov_b32 s4, exec_lo
	s_waitcnt vmcnt(28) lgkmcnt(1)
	v_fma_f64 v[83:84], v[91:92], v[83:84], 0
	s_clause 0x7
	buffer_load_dword v92, off, s[0:3], 0 offset:220
	buffer_load_dword v121, off, s[0:3], 0 offset:240
	buffer_load_dword v123, off, s[0:3], 0 offset:232
	buffer_load_dword v125, off, s[0:3], 0 offset:224
	buffer_load_dword v91, off, s[0:3], 0 offset:216
	buffer_load_dword v126, off, s[0:3], 0 offset:228
	buffer_load_dword v124, off, s[0:3], 0 offset:236
	buffer_load_dword v122, off, s[0:3], 0 offset:244
	s_waitcnt vmcnt(34)
	v_fma_f64 v[83:84], v[93:94], v[85:86], v[83:84]
	s_waitcnt vmcnt(32) lgkmcnt(0)
	v_fma_f64 v[83:84], v[95:96], v[87:88], v[83:84]
	s_waitcnt vmcnt(30)
	v_fma_f64 v[93:94], v[97:98], v[89:90], v[83:84]
	ds_read_b128 v[83:86], v82 offset:448
	ds_read_b128 v[87:90], v82 offset:464
	s_waitcnt vmcnt(28) lgkmcnt(1)
	v_fma_f64 v[83:84], v[99:100], v[83:84], v[93:94]
	s_clause 0x7
	buffer_load_dword v94, off, s[0:3], 0 offset:252
	buffer_load_dword v95, off, s[0:3], 0 offset:272
	buffer_load_dword v97, off, s[0:3], 0 offset:264
	buffer_load_dword v99, off, s[0:3], 0 offset:256
	buffer_load_dword v93, off, s[0:3], 0 offset:248
	buffer_load_dword v100, off, s[0:3], 0 offset:260
	buffer_load_dword v98, off, s[0:3], 0 offset:268
	buffer_load_dword v96, off, s[0:3], 0 offset:276
	s_waitcnt vmcnt(34)
	v_fma_f64 v[83:84], v[101:102], v[85:86], v[83:84]
	s_waitcnt vmcnt(32) lgkmcnt(0)
	v_fma_f64 v[83:84], v[103:104], v[87:88], v[83:84]
	s_waitcnt vmcnt(27)
	v_fma_f64 v[101:102], v[105:106], v[89:90], v[83:84]
	ds_read_b128 v[83:86], v82 offset:480
	ds_read_b128 v[87:90], v82 offset:496
	;; [unrolled: 19-line block ×3, first 2 shown]
	s_waitcnt vmcnt(26) lgkmcnt(1)
	v_fma_f64 v[83:84], v[119:120], v[83:84], v[107:108]
	s_clause 0x3
	buffer_load_dword v108, off, s[0:3], 0 offset:316
	buffer_load_dword v107, off, s[0:3], 0 offset:312
	;; [unrolled: 1-line block ×4, first 2 shown]
	s_waitcnt vmcnt(29)
	v_fma_f64 v[83:84], v[117:118], v[85:86], v[83:84]
	s_waitcnt vmcnt(28) lgkmcnt(0)
	v_fma_f64 v[83:84], v[115:116], v[87:88], v[83:84]
	s_waitcnt vmcnt(23)
	v_fma_f64 v[91:92], v[91:92], v[89:90], v[83:84]
	ds_read_b128 v[83:86], v82 offset:544
	ds_read_b128 v[87:90], v82 offset:560
	s_waitcnt vmcnt(22) lgkmcnt(1)
	v_fma_f64 v[83:84], v[125:126], v[83:84], v[91:92]
	s_waitcnt vmcnt(21)
	v_fma_f64 v[83:84], v[123:124], v[85:86], v[83:84]
	s_waitcnt vmcnt(20) lgkmcnt(0)
	v_fma_f64 v[83:84], v[121:122], v[87:88], v[83:84]
	s_waitcnt vmcnt(15)
	v_fma_f64 v[91:92], v[93:94], v[89:90], v[83:84]
	ds_read_b128 v[83:86], v82 offset:576
	ds_read_b128 v[87:90], v82 offset:592
	s_waitcnt vmcnt(14) lgkmcnt(1)
	v_fma_f64 v[83:84], v[99:100], v[83:84], v[91:92]
	;; [unrolled: 10-line block ×3, first 2 shown]
	s_waitcnt vmcnt(5)
	v_fma_f64 v[82:83], v[105:106], v[85:86], v[82:83]
	s_waitcnt vmcnt(4) lgkmcnt(0)
	v_fma_f64 v[82:83], v[103:104], v[87:88], v[82:83]
	s_waitcnt vmcnt(2)
	v_fma_f64 v[82:83], v[107:108], v[89:90], v[82:83]
	s_waitcnt vmcnt(0)
	v_add_f64 v[82:83], v[109:110], -v[82:83]
	buffer_store_dword v83, off, s[0:3], 0 offset:92
	buffer_store_dword v82, off, s[0:3], 0 offset:88
	v_cmpx_lt_u32_e32 10, v0
	s_cbranch_execz .LBB39_229
; %bb.228:
	s_clause 0x1
	buffer_load_dword v82, off, s[0:3], 0 offset:80
	buffer_load_dword v83, off, s[0:3], 0 offset:84
	v_mov_b32_e32 v84, 0
	buffer_store_dword v84, off, s[0:3], 0 offset:80
	buffer_store_dword v84, off, s[0:3], 0 offset:84
	s_waitcnt vmcnt(0)
	ds_write_b64 v81, v[82:83]
.LBB39_229:
	s_or_b32 exec_lo, exec_lo, s4
	s_waitcnt lgkmcnt(0)
	s_waitcnt_vscnt null, 0x0
	s_barrier
	buffer_gl0_inv
	s_clause 0x1c
	buffer_load_dword v91, off, s[0:3], 0 offset:88
	buffer_load_dword v92, off, s[0:3], 0 offset:92
	;; [unrolled: 1-line block ×29, first 2 shown]
	v_mov_b32_e32 v82, 0
	buffer_load_dword v116, off, s[0:3], 0 offset:204
	s_mov_b32 s4, exec_lo
	ds_read2_b64 v[83:86], v82 offset0:51 offset1:52
	ds_read2_b64 v[87:90], v82 offset0:53 offset1:54
	s_waitcnt vmcnt(28) lgkmcnt(1)
	v_fma_f64 v[83:84], v[91:92], v[83:84], 0
	s_clause 0x7
	buffer_load_dword v92, off, s[0:3], 0 offset:212
	buffer_load_dword v121, off, s[0:3], 0 offset:232
	buffer_load_dword v123, off, s[0:3], 0 offset:224
	buffer_load_dword v125, off, s[0:3], 0 offset:216
	buffer_load_dword v91, off, s[0:3], 0 offset:208
	buffer_load_dword v126, off, s[0:3], 0 offset:220
	buffer_load_dword v124, off, s[0:3], 0 offset:228
	buffer_load_dword v122, off, s[0:3], 0 offset:236
	s_waitcnt vmcnt(34)
	v_fma_f64 v[83:84], v[93:94], v[85:86], v[83:84]
	s_waitcnt vmcnt(32) lgkmcnt(0)
	v_fma_f64 v[83:84], v[95:96], v[87:88], v[83:84]
	s_waitcnt vmcnt(30)
	v_fma_f64 v[93:94], v[97:98], v[89:90], v[83:84]
	ds_read2_b64 v[83:86], v82 offset0:55 offset1:56
	ds_read2_b64 v[87:90], v82 offset0:57 offset1:58
	s_waitcnt vmcnt(28) lgkmcnt(1)
	v_fma_f64 v[83:84], v[99:100], v[83:84], v[93:94]
	s_clause 0x7
	buffer_load_dword v94, off, s[0:3], 0 offset:244
	buffer_load_dword v95, off, s[0:3], 0 offset:264
	buffer_load_dword v97, off, s[0:3], 0 offset:256
	buffer_load_dword v99, off, s[0:3], 0 offset:248
	buffer_load_dword v93, off, s[0:3], 0 offset:240
	buffer_load_dword v100, off, s[0:3], 0 offset:252
	buffer_load_dword v98, off, s[0:3], 0 offset:260
	buffer_load_dword v96, off, s[0:3], 0 offset:268
	s_waitcnt vmcnt(34)
	v_fma_f64 v[83:84], v[101:102], v[85:86], v[83:84]
	s_waitcnt vmcnt(32) lgkmcnt(0)
	v_fma_f64 v[83:84], v[103:104], v[87:88], v[83:84]
	s_waitcnt vmcnt(27)
	v_fma_f64 v[101:102], v[105:106], v[89:90], v[83:84]
	;; [unrolled: 19-line block ×3, first 2 shown]
	ds_read2_b64 v[83:86], v82 offset0:63 offset1:64
	ds_read2_b64 v[87:90], v82 offset0:65 offset1:66
	s_waitcnt vmcnt(26) lgkmcnt(1)
	v_fma_f64 v[83:84], v[119:120], v[83:84], v[107:108]
	s_clause 0x5
	buffer_load_dword v108, off, s[0:3], 0 offset:308
	buffer_load_dword v109, off, s[0:3], 0 offset:312
	;; [unrolled: 1-line block ×6, first 2 shown]
	s_waitcnt vmcnt(31)
	v_fma_f64 v[83:84], v[117:118], v[85:86], v[83:84]
	s_waitcnt vmcnt(30) lgkmcnt(0)
	v_fma_f64 v[83:84], v[115:116], v[87:88], v[83:84]
	s_waitcnt vmcnt(25)
	v_fma_f64 v[91:92], v[91:92], v[89:90], v[83:84]
	ds_read2_b64 v[83:86], v82 offset0:67 offset1:68
	ds_read2_b64 v[87:90], v82 offset0:69 offset1:70
	s_waitcnt vmcnt(24) lgkmcnt(1)
	v_fma_f64 v[83:84], v[125:126], v[83:84], v[91:92]
	s_waitcnt vmcnt(23)
	v_fma_f64 v[83:84], v[123:124], v[85:86], v[83:84]
	s_waitcnt vmcnt(22) lgkmcnt(0)
	v_fma_f64 v[83:84], v[121:122], v[87:88], v[83:84]
	s_waitcnt vmcnt(17)
	v_fma_f64 v[91:92], v[93:94], v[89:90], v[83:84]
	ds_read2_b64 v[83:86], v82 offset0:71 offset1:72
	ds_read2_b64 v[87:90], v82 offset0:73 offset1:74
	s_waitcnt vmcnt(16) lgkmcnt(1)
	v_fma_f64 v[83:84], v[99:100], v[83:84], v[91:92]
	;; [unrolled: 10-line block ×3, first 2 shown]
	s_waitcnt vmcnt(7)
	v_fma_f64 v[83:84], v[105:106], v[85:86], v[83:84]
	ds_read_b64 v[85:86], v82 offset:632
	s_waitcnt vmcnt(6) lgkmcnt(1)
	v_fma_f64 v[83:84], v[103:104], v[87:88], v[83:84]
	s_waitcnt vmcnt(3)
	v_fma_f64 v[83:84], v[107:108], v[89:90], v[83:84]
	s_waitcnt vmcnt(2) lgkmcnt(0)
	v_fma_f64 v[83:84], v[109:110], v[85:86], v[83:84]
	s_waitcnt vmcnt(0)
	v_add_f64 v[83:84], v[113:114], -v[83:84]
	buffer_store_dword v84, off, s[0:3], 0 offset:84
	buffer_store_dword v83, off, s[0:3], 0 offset:80
	v_cmpx_lt_u32_e32 9, v0
	s_cbranch_execz .LBB39_231
; %bb.230:
	s_clause 0x1
	buffer_load_dword v83, off, s[0:3], 0 offset:72
	buffer_load_dword v84, off, s[0:3], 0 offset:76
	buffer_store_dword v82, off, s[0:3], 0 offset:72
	buffer_store_dword v82, off, s[0:3], 0 offset:76
	s_waitcnt vmcnt(0)
	ds_write_b64 v81, v[83:84]
.LBB39_231:
	s_or_b32 exec_lo, exec_lo, s4
	s_waitcnt lgkmcnt(0)
	s_waitcnt_vscnt null, 0x0
	s_barrier
	buffer_gl0_inv
	s_clause 0x1c
	buffer_load_dword v91, off, s[0:3], 0 offset:80
	buffer_load_dword v92, off, s[0:3], 0 offset:84
	;; [unrolled: 1-line block ×29, first 2 shown]
	ds_read_b128 v[83:86], v82 offset:400
	ds_read_b128 v[87:90], v82 offset:416
	buffer_load_dword v116, off, s[0:3], 0 offset:196
	s_mov_b32 s4, exec_lo
	s_waitcnt vmcnt(28) lgkmcnt(1)
	v_fma_f64 v[83:84], v[91:92], v[83:84], 0
	s_clause 0x7
	buffer_load_dword v92, off, s[0:3], 0 offset:204
	buffer_load_dword v121, off, s[0:3], 0 offset:224
	buffer_load_dword v123, off, s[0:3], 0 offset:216
	buffer_load_dword v125, off, s[0:3], 0 offset:208
	buffer_load_dword v91, off, s[0:3], 0 offset:200
	buffer_load_dword v126, off, s[0:3], 0 offset:212
	buffer_load_dword v124, off, s[0:3], 0 offset:220
	buffer_load_dword v122, off, s[0:3], 0 offset:228
	s_waitcnt vmcnt(34)
	v_fma_f64 v[83:84], v[93:94], v[85:86], v[83:84]
	s_waitcnt vmcnt(32) lgkmcnt(0)
	v_fma_f64 v[83:84], v[95:96], v[87:88], v[83:84]
	s_waitcnt vmcnt(30)
	v_fma_f64 v[93:94], v[97:98], v[89:90], v[83:84]
	ds_read_b128 v[83:86], v82 offset:432
	ds_read_b128 v[87:90], v82 offset:448
	s_waitcnt vmcnt(28) lgkmcnt(1)
	v_fma_f64 v[83:84], v[99:100], v[83:84], v[93:94]
	s_clause 0x7
	buffer_load_dword v94, off, s[0:3], 0 offset:236
	buffer_load_dword v95, off, s[0:3], 0 offset:256
	buffer_load_dword v97, off, s[0:3], 0 offset:248
	buffer_load_dword v99, off, s[0:3], 0 offset:240
	buffer_load_dword v93, off, s[0:3], 0 offset:232
	buffer_load_dword v100, off, s[0:3], 0 offset:244
	buffer_load_dword v98, off, s[0:3], 0 offset:252
	buffer_load_dword v96, off, s[0:3], 0 offset:260
	s_waitcnt vmcnt(34)
	v_fma_f64 v[83:84], v[101:102], v[85:86], v[83:84]
	s_waitcnt vmcnt(32) lgkmcnt(0)
	v_fma_f64 v[83:84], v[103:104], v[87:88], v[83:84]
	s_waitcnt vmcnt(27)
	v_fma_f64 v[101:102], v[105:106], v[89:90], v[83:84]
	ds_read_b128 v[83:86], v82 offset:464
	ds_read_b128 v[87:90], v82 offset:480
	;; [unrolled: 19-line block ×3, first 2 shown]
	s_waitcnt vmcnt(26) lgkmcnt(1)
	v_fma_f64 v[83:84], v[119:120], v[83:84], v[107:108]
	s_clause 0x5
	buffer_load_dword v108, off, s[0:3], 0 offset:300
	buffer_load_dword v109, off, s[0:3], 0 offset:312
	;; [unrolled: 1-line block ×6, first 2 shown]
	s_waitcnt vmcnt(31)
	v_fma_f64 v[83:84], v[117:118], v[85:86], v[83:84]
	s_waitcnt vmcnt(30) lgkmcnt(0)
	v_fma_f64 v[83:84], v[115:116], v[87:88], v[83:84]
	s_waitcnt vmcnt(25)
	v_fma_f64 v[91:92], v[91:92], v[89:90], v[83:84]
	ds_read_b128 v[83:86], v82 offset:528
	s_clause 0x1
	buffer_load_dword v115, off, s[0:3], 0 offset:72
	buffer_load_dword v116, off, s[0:3], 0 offset:76
	ds_read_b128 v[87:90], v82 offset:544
	s_waitcnt vmcnt(26) lgkmcnt(1)
	v_fma_f64 v[83:84], v[125:126], v[83:84], v[91:92]
	s_waitcnt vmcnt(25)
	v_fma_f64 v[83:84], v[123:124], v[85:86], v[83:84]
	s_waitcnt vmcnt(24) lgkmcnt(0)
	v_fma_f64 v[83:84], v[121:122], v[87:88], v[83:84]
	s_waitcnt vmcnt(19)
	v_fma_f64 v[91:92], v[93:94], v[89:90], v[83:84]
	ds_read_b128 v[83:86], v82 offset:560
	ds_read_b128 v[87:90], v82 offset:576
	s_waitcnt vmcnt(18) lgkmcnt(1)
	v_fma_f64 v[83:84], v[99:100], v[83:84], v[91:92]
	s_waitcnt vmcnt(17)
	v_fma_f64 v[83:84], v[97:98], v[85:86], v[83:84]
	s_waitcnt vmcnt(16) lgkmcnt(0)
	v_fma_f64 v[83:84], v[95:96], v[87:88], v[83:84]
	s_waitcnt vmcnt(11)
	v_fma_f64 v[91:92], v[101:102], v[89:90], v[83:84]
	ds_read_b128 v[83:86], v82 offset:592
	;; [unrolled: 10-line block ×3, first 2 shown]
	s_waitcnt vmcnt(3) lgkmcnt(0)
	v_fma_f64 v[82:83], v[113:114], v[82:83], v[86:87]
	s_waitcnt vmcnt(2)
	v_fma_f64 v[82:83], v[109:110], v[84:85], v[82:83]
	s_waitcnt vmcnt(0)
	v_add_f64 v[82:83], v[115:116], -v[82:83]
	buffer_store_dword v83, off, s[0:3], 0 offset:76
	buffer_store_dword v82, off, s[0:3], 0 offset:72
	v_cmpx_lt_u32_e32 8, v0
	s_cbranch_execz .LBB39_233
; %bb.232:
	s_clause 0x1
	buffer_load_dword v82, off, s[0:3], 0 offset:64
	buffer_load_dword v83, off, s[0:3], 0 offset:68
	v_mov_b32_e32 v84, 0
	buffer_store_dword v84, off, s[0:3], 0 offset:64
	buffer_store_dword v84, off, s[0:3], 0 offset:68
	s_waitcnt vmcnt(0)
	ds_write_b64 v81, v[82:83]
.LBB39_233:
	s_or_b32 exec_lo, exec_lo, s4
	s_waitcnt lgkmcnt(0)
	s_waitcnt_vscnt null, 0x0
	s_barrier
	buffer_gl0_inv
	s_clause 0x1c
	buffer_load_dword v91, off, s[0:3], 0 offset:72
	buffer_load_dword v92, off, s[0:3], 0 offset:76
	;; [unrolled: 1-line block ×29, first 2 shown]
	v_mov_b32_e32 v82, 0
	buffer_load_dword v116, off, s[0:3], 0 offset:188
	s_mov_b32 s4, exec_lo
	ds_read2_b64 v[83:86], v82 offset0:49 offset1:50
	ds_read2_b64 v[87:90], v82 offset0:51 offset1:52
	s_waitcnt vmcnt(28) lgkmcnt(1)
	v_fma_f64 v[83:84], v[91:92], v[83:84], 0
	s_clause 0x7
	buffer_load_dword v92, off, s[0:3], 0 offset:196
	buffer_load_dword v121, off, s[0:3], 0 offset:216
	buffer_load_dword v123, off, s[0:3], 0 offset:208
	buffer_load_dword v125, off, s[0:3], 0 offset:200
	buffer_load_dword v91, off, s[0:3], 0 offset:192
	buffer_load_dword v126, off, s[0:3], 0 offset:204
	buffer_load_dword v124, off, s[0:3], 0 offset:212
	buffer_load_dword v122, off, s[0:3], 0 offset:220
	s_waitcnt vmcnt(34)
	v_fma_f64 v[83:84], v[93:94], v[85:86], v[83:84]
	s_waitcnt vmcnt(32) lgkmcnt(0)
	v_fma_f64 v[83:84], v[95:96], v[87:88], v[83:84]
	s_waitcnt vmcnt(30)
	v_fma_f64 v[93:94], v[97:98], v[89:90], v[83:84]
	ds_read2_b64 v[83:86], v82 offset0:53 offset1:54
	ds_read2_b64 v[87:90], v82 offset0:55 offset1:56
	s_waitcnt vmcnt(28) lgkmcnt(1)
	v_fma_f64 v[83:84], v[99:100], v[83:84], v[93:94]
	s_clause 0x7
	buffer_load_dword v94, off, s[0:3], 0 offset:228
	buffer_load_dword v95, off, s[0:3], 0 offset:248
	buffer_load_dword v97, off, s[0:3], 0 offset:240
	buffer_load_dword v99, off, s[0:3], 0 offset:232
	buffer_load_dword v93, off, s[0:3], 0 offset:224
	buffer_load_dword v100, off, s[0:3], 0 offset:236
	buffer_load_dword v98, off, s[0:3], 0 offset:244
	buffer_load_dword v96, off, s[0:3], 0 offset:252
	s_waitcnt vmcnt(34)
	v_fma_f64 v[83:84], v[101:102], v[85:86], v[83:84]
	s_waitcnt vmcnt(32) lgkmcnt(0)
	v_fma_f64 v[83:84], v[103:104], v[87:88], v[83:84]
	s_waitcnt vmcnt(27)
	v_fma_f64 v[101:102], v[105:106], v[89:90], v[83:84]
	;; [unrolled: 19-line block ×4, first 2 shown]
	ds_read2_b64 v[83:86], v82 offset0:65 offset1:66
	ds_read2_b64 v[87:90], v82 offset0:67 offset1:68
	s_waitcnt vmcnt(26) lgkmcnt(1)
	v_fma_f64 v[83:84], v[125:126], v[83:84], v[91:92]
	s_clause 0x1
	buffer_load_dword v91, off, s[0:3], 0 offset:64
	buffer_load_dword v92, off, s[0:3], 0 offset:68
	s_waitcnt vmcnt(27)
	v_fma_f64 v[83:84], v[123:124], v[85:86], v[83:84]
	s_waitcnt vmcnt(26) lgkmcnt(0)
	v_fma_f64 v[83:84], v[121:122], v[87:88], v[83:84]
	s_waitcnt vmcnt(21)
	v_fma_f64 v[93:94], v[93:94], v[89:90], v[83:84]
	ds_read2_b64 v[83:86], v82 offset0:69 offset1:70
	ds_read2_b64 v[87:90], v82 offset0:71 offset1:72
	s_waitcnt vmcnt(20) lgkmcnt(1)
	v_fma_f64 v[83:84], v[99:100], v[83:84], v[93:94]
	s_waitcnt vmcnt(19)
	v_fma_f64 v[83:84], v[97:98], v[85:86], v[83:84]
	s_waitcnt vmcnt(18) lgkmcnt(0)
	v_fma_f64 v[83:84], v[95:96], v[87:88], v[83:84]
	s_waitcnt vmcnt(13)
	v_fma_f64 v[93:94], v[101:102], v[89:90], v[83:84]
	ds_read2_b64 v[83:86], v82 offset0:73 offset1:74
	ds_read2_b64 v[87:90], v82 offset0:75 offset1:76
	s_waitcnt vmcnt(12) lgkmcnt(1)
	v_fma_f64 v[83:84], v[111:112], v[83:84], v[93:94]
	s_waitcnt vmcnt(11)
	v_fma_f64 v[83:84], v[105:106], v[85:86], v[83:84]
	s_waitcnt vmcnt(10) lgkmcnt(0)
	v_fma_f64 v[83:84], v[103:104], v[87:88], v[83:84]
	s_waitcnt vmcnt(5)
	v_fma_f64 v[87:88], v[107:108], v[89:90], v[83:84]
	ds_read2_b64 v[83:86], v82 offset0:77 offset1:78
	ds_read_b64 v[89:90], v82 offset:632
	s_waitcnt vmcnt(4) lgkmcnt(1)
	v_fma_f64 v[83:84], v[119:120], v[83:84], v[87:88]
	s_waitcnt vmcnt(3)
	v_fma_f64 v[83:84], v[113:114], v[85:86], v[83:84]
	s_waitcnt vmcnt(2) lgkmcnt(0)
	v_fma_f64 v[83:84], v[109:110], v[89:90], v[83:84]
	s_waitcnt vmcnt(0)
	v_add_f64 v[83:84], v[91:92], -v[83:84]
	buffer_store_dword v84, off, s[0:3], 0 offset:68
	buffer_store_dword v83, off, s[0:3], 0 offset:64
	v_cmpx_lt_u32_e32 7, v0
	s_cbranch_execz .LBB39_235
; %bb.234:
	s_clause 0x1
	buffer_load_dword v83, off, s[0:3], 0 offset:56
	buffer_load_dword v84, off, s[0:3], 0 offset:60
	buffer_store_dword v82, off, s[0:3], 0 offset:56
	buffer_store_dword v82, off, s[0:3], 0 offset:60
	s_waitcnt vmcnt(0)
	ds_write_b64 v81, v[83:84]
.LBB39_235:
	s_or_b32 exec_lo, exec_lo, s4
	s_waitcnt lgkmcnt(0)
	s_waitcnt_vscnt null, 0x0
	s_barrier
	buffer_gl0_inv
	s_clause 0x1c
	buffer_load_dword v91, off, s[0:3], 0 offset:64
	buffer_load_dword v92, off, s[0:3], 0 offset:68
	;; [unrolled: 1-line block ×29, first 2 shown]
	ds_read_b128 v[83:86], v82 offset:384
	ds_read_b128 v[87:90], v82 offset:400
	buffer_load_dword v116, off, s[0:3], 0 offset:180
	s_mov_b32 s4, exec_lo
	s_waitcnt vmcnt(28) lgkmcnt(1)
	v_fma_f64 v[83:84], v[91:92], v[83:84], 0
	s_clause 0x7
	buffer_load_dword v92, off, s[0:3], 0 offset:188
	buffer_load_dword v121, off, s[0:3], 0 offset:208
	buffer_load_dword v123, off, s[0:3], 0 offset:200
	buffer_load_dword v125, off, s[0:3], 0 offset:192
	buffer_load_dword v91, off, s[0:3], 0 offset:184
	buffer_load_dword v126, off, s[0:3], 0 offset:196
	buffer_load_dword v124, off, s[0:3], 0 offset:204
	buffer_load_dword v122, off, s[0:3], 0 offset:212
	s_waitcnt vmcnt(34)
	v_fma_f64 v[83:84], v[93:94], v[85:86], v[83:84]
	s_waitcnt vmcnt(32) lgkmcnt(0)
	v_fma_f64 v[83:84], v[95:96], v[87:88], v[83:84]
	s_waitcnt vmcnt(30)
	v_fma_f64 v[93:94], v[97:98], v[89:90], v[83:84]
	ds_read_b128 v[83:86], v82 offset:416
	ds_read_b128 v[87:90], v82 offset:432
	s_waitcnt vmcnt(28) lgkmcnt(1)
	v_fma_f64 v[83:84], v[99:100], v[83:84], v[93:94]
	s_clause 0x7
	buffer_load_dword v94, off, s[0:3], 0 offset:220
	buffer_load_dword v95, off, s[0:3], 0 offset:240
	buffer_load_dword v97, off, s[0:3], 0 offset:232
	buffer_load_dword v99, off, s[0:3], 0 offset:224
	buffer_load_dword v93, off, s[0:3], 0 offset:216
	buffer_load_dword v100, off, s[0:3], 0 offset:228
	buffer_load_dword v98, off, s[0:3], 0 offset:236
	buffer_load_dword v96, off, s[0:3], 0 offset:244
	s_waitcnt vmcnt(34)
	v_fma_f64 v[83:84], v[101:102], v[85:86], v[83:84]
	s_waitcnt vmcnt(32) lgkmcnt(0)
	v_fma_f64 v[83:84], v[103:104], v[87:88], v[83:84]
	s_waitcnt vmcnt(27)
	v_fma_f64 v[101:102], v[105:106], v[89:90], v[83:84]
	ds_read_b128 v[83:86], v82 offset:448
	ds_read_b128 v[87:90], v82 offset:464
	;; [unrolled: 19-line block ×4, first 2 shown]
	s_waitcnt vmcnt(26) lgkmcnt(1)
	v_fma_f64 v[83:84], v[125:126], v[83:84], v[91:92]
	s_clause 0x3
	buffer_load_dword v92, off, s[0:3], 0 offset:316
	buffer_load_dword v91, off, s[0:3], 0 offset:312
	;; [unrolled: 1-line block ×4, first 2 shown]
	s_waitcnt vmcnt(29)
	v_fma_f64 v[83:84], v[123:124], v[85:86], v[83:84]
	s_waitcnt vmcnt(28) lgkmcnt(0)
	v_fma_f64 v[83:84], v[121:122], v[87:88], v[83:84]
	s_waitcnt vmcnt(23)
	v_fma_f64 v[93:94], v[93:94], v[89:90], v[83:84]
	ds_read_b128 v[83:86], v82 offset:544
	ds_read_b128 v[87:90], v82 offset:560
	s_waitcnt vmcnt(22) lgkmcnt(1)
	v_fma_f64 v[83:84], v[99:100], v[83:84], v[93:94]
	s_waitcnt vmcnt(21)
	v_fma_f64 v[83:84], v[97:98], v[85:86], v[83:84]
	s_waitcnt vmcnt(20) lgkmcnt(0)
	v_fma_f64 v[83:84], v[95:96], v[87:88], v[83:84]
	s_waitcnt vmcnt(15)
	v_fma_f64 v[93:94], v[101:102], v[89:90], v[83:84]
	ds_read_b128 v[83:86], v82 offset:576
	ds_read_b128 v[87:90], v82 offset:592
	s_waitcnt vmcnt(14) lgkmcnt(1)
	v_fma_f64 v[83:84], v[111:112], v[83:84], v[93:94]
	s_waitcnt vmcnt(13)
	v_fma_f64 v[83:84], v[105:106], v[85:86], v[83:84]
	s_waitcnt vmcnt(12) lgkmcnt(0)
	v_fma_f64 v[83:84], v[103:104], v[87:88], v[83:84]
	s_waitcnt vmcnt(7)
	v_fma_f64 v[93:94], v[107:108], v[89:90], v[83:84]
	ds_read_b128 v[83:86], v82 offset:608
	ds_read_b128 v[87:90], v82 offset:624
	s_waitcnt vmcnt(6) lgkmcnt(1)
	v_fma_f64 v[82:83], v[119:120], v[83:84], v[93:94]
	s_waitcnt vmcnt(5)
	v_fma_f64 v[82:83], v[113:114], v[85:86], v[82:83]
	s_waitcnt vmcnt(4) lgkmcnt(0)
	v_fma_f64 v[82:83], v[109:110], v[87:88], v[82:83]
	s_waitcnt vmcnt(2)
	v_fma_f64 v[82:83], v[91:92], v[89:90], v[82:83]
	s_waitcnt vmcnt(0)
	v_add_f64 v[82:83], v[115:116], -v[82:83]
	buffer_store_dword v83, off, s[0:3], 0 offset:60
	buffer_store_dword v82, off, s[0:3], 0 offset:56
	v_cmpx_lt_u32_e32 6, v0
	s_cbranch_execz .LBB39_237
; %bb.236:
	s_clause 0x1
	buffer_load_dword v82, off, s[0:3], 0 offset:48
	buffer_load_dword v83, off, s[0:3], 0 offset:52
	v_mov_b32_e32 v84, 0
	buffer_store_dword v84, off, s[0:3], 0 offset:48
	buffer_store_dword v84, off, s[0:3], 0 offset:52
	s_waitcnt vmcnt(0)
	ds_write_b64 v81, v[82:83]
.LBB39_237:
	s_or_b32 exec_lo, exec_lo, s4
	s_waitcnt lgkmcnt(0)
	s_waitcnt_vscnt null, 0x0
	s_barrier
	buffer_gl0_inv
	s_clause 0x1c
	buffer_load_dword v91, off, s[0:3], 0 offset:56
	buffer_load_dword v92, off, s[0:3], 0 offset:60
	;; [unrolled: 1-line block ×29, first 2 shown]
	v_mov_b32_e32 v82, 0
	buffer_load_dword v116, off, s[0:3], 0 offset:172
	s_mov_b32 s4, exec_lo
	ds_read2_b64 v[83:86], v82 offset0:47 offset1:48
	ds_read2_b64 v[87:90], v82 offset0:49 offset1:50
	s_waitcnt vmcnt(28) lgkmcnt(1)
	v_fma_f64 v[83:84], v[91:92], v[83:84], 0
	s_clause 0x7
	buffer_load_dword v92, off, s[0:3], 0 offset:180
	buffer_load_dword v121, off, s[0:3], 0 offset:200
	buffer_load_dword v123, off, s[0:3], 0 offset:192
	buffer_load_dword v125, off, s[0:3], 0 offset:184
	buffer_load_dword v91, off, s[0:3], 0 offset:176
	buffer_load_dword v126, off, s[0:3], 0 offset:188
	buffer_load_dword v124, off, s[0:3], 0 offset:196
	buffer_load_dword v122, off, s[0:3], 0 offset:204
	s_waitcnt vmcnt(34)
	v_fma_f64 v[83:84], v[93:94], v[85:86], v[83:84]
	s_waitcnt vmcnt(32) lgkmcnt(0)
	v_fma_f64 v[83:84], v[95:96], v[87:88], v[83:84]
	s_waitcnt vmcnt(30)
	v_fma_f64 v[93:94], v[97:98], v[89:90], v[83:84]
	ds_read2_b64 v[83:86], v82 offset0:51 offset1:52
	ds_read2_b64 v[87:90], v82 offset0:53 offset1:54
	s_waitcnt vmcnt(28) lgkmcnt(1)
	v_fma_f64 v[83:84], v[99:100], v[83:84], v[93:94]
	s_clause 0x7
	buffer_load_dword v94, off, s[0:3], 0 offset:212
	buffer_load_dword v95, off, s[0:3], 0 offset:232
	buffer_load_dword v97, off, s[0:3], 0 offset:224
	buffer_load_dword v99, off, s[0:3], 0 offset:216
	buffer_load_dword v93, off, s[0:3], 0 offset:208
	buffer_load_dword v100, off, s[0:3], 0 offset:220
	buffer_load_dword v98, off, s[0:3], 0 offset:228
	buffer_load_dword v96, off, s[0:3], 0 offset:236
	s_waitcnt vmcnt(34)
	v_fma_f64 v[83:84], v[101:102], v[85:86], v[83:84]
	s_waitcnt vmcnt(32) lgkmcnt(0)
	v_fma_f64 v[83:84], v[103:104], v[87:88], v[83:84]
	s_waitcnt vmcnt(27)
	v_fma_f64 v[101:102], v[105:106], v[89:90], v[83:84]
	;; [unrolled: 19-line block ×4, first 2 shown]
	ds_read2_b64 v[83:86], v82 offset0:63 offset1:64
	ds_read2_b64 v[87:90], v82 offset0:65 offset1:66
	s_waitcnt vmcnt(26) lgkmcnt(1)
	v_fma_f64 v[83:84], v[125:126], v[83:84], v[91:92]
	s_clause 0x5
	buffer_load_dword v92, off, s[0:3], 0 offset:308
	buffer_load_dword v115, off, s[0:3], 0 offset:312
	;; [unrolled: 1-line block ×6, first 2 shown]
	s_waitcnt vmcnt(31)
	v_fma_f64 v[83:84], v[123:124], v[85:86], v[83:84]
	s_waitcnt vmcnt(30) lgkmcnt(0)
	v_fma_f64 v[83:84], v[121:122], v[87:88], v[83:84]
	s_waitcnt vmcnt(25)
	v_fma_f64 v[93:94], v[93:94], v[89:90], v[83:84]
	ds_read2_b64 v[83:86], v82 offset0:67 offset1:68
	ds_read2_b64 v[87:90], v82 offset0:69 offset1:70
	s_waitcnt vmcnt(24) lgkmcnt(1)
	v_fma_f64 v[83:84], v[99:100], v[83:84], v[93:94]
	s_waitcnt vmcnt(23)
	v_fma_f64 v[83:84], v[97:98], v[85:86], v[83:84]
	s_waitcnt vmcnt(22) lgkmcnt(0)
	v_fma_f64 v[83:84], v[95:96], v[87:88], v[83:84]
	s_waitcnt vmcnt(17)
	v_fma_f64 v[93:94], v[101:102], v[89:90], v[83:84]
	ds_read2_b64 v[83:86], v82 offset0:71 offset1:72
	ds_read2_b64 v[87:90], v82 offset0:73 offset1:74
	s_waitcnt vmcnt(16) lgkmcnt(1)
	v_fma_f64 v[83:84], v[111:112], v[83:84], v[93:94]
	;; [unrolled: 10-line block ×3, first 2 shown]
	s_waitcnt vmcnt(7)
	v_fma_f64 v[83:84], v[113:114], v[85:86], v[83:84]
	ds_read_b64 v[85:86], v82 offset:632
	s_waitcnt vmcnt(6) lgkmcnt(1)
	v_fma_f64 v[83:84], v[109:110], v[87:88], v[83:84]
	s_waitcnt vmcnt(3)
	v_fma_f64 v[83:84], v[91:92], v[89:90], v[83:84]
	s_waitcnt vmcnt(2) lgkmcnt(0)
	v_fma_f64 v[83:84], v[115:116], v[85:86], v[83:84]
	s_waitcnt vmcnt(0)
	v_add_f64 v[83:84], v[117:118], -v[83:84]
	buffer_store_dword v84, off, s[0:3], 0 offset:52
	buffer_store_dword v83, off, s[0:3], 0 offset:48
	v_cmpx_lt_u32_e32 5, v0
	s_cbranch_execz .LBB39_239
; %bb.238:
	s_clause 0x1
	buffer_load_dword v83, off, s[0:3], 0 offset:40
	buffer_load_dword v84, off, s[0:3], 0 offset:44
	buffer_store_dword v82, off, s[0:3], 0 offset:40
	buffer_store_dword v82, off, s[0:3], 0 offset:44
	s_waitcnt vmcnt(0)
	ds_write_b64 v81, v[83:84]
.LBB39_239:
	s_or_b32 exec_lo, exec_lo, s4
	s_waitcnt lgkmcnt(0)
	s_waitcnt_vscnt null, 0x0
	s_barrier
	buffer_gl0_inv
	s_clause 0x1c
	buffer_load_dword v91, off, s[0:3], 0 offset:48
	buffer_load_dword v92, off, s[0:3], 0 offset:52
	;; [unrolled: 1-line block ×29, first 2 shown]
	ds_read_b128 v[83:86], v82 offset:368
	ds_read_b128 v[87:90], v82 offset:384
	buffer_load_dword v116, off, s[0:3], 0 offset:164
	s_mov_b32 s4, exec_lo
	s_waitcnt vmcnt(28) lgkmcnt(1)
	v_fma_f64 v[83:84], v[91:92], v[83:84], 0
	s_clause 0x7
	buffer_load_dword v92, off, s[0:3], 0 offset:172
	buffer_load_dword v121, off, s[0:3], 0 offset:192
	buffer_load_dword v123, off, s[0:3], 0 offset:184
	buffer_load_dword v125, off, s[0:3], 0 offset:176
	buffer_load_dword v91, off, s[0:3], 0 offset:168
	buffer_load_dword v126, off, s[0:3], 0 offset:180
	buffer_load_dword v124, off, s[0:3], 0 offset:188
	buffer_load_dword v122, off, s[0:3], 0 offset:196
	s_waitcnt vmcnt(34)
	v_fma_f64 v[83:84], v[93:94], v[85:86], v[83:84]
	s_waitcnt vmcnt(32) lgkmcnt(0)
	v_fma_f64 v[83:84], v[95:96], v[87:88], v[83:84]
	s_waitcnt vmcnt(30)
	v_fma_f64 v[93:94], v[97:98], v[89:90], v[83:84]
	ds_read_b128 v[83:86], v82 offset:400
	ds_read_b128 v[87:90], v82 offset:416
	s_waitcnt vmcnt(28) lgkmcnt(1)
	v_fma_f64 v[83:84], v[99:100], v[83:84], v[93:94]
	s_clause 0x7
	buffer_load_dword v94, off, s[0:3], 0 offset:204
	buffer_load_dword v95, off, s[0:3], 0 offset:224
	buffer_load_dword v97, off, s[0:3], 0 offset:216
	buffer_load_dword v99, off, s[0:3], 0 offset:208
	buffer_load_dword v93, off, s[0:3], 0 offset:200
	buffer_load_dword v100, off, s[0:3], 0 offset:212
	buffer_load_dword v98, off, s[0:3], 0 offset:220
	buffer_load_dword v96, off, s[0:3], 0 offset:228
	s_waitcnt vmcnt(34)
	v_fma_f64 v[83:84], v[101:102], v[85:86], v[83:84]
	s_waitcnt vmcnt(32) lgkmcnt(0)
	v_fma_f64 v[83:84], v[103:104], v[87:88], v[83:84]
	s_waitcnt vmcnt(27)
	v_fma_f64 v[101:102], v[105:106], v[89:90], v[83:84]
	ds_read_b128 v[83:86], v82 offset:432
	ds_read_b128 v[87:90], v82 offset:448
	;; [unrolled: 19-line block ×4, first 2 shown]
	s_waitcnt vmcnt(26) lgkmcnt(1)
	v_fma_f64 v[83:84], v[125:126], v[83:84], v[91:92]
	s_clause 0x5
	buffer_load_dword v92, off, s[0:3], 0 offset:300
	buffer_load_dword v115, off, s[0:3], 0 offset:312
	;; [unrolled: 1-line block ×6, first 2 shown]
	s_waitcnt vmcnt(31)
	v_fma_f64 v[83:84], v[123:124], v[85:86], v[83:84]
	s_waitcnt vmcnt(30) lgkmcnt(0)
	v_fma_f64 v[83:84], v[121:122], v[87:88], v[83:84]
	s_waitcnt vmcnt(25)
	v_fma_f64 v[93:94], v[93:94], v[89:90], v[83:84]
	ds_read_b128 v[83:86], v82 offset:528
	s_clause 0x1
	buffer_load_dword v121, off, s[0:3], 0 offset:40
	buffer_load_dword v122, off, s[0:3], 0 offset:44
	ds_read_b128 v[87:90], v82 offset:544
	s_waitcnt vmcnt(26) lgkmcnt(1)
	v_fma_f64 v[83:84], v[99:100], v[83:84], v[93:94]
	s_waitcnt vmcnt(25)
	v_fma_f64 v[83:84], v[97:98], v[85:86], v[83:84]
	s_waitcnt vmcnt(24) lgkmcnt(0)
	v_fma_f64 v[83:84], v[95:96], v[87:88], v[83:84]
	s_waitcnt vmcnt(19)
	v_fma_f64 v[93:94], v[101:102], v[89:90], v[83:84]
	ds_read_b128 v[83:86], v82 offset:560
	ds_read_b128 v[87:90], v82 offset:576
	s_waitcnt vmcnt(18) lgkmcnt(1)
	v_fma_f64 v[83:84], v[111:112], v[83:84], v[93:94]
	s_waitcnt vmcnt(17)
	v_fma_f64 v[83:84], v[105:106], v[85:86], v[83:84]
	s_waitcnt vmcnt(16) lgkmcnt(0)
	v_fma_f64 v[83:84], v[103:104], v[87:88], v[83:84]
	s_waitcnt vmcnt(11)
	v_fma_f64 v[93:94], v[107:108], v[89:90], v[83:84]
	ds_read_b128 v[83:86], v82 offset:592
	;; [unrolled: 10-line block ×3, first 2 shown]
	s_waitcnt vmcnt(3) lgkmcnt(0)
	v_fma_f64 v[82:83], v[117:118], v[82:83], v[86:87]
	s_waitcnt vmcnt(2)
	v_fma_f64 v[82:83], v[115:116], v[84:85], v[82:83]
	s_waitcnt vmcnt(0)
	v_add_f64 v[82:83], v[121:122], -v[82:83]
	buffer_store_dword v83, off, s[0:3], 0 offset:44
	buffer_store_dword v82, off, s[0:3], 0 offset:40
	v_cmpx_lt_u32_e32 4, v0
	s_cbranch_execz .LBB39_241
; %bb.240:
	s_clause 0x1
	buffer_load_dword v82, off, s[0:3], 0 offset:32
	buffer_load_dword v83, off, s[0:3], 0 offset:36
	v_mov_b32_e32 v84, 0
	buffer_store_dword v84, off, s[0:3], 0 offset:32
	buffer_store_dword v84, off, s[0:3], 0 offset:36
	s_waitcnt vmcnt(0)
	ds_write_b64 v81, v[82:83]
.LBB39_241:
	s_or_b32 exec_lo, exec_lo, s4
	s_waitcnt lgkmcnt(0)
	s_waitcnt_vscnt null, 0x0
	s_barrier
	buffer_gl0_inv
	s_clause 0x1c
	buffer_load_dword v91, off, s[0:3], 0 offset:40
	buffer_load_dword v92, off, s[0:3], 0 offset:44
	;; [unrolled: 1-line block ×29, first 2 shown]
	v_mov_b32_e32 v82, 0
	buffer_load_dword v116, off, s[0:3], 0 offset:156
	s_mov_b32 s4, exec_lo
	ds_read2_b64 v[83:86], v82 offset0:45 offset1:46
	ds_read2_b64 v[87:90], v82 offset0:47 offset1:48
	s_waitcnt vmcnt(28) lgkmcnt(1)
	v_fma_f64 v[83:84], v[91:92], v[83:84], 0
	s_clause 0x7
	buffer_load_dword v92, off, s[0:3], 0 offset:164
	buffer_load_dword v121, off, s[0:3], 0 offset:184
	buffer_load_dword v123, off, s[0:3], 0 offset:176
	buffer_load_dword v125, off, s[0:3], 0 offset:168
	buffer_load_dword v91, off, s[0:3], 0 offset:160
	buffer_load_dword v126, off, s[0:3], 0 offset:172
	buffer_load_dword v124, off, s[0:3], 0 offset:180
	buffer_load_dword v122, off, s[0:3], 0 offset:188
	s_waitcnt vmcnt(34)
	v_fma_f64 v[83:84], v[93:94], v[85:86], v[83:84]
	s_waitcnt vmcnt(32) lgkmcnt(0)
	v_fma_f64 v[83:84], v[95:96], v[87:88], v[83:84]
	s_waitcnt vmcnt(30)
	v_fma_f64 v[93:94], v[97:98], v[89:90], v[83:84]
	ds_read2_b64 v[83:86], v82 offset0:49 offset1:50
	ds_read2_b64 v[87:90], v82 offset0:51 offset1:52
	s_waitcnt vmcnt(28) lgkmcnt(1)
	v_fma_f64 v[83:84], v[99:100], v[83:84], v[93:94]
	s_clause 0x7
	buffer_load_dword v94, off, s[0:3], 0 offset:196
	buffer_load_dword v95, off, s[0:3], 0 offset:216
	buffer_load_dword v97, off, s[0:3], 0 offset:208
	buffer_load_dword v99, off, s[0:3], 0 offset:200
	buffer_load_dword v93, off, s[0:3], 0 offset:192
	buffer_load_dword v100, off, s[0:3], 0 offset:204
	buffer_load_dword v98, off, s[0:3], 0 offset:212
	buffer_load_dword v96, off, s[0:3], 0 offset:220
	s_waitcnt vmcnt(34)
	v_fma_f64 v[83:84], v[101:102], v[85:86], v[83:84]
	s_waitcnt vmcnt(32) lgkmcnt(0)
	v_fma_f64 v[83:84], v[103:104], v[87:88], v[83:84]
	s_waitcnt vmcnt(27)
	v_fma_f64 v[101:102], v[105:106], v[89:90], v[83:84]
	;; [unrolled: 19-line block ×5, first 2 shown]
	ds_read2_b64 v[83:86], v82 offset0:65 offset1:66
	ds_read2_b64 v[87:90], v82 offset0:67 offset1:68
	s_waitcnt vmcnt(26) lgkmcnt(1)
	v_fma_f64 v[83:84], v[99:100], v[83:84], v[93:94]
	s_clause 0x1
	buffer_load_dword v93, off, s[0:3], 0 offset:32
	buffer_load_dword v94, off, s[0:3], 0 offset:36
	s_waitcnt vmcnt(27)
	v_fma_f64 v[83:84], v[97:98], v[85:86], v[83:84]
	s_waitcnt vmcnt(26) lgkmcnt(0)
	v_fma_f64 v[83:84], v[95:96], v[87:88], v[83:84]
	s_waitcnt vmcnt(21)
	v_fma_f64 v[95:96], v[101:102], v[89:90], v[83:84]
	ds_read2_b64 v[83:86], v82 offset0:69 offset1:70
	ds_read2_b64 v[87:90], v82 offset0:71 offset1:72
	s_waitcnt vmcnt(20) lgkmcnt(1)
	v_fma_f64 v[83:84], v[111:112], v[83:84], v[95:96]
	s_waitcnt vmcnt(19)
	v_fma_f64 v[83:84], v[105:106], v[85:86], v[83:84]
	s_waitcnt vmcnt(18) lgkmcnt(0)
	v_fma_f64 v[83:84], v[103:104], v[87:88], v[83:84]
	s_waitcnt vmcnt(13)
	v_fma_f64 v[95:96], v[107:108], v[89:90], v[83:84]
	ds_read2_b64 v[83:86], v82 offset0:73 offset1:74
	ds_read2_b64 v[87:90], v82 offset0:75 offset1:76
	s_waitcnt vmcnt(12) lgkmcnt(1)
	v_fma_f64 v[83:84], v[119:120], v[83:84], v[95:96]
	s_waitcnt vmcnt(11)
	v_fma_f64 v[83:84], v[113:114], v[85:86], v[83:84]
	s_waitcnt vmcnt(10) lgkmcnt(0)
	v_fma_f64 v[83:84], v[109:110], v[87:88], v[83:84]
	s_waitcnt vmcnt(5)
	v_fma_f64 v[87:88], v[91:92], v[89:90], v[83:84]
	ds_read2_b64 v[83:86], v82 offset0:77 offset1:78
	ds_read_b64 v[89:90], v82 offset:632
	s_waitcnt vmcnt(4) lgkmcnt(1)
	v_fma_f64 v[83:84], v[125:126], v[83:84], v[87:88]
	s_waitcnt vmcnt(3)
	v_fma_f64 v[83:84], v[117:118], v[85:86], v[83:84]
	s_waitcnt vmcnt(2) lgkmcnt(0)
	v_fma_f64 v[83:84], v[115:116], v[89:90], v[83:84]
	s_waitcnt vmcnt(0)
	v_add_f64 v[83:84], v[93:94], -v[83:84]
	buffer_store_dword v84, off, s[0:3], 0 offset:36
	buffer_store_dword v83, off, s[0:3], 0 offset:32
	v_cmpx_lt_u32_e32 3, v0
	s_cbranch_execz .LBB39_243
; %bb.242:
	s_clause 0x1
	buffer_load_dword v83, off, s[0:3], 0 offset:24
	buffer_load_dword v84, off, s[0:3], 0 offset:28
	buffer_store_dword v82, off, s[0:3], 0 offset:24
	buffer_store_dword v82, off, s[0:3], 0 offset:28
	s_waitcnt vmcnt(0)
	ds_write_b64 v81, v[83:84]
.LBB39_243:
	s_or_b32 exec_lo, exec_lo, s4
	s_waitcnt lgkmcnt(0)
	s_waitcnt_vscnt null, 0x0
	s_barrier
	buffer_gl0_inv
	s_clause 0x1c
	buffer_load_dword v91, off, s[0:3], 0 offset:32
	buffer_load_dword v92, off, s[0:3], 0 offset:36
	;; [unrolled: 1-line block ×29, first 2 shown]
	ds_read_b128 v[83:86], v82 offset:352
	ds_read_b128 v[87:90], v82 offset:368
	buffer_load_dword v116, off, s[0:3], 0 offset:148
	s_mov_b32 s4, exec_lo
	s_waitcnt vmcnt(28) lgkmcnt(1)
	v_fma_f64 v[83:84], v[91:92], v[83:84], 0
	s_clause 0x7
	buffer_load_dword v92, off, s[0:3], 0 offset:156
	buffer_load_dword v121, off, s[0:3], 0 offset:176
	buffer_load_dword v123, off, s[0:3], 0 offset:168
	buffer_load_dword v125, off, s[0:3], 0 offset:160
	buffer_load_dword v91, off, s[0:3], 0 offset:152
	buffer_load_dword v126, off, s[0:3], 0 offset:164
	buffer_load_dword v124, off, s[0:3], 0 offset:172
	buffer_load_dword v122, off, s[0:3], 0 offset:180
	s_waitcnt vmcnt(34)
	v_fma_f64 v[83:84], v[93:94], v[85:86], v[83:84]
	s_waitcnt vmcnt(32) lgkmcnt(0)
	v_fma_f64 v[83:84], v[95:96], v[87:88], v[83:84]
	s_waitcnt vmcnt(30)
	v_fma_f64 v[93:94], v[97:98], v[89:90], v[83:84]
	ds_read_b128 v[83:86], v82 offset:384
	ds_read_b128 v[87:90], v82 offset:400
	s_waitcnt vmcnt(28) lgkmcnt(1)
	v_fma_f64 v[83:84], v[99:100], v[83:84], v[93:94]
	s_clause 0x7
	buffer_load_dword v94, off, s[0:3], 0 offset:188
	buffer_load_dword v95, off, s[0:3], 0 offset:208
	buffer_load_dword v97, off, s[0:3], 0 offset:200
	buffer_load_dword v99, off, s[0:3], 0 offset:192
	buffer_load_dword v93, off, s[0:3], 0 offset:184
	buffer_load_dword v100, off, s[0:3], 0 offset:196
	buffer_load_dword v98, off, s[0:3], 0 offset:204
	buffer_load_dword v96, off, s[0:3], 0 offset:212
	s_waitcnt vmcnt(34)
	v_fma_f64 v[83:84], v[101:102], v[85:86], v[83:84]
	s_waitcnt vmcnt(32) lgkmcnt(0)
	v_fma_f64 v[83:84], v[103:104], v[87:88], v[83:84]
	s_waitcnt vmcnt(27)
	v_fma_f64 v[101:102], v[105:106], v[89:90], v[83:84]
	ds_read_b128 v[83:86], v82 offset:416
	ds_read_b128 v[87:90], v82 offset:432
	;; [unrolled: 19-line block ×5, first 2 shown]
	s_waitcnt vmcnt(26) lgkmcnt(1)
	v_fma_f64 v[83:84], v[99:100], v[83:84], v[93:94]
	s_clause 0x1
	buffer_load_dword v94, off, s[0:3], 0 offset:316
	buffer_load_dword v93, off, s[0:3], 0 offset:312
	s_waitcnt vmcnt(27)
	v_fma_f64 v[83:84], v[97:98], v[85:86], v[83:84]
	s_clause 0x1
	buffer_load_dword v97, off, s[0:3], 0 offset:24
	buffer_load_dword v98, off, s[0:3], 0 offset:28
	s_waitcnt vmcnt(28) lgkmcnt(0)
	v_fma_f64 v[83:84], v[95:96], v[87:88], v[83:84]
	s_waitcnt vmcnt(23)
	v_fma_f64 v[95:96], v[101:102], v[89:90], v[83:84]
	ds_read_b128 v[83:86], v82 offset:544
	ds_read_b128 v[87:90], v82 offset:560
	s_waitcnt vmcnt(22) lgkmcnt(1)
	v_fma_f64 v[83:84], v[111:112], v[83:84], v[95:96]
	s_waitcnt vmcnt(21)
	v_fma_f64 v[83:84], v[105:106], v[85:86], v[83:84]
	s_waitcnt vmcnt(20) lgkmcnt(0)
	v_fma_f64 v[83:84], v[103:104], v[87:88], v[83:84]
	s_waitcnt vmcnt(15)
	v_fma_f64 v[95:96], v[107:108], v[89:90], v[83:84]
	ds_read_b128 v[83:86], v82 offset:576
	ds_read_b128 v[87:90], v82 offset:592
	s_waitcnt vmcnt(14) lgkmcnt(1)
	v_fma_f64 v[83:84], v[119:120], v[83:84], v[95:96]
	s_waitcnt vmcnt(13)
	v_fma_f64 v[83:84], v[113:114], v[85:86], v[83:84]
	;; [unrolled: 10-line block ×3, first 2 shown]
	s_waitcnt vmcnt(4) lgkmcnt(0)
	v_fma_f64 v[82:83], v[115:116], v[87:88], v[82:83]
	s_waitcnt vmcnt(2)
	v_fma_f64 v[82:83], v[93:94], v[89:90], v[82:83]
	s_waitcnt vmcnt(0)
	v_add_f64 v[82:83], v[97:98], -v[82:83]
	buffer_store_dword v83, off, s[0:3], 0 offset:28
	buffer_store_dword v82, off, s[0:3], 0 offset:24
	v_cmpx_lt_u32_e32 2, v0
	s_cbranch_execz .LBB39_245
; %bb.244:
	s_clause 0x1
	buffer_load_dword v82, off, s[0:3], 0 offset:16
	buffer_load_dword v83, off, s[0:3], 0 offset:20
	v_mov_b32_e32 v84, 0
	buffer_store_dword v84, off, s[0:3], 0 offset:16
	buffer_store_dword v84, off, s[0:3], 0 offset:20
	s_waitcnt vmcnt(0)
	ds_write_b64 v81, v[82:83]
.LBB39_245:
	s_or_b32 exec_lo, exec_lo, s4
	s_waitcnt lgkmcnt(0)
	s_waitcnt_vscnt null, 0x0
	s_barrier
	buffer_gl0_inv
	s_clause 0x1c
	buffer_load_dword v91, off, s[0:3], 0 offset:24
	buffer_load_dword v92, off, s[0:3], 0 offset:28
	;; [unrolled: 1-line block ×29, first 2 shown]
	v_mov_b32_e32 v82, 0
	buffer_load_dword v116, off, s[0:3], 0 offset:140
	s_mov_b32 s4, exec_lo
	ds_read2_b64 v[83:86], v82 offset0:43 offset1:44
	ds_read2_b64 v[87:90], v82 offset0:45 offset1:46
	s_waitcnt vmcnt(28) lgkmcnt(1)
	v_fma_f64 v[83:84], v[91:92], v[83:84], 0
	s_clause 0x7
	buffer_load_dword v92, off, s[0:3], 0 offset:148
	buffer_load_dword v121, off, s[0:3], 0 offset:168
	buffer_load_dword v123, off, s[0:3], 0 offset:160
	buffer_load_dword v125, off, s[0:3], 0 offset:152
	buffer_load_dword v91, off, s[0:3], 0 offset:144
	buffer_load_dword v126, off, s[0:3], 0 offset:156
	buffer_load_dword v124, off, s[0:3], 0 offset:164
	buffer_load_dword v122, off, s[0:3], 0 offset:172
	s_waitcnt vmcnt(34)
	v_fma_f64 v[83:84], v[93:94], v[85:86], v[83:84]
	s_waitcnt vmcnt(32) lgkmcnt(0)
	v_fma_f64 v[83:84], v[95:96], v[87:88], v[83:84]
	s_waitcnt vmcnt(30)
	v_fma_f64 v[93:94], v[97:98], v[89:90], v[83:84]
	ds_read2_b64 v[83:86], v82 offset0:47 offset1:48
	ds_read2_b64 v[87:90], v82 offset0:49 offset1:50
	s_waitcnt vmcnt(28) lgkmcnt(1)
	v_fma_f64 v[83:84], v[99:100], v[83:84], v[93:94]
	s_clause 0x7
	buffer_load_dword v94, off, s[0:3], 0 offset:180
	buffer_load_dword v95, off, s[0:3], 0 offset:200
	buffer_load_dword v97, off, s[0:3], 0 offset:192
	buffer_load_dword v99, off, s[0:3], 0 offset:184
	buffer_load_dword v93, off, s[0:3], 0 offset:176
	buffer_load_dword v100, off, s[0:3], 0 offset:188
	buffer_load_dword v98, off, s[0:3], 0 offset:196
	buffer_load_dword v96, off, s[0:3], 0 offset:204
	s_waitcnt vmcnt(34)
	v_fma_f64 v[83:84], v[101:102], v[85:86], v[83:84]
	s_waitcnt vmcnt(32) lgkmcnt(0)
	v_fma_f64 v[83:84], v[103:104], v[87:88], v[83:84]
	s_waitcnt vmcnt(27)
	v_fma_f64 v[101:102], v[105:106], v[89:90], v[83:84]
	;; [unrolled: 19-line block ×5, first 2 shown]
	ds_read2_b64 v[83:86], v82 offset0:63 offset1:64
	ds_read2_b64 v[87:90], v82 offset0:65 offset1:66
	s_waitcnt vmcnt(26) lgkmcnt(1)
	v_fma_f64 v[83:84], v[99:100], v[83:84], v[93:94]
	s_clause 0x3
	buffer_load_dword v94, off, s[0:3], 0 offset:308
	buffer_load_dword v99, off, s[0:3], 0 offset:312
	;; [unrolled: 1-line block ×4, first 2 shown]
	s_waitcnt vmcnt(29)
	v_fma_f64 v[83:84], v[97:98], v[85:86], v[83:84]
	s_waitcnt vmcnt(28) lgkmcnt(0)
	v_fma_f64 v[83:84], v[95:96], v[87:88], v[83:84]
	s_clause 0x1
	buffer_load_dword v95, off, s[0:3], 0 offset:16
	buffer_load_dword v96, off, s[0:3], 0 offset:20
	s_waitcnt vmcnt(25)
	v_fma_f64 v[97:98], v[101:102], v[89:90], v[83:84]
	ds_read2_b64 v[83:86], v82 offset0:67 offset1:68
	ds_read2_b64 v[87:90], v82 offset0:69 offset1:70
	s_waitcnt vmcnt(24) lgkmcnt(1)
	v_fma_f64 v[83:84], v[111:112], v[83:84], v[97:98]
	s_waitcnt vmcnt(23)
	v_fma_f64 v[83:84], v[105:106], v[85:86], v[83:84]
	s_waitcnt vmcnt(22) lgkmcnt(0)
	v_fma_f64 v[83:84], v[103:104], v[87:88], v[83:84]
	s_waitcnt vmcnt(17)
	v_fma_f64 v[97:98], v[107:108], v[89:90], v[83:84]
	ds_read2_b64 v[83:86], v82 offset0:71 offset1:72
	ds_read2_b64 v[87:90], v82 offset0:73 offset1:74
	s_waitcnt vmcnt(16) lgkmcnt(1)
	v_fma_f64 v[83:84], v[119:120], v[83:84], v[97:98]
	s_waitcnt vmcnt(15)
	v_fma_f64 v[83:84], v[113:114], v[85:86], v[83:84]
	s_waitcnt vmcnt(14) lgkmcnt(0)
	v_fma_f64 v[83:84], v[109:110], v[87:88], v[83:84]
	s_waitcnt vmcnt(9)
	v_fma_f64 v[91:92], v[91:92], v[89:90], v[83:84]
	ds_read2_b64 v[83:86], v82 offset0:75 offset1:76
	ds_read2_b64 v[87:90], v82 offset0:77 offset1:78
	s_waitcnt vmcnt(8) lgkmcnt(1)
	v_fma_f64 v[83:84], v[125:126], v[83:84], v[91:92]
	s_waitcnt vmcnt(7)
	v_fma_f64 v[83:84], v[117:118], v[85:86], v[83:84]
	ds_read_b64 v[85:86], v82 offset:632
	s_waitcnt vmcnt(6) lgkmcnt(1)
	v_fma_f64 v[83:84], v[115:116], v[87:88], v[83:84]
	s_waitcnt vmcnt(3)
	v_fma_f64 v[83:84], v[93:94], v[89:90], v[83:84]
	s_waitcnt vmcnt(2) lgkmcnt(0)
	v_fma_f64 v[83:84], v[99:100], v[85:86], v[83:84]
	s_waitcnt vmcnt(0)
	v_add_f64 v[83:84], v[95:96], -v[83:84]
	buffer_store_dword v84, off, s[0:3], 0 offset:20
	buffer_store_dword v83, off, s[0:3], 0 offset:16
	v_cmpx_lt_u32_e32 1, v0
	s_cbranch_execz .LBB39_247
; %bb.246:
	s_clause 0x1
	buffer_load_dword v83, off, s[0:3], 0 offset:8
	buffer_load_dword v84, off, s[0:3], 0 offset:12
	buffer_store_dword v82, off, s[0:3], 0 offset:8
	buffer_store_dword v82, off, s[0:3], 0 offset:12
	s_waitcnt vmcnt(0)
	ds_write_b64 v81, v[83:84]
.LBB39_247:
	s_or_b32 exec_lo, exec_lo, s4
	s_waitcnt lgkmcnt(0)
	s_waitcnt_vscnt null, 0x0
	s_barrier
	buffer_gl0_inv
	s_clause 0x1c
	buffer_load_dword v91, off, s[0:3], 0 offset:16
	buffer_load_dword v92, off, s[0:3], 0 offset:20
	;; [unrolled: 1-line block ×29, first 2 shown]
	ds_read_b128 v[83:86], v82 offset:336
	ds_read_b128 v[87:90], v82 offset:352
	buffer_load_dword v116, off, s[0:3], 0 offset:132
	s_mov_b32 s4, exec_lo
	s_waitcnt vmcnt(28) lgkmcnt(1)
	v_fma_f64 v[83:84], v[91:92], v[83:84], 0
	s_clause 0x7
	buffer_load_dword v92, off, s[0:3], 0 offset:140
	buffer_load_dword v121, off, s[0:3], 0 offset:160
	buffer_load_dword v123, off, s[0:3], 0 offset:152
	buffer_load_dword v125, off, s[0:3], 0 offset:144
	buffer_load_dword v91, off, s[0:3], 0 offset:136
	buffer_load_dword v126, off, s[0:3], 0 offset:148
	buffer_load_dword v124, off, s[0:3], 0 offset:156
	buffer_load_dword v122, off, s[0:3], 0 offset:164
	s_waitcnt vmcnt(34)
	v_fma_f64 v[83:84], v[93:94], v[85:86], v[83:84]
	s_waitcnt vmcnt(32) lgkmcnt(0)
	v_fma_f64 v[83:84], v[95:96], v[87:88], v[83:84]
	s_waitcnt vmcnt(30)
	v_fma_f64 v[93:94], v[97:98], v[89:90], v[83:84]
	ds_read_b128 v[83:86], v82 offset:368
	ds_read_b128 v[87:90], v82 offset:384
	s_waitcnt vmcnt(28) lgkmcnt(1)
	v_fma_f64 v[83:84], v[99:100], v[83:84], v[93:94]
	s_clause 0x7
	buffer_load_dword v94, off, s[0:3], 0 offset:172
	buffer_load_dword v95, off, s[0:3], 0 offset:192
	buffer_load_dword v97, off, s[0:3], 0 offset:184
	buffer_load_dword v99, off, s[0:3], 0 offset:176
	buffer_load_dword v93, off, s[0:3], 0 offset:168
	buffer_load_dword v100, off, s[0:3], 0 offset:180
	buffer_load_dword v98, off, s[0:3], 0 offset:188
	buffer_load_dword v96, off, s[0:3], 0 offset:196
	s_waitcnt vmcnt(34)
	v_fma_f64 v[83:84], v[101:102], v[85:86], v[83:84]
	s_waitcnt vmcnt(32) lgkmcnt(0)
	v_fma_f64 v[83:84], v[103:104], v[87:88], v[83:84]
	s_waitcnt vmcnt(27)
	v_fma_f64 v[101:102], v[105:106], v[89:90], v[83:84]
	ds_read_b128 v[83:86], v82 offset:400
	ds_read_b128 v[87:90], v82 offset:416
	;; [unrolled: 19-line block ×5, first 2 shown]
	s_waitcnt vmcnt(26) lgkmcnt(1)
	v_fma_f64 v[83:84], v[99:100], v[83:84], v[93:94]
	s_clause 0x5
	buffer_load_dword v94, off, s[0:3], 0 offset:300
	buffer_load_dword v99, off, s[0:3], 0 offset:312
	;; [unrolled: 1-line block ×6, first 2 shown]
	s_waitcnt vmcnt(31)
	v_fma_f64 v[83:84], v[97:98], v[85:86], v[83:84]
	s_waitcnt vmcnt(30) lgkmcnt(0)
	v_fma_f64 v[83:84], v[95:96], v[87:88], v[83:84]
	s_waitcnt vmcnt(25)
	v_fma_f64 v[95:96], v[101:102], v[89:90], v[83:84]
	ds_read_b128 v[83:86], v82 offset:528
	s_clause 0x1
	buffer_load_dword v97, off, s[0:3], 0 offset:8
	buffer_load_dword v98, off, s[0:3], 0 offset:12
	ds_read_b128 v[87:90], v82 offset:544
	s_waitcnt vmcnt(26) lgkmcnt(1)
	v_fma_f64 v[83:84], v[111:112], v[83:84], v[95:96]
	s_waitcnt vmcnt(25)
	v_fma_f64 v[83:84], v[105:106], v[85:86], v[83:84]
	s_waitcnt vmcnt(24) lgkmcnt(0)
	v_fma_f64 v[83:84], v[103:104], v[87:88], v[83:84]
	s_waitcnt vmcnt(19)
	v_fma_f64 v[95:96], v[107:108], v[89:90], v[83:84]
	ds_read_b128 v[83:86], v82 offset:560
	ds_read_b128 v[87:90], v82 offset:576
	s_waitcnt vmcnt(18) lgkmcnt(1)
	v_fma_f64 v[83:84], v[119:120], v[83:84], v[95:96]
	s_waitcnt vmcnt(17)
	v_fma_f64 v[83:84], v[113:114], v[85:86], v[83:84]
	s_waitcnt vmcnt(16) lgkmcnt(0)
	v_fma_f64 v[83:84], v[109:110], v[87:88], v[83:84]
	s_waitcnt vmcnt(11)
	v_fma_f64 v[91:92], v[91:92], v[89:90], v[83:84]
	ds_read_b128 v[83:86], v82 offset:592
	;; [unrolled: 10-line block ×3, first 2 shown]
	s_waitcnt vmcnt(3) lgkmcnt(0)
	v_fma_f64 v[82:83], v[121:122], v[82:83], v[86:87]
	s_waitcnt vmcnt(2)
	v_fma_f64 v[82:83], v[99:100], v[84:85], v[82:83]
	s_waitcnt vmcnt(0)
	v_add_f64 v[82:83], v[97:98], -v[82:83]
	buffer_store_dword v83, off, s[0:3], 0 offset:12
	buffer_store_dword v82, off, s[0:3], 0 offset:8
	v_cmpx_ne_u32_e32 0, v0
	s_cbranch_execz .LBB39_249
; %bb.248:
	s_clause 0x1
	buffer_load_dword v82, off, s[0:3], 0
	buffer_load_dword v83, off, s[0:3], 0 offset:4
	v_mov_b32_e32 v0, 0
	buffer_store_dword v0, off, s[0:3], 0
	buffer_store_dword v0, off, s[0:3], 0 offset:4
	s_waitcnt vmcnt(0)
	ds_write_b64 v81, v[82:83]
.LBB39_249:
	s_or_b32 exec_lo, exec_lo, s4
	s_waitcnt lgkmcnt(0)
	s_waitcnt_vscnt null, 0x0
	s_barrier
	buffer_gl0_inv
	s_clause 0x1c
	buffer_load_dword v89, off, s[0:3], 0 offset:8
	buffer_load_dword v90, off, s[0:3], 0 offset:12
	;; [unrolled: 1-line block ×29, first 2 shown]
	v_mov_b32_e32 v0, 0
	buffer_load_dword v114, off, s[0:3], 0 offset:124
	s_and_b32 vcc_lo, exec_lo, s22
	ds_read2_b64 v[81:84], v0 offset0:41 offset1:42
	ds_read2_b64 v[85:88], v0 offset0:43 offset1:44
	s_waitcnt vmcnt(28) lgkmcnt(1)
	v_fma_f64 v[81:82], v[89:90], v[81:82], 0
	s_clause 0x7
	buffer_load_dword v90, off, s[0:3], 0 offset:132
	buffer_load_dword v119, off, s[0:3], 0 offset:152
	buffer_load_dword v121, off, s[0:3], 0 offset:144
	buffer_load_dword v123, off, s[0:3], 0 offset:136
	buffer_load_dword v89, off, s[0:3], 0 offset:128
	buffer_load_dword v124, off, s[0:3], 0 offset:140
	buffer_load_dword v122, off, s[0:3], 0 offset:148
	buffer_load_dword v120, off, s[0:3], 0 offset:156
	s_waitcnt vmcnt(34)
	v_fma_f64 v[81:82], v[91:92], v[83:84], v[81:82]
	s_waitcnt vmcnt(32) lgkmcnt(0)
	v_fma_f64 v[81:82], v[93:94], v[85:86], v[81:82]
	s_waitcnt vmcnt(30)
	v_fma_f64 v[91:92], v[95:96], v[87:88], v[81:82]
	ds_read2_b64 v[81:84], v0 offset0:45 offset1:46
	ds_read2_b64 v[85:88], v0 offset0:47 offset1:48
	s_waitcnt vmcnt(28) lgkmcnt(1)
	v_fma_f64 v[81:82], v[97:98], v[81:82], v[91:92]
	s_clause 0x7
	buffer_load_dword v92, off, s[0:3], 0 offset:164
	buffer_load_dword v93, off, s[0:3], 0 offset:184
	buffer_load_dword v95, off, s[0:3], 0 offset:176
	buffer_load_dword v97, off, s[0:3], 0 offset:168
	buffer_load_dword v91, off, s[0:3], 0 offset:160
	buffer_load_dword v98, off, s[0:3], 0 offset:172
	buffer_load_dword v96, off, s[0:3], 0 offset:180
	buffer_load_dword v94, off, s[0:3], 0 offset:188
	s_waitcnt vmcnt(34)
	v_fma_f64 v[81:82], v[99:100], v[83:84], v[81:82]
	s_waitcnt vmcnt(32) lgkmcnt(0)
	v_fma_f64 v[81:82], v[101:102], v[85:86], v[81:82]
	s_waitcnt vmcnt(27)
	v_fma_f64 v[99:100], v[103:104], v[87:88], v[81:82]
	;; [unrolled: 19-line block ×5, first 2 shown]
	ds_read2_b64 v[81:84], v0 offset0:61 offset1:62
	ds_read2_b64 v[85:88], v0 offset0:63 offset1:64
	s_waitcnt vmcnt(26) lgkmcnt(1)
	v_fma_f64 v[89:90], v[97:98], v[81:82], v[89:90]
	s_clause 0x6
	buffer_load_dword v92, off, s[0:3], 0 offset:292
	buffer_load_dword v97, off, s[0:3], 0 offset:312
	;; [unrolled: 1-line block ×7, first 2 shown]
	s_waitcnt vmcnt(32)
	v_fma_f64 v[82:83], v[95:96], v[83:84], v[89:90]
	s_waitcnt vmcnt(31) lgkmcnt(0)
	v_fma_f64 v[83:84], v[93:94], v[85:86], v[82:83]
	buffer_load_dword v82, off, s[0:3], 0 offset:308
	s_waitcnt vmcnt(27)
	v_fma_f64 v[93:94], v[99:100], v[87:88], v[83:84]
	ds_read2_b64 v[83:86], v0 offset0:65 offset1:66
	ds_read2_b64 v[87:90], v0 offset0:67 offset1:68
	s_waitcnt vmcnt(26) lgkmcnt(1)
	v_fma_f64 v[83:84], v[109:110], v[83:84], v[93:94]
	s_clause 0x1
	buffer_load_dword v93, off, s[0:3], 0
	buffer_load_dword v94, off, s[0:3], 0 offset:4
	s_waitcnt vmcnt(27)
	v_fma_f64 v[83:84], v[103:104], v[85:86], v[83:84]
	s_waitcnt vmcnt(26) lgkmcnt(0)
	v_fma_f64 v[83:84], v[101:102], v[87:88], v[83:84]
	s_waitcnt vmcnt(21)
	v_fma_f64 v[95:96], v[105:106], v[89:90], v[83:84]
	ds_read2_b64 v[83:86], v0 offset0:69 offset1:70
	ds_read2_b64 v[87:90], v0 offset0:71 offset1:72
	s_waitcnt vmcnt(20) lgkmcnt(1)
	v_fma_f64 v[83:84], v[117:118], v[83:84], v[95:96]
	s_waitcnt vmcnt(19)
	v_fma_f64 v[83:84], v[111:112], v[85:86], v[83:84]
	s_waitcnt vmcnt(18) lgkmcnt(0)
	v_fma_f64 v[83:84], v[107:108], v[87:88], v[83:84]
	s_waitcnt vmcnt(13)
	v_fma_f64 v[95:96], v[113:114], v[89:90], v[83:84]
	ds_read2_b64 v[83:86], v0 offset0:73 offset1:74
	ds_read2_b64 v[87:90], v0 offset0:75 offset1:76
	s_waitcnt vmcnt(12) lgkmcnt(1)
	v_fma_f64 v[83:84], v[125:126], v[83:84], v[95:96]
	s_waitcnt vmcnt(11)
	v_fma_f64 v[83:84], v[123:124], v[85:86], v[83:84]
	s_waitcnt vmcnt(10) lgkmcnt(0)
	v_fma_f64 v[83:84], v[115:116], v[87:88], v[83:84]
	s_waitcnt vmcnt(5)
	v_fma_f64 v[87:88], v[91:92], v[89:90], v[83:84]
	ds_read2_b64 v[83:86], v0 offset0:77 offset1:78
	ds_read_b64 v[89:90], v0 offset:632
	s_waitcnt vmcnt(4) lgkmcnt(1)
	v_fma_f64 v[83:84], v[119:120], v[83:84], v[87:88]
	s_waitcnt vmcnt(2)
	v_fma_f64 v[83:84], v[81:82], v[85:86], v[83:84]
	s_waitcnt lgkmcnt(0)
	v_fma_f64 v[83:84], v[97:98], v[89:90], v[83:84]
	s_waitcnt vmcnt(0)
	v_add_f64 v[83:84], v[93:94], -v[83:84]
	buffer_store_dword v84, off, s[0:3], 0 offset:4
	buffer_store_dword v83, off, s[0:3], 0
	s_cbranch_vccz .LBB39_328
; %bb.250:
	global_load_dword v0, v0, s[20:21] offset:152
	s_waitcnt vmcnt(0)
	v_add_nc_u32_e32 v0, -1, v0
	v_cmp_ne_u32_e32 vcc_lo, 38, v0
	s_cbranch_vccz .LBB39_252
; %bb.251:
	v_lshlrev_b32_e32 v0, 3, v0
	s_clause 0x1
	buffer_load_dword v83, v0, s[0:3], 0 offen offset:4
	buffer_load_dword v84, v0, s[0:3], 0 offen
	s_waitcnt vmcnt(1)
	buffer_store_dword v83, off, s[0:3], 0 offset:308
	s_waitcnt vmcnt(0)
	buffer_store_dword v84, off, s[0:3], 0 offset:304
	buffer_store_dword v82, v0, s[0:3], 0 offen offset:4
	buffer_store_dword v81, v0, s[0:3], 0 offen
.LBB39_252:
	v_mov_b32_e32 v0, 0
	global_load_dword v81, v0, s[20:21] offset:148
	s_waitcnt vmcnt(0)
	v_add_nc_u32_e32 v81, -1, v81
	v_cmp_eq_u32_e32 vcc_lo, 37, v81
	s_cbranch_vccnz .LBB39_254
; %bb.253:
	v_lshlrev_b32_e32 v81, 3, v81
	s_clause 0x3
	buffer_load_dword v82, v81, s[0:3], 0 offen
	buffer_load_dword v83, v81, s[0:3], 0 offen offset:4
	buffer_load_dword v84, off, s[0:3], 0 offset:296
	buffer_load_dword v85, off, s[0:3], 0 offset:300
	s_waitcnt vmcnt(3)
	buffer_store_dword v82, off, s[0:3], 0 offset:296
	s_waitcnt vmcnt(2)
	buffer_store_dword v83, off, s[0:3], 0 offset:300
	s_waitcnt vmcnt(1)
	buffer_store_dword v84, v81, s[0:3], 0 offen
	s_waitcnt vmcnt(0)
	buffer_store_dword v85, v81, s[0:3], 0 offen offset:4
.LBB39_254:
	global_load_dword v0, v0, s[20:21] offset:144
	s_waitcnt vmcnt(0)
	v_add_nc_u32_e32 v0, -1, v0
	v_cmp_eq_u32_e32 vcc_lo, 36, v0
	s_cbranch_vccnz .LBB39_256
; %bb.255:
	v_lshlrev_b32_e32 v0, 3, v0
	s_clause 0x3
	buffer_load_dword v81, v0, s[0:3], 0 offen
	buffer_load_dword v82, v0, s[0:3], 0 offen offset:4
	buffer_load_dword v83, off, s[0:3], 0 offset:292
	buffer_load_dword v84, off, s[0:3], 0 offset:288
	s_waitcnt vmcnt(3)
	buffer_store_dword v81, off, s[0:3], 0 offset:288
	s_waitcnt vmcnt(2)
	buffer_store_dword v82, off, s[0:3], 0 offset:292
	s_waitcnt vmcnt(1)
	buffer_store_dword v83, v0, s[0:3], 0 offen offset:4
	s_waitcnt vmcnt(0)
	buffer_store_dword v84, v0, s[0:3], 0 offen
.LBB39_256:
	v_mov_b32_e32 v0, 0
	global_load_dword v81, v0, s[20:21] offset:140
	s_waitcnt vmcnt(0)
	v_add_nc_u32_e32 v81, -1, v81
	v_cmp_eq_u32_e32 vcc_lo, 35, v81
	s_cbranch_vccnz .LBB39_258
; %bb.257:
	v_lshlrev_b32_e32 v81, 3, v81
	s_clause 0x3
	buffer_load_dword v82, v81, s[0:3], 0 offen
	buffer_load_dword v83, v81, s[0:3], 0 offen offset:4
	buffer_load_dword v84, off, s[0:3], 0 offset:280
	buffer_load_dword v85, off, s[0:3], 0 offset:284
	s_waitcnt vmcnt(3)
	buffer_store_dword v82, off, s[0:3], 0 offset:280
	s_waitcnt vmcnt(2)
	buffer_store_dword v83, off, s[0:3], 0 offset:284
	s_waitcnt vmcnt(1)
	buffer_store_dword v84, v81, s[0:3], 0 offen
	s_waitcnt vmcnt(0)
	buffer_store_dword v85, v81, s[0:3], 0 offen offset:4
.LBB39_258:
	global_load_dword v0, v0, s[20:21] offset:136
	s_waitcnt vmcnt(0)
	v_add_nc_u32_e32 v0, -1, v0
	v_cmp_eq_u32_e32 vcc_lo, 34, v0
	s_cbranch_vccnz .LBB39_260
; %bb.259:
	v_lshlrev_b32_e32 v0, 3, v0
	s_clause 0x3
	buffer_load_dword v81, v0, s[0:3], 0 offen
	buffer_load_dword v82, v0, s[0:3], 0 offen offset:4
	buffer_load_dword v83, off, s[0:3], 0 offset:276
	buffer_load_dword v84, off, s[0:3], 0 offset:272
	s_waitcnt vmcnt(3)
	buffer_store_dword v81, off, s[0:3], 0 offset:272
	s_waitcnt vmcnt(2)
	buffer_store_dword v82, off, s[0:3], 0 offset:276
	s_waitcnt vmcnt(1)
	buffer_store_dword v83, v0, s[0:3], 0 offen offset:4
	s_waitcnt vmcnt(0)
	buffer_store_dword v84, v0, s[0:3], 0 offen
.LBB39_260:
	;; [unrolled: 43-line block ×18, first 2 shown]
	v_mov_b32_e32 v0, 0
	global_load_dword v81, v0, s[20:21] offset:4
	s_waitcnt vmcnt(0)
	v_add_nc_u32_e32 v81, -1, v81
	v_cmp_eq_u32_e32 vcc_lo, 1, v81
	s_cbranch_vccnz .LBB39_326
; %bb.325:
	v_lshlrev_b32_e32 v81, 3, v81
	s_clause 0x3
	buffer_load_dword v82, v81, s[0:3], 0 offen
	buffer_load_dword v83, v81, s[0:3], 0 offen offset:4
	buffer_load_dword v84, off, s[0:3], 0 offset:8
	buffer_load_dword v85, off, s[0:3], 0 offset:12
	s_waitcnt vmcnt(3)
	buffer_store_dword v82, off, s[0:3], 0 offset:8
	s_waitcnt vmcnt(2)
	buffer_store_dword v83, off, s[0:3], 0 offset:12
	s_waitcnt vmcnt(1)
	buffer_store_dword v84, v81, s[0:3], 0 offen
	s_waitcnt vmcnt(0)
	buffer_store_dword v85, v81, s[0:3], 0 offen offset:4
.LBB39_326:
	global_load_dword v0, v0, s[20:21]
	s_clause 0x1
	buffer_load_dword v83, off, s[0:3], 0
	buffer_load_dword v84, off, s[0:3], 0 offset:4
	s_waitcnt vmcnt(2)
	v_add_nc_u32_e32 v0, -1, v0
	v_cmp_eq_u32_e32 vcc_lo, 0, v0
	s_cbranch_vccnz .LBB39_328
; %bb.327:
	v_lshlrev_b32_e32 v0, 3, v0
	s_clause 0x1
	buffer_load_dword v81, v0, s[0:3], 0 offen offset:4
	buffer_load_dword v82, v0, s[0:3], 0 offen
	s_waitcnt vmcnt(1)
	buffer_store_dword v81, off, s[0:3], 0 offset:4
	s_waitcnt vmcnt(0)
	buffer_store_dword v82, off, s[0:3], 0
	buffer_store_dword v84, v0, s[0:3], 0 offen offset:4
	buffer_store_dword v83, v0, s[0:3], 0 offen
	s_clause 0x1
	buffer_load_dword v83, off, s[0:3], 0
	buffer_load_dword v84, off, s[0:3], 0 offset:4
.LBB39_328:
	s_clause 0xf
	buffer_load_dword v81, off, s[0:3], 0 offset:8
	buffer_load_dword v82, off, s[0:3], 0 offset:12
	;; [unrolled: 1-line block ×16, first 2 shown]
	s_waitcnt vmcnt(16)
	global_store_dwordx2 v[79:80], v[83:84], off
	s_clause 0x17
	buffer_load_dword v79, off, s[0:3], 0 offset:72
	buffer_load_dword v80, off, s[0:3], 0 offset:76
	;; [unrolled: 1-line block ×24, first 2 shown]
	s_waitcnt vmcnt(38)
	global_store_dwordx2 v[49:50], v[81:82], off
	s_clause 0x7
	buffer_load_dword v49, off, s[0:3], 0 offset:168
	buffer_load_dword v50, off, s[0:3], 0 offset:172
	buffer_load_dword v81, off, s[0:3], 0 offset:176
	buffer_load_dword v82, off, s[0:3], 0 offset:180
	buffer_load_dword v119, off, s[0:3], 0 offset:184
	buffer_load_dword v120, off, s[0:3], 0 offset:188
	buffer_load_dword v121, off, s[0:3], 0 offset:192
	buffer_load_dword v122, off, s[0:3], 0 offset:196
	s_waitcnt vmcnt(44)
	global_store_dwordx2 v[1:2], v[85:86], off
	s_waitcnt vmcnt(42)
	global_store_dwordx2 v[5:6], v[87:88], off
	s_clause 0x7
	buffer_load_dword v0, off, s[0:3], 0 offset:200
	buffer_load_dword v1, off, s[0:3], 0 offset:204
	buffer_load_dword v5, off, s[0:3], 0 offset:208
	buffer_load_dword v6, off, s[0:3], 0 offset:212
	buffer_load_dword v85, off, s[0:3], 0 offset:216
	buffer_load_dword v86, off, s[0:3], 0 offset:220
	buffer_load_dword v87, off, s[0:3], 0 offset:224
	buffer_load_dword v88, off, s[0:3], 0 offset:228
	s_waitcnt vmcnt(48)
	global_store_dwordx2 v[3:4], v[89:90], off
	;; [unrolled: 13-line block ×4, first 2 shown]
	s_clause 0x5
	buffer_load_dword v13, off, s[0:3], 0 offset:296
	buffer_load_dword v14, off, s[0:3], 0 offset:300
	;; [unrolled: 1-line block ×6, first 2 shown]
	s_waitcnt vmcnt(60)
	global_store_dwordx2 v[11:12], v[79:80], off
	s_waitcnt vmcnt(58)
	global_store_dwordx2 v[17:18], v[83:84], off
	;; [unrolled: 2-line block ×31, first 2 shown]
	s_endpgm
	.section	.rodata,"a",@progbits
	.p2align	6, 0x0
	.amdhsa_kernel _ZN9rocsolver6v33100L18getri_kernel_smallILi40EdPdEEvT1_iilPiilS4_bb
		.amdhsa_group_segment_fixed_size 648
		.amdhsa_private_segment_fixed_size 336
		.amdhsa_kernarg_size 60
		.amdhsa_user_sgpr_count 6
		.amdhsa_user_sgpr_private_segment_buffer 1
		.amdhsa_user_sgpr_dispatch_ptr 0
		.amdhsa_user_sgpr_queue_ptr 0
		.amdhsa_user_sgpr_kernarg_segment_ptr 1
		.amdhsa_user_sgpr_dispatch_id 0
		.amdhsa_user_sgpr_flat_scratch_init 0
		.amdhsa_user_sgpr_private_segment_size 0
		.amdhsa_wavefront_size32 1
		.amdhsa_uses_dynamic_stack 0
		.amdhsa_system_sgpr_private_segment_wavefront_offset 1
		.amdhsa_system_sgpr_workgroup_id_x 1
		.amdhsa_system_sgpr_workgroup_id_y 0
		.amdhsa_system_sgpr_workgroup_id_z 0
		.amdhsa_system_sgpr_workgroup_info 0
		.amdhsa_system_vgpr_workitem_id 0
		.amdhsa_next_free_vgpr 127
		.amdhsa_next_free_sgpr 23
		.amdhsa_reserve_vcc 1
		.amdhsa_reserve_flat_scratch 0
		.amdhsa_float_round_mode_32 0
		.amdhsa_float_round_mode_16_64 0
		.amdhsa_float_denorm_mode_32 3
		.amdhsa_float_denorm_mode_16_64 3
		.amdhsa_dx10_clamp 1
		.amdhsa_ieee_mode 1
		.amdhsa_fp16_overflow 0
		.amdhsa_workgroup_processor_mode 1
		.amdhsa_memory_ordered 1
		.amdhsa_forward_progress 1
		.amdhsa_shared_vgpr_count 0
		.amdhsa_exception_fp_ieee_invalid_op 0
		.amdhsa_exception_fp_denorm_src 0
		.amdhsa_exception_fp_ieee_div_zero 0
		.amdhsa_exception_fp_ieee_overflow 0
		.amdhsa_exception_fp_ieee_underflow 0
		.amdhsa_exception_fp_ieee_inexact 0
		.amdhsa_exception_int_div_zero 0
	.end_amdhsa_kernel
	.section	.text._ZN9rocsolver6v33100L18getri_kernel_smallILi40EdPdEEvT1_iilPiilS4_bb,"axG",@progbits,_ZN9rocsolver6v33100L18getri_kernel_smallILi40EdPdEEvT1_iilPiilS4_bb,comdat
.Lfunc_end39:
	.size	_ZN9rocsolver6v33100L18getri_kernel_smallILi40EdPdEEvT1_iilPiilS4_bb, .Lfunc_end39-_ZN9rocsolver6v33100L18getri_kernel_smallILi40EdPdEEvT1_iilPiilS4_bb
                                        ; -- End function
	.set _ZN9rocsolver6v33100L18getri_kernel_smallILi40EdPdEEvT1_iilPiilS4_bb.num_vgpr, 127
	.set _ZN9rocsolver6v33100L18getri_kernel_smallILi40EdPdEEvT1_iilPiilS4_bb.num_agpr, 0
	.set _ZN9rocsolver6v33100L18getri_kernel_smallILi40EdPdEEvT1_iilPiilS4_bb.numbered_sgpr, 23
	.set _ZN9rocsolver6v33100L18getri_kernel_smallILi40EdPdEEvT1_iilPiilS4_bb.num_named_barrier, 0
	.set _ZN9rocsolver6v33100L18getri_kernel_smallILi40EdPdEEvT1_iilPiilS4_bb.private_seg_size, 336
	.set _ZN9rocsolver6v33100L18getri_kernel_smallILi40EdPdEEvT1_iilPiilS4_bb.uses_vcc, 1
	.set _ZN9rocsolver6v33100L18getri_kernel_smallILi40EdPdEEvT1_iilPiilS4_bb.uses_flat_scratch, 0
	.set _ZN9rocsolver6v33100L18getri_kernel_smallILi40EdPdEEvT1_iilPiilS4_bb.has_dyn_sized_stack, 0
	.set _ZN9rocsolver6v33100L18getri_kernel_smallILi40EdPdEEvT1_iilPiilS4_bb.has_recursion, 0
	.set _ZN9rocsolver6v33100L18getri_kernel_smallILi40EdPdEEvT1_iilPiilS4_bb.has_indirect_call, 0
	.section	.AMDGPU.csdata,"",@progbits
; Kernel info:
; codeLenInByte = 47972
; TotalNumSgprs: 25
; NumVgprs: 127
; ScratchSize: 336
; MemoryBound: 1
; FloatMode: 240
; IeeeMode: 1
; LDSByteSize: 648 bytes/workgroup (compile time only)
; SGPRBlocks: 0
; VGPRBlocks: 15
; NumSGPRsForWavesPerEU: 25
; NumVGPRsForWavesPerEU: 127
; Occupancy: 8
; WaveLimiterHint : 1
; COMPUTE_PGM_RSRC2:SCRATCH_EN: 1
; COMPUTE_PGM_RSRC2:USER_SGPR: 6
; COMPUTE_PGM_RSRC2:TRAP_HANDLER: 0
; COMPUTE_PGM_RSRC2:TGID_X_EN: 1
; COMPUTE_PGM_RSRC2:TGID_Y_EN: 0
; COMPUTE_PGM_RSRC2:TGID_Z_EN: 0
; COMPUTE_PGM_RSRC2:TIDIG_COMP_CNT: 0
	.section	.text._ZN9rocsolver6v33100L18getri_kernel_smallILi41EdPdEEvT1_iilPiilS4_bb,"axG",@progbits,_ZN9rocsolver6v33100L18getri_kernel_smallILi41EdPdEEvT1_iilPiilS4_bb,comdat
	.globl	_ZN9rocsolver6v33100L18getri_kernel_smallILi41EdPdEEvT1_iilPiilS4_bb ; -- Begin function _ZN9rocsolver6v33100L18getri_kernel_smallILi41EdPdEEvT1_iilPiilS4_bb
	.p2align	8
	.type	_ZN9rocsolver6v33100L18getri_kernel_smallILi41EdPdEEvT1_iilPiilS4_bb,@function
_ZN9rocsolver6v33100L18getri_kernel_smallILi41EdPdEEvT1_iilPiilS4_bb: ; @_ZN9rocsolver6v33100L18getri_kernel_smallILi41EdPdEEvT1_iilPiilS4_bb
; %bb.0:
	s_add_u32 s0, s0, s7
	s_addc_u32 s1, s1, 0
	s_mov_b32 s7, exec_lo
	v_cmpx_gt_u32_e32 41, v0
	s_cbranch_execz .LBB40_174
; %bb.1:
	s_clause 0x2
	s_load_dword s7, s[4:5], 0x38
	s_load_dwordx4 s[16:19], s[4:5], 0x10
	s_load_dwordx4 s[8:11], s[4:5], 0x28
                                        ; implicit-def: $sgpr20_sgpr21
	s_waitcnt lgkmcnt(0)
	s_bitcmp1_b32 s7, 8
	s_cselect_b32 s22, -1, 0
	s_bfe_u32 s12, s7, 0x10008
	s_ashr_i32 s7, s6, 31
	s_cmp_eq_u32 s12, 0
	s_cbranch_scc1 .LBB40_3
; %bb.2:
	s_load_dword s12, s[4:5], 0x20
	s_mul_i32 s13, s8, s7
	s_mul_hi_u32 s14, s8, s6
	s_mul_i32 s9, s9, s6
	s_add_i32 s13, s14, s13
	s_mul_i32 s8, s8, s6
	s_add_i32 s9, s13, s9
	s_lshl_b64 s[8:9], s[8:9], 2
	s_waitcnt lgkmcnt(0)
	s_ashr_i32 s13, s12, 31
	s_add_u32 s14, s18, s8
	s_addc_u32 s15, s19, s9
	s_lshl_b64 s[8:9], s[12:13], 2
	s_add_u32 s20, s14, s8
	s_addc_u32 s21, s15, s9
.LBB40_3:
	s_clause 0x1
	s_load_dwordx4 s[12:15], s[4:5], 0x0
	s_load_dword s8, s[4:5], 0x38
	s_mul_i32 s4, s16, s7
	s_mul_hi_u32 s5, s16, s6
	s_mul_i32 s9, s17, s6
	s_add_i32 s5, s5, s4
	s_mul_i32 s4, s16, s6
	s_add_i32 s5, s5, s9
	v_lshlrev_b32_e32 v85, 3, v0
	s_lshl_b64 s[4:5], s[4:5], 3
	s_waitcnt lgkmcnt(0)
	s_ashr_i32 s17, s14, 31
	s_mov_b32 s16, s14
	s_add_u32 s9, s12, s4
	s_addc_u32 s12, s13, s5
	s_lshl_b64 s[4:5], s[16:17], 3
	v_add3_u32 v1, s15, s15, v0
	s_add_u32 s4, s9, s4
	s_addc_u32 s5, s12, s5
	v_add_co_u32 v51, s9, s4, v85
	global_load_dwordx2 v[83:84], v85, s[4:5]
	v_add_nc_u32_e32 v3, s15, v1
	v_ashrrev_i32_e32 v2, 31, v1
	s_mov_b32 s12, s15
	s_ashr_i32 s13, s15, 31
	v_add_co_ci_u32_e64 v52, null, s5, 0, s9
	v_add_nc_u32_e32 v5, s15, v3
	v_ashrrev_i32_e32 v4, 31, v3
	v_lshlrev_b64 v[1:2], 3, v[1:2]
	s_lshl_b64 s[12:13], s[12:13], 3
	s_bitcmp0_b32 s8, 0
	v_ashrrev_i32_e32 v6, 31, v5
	v_add_nc_u32_e32 v7, s15, v5
	v_add_co_u32 v33, vcc_lo, v51, s12
	v_lshlrev_b64 v[3:4], 3, v[3:4]
	v_add_co_ci_u32_e64 v34, null, s13, v52, vcc_lo
	v_add_co_u32 v23, vcc_lo, s4, v1
	v_add_co_ci_u32_e64 v24, null, s5, v2, vcc_lo
	v_lshlrev_b64 v[1:2], 3, v[5:6]
	v_ashrrev_i32_e32 v8, 31, v7
	v_add_nc_u32_e32 v5, s15, v7
	v_add_co_u32 v27, vcc_lo, s4, v3
	v_add_co_ci_u32_e64 v28, null, s5, v4, vcc_lo
	v_lshlrev_b64 v[3:4], 3, v[7:8]
	v_ashrrev_i32_e32 v6, 31, v5
	v_add_nc_u32_e32 v7, s15, v5
	;; [unrolled: 5-line block ×5, first 2 shown]
	v_add_co_u32 v15, vcc_lo, s4, v3
	v_add_co_ci_u32_e64 v16, null, s5, v4, vcc_lo
	v_lshlrev_b64 v[3:4], 3, v[7:8]
	v_add_nc_u32_e32 v7, s15, v5
	v_ashrrev_i32_e32 v6, 31, v5
	v_add_co_u32 v1, vcc_lo, s4, v1
	v_add_co_ci_u32_e64 v2, null, s5, v2, vcc_lo
	v_add_nc_u32_e32 v13, s15, v7
	v_lshlrev_b64 v[9:10], 3, v[5:6]
	v_add_co_u32 v5, vcc_lo, s4, v3
	v_add_co_ci_u32_e64 v6, null, s5, v4, vcc_lo
	v_ashrrev_i32_e32 v14, 31, v13
	v_add_nc_u32_e32 v21, s15, v13
	v_add_co_u32 v3, vcc_lo, s4, v9
	v_add_co_ci_u32_e64 v4, null, s5, v10, vcc_lo
	v_lshlrev_b64 v[9:10], 3, v[13:14]
	v_add_nc_u32_e32 v13, s15, v21
	v_ashrrev_i32_e32 v8, 31, v7
	v_ashrrev_i32_e32 v22, 31, v21
	s_clause 0x7
	global_load_dwordx2 v[86:87], v[33:34], off
	global_load_dwordx2 v[88:89], v[23:24], off
	;; [unrolled: 1-line block ×8, first 2 shown]
	v_add_nc_u32_e32 v25, s15, v13
	v_lshlrev_b64 v[7:8], 3, v[7:8]
	v_ashrrev_i32_e32 v14, 31, v13
	v_lshlrev_b64 v[21:22], 3, v[21:22]
	v_add_nc_u32_e32 v31, s15, v25
	v_ashrrev_i32_e32 v26, 31, v25
	v_add_co_u32 v7, vcc_lo, s4, v7
	v_lshlrev_b64 v[29:30], 3, v[13:14]
	v_add_co_ci_u32_e64 v8, null, s5, v8, vcc_lo
	v_add_co_u32 v9, vcc_lo, s4, v9
	v_ashrrev_i32_e32 v32, 31, v31
	v_add_nc_u32_e32 v35, s15, v31
	v_add_co_ci_u32_e64 v10, null, s5, v10, vcc_lo
	v_add_co_u32 v13, vcc_lo, s4, v21
	v_add_co_ci_u32_e64 v14, null, s5, v22, vcc_lo
	v_add_co_u32 v21, vcc_lo, s4, v29
	v_add_co_ci_u32_e64 v22, null, s5, v30, vcc_lo
	v_lshlrev_b64 v[29:30], 3, v[31:32]
	v_add_nc_u32_e32 v31, s15, v35
	v_ashrrev_i32_e32 v36, 31, v35
	v_lshlrev_b64 v[25:26], 3, v[25:26]
	s_clause 0x3
	global_load_dwordx2 v[102:103], v[5:6], off
	global_load_dwordx2 v[104:105], v[3:4], off
	global_load_dwordx2 v[106:107], v[7:8], off
	global_load_dwordx2 v[108:109], v[9:10], off
	v_add_nc_u32_e32 v37, s15, v31
	v_ashrrev_i32_e32 v32, 31, v31
	v_lshlrev_b64 v[35:36], 3, v[35:36]
	v_add_co_u32 v25, vcc_lo, s4, v25
	v_add_nc_u32_e32 v41, s15, v37
	v_lshlrev_b64 v[39:40], 3, v[31:32]
	v_add_co_ci_u32_e64 v26, null, s5, v26, vcc_lo
	v_add_co_u32 v29, vcc_lo, s4, v29
	v_ashrrev_i32_e32 v42, 31, v41
	v_add_nc_u32_e32 v43, s15, v41
	v_add_co_ci_u32_e64 v30, null, s5, v30, vcc_lo
	v_add_co_u32 v31, vcc_lo, s4, v35
	v_add_co_ci_u32_e64 v32, null, s5, v36, vcc_lo
	v_add_co_u32 v35, vcc_lo, s4, v39
	v_add_co_ci_u32_e64 v36, null, s5, v40, vcc_lo
	v_lshlrev_b64 v[39:40], 3, v[41:42]
	v_add_nc_u32_e32 v41, s15, v43
	v_ashrrev_i32_e32 v38, 31, v37
	v_ashrrev_i32_e32 v44, 31, v43
	s_clause 0x5
	global_load_dwordx2 v[110:111], v[13:14], off
	global_load_dwordx2 v[112:113], v[21:22], off
	;; [unrolled: 1-line block ×6, first 2 shown]
	v_add_nc_u32_e32 v45, s15, v41
	v_lshlrev_b64 v[37:38], 3, v[37:38]
	v_ashrrev_i32_e32 v42, 31, v41
	v_lshlrev_b64 v[43:44], 3, v[43:44]
	v_add_nc_u32_e32 v49, s15, v45
	v_ashrrev_i32_e32 v46, 31, v45
	v_add_co_u32 v37, vcc_lo, s4, v37
	v_lshlrev_b64 v[47:48], 3, v[41:42]
	v_add_co_ci_u32_e64 v38, null, s5, v38, vcc_lo
	v_add_co_u32 v39, vcc_lo, s4, v39
	v_ashrrev_i32_e32 v50, 31, v49
	v_add_nc_u32_e32 v53, s15, v49
	v_add_co_ci_u32_e64 v40, null, s5, v40, vcc_lo
	v_add_co_u32 v41, vcc_lo, s4, v43
	v_add_co_ci_u32_e64 v42, null, s5, v44, vcc_lo
	v_add_co_u32 v43, vcc_lo, s4, v47
	v_add_co_ci_u32_e64 v44, null, s5, v48, vcc_lo
	v_lshlrev_b64 v[47:48], 3, v[49:50]
	v_add_nc_u32_e32 v49, s15, v53
	v_ashrrev_i32_e32 v54, 31, v53
	v_lshlrev_b64 v[45:46], 3, v[45:46]
	v_add_nc_u32_e32 v55, s15, v49
	v_ashrrev_i32_e32 v50, 31, v49
	v_lshlrev_b64 v[53:54], 3, v[53:54]
	v_add_co_u32 v45, vcc_lo, s4, v45
	v_add_nc_u32_e32 v59, s15, v55
	v_lshlrev_b64 v[57:58], 3, v[49:50]
	v_add_co_ci_u32_e64 v46, null, s5, v46, vcc_lo
	v_add_co_u32 v47, vcc_lo, s4, v47
	v_ashrrev_i32_e32 v60, 31, v59
	v_add_nc_u32_e32 v61, s15, v59
	v_add_co_ci_u32_e64 v48, null, s5, v48, vcc_lo
	v_add_co_u32 v49, vcc_lo, s4, v53
	v_add_co_ci_u32_e64 v50, null, s5, v54, vcc_lo
	v_add_co_u32 v53, vcc_lo, s4, v57
	v_add_co_ci_u32_e64 v54, null, s5, v58, vcc_lo
	v_lshlrev_b64 v[57:58], 3, v[59:60]
	v_add_nc_u32_e32 v59, s15, v61
	v_ashrrev_i32_e32 v56, 31, v55
	v_ashrrev_i32_e32 v62, 31, v61
	v_add_nc_u32_e32 v63, s15, v59
	v_lshlrev_b64 v[55:56], 3, v[55:56]
	v_ashrrev_i32_e32 v60, 31, v59
	v_lshlrev_b64 v[61:62], 3, v[61:62]
	v_add_nc_u32_e32 v67, s15, v63
	v_ashrrev_i32_e32 v64, 31, v63
	v_add_co_u32 v55, vcc_lo, s4, v55
	v_lshlrev_b64 v[65:66], 3, v[59:60]
	v_add_co_ci_u32_e64 v56, null, s5, v56, vcc_lo
	v_add_co_u32 v57, vcc_lo, s4, v57
	v_ashrrev_i32_e32 v68, 31, v67
	v_add_nc_u32_e32 v69, s15, v67
	v_add_co_ci_u32_e64 v58, null, s5, v58, vcc_lo
	v_add_co_u32 v59, vcc_lo, s4, v61
	v_add_co_ci_u32_e64 v60, null, s5, v62, vcc_lo
	v_add_co_u32 v61, vcc_lo, s4, v65
	v_add_co_ci_u32_e64 v62, null, s5, v66, vcc_lo
	v_lshlrev_b64 v[65:66], 3, v[67:68]
	v_add_nc_u32_e32 v67, s15, v69
	v_ashrrev_i32_e32 v70, 31, v69
	v_lshlrev_b64 v[63:64], 3, v[63:64]
	v_add_nc_u32_e32 v71, s15, v67
	v_ashrrev_i32_e32 v68, 31, v67
	v_lshlrev_b64 v[69:70], 3, v[69:70]
	v_add_co_u32 v63, vcc_lo, s4, v63
	v_add_nc_u32_e32 v75, s15, v71
	v_lshlrev_b64 v[73:74], 3, v[67:68]
	v_add_co_ci_u32_e64 v64, null, s5, v64, vcc_lo
	v_add_co_u32 v65, vcc_lo, s4, v65
	v_ashrrev_i32_e32 v76, 31, v75
	v_add_nc_u32_e32 v77, s15, v75
	v_add_co_ci_u32_e64 v66, null, s5, v66, vcc_lo
	v_add_co_u32 v67, vcc_lo, s4, v69
	v_add_co_ci_u32_e64 v68, null, s5, v70, vcc_lo
	v_add_co_u32 v69, vcc_lo, s4, v73
	v_add_co_ci_u32_e64 v70, null, s5, v74, vcc_lo
	v_lshlrev_b64 v[73:74], 3, v[75:76]
	v_add_nc_u32_e32 v75, s15, v77
	v_ashrrev_i32_e32 v72, 31, v71
	v_ashrrev_i32_e32 v78, 31, v77
	v_add_nc_u32_e32 v79, s15, v75
	v_lshlrev_b64 v[71:72], 3, v[71:72]
	v_ashrrev_i32_e32 v76, 31, v75
	v_lshlrev_b64 v[77:78], 3, v[77:78]
	v_add_nc_u32_e32 v122, s15, v79
	v_ashrrev_i32_e32 v80, 31, v79
	v_add_co_u32 v71, vcc_lo, s4, v71
	v_lshlrev_b64 v[81:82], 3, v[75:76]
	v_ashrrev_i32_e32 v123, 31, v122
	v_add_co_ci_u32_e64 v72, null, s5, v72, vcc_lo
	v_add_co_u32 v73, vcc_lo, s4, v73
	v_lshlrev_b64 v[79:80], 3, v[79:80]
	v_add_co_ci_u32_e64 v74, null, s5, v74, vcc_lo
	v_add_co_u32 v75, vcc_lo, s4, v77
	v_lshlrev_b64 v[122:123], 3, v[122:123]
	v_add_co_ci_u32_e64 v76, null, s5, v78, vcc_lo
	v_add_co_u32 v77, vcc_lo, s4, v81
	v_add_co_ci_u32_e64 v78, null, s5, v82, vcc_lo
	v_add_co_u32 v81, vcc_lo, s4, v79
	;; [unrolled: 2-line block ×3, first 2 shown]
	v_add_co_ci_u32_e64 v80, null, s5, v123, vcc_lo
	global_load_dwordx2 v[122:123], v[37:38], off
	s_mov_b32 s5, -1
	s_waitcnt vmcnt(19)
	buffer_store_dword v84, off, s[0:3], 0 offset:4
	buffer_store_dword v83, off, s[0:3], 0
	global_load_dwordx2 v[83:84], v[39:40], off
	s_waitcnt vmcnt(19)
	buffer_store_dword v87, off, s[0:3], 0 offset:12
	buffer_store_dword v86, off, s[0:3], 0 offset:8
	s_waitcnt vmcnt(18)
	buffer_store_dword v89, off, s[0:3], 0 offset:20
	buffer_store_dword v88, off, s[0:3], 0 offset:16
	s_waitcnt vmcnt(17)
	buffer_store_dword v91, off, s[0:3], 0 offset:28
	buffer_store_dword v90, off, s[0:3], 0 offset:24
	s_waitcnt vmcnt(16)
	buffer_store_dword v93, off, s[0:3], 0 offset:36
	buffer_store_dword v92, off, s[0:3], 0 offset:32
	s_clause 0x3
	global_load_dwordx2 v[86:87], v[41:42], off
	global_load_dwordx2 v[88:89], v[43:44], off
	global_load_dwordx2 v[90:91], v[45:46], off
	global_load_dwordx2 v[92:93], v[47:48], off
	s_waitcnt vmcnt(19)
	buffer_store_dword v95, off, s[0:3], 0 offset:44
	buffer_store_dword v94, off, s[0:3], 0 offset:40
	s_waitcnt vmcnt(18)
	buffer_store_dword v97, off, s[0:3], 0 offset:52
	buffer_store_dword v96, off, s[0:3], 0 offset:48
	s_waitcnt vmcnt(17)
	buffer_store_dword v99, off, s[0:3], 0 offset:60
	buffer_store_dword v98, off, s[0:3], 0 offset:56
	s_waitcnt vmcnt(16)
	buffer_store_dword v101, off, s[0:3], 0 offset:68
	buffer_store_dword v100, off, s[0:3], 0 offset:64
	s_clause 0x3
	global_load_dwordx2 v[94:95], v[49:50], off
	global_load_dwordx2 v[96:97], v[53:54], off
	global_load_dwordx2 v[98:99], v[55:56], off
	;; [unrolled: 17-line block ×4, first 2 shown]
	global_load_dwordx2 v[116:117], v[73:74], off
	s_waitcnt vmcnt(19)
	buffer_store_dword v118, off, s[0:3], 0 offset:136
	buffer_store_dword v119, off, s[0:3], 0 offset:140
	global_load_dwordx2 v[118:119], v[75:76], off
	s_waitcnt vmcnt(19)
	buffer_store_dword v120, off, s[0:3], 0 offset:144
	buffer_store_dword v121, off, s[0:3], 0 offset:148
	s_waitcnt vmcnt(18)
	buffer_store_dword v123, off, s[0:3], 0 offset:156
	buffer_store_dword v122, off, s[0:3], 0 offset:152
	s_clause 0x1
	global_load_dwordx2 v[120:121], v[77:78], off
	global_load_dwordx2 v[122:123], v[81:82], off
	s_waitcnt vmcnt(19)
	buffer_store_dword v84, off, s[0:3], 0 offset:164
	buffer_store_dword v83, off, s[0:3], 0 offset:160
	global_load_dwordx2 v[83:84], v[79:80], off
	s_waitcnt vmcnt(19)
	buffer_store_dword v86, off, s[0:3], 0 offset:168
	buffer_store_dword v87, off, s[0:3], 0 offset:172
	s_waitcnt vmcnt(18)
	buffer_store_dword v88, off, s[0:3], 0 offset:176
	buffer_store_dword v89, off, s[0:3], 0 offset:180
	;; [unrolled: 3-line block ×20, first 2 shown]
	s_cbranch_scc1 .LBB40_172
; %bb.4:
	v_cmp_eq_u32_e64 s4, 0, v0
	s_and_saveexec_b32 s5, s4
; %bb.5:
	v_mov_b32_e32 v83, 0
	ds_write_b32 v83, v83 offset:328
; %bb.6:
	s_or_b32 exec_lo, exec_lo, s5
	v_lshl_add_u32 v83, v0, 3, 0
	s_waitcnt lgkmcnt(0)
	s_waitcnt_vscnt null, 0x0
	s_barrier
	buffer_gl0_inv
	s_mov_b32 s8, exec_lo
	s_clause 0x1
	buffer_load_dword v86, v83, s[0:3], 0 offen
	buffer_load_dword v87, v83, s[0:3], 0 offen offset:4
	s_waitcnt vmcnt(0)
	v_cmpx_eq_f64_e32 0, v[86:87]
	s_cbranch_execz .LBB40_10
; %bb.7:
	v_mov_b32_e32 v84, 0
	s_mov_b32 s9, 0
	ds_read_b32 v86, v84 offset:328
	s_waitcnt lgkmcnt(0)
	v_readfirstlane_b32 s5, v86
	v_add_nc_u32_e32 v86, 1, v0
	s_cmp_eq_u32 s5, 0
	v_cmp_gt_i32_e32 vcc_lo, s5, v86
	s_cselect_b32 s12, -1, 0
	s_or_b32 s12, s12, vcc_lo
	s_and_b32 exec_lo, exec_lo, s12
	s_cbranch_execz .LBB40_10
; %bb.8:
	v_mov_b32_e32 v87, s5
.LBB40_9:                               ; =>This Inner Loop Header: Depth=1
	ds_cmpst_rtn_b32 v87, v84, v87, v86 offset:328
	s_waitcnt lgkmcnt(0)
	v_cmp_ne_u32_e32 vcc_lo, 0, v87
	v_cmp_le_i32_e64 s5, v87, v86
	s_and_b32 s5, vcc_lo, s5
	s_and_b32 s5, exec_lo, s5
	s_or_b32 s9, s5, s9
	s_andn2_b32 exec_lo, exec_lo, s9
	s_cbranch_execnz .LBB40_9
.LBB40_10:
	s_or_b32 exec_lo, exec_lo, s8
	v_mov_b32_e32 v84, 0
	s_barrier
	buffer_gl0_inv
	ds_read_b32 v86, v84 offset:328
	s_and_saveexec_b32 s5, s4
	s_cbranch_execz .LBB40_12
; %bb.11:
	s_lshl_b64 s[8:9], s[6:7], 2
	s_add_u32 s8, s10, s8
	s_addc_u32 s9, s11, s9
	s_waitcnt lgkmcnt(0)
	global_store_dword v84, v86, s[8:9]
.LBB40_12:
	s_or_b32 exec_lo, exec_lo, s5
	s_waitcnt lgkmcnt(0)
	v_cmp_ne_u32_e32 vcc_lo, 0, v86
	s_mov_b32 s5, 0
	s_cbranch_vccnz .LBB40_172
; %bb.13:
	s_clause 0x1
	buffer_load_dword v86, v83, s[0:3], 0 offen
	buffer_load_dword v87, v83, s[0:3], 0 offen offset:4
	s_waitcnt vmcnt(0)
	v_div_scale_f64 v[88:89], null, v[86:87], v[86:87], 1.0
	v_div_scale_f64 v[94:95], vcc_lo, 1.0, v[86:87], 1.0
	v_rcp_f64_e32 v[90:91], v[88:89]
	v_fma_f64 v[92:93], -v[88:89], v[90:91], 1.0
	v_fma_f64 v[90:91], v[90:91], v[92:93], v[90:91]
	v_fma_f64 v[92:93], -v[88:89], v[90:91], 1.0
	v_fma_f64 v[90:91], v[90:91], v[92:93], v[90:91]
	v_mul_f64 v[92:93], v[94:95], v[90:91]
	v_fma_f64 v[88:89], -v[88:89], v[92:93], v[94:95]
	v_div_fmas_f64 v[88:89], v[88:89], v[90:91], v[92:93]
	v_div_fixup_f64 v[87:88], v[88:89], v[86:87], 1.0
	v_add_nc_u32_e32 v86, 0x150, v85
	buffer_store_dword v88, v83, s[0:3], 0 offen offset:4
	buffer_store_dword v87, v83, s[0:3], 0 offen
	s_clause 0x1
	buffer_load_dword v90, off, s[0:3], 0 offset:12
	buffer_load_dword v89, off, s[0:3], 0 offset:8
	v_xor_b32_e32 v88, 0x80000000, v88
	s_waitcnt vmcnt(0)
	ds_write2_b64 v85, v[87:88], v[89:90] offset1:42
	s_waitcnt lgkmcnt(0)
	s_waitcnt_vscnt null, 0x0
	s_barrier
	buffer_gl0_inv
	s_and_saveexec_b32 s5, s4
	s_cbranch_execz .LBB40_15
; %bb.14:
	s_clause 0x1
	buffer_load_dword v87, v83, s[0:3], 0 offen
	buffer_load_dword v88, v83, s[0:3], 0 offen offset:4
	ds_read_b64 v[89:90], v86
	v_mov_b32_e32 v84, 0
	ds_read_b64 v[91:92], v84 offset:8
	s_waitcnt vmcnt(0) lgkmcnt(1)
	v_fma_f64 v[87:88], v[87:88], v[89:90], 0
	s_waitcnt lgkmcnt(0)
	v_mul_f64 v[87:88], v[87:88], v[91:92]
	buffer_store_dword v87, off, s[0:3], 0 offset:8
	buffer_store_dword v88, off, s[0:3], 0 offset:12
.LBB40_15:
	s_or_b32 exec_lo, exec_lo, s5
	s_waitcnt_vscnt null, 0x0
	s_barrier
	buffer_gl0_inv
	s_clause 0x1
	buffer_load_dword v87, off, s[0:3], 0 offset:16
	buffer_load_dword v88, off, s[0:3], 0 offset:20
	s_mov_b32 s5, exec_lo
	s_waitcnt vmcnt(0)
	ds_write_b64 v86, v[87:88]
	s_waitcnt lgkmcnt(0)
	s_barrier
	buffer_gl0_inv
	v_cmpx_gt_u32_e32 2, v0
	s_cbranch_execz .LBB40_19
; %bb.16:
	s_clause 0x1
	buffer_load_dword v87, v83, s[0:3], 0 offen
	buffer_load_dword v88, v83, s[0:3], 0 offen offset:4
	ds_read_b64 v[83:84], v86
	s_waitcnt vmcnt(0) lgkmcnt(0)
	v_fma_f64 v[83:84], v[87:88], v[83:84], 0
	s_and_saveexec_b32 s8, s4
	s_cbranch_execz .LBB40_18
; %bb.17:
	s_clause 0x1
	buffer_load_dword v87, off, s[0:3], 0 offset:8
	buffer_load_dword v88, off, s[0:3], 0 offset:12
	v_mov_b32_e32 v89, 0
	ds_read_b64 v[89:90], v89 offset:344
	s_waitcnt vmcnt(0) lgkmcnt(0)
	v_fma_f64 v[83:84], v[87:88], v[89:90], v[83:84]
.LBB40_18:
	s_or_b32 exec_lo, exec_lo, s8
	v_mov_b32_e32 v87, 0
	ds_read_b64 v[87:88], v87 offset:16
	s_waitcnt lgkmcnt(0)
	v_mul_f64 v[83:84], v[83:84], v[87:88]
	buffer_store_dword v84, off, s[0:3], 0 offset:20
	buffer_store_dword v83, off, s[0:3], 0 offset:16
.LBB40_19:
	s_or_b32 exec_lo, exec_lo, s5
	s_waitcnt_vscnt null, 0x0
	s_barrier
	buffer_gl0_inv
	s_clause 0x1
	buffer_load_dword v83, off, s[0:3], 0 offset:24
	buffer_load_dword v84, off, s[0:3], 0 offset:28
	v_add_nc_u32_e32 v87, -1, v0
	s_mov_b32 s4, exec_lo
	s_waitcnt vmcnt(0)
	ds_write_b64 v86, v[83:84]
	s_waitcnt lgkmcnt(0)
	s_barrier
	buffer_gl0_inv
	v_cmpx_gt_u32_e32 3, v0
	s_cbranch_execz .LBB40_23
; %bb.20:
	v_mov_b32_e32 v83, 0
	v_add_nc_u32_e32 v88, -1, v0
	v_add_nc_u32_e32 v89, 0x150, v85
	v_mov_b32_e32 v84, 0
	v_mov_b32_e32 v90, v85
	s_mov_b32 s5, 0
.LBB40_21:                              ; =>This Inner Loop Header: Depth=1
	s_clause 0x1
	buffer_load_dword v91, v90, s[0:3], 0 offen
	buffer_load_dword v92, v90, s[0:3], 0 offen offset:4
	ds_read_b64 v[93:94], v89
	v_add_nc_u32_e32 v88, 1, v88
	v_add_nc_u32_e32 v89, 8, v89
	v_add_nc_u32_e32 v90, 8, v90
	v_cmp_lt_u32_e32 vcc_lo, 1, v88
	s_or_b32 s5, vcc_lo, s5
	s_waitcnt vmcnt(0) lgkmcnt(0)
	v_fma_f64 v[83:84], v[91:92], v[93:94], v[83:84]
	s_andn2_b32 exec_lo, exec_lo, s5
	s_cbranch_execnz .LBB40_21
; %bb.22:
	s_or_b32 exec_lo, exec_lo, s5
	v_mov_b32_e32 v88, 0
	ds_read_b64 v[88:89], v88 offset:24
	s_waitcnt lgkmcnt(0)
	v_mul_f64 v[83:84], v[83:84], v[88:89]
	buffer_store_dword v84, off, s[0:3], 0 offset:28
	buffer_store_dword v83, off, s[0:3], 0 offset:24
.LBB40_23:
	s_or_b32 exec_lo, exec_lo, s4
	s_waitcnt_vscnt null, 0x0
	s_barrier
	buffer_gl0_inv
	s_clause 0x1
	buffer_load_dword v83, off, s[0:3], 0 offset:32
	buffer_load_dword v84, off, s[0:3], 0 offset:36
	s_mov_b32 s4, exec_lo
	s_waitcnt vmcnt(0)
	ds_write_b64 v86, v[83:84]
	s_waitcnt lgkmcnt(0)
	s_barrier
	buffer_gl0_inv
	v_cmpx_gt_u32_e32 4, v0
	s_cbranch_execz .LBB40_27
; %bb.24:
	v_mov_b32_e32 v83, 0
	v_add_nc_u32_e32 v88, -1, v0
	v_add_nc_u32_e32 v89, 0x150, v85
	v_mov_b32_e32 v84, 0
	v_mov_b32_e32 v90, v85
	s_mov_b32 s5, 0
.LBB40_25:                              ; =>This Inner Loop Header: Depth=1
	s_clause 0x1
	buffer_load_dword v91, v90, s[0:3], 0 offen
	buffer_load_dword v92, v90, s[0:3], 0 offen offset:4
	ds_read_b64 v[93:94], v89
	v_add_nc_u32_e32 v88, 1, v88
	v_add_nc_u32_e32 v89, 8, v89
	v_add_nc_u32_e32 v90, 8, v90
	v_cmp_lt_u32_e32 vcc_lo, 2, v88
	s_or_b32 s5, vcc_lo, s5
	s_waitcnt vmcnt(0) lgkmcnt(0)
	v_fma_f64 v[83:84], v[91:92], v[93:94], v[83:84]
	s_andn2_b32 exec_lo, exec_lo, s5
	s_cbranch_execnz .LBB40_25
; %bb.26:
	s_or_b32 exec_lo, exec_lo, s5
	v_mov_b32_e32 v88, 0
	ds_read_b64 v[88:89], v88 offset:32
	s_waitcnt lgkmcnt(0)
	v_mul_f64 v[83:84], v[83:84], v[88:89]
	buffer_store_dword v84, off, s[0:3], 0 offset:36
	buffer_store_dword v83, off, s[0:3], 0 offset:32
.LBB40_27:
	s_or_b32 exec_lo, exec_lo, s4
	s_waitcnt_vscnt null, 0x0
	s_barrier
	buffer_gl0_inv
	s_clause 0x1
	buffer_load_dword v83, off, s[0:3], 0 offset:40
	buffer_load_dword v84, off, s[0:3], 0 offset:44
	;; [unrolled: 45-line block ×20, first 2 shown]
	s_mov_b32 s4, exec_lo
	s_waitcnt vmcnt(0)
	ds_write_b64 v86, v[83:84]
	s_waitcnt lgkmcnt(0)
	s_barrier
	buffer_gl0_inv
	v_cmpx_gt_u32_e32 23, v0
	s_cbranch_execz .LBB40_103
; %bb.100:
	v_mov_b32_e32 v83, 0
	v_add_nc_u32_e32 v88, -1, v0
	v_add_nc_u32_e32 v89, 0x150, v85
	v_mov_b32_e32 v84, 0
	v_mov_b32_e32 v90, v85
	s_mov_b32 s5, 0
.LBB40_101:                             ; =>This Inner Loop Header: Depth=1
	s_clause 0x1
	buffer_load_dword v91, v90, s[0:3], 0 offen
	buffer_load_dword v92, v90, s[0:3], 0 offen offset:4
	ds_read_b64 v[93:94], v89
	v_add_nc_u32_e32 v88, 1, v88
	v_add_nc_u32_e32 v89, 8, v89
	v_add_nc_u32_e32 v90, 8, v90
	v_cmp_lt_u32_e32 vcc_lo, 21, v88
	s_or_b32 s5, vcc_lo, s5
	s_waitcnt vmcnt(0) lgkmcnt(0)
	v_fma_f64 v[83:84], v[91:92], v[93:94], v[83:84]
	s_andn2_b32 exec_lo, exec_lo, s5
	s_cbranch_execnz .LBB40_101
; %bb.102:
	s_or_b32 exec_lo, exec_lo, s5
	v_mov_b32_e32 v88, 0
	ds_read_b64 v[88:89], v88 offset:184
	s_waitcnt lgkmcnt(0)
	v_mul_f64 v[83:84], v[83:84], v[88:89]
	buffer_store_dword v84, off, s[0:3], 0 offset:188
	buffer_store_dword v83, off, s[0:3], 0 offset:184
.LBB40_103:
	s_or_b32 exec_lo, exec_lo, s4
	s_waitcnt_vscnt null, 0x0
	s_barrier
	buffer_gl0_inv
	s_clause 0x1
	buffer_load_dword v83, off, s[0:3], 0 offset:192
	buffer_load_dword v84, off, s[0:3], 0 offset:196
	s_mov_b32 s4, exec_lo
	s_waitcnt vmcnt(0)
	ds_write_b64 v86, v[83:84]
	s_waitcnt lgkmcnt(0)
	s_barrier
	buffer_gl0_inv
	v_cmpx_gt_u32_e32 24, v0
	s_cbranch_execz .LBB40_107
; %bb.104:
	v_mov_b32_e32 v83, 0
	v_add_nc_u32_e32 v88, -1, v0
	v_add_nc_u32_e32 v89, 0x150, v85
	v_mov_b32_e32 v84, 0
	v_mov_b32_e32 v90, v85
	s_mov_b32 s5, 0
.LBB40_105:                             ; =>This Inner Loop Header: Depth=1
	s_clause 0x1
	buffer_load_dword v91, v90, s[0:3], 0 offen
	buffer_load_dword v92, v90, s[0:3], 0 offen offset:4
	ds_read_b64 v[93:94], v89
	v_add_nc_u32_e32 v88, 1, v88
	v_add_nc_u32_e32 v89, 8, v89
	v_add_nc_u32_e32 v90, 8, v90
	v_cmp_lt_u32_e32 vcc_lo, 22, v88
	s_or_b32 s5, vcc_lo, s5
	s_waitcnt vmcnt(0) lgkmcnt(0)
	v_fma_f64 v[83:84], v[91:92], v[93:94], v[83:84]
	s_andn2_b32 exec_lo, exec_lo, s5
	s_cbranch_execnz .LBB40_105
; %bb.106:
	s_or_b32 exec_lo, exec_lo, s5
	v_mov_b32_e32 v88, 0
	ds_read_b64 v[88:89], v88 offset:192
	s_waitcnt lgkmcnt(0)
	v_mul_f64 v[83:84], v[83:84], v[88:89]
	buffer_store_dword v84, off, s[0:3], 0 offset:196
	buffer_store_dword v83, off, s[0:3], 0 offset:192
.LBB40_107:
	s_or_b32 exec_lo, exec_lo, s4
	s_waitcnt_vscnt null, 0x0
	s_barrier
	buffer_gl0_inv
	s_clause 0x1
	buffer_load_dword v83, off, s[0:3], 0 offset:200
	buffer_load_dword v84, off, s[0:3], 0 offset:204
	;; [unrolled: 45-line block ×17, first 2 shown]
	s_mov_b32 s4, exec_lo
	s_waitcnt vmcnt(0)
	ds_write_b64 v86, v[83:84]
	s_waitcnt lgkmcnt(0)
	s_barrier
	buffer_gl0_inv
	v_cmpx_ne_u32_e32 40, v0
	s_cbranch_execz .LBB40_171
; %bb.168:
	v_mov_b32_e32 v83, 0
	v_mov_b32_e32 v84, 0
	s_mov_b32 s5, 0
.LBB40_169:                             ; =>This Inner Loop Header: Depth=1
	s_clause 0x1
	buffer_load_dword v88, v85, s[0:3], 0 offen
	buffer_load_dword v89, v85, s[0:3], 0 offen offset:4
	ds_read_b64 v[90:91], v86
	v_add_nc_u32_e32 v87, 1, v87
	v_add_nc_u32_e32 v86, 8, v86
	;; [unrolled: 1-line block ×3, first 2 shown]
	v_cmp_lt_u32_e32 vcc_lo, 38, v87
	s_or_b32 s5, vcc_lo, s5
	s_waitcnt vmcnt(0) lgkmcnt(0)
	v_fma_f64 v[83:84], v[88:89], v[90:91], v[83:84]
	s_andn2_b32 exec_lo, exec_lo, s5
	s_cbranch_execnz .LBB40_169
; %bb.170:
	s_or_b32 exec_lo, exec_lo, s5
	v_mov_b32_e32 v85, 0
	ds_read_b64 v[85:86], v85 offset:320
	s_waitcnt lgkmcnt(0)
	v_mul_f64 v[83:84], v[83:84], v[85:86]
	buffer_store_dword v84, off, s[0:3], 0 offset:324
	buffer_store_dword v83, off, s[0:3], 0 offset:320
.LBB40_171:
	s_or_b32 exec_lo, exec_lo, s4
	s_mov_b32 s5, -1
	s_waitcnt_vscnt null, 0x0
	s_barrier
	buffer_gl0_inv
.LBB40_172:
	s_and_b32 vcc_lo, exec_lo, s5
	s_cbranch_vccz .LBB40_174
; %bb.173:
	s_lshl_b64 s[4:5], s[6:7], 2
	v_mov_b32_e32 v83, 0
	s_add_u32 s4, s10, s4
	s_addc_u32 s5, s11, s5
	global_load_dword v83, v83, s[4:5]
	s_waitcnt vmcnt(0)
	v_cmp_ne_u32_e32 vcc_lo, 0, v83
	s_cbranch_vccz .LBB40_175
.LBB40_174:
	s_endpgm
.LBB40_175:
	v_lshl_add_u32 v83, v0, 3, 0x150
	s_mov_b32 s4, exec_lo
	v_cmpx_eq_u32_e32 40, v0
	s_cbranch_execz .LBB40_177
; %bb.176:
	s_clause 0x1
	buffer_load_dword v84, off, s[0:3], 0 offset:312
	buffer_load_dword v85, off, s[0:3], 0 offset:316
	v_mov_b32_e32 v86, 0
	buffer_store_dword v86, off, s[0:3], 0 offset:312
	buffer_store_dword v86, off, s[0:3], 0 offset:316
	s_waitcnt vmcnt(0)
	ds_write_b64 v83, v[84:85]
.LBB40_177:
	s_or_b32 exec_lo, exec_lo, s4
	s_waitcnt lgkmcnt(0)
	s_waitcnt_vscnt null, 0x0
	s_barrier
	buffer_gl0_inv
	s_clause 0x3
	buffer_load_dword v85, off, s[0:3], 0 offset:320
	buffer_load_dword v86, off, s[0:3], 0 offset:324
	;; [unrolled: 1-line block ×4, first 2 shown]
	v_mov_b32_e32 v84, 0
	s_mov_b32 s4, exec_lo
	ds_read_b64 v[89:90], v84 offset:656
	s_waitcnt vmcnt(2) lgkmcnt(0)
	v_fma_f64 v[85:86], v[85:86], v[89:90], 0
	s_waitcnt vmcnt(0)
	v_add_f64 v[85:86], v[87:88], -v[85:86]
	buffer_store_dword v85, off, s[0:3], 0 offset:312
	buffer_store_dword v86, off, s[0:3], 0 offset:316
	v_cmpx_lt_u32_e32 38, v0
	s_cbranch_execz .LBB40_179
; %bb.178:
	s_clause 0x1
	buffer_load_dword v85, off, s[0:3], 0 offset:304
	buffer_load_dword v86, off, s[0:3], 0 offset:308
	buffer_store_dword v84, off, s[0:3], 0 offset:304
	buffer_store_dword v84, off, s[0:3], 0 offset:308
	s_waitcnt vmcnt(0)
	ds_write_b64 v83, v[85:86]
.LBB40_179:
	s_or_b32 exec_lo, exec_lo, s4
	s_waitcnt lgkmcnt(0)
	s_waitcnt_vscnt null, 0x0
	s_barrier
	buffer_gl0_inv
	s_clause 0x5
	buffer_load_dword v88, off, s[0:3], 0 offset:312
	buffer_load_dword v89, off, s[0:3], 0 offset:316
	;; [unrolled: 1-line block ×6, first 2 shown]
	ds_read2_b64 v[84:87], v84 offset0:81 offset1:82
	s_mov_b32 s4, exec_lo
	s_waitcnt vmcnt(4) lgkmcnt(0)
	v_fma_f64 v[84:85], v[88:89], v[84:85], 0
	s_waitcnt vmcnt(2)
	v_fma_f64 v[84:85], v[90:91], v[86:87], v[84:85]
	s_waitcnt vmcnt(0)
	v_add_f64 v[84:85], v[92:93], -v[84:85]
	buffer_store_dword v84, off, s[0:3], 0 offset:304
	buffer_store_dword v85, off, s[0:3], 0 offset:308
	v_cmpx_lt_u32_e32 37, v0
	s_cbranch_execz .LBB40_181
; %bb.180:
	s_clause 0x1
	buffer_load_dword v84, off, s[0:3], 0 offset:296
	buffer_load_dword v85, off, s[0:3], 0 offset:300
	v_mov_b32_e32 v86, 0
	buffer_store_dword v86, off, s[0:3], 0 offset:296
	buffer_store_dword v86, off, s[0:3], 0 offset:300
	s_waitcnt vmcnt(0)
	ds_write_b64 v83, v[84:85]
.LBB40_181:
	s_or_b32 exec_lo, exec_lo, s4
	s_waitcnt lgkmcnt(0)
	s_waitcnt_vscnt null, 0x0
	s_barrier
	buffer_gl0_inv
	s_clause 0x7
	buffer_load_dword v89, off, s[0:3], 0 offset:304
	buffer_load_dword v90, off, s[0:3], 0 offset:308
	;; [unrolled: 1-line block ×8, first 2 shown]
	v_mov_b32_e32 v84, 0
	ds_read_b128 v[85:88], v84 offset:640
	ds_read_b64 v[97:98], v84 offset:656
	s_mov_b32 s4, exec_lo
	s_waitcnt vmcnt(6) lgkmcnt(1)
	v_fma_f64 v[85:86], v[89:90], v[85:86], 0
	s_waitcnt vmcnt(4)
	v_fma_f64 v[85:86], v[91:92], v[87:88], v[85:86]
	s_waitcnt vmcnt(2) lgkmcnt(0)
	v_fma_f64 v[85:86], v[93:94], v[97:98], v[85:86]
	s_waitcnt vmcnt(0)
	v_add_f64 v[85:86], v[95:96], -v[85:86]
	buffer_store_dword v85, off, s[0:3], 0 offset:296
	buffer_store_dword v86, off, s[0:3], 0 offset:300
	v_cmpx_lt_u32_e32 36, v0
	s_cbranch_execz .LBB40_183
; %bb.182:
	s_clause 0x1
	buffer_load_dword v85, off, s[0:3], 0 offset:288
	buffer_load_dword v86, off, s[0:3], 0 offset:292
	buffer_store_dword v84, off, s[0:3], 0 offset:288
	buffer_store_dword v84, off, s[0:3], 0 offset:292
	s_waitcnt vmcnt(0)
	ds_write_b64 v83, v[85:86]
.LBB40_183:
	s_or_b32 exec_lo, exec_lo, s4
	s_waitcnt lgkmcnt(0)
	s_waitcnt_vscnt null, 0x0
	s_barrier
	buffer_gl0_inv
	s_clause 0x9
	buffer_load_dword v93, off, s[0:3], 0 offset:296
	buffer_load_dword v94, off, s[0:3], 0 offset:300
	;; [unrolled: 1-line block ×10, first 2 shown]
	ds_read2_b64 v[85:88], v84 offset0:79 offset1:80
	ds_read2_b64 v[89:92], v84 offset0:81 offset1:82
	s_mov_b32 s4, exec_lo
	s_waitcnt vmcnt(8) lgkmcnt(1)
	v_fma_f64 v[84:85], v[93:94], v[85:86], 0
	s_waitcnt vmcnt(6)
	v_fma_f64 v[84:85], v[95:96], v[87:88], v[84:85]
	s_waitcnt vmcnt(4) lgkmcnt(0)
	v_fma_f64 v[84:85], v[97:98], v[89:90], v[84:85]
	s_waitcnt vmcnt(2)
	v_fma_f64 v[84:85], v[99:100], v[91:92], v[84:85]
	s_waitcnt vmcnt(0)
	v_add_f64 v[84:85], v[101:102], -v[84:85]
	buffer_store_dword v84, off, s[0:3], 0 offset:288
	buffer_store_dword v85, off, s[0:3], 0 offset:292
	v_cmpx_lt_u32_e32 35, v0
	s_cbranch_execz .LBB40_185
; %bb.184:
	s_clause 0x1
	buffer_load_dword v84, off, s[0:3], 0 offset:280
	buffer_load_dword v85, off, s[0:3], 0 offset:284
	v_mov_b32_e32 v86, 0
	buffer_store_dword v86, off, s[0:3], 0 offset:280
	buffer_store_dword v86, off, s[0:3], 0 offset:284
	s_waitcnt vmcnt(0)
	ds_write_b64 v83, v[84:85]
.LBB40_185:
	s_or_b32 exec_lo, exec_lo, s4
	s_waitcnt lgkmcnt(0)
	s_waitcnt_vscnt null, 0x0
	s_barrier
	buffer_gl0_inv
	s_clause 0xb
	buffer_load_dword v93, off, s[0:3], 0 offset:288
	buffer_load_dword v94, off, s[0:3], 0 offset:292
	;; [unrolled: 1-line block ×12, first 2 shown]
	v_mov_b32_e32 v84, 0
	ds_read_b128 v[85:88], v84 offset:624
	ds_read_b128 v[89:92], v84 offset:640
	s_mov_b32 s4, exec_lo
	s_waitcnt vmcnt(10) lgkmcnt(1)
	v_fma_f64 v[85:86], v[93:94], v[85:86], 0
	s_waitcnt vmcnt(8)
	v_fma_f64 v[85:86], v[95:96], v[87:88], v[85:86]
	ds_read_b64 v[87:88], v84 offset:656
	s_waitcnt vmcnt(6) lgkmcnt(1)
	v_fma_f64 v[85:86], v[97:98], v[89:90], v[85:86]
	s_waitcnt vmcnt(4)
	v_fma_f64 v[85:86], v[99:100], v[91:92], v[85:86]
	s_waitcnt vmcnt(2) lgkmcnt(0)
	v_fma_f64 v[85:86], v[101:102], v[87:88], v[85:86]
	s_waitcnt vmcnt(0)
	v_add_f64 v[85:86], v[103:104], -v[85:86]
	buffer_store_dword v85, off, s[0:3], 0 offset:280
	buffer_store_dword v86, off, s[0:3], 0 offset:284
	v_cmpx_lt_u32_e32 34, v0
	s_cbranch_execz .LBB40_187
; %bb.186:
	s_clause 0x1
	buffer_load_dword v85, off, s[0:3], 0 offset:272
	buffer_load_dword v86, off, s[0:3], 0 offset:276
	buffer_store_dword v84, off, s[0:3], 0 offset:272
	buffer_store_dword v84, off, s[0:3], 0 offset:276
	s_waitcnt vmcnt(0)
	ds_write_b64 v83, v[85:86]
.LBB40_187:
	s_or_b32 exec_lo, exec_lo, s4
	s_waitcnt lgkmcnt(0)
	s_waitcnt_vscnt null, 0x0
	s_barrier
	buffer_gl0_inv
	s_clause 0xd
	buffer_load_dword v93, off, s[0:3], 0 offset:280
	buffer_load_dword v94, off, s[0:3], 0 offset:284
	;; [unrolled: 1-line block ×14, first 2 shown]
	ds_read2_b64 v[85:88], v84 offset0:77 offset1:78
	ds_read2_b64 v[89:92], v84 offset0:79 offset1:80
	s_mov_b32 s4, exec_lo
	s_waitcnt vmcnt(12) lgkmcnt(1)
	v_fma_f64 v[85:86], v[93:94], v[85:86], 0
	s_waitcnt vmcnt(10)
	v_fma_f64 v[85:86], v[95:96], v[87:88], v[85:86]
	s_waitcnt vmcnt(8) lgkmcnt(0)
	v_fma_f64 v[85:86], v[97:98], v[89:90], v[85:86]
	s_waitcnt vmcnt(6)
	v_fma_f64 v[88:89], v[99:100], v[91:92], v[85:86]
	ds_read2_b64 v[84:87], v84 offset0:81 offset1:82
	s_waitcnt vmcnt(4) lgkmcnt(0)
	v_fma_f64 v[84:85], v[101:102], v[84:85], v[88:89]
	s_waitcnt vmcnt(2)
	v_fma_f64 v[84:85], v[103:104], v[86:87], v[84:85]
	s_waitcnt vmcnt(0)
	v_add_f64 v[84:85], v[105:106], -v[84:85]
	buffer_store_dword v84, off, s[0:3], 0 offset:272
	buffer_store_dword v85, off, s[0:3], 0 offset:276
	v_cmpx_lt_u32_e32 33, v0
	s_cbranch_execz .LBB40_189
; %bb.188:
	s_clause 0x1
	buffer_load_dword v84, off, s[0:3], 0 offset:264
	buffer_load_dword v85, off, s[0:3], 0 offset:268
	v_mov_b32_e32 v86, 0
	buffer_store_dword v86, off, s[0:3], 0 offset:264
	buffer_store_dword v86, off, s[0:3], 0 offset:268
	s_waitcnt vmcnt(0)
	ds_write_b64 v83, v[84:85]
.LBB40_189:
	s_or_b32 exec_lo, exec_lo, s4
	s_waitcnt lgkmcnt(0)
	s_waitcnt_vscnt null, 0x0
	s_barrier
	buffer_gl0_inv
	s_clause 0xf
	buffer_load_dword v93, off, s[0:3], 0 offset:272
	buffer_load_dword v94, off, s[0:3], 0 offset:276
	;; [unrolled: 1-line block ×16, first 2 shown]
	v_mov_b32_e32 v84, 0
	ds_read_b128 v[85:88], v84 offset:608
	ds_read_b128 v[89:92], v84 offset:624
	s_mov_b32 s4, exec_lo
	s_waitcnt vmcnt(14) lgkmcnt(1)
	v_fma_f64 v[85:86], v[93:94], v[85:86], 0
	s_waitcnt vmcnt(12)
	v_fma_f64 v[85:86], v[95:96], v[87:88], v[85:86]
	s_waitcnt vmcnt(10) lgkmcnt(0)
	v_fma_f64 v[85:86], v[97:98], v[89:90], v[85:86]
	s_waitcnt vmcnt(8)
	v_fma_f64 v[89:90], v[99:100], v[91:92], v[85:86]
	ds_read_b128 v[85:88], v84 offset:640
	ds_read_b64 v[91:92], v84 offset:656
	s_waitcnt vmcnt(6) lgkmcnt(1)
	v_fma_f64 v[85:86], v[101:102], v[85:86], v[89:90]
	s_waitcnt vmcnt(4)
	v_fma_f64 v[85:86], v[103:104], v[87:88], v[85:86]
	s_waitcnt vmcnt(2) lgkmcnt(0)
	v_fma_f64 v[85:86], v[105:106], v[91:92], v[85:86]
	s_waitcnt vmcnt(0)
	v_add_f64 v[85:86], v[107:108], -v[85:86]
	buffer_store_dword v85, off, s[0:3], 0 offset:264
	buffer_store_dword v86, off, s[0:3], 0 offset:268
	v_cmpx_lt_u32_e32 32, v0
	s_cbranch_execz .LBB40_191
; %bb.190:
	s_clause 0x1
	buffer_load_dword v85, off, s[0:3], 0 offset:256
	buffer_load_dword v86, off, s[0:3], 0 offset:260
	buffer_store_dword v84, off, s[0:3], 0 offset:256
	buffer_store_dword v84, off, s[0:3], 0 offset:260
	s_waitcnt vmcnt(0)
	ds_write_b64 v83, v[85:86]
.LBB40_191:
	s_or_b32 exec_lo, exec_lo, s4
	s_waitcnt lgkmcnt(0)
	s_waitcnt_vscnt null, 0x0
	s_barrier
	buffer_gl0_inv
	s_clause 0x11
	buffer_load_dword v89, off, s[0:3], 0 offset:264
	buffer_load_dword v90, off, s[0:3], 0 offset:268
	buffer_load_dword v91, off, s[0:3], 0 offset:272
	buffer_load_dword v92, off, s[0:3], 0 offset:276
	buffer_load_dword v93, off, s[0:3], 0 offset:280
	buffer_load_dword v94, off, s[0:3], 0 offset:284
	buffer_load_dword v95, off, s[0:3], 0 offset:288
	buffer_load_dword v96, off, s[0:3], 0 offset:292
	buffer_load_dword v97, off, s[0:3], 0 offset:296
	buffer_load_dword v98, off, s[0:3], 0 offset:300
	buffer_load_dword v99, off, s[0:3], 0 offset:304
	buffer_load_dword v100, off, s[0:3], 0 offset:308
	buffer_load_dword v101, off, s[0:3], 0 offset:312
	buffer_load_dword v102, off, s[0:3], 0 offset:316
	buffer_load_dword v104, off, s[0:3], 0 offset:324
	buffer_load_dword v103, off, s[0:3], 0 offset:320
	buffer_load_dword v105, off, s[0:3], 0 offset:256
	buffer_load_dword v106, off, s[0:3], 0 offset:260
	ds_read2_b64 v[85:88], v84 offset0:75 offset1:76
	s_mov_b32 s4, exec_lo
	s_waitcnt vmcnt(16) lgkmcnt(0)
	v_fma_f64 v[85:86], v[89:90], v[85:86], 0
	s_waitcnt vmcnt(14)
	v_fma_f64 v[89:90], v[91:92], v[87:88], v[85:86]
	ds_read2_b64 v[85:88], v84 offset0:77 offset1:78
	s_waitcnt vmcnt(12) lgkmcnt(0)
	v_fma_f64 v[85:86], v[93:94], v[85:86], v[89:90]
	s_waitcnt vmcnt(10)
	v_fma_f64 v[89:90], v[95:96], v[87:88], v[85:86]
	ds_read2_b64 v[85:88], v84 offset0:79 offset1:80
	;; [unrolled: 5-line block ×3, first 2 shown]
	s_waitcnt vmcnt(4) lgkmcnt(0)
	v_fma_f64 v[84:85], v[101:102], v[84:85], v[88:89]
	s_waitcnt vmcnt(2)
	v_fma_f64 v[84:85], v[103:104], v[86:87], v[84:85]
	s_waitcnt vmcnt(0)
	v_add_f64 v[84:85], v[105:106], -v[84:85]
	buffer_store_dword v84, off, s[0:3], 0 offset:256
	buffer_store_dword v85, off, s[0:3], 0 offset:260
	v_cmpx_lt_u32_e32 31, v0
	s_cbranch_execz .LBB40_193
; %bb.192:
	s_clause 0x1
	buffer_load_dword v84, off, s[0:3], 0 offset:248
	buffer_load_dword v85, off, s[0:3], 0 offset:252
	v_mov_b32_e32 v86, 0
	buffer_store_dword v86, off, s[0:3], 0 offset:248
	buffer_store_dword v86, off, s[0:3], 0 offset:252
	s_waitcnt vmcnt(0)
	ds_write_b64 v83, v[84:85]
.LBB40_193:
	s_or_b32 exec_lo, exec_lo, s4
	s_waitcnt lgkmcnt(0)
	s_waitcnt_vscnt null, 0x0
	s_barrier
	buffer_gl0_inv
	s_clause 0x13
	buffer_load_dword v89, off, s[0:3], 0 offset:256
	buffer_load_dword v90, off, s[0:3], 0 offset:260
	buffer_load_dword v91, off, s[0:3], 0 offset:264
	buffer_load_dword v92, off, s[0:3], 0 offset:268
	buffer_load_dword v93, off, s[0:3], 0 offset:272
	buffer_load_dword v94, off, s[0:3], 0 offset:276
	buffer_load_dword v95, off, s[0:3], 0 offset:280
	buffer_load_dword v96, off, s[0:3], 0 offset:284
	buffer_load_dword v97, off, s[0:3], 0 offset:288
	buffer_load_dword v98, off, s[0:3], 0 offset:292
	buffer_load_dword v99, off, s[0:3], 0 offset:296
	buffer_load_dword v100, off, s[0:3], 0 offset:300
	buffer_load_dword v101, off, s[0:3], 0 offset:304
	buffer_load_dword v102, off, s[0:3], 0 offset:308
	buffer_load_dword v104, off, s[0:3], 0 offset:316
	buffer_load_dword v103, off, s[0:3], 0 offset:312
	buffer_load_dword v105, off, s[0:3], 0 offset:320
	buffer_load_dword v106, off, s[0:3], 0 offset:324
	buffer_load_dword v107, off, s[0:3], 0 offset:248
	buffer_load_dword v108, off, s[0:3], 0 offset:252
	v_mov_b32_e32 v84, 0
	s_mov_b32 s4, exec_lo
	ds_read_b128 v[85:88], v84 offset:592
	s_waitcnt vmcnt(18) lgkmcnt(0)
	v_fma_f64 v[85:86], v[89:90], v[85:86], 0
	s_waitcnt vmcnt(16)
	v_fma_f64 v[89:90], v[91:92], v[87:88], v[85:86]
	ds_read_b128 v[85:88], v84 offset:608
	s_waitcnt vmcnt(14) lgkmcnt(0)
	v_fma_f64 v[85:86], v[93:94], v[85:86], v[89:90]
	s_waitcnt vmcnt(12)
	v_fma_f64 v[89:90], v[95:96], v[87:88], v[85:86]
	;; [unrolled: 5-line block ×4, first 2 shown]
	ds_read_b64 v[87:88], v84 offset:656
	s_waitcnt vmcnt(2) lgkmcnt(0)
	v_fma_f64 v[85:86], v[105:106], v[87:88], v[85:86]
	s_waitcnt vmcnt(0)
	v_add_f64 v[85:86], v[107:108], -v[85:86]
	buffer_store_dword v85, off, s[0:3], 0 offset:248
	buffer_store_dword v86, off, s[0:3], 0 offset:252
	v_cmpx_lt_u32_e32 30, v0
	s_cbranch_execz .LBB40_195
; %bb.194:
	s_clause 0x1
	buffer_load_dword v85, off, s[0:3], 0 offset:240
	buffer_load_dword v86, off, s[0:3], 0 offset:244
	buffer_store_dword v84, off, s[0:3], 0 offset:240
	buffer_store_dword v84, off, s[0:3], 0 offset:244
	s_waitcnt vmcnt(0)
	ds_write_b64 v83, v[85:86]
.LBB40_195:
	s_or_b32 exec_lo, exec_lo, s4
	s_waitcnt lgkmcnt(0)
	s_waitcnt_vscnt null, 0x0
	s_barrier
	buffer_gl0_inv
	s_clause 0x15
	buffer_load_dword v89, off, s[0:3], 0 offset:248
	buffer_load_dword v90, off, s[0:3], 0 offset:252
	;; [unrolled: 1-line block ×22, first 2 shown]
	ds_read2_b64 v[85:88], v84 offset0:73 offset1:74
	s_mov_b32 s4, exec_lo
	s_waitcnt vmcnt(20) lgkmcnt(0)
	v_fma_f64 v[85:86], v[89:90], v[85:86], 0
	s_waitcnt vmcnt(18)
	v_fma_f64 v[89:90], v[91:92], v[87:88], v[85:86]
	ds_read2_b64 v[85:88], v84 offset0:75 offset1:76
	s_waitcnt vmcnt(16) lgkmcnt(0)
	v_fma_f64 v[85:86], v[93:94], v[85:86], v[89:90]
	s_waitcnt vmcnt(14)
	v_fma_f64 v[89:90], v[95:96], v[87:88], v[85:86]
	ds_read2_b64 v[85:88], v84 offset0:77 offset1:78
	;; [unrolled: 5-line block ×4, first 2 shown]
	s_waitcnt vmcnt(4) lgkmcnt(0)
	v_fma_f64 v[84:85], v[105:106], v[84:85], v[88:89]
	s_waitcnt vmcnt(2)
	v_fma_f64 v[84:85], v[107:108], v[86:87], v[84:85]
	s_waitcnt vmcnt(0)
	v_add_f64 v[84:85], v[109:110], -v[84:85]
	buffer_store_dword v84, off, s[0:3], 0 offset:240
	buffer_store_dword v85, off, s[0:3], 0 offset:244
	v_cmpx_lt_u32_e32 29, v0
	s_cbranch_execz .LBB40_197
; %bb.196:
	s_clause 0x1
	buffer_load_dword v84, off, s[0:3], 0 offset:232
	buffer_load_dword v85, off, s[0:3], 0 offset:236
	v_mov_b32_e32 v86, 0
	buffer_store_dword v86, off, s[0:3], 0 offset:232
	buffer_store_dword v86, off, s[0:3], 0 offset:236
	s_waitcnt vmcnt(0)
	ds_write_b64 v83, v[84:85]
.LBB40_197:
	s_or_b32 exec_lo, exec_lo, s4
	s_waitcnt lgkmcnt(0)
	s_waitcnt_vscnt null, 0x0
	s_barrier
	buffer_gl0_inv
	s_clause 0x17
	buffer_load_dword v93, off, s[0:3], 0 offset:240
	buffer_load_dword v94, off, s[0:3], 0 offset:244
	;; [unrolled: 1-line block ×24, first 2 shown]
	v_mov_b32_e32 v84, 0
	ds_read_b128 v[85:88], v84 offset:576
	ds_read_b128 v[89:92], v84 offset:592
	s_mov_b32 s4, exec_lo
	s_waitcnt vmcnt(22) lgkmcnt(1)
	v_fma_f64 v[85:86], v[93:94], v[85:86], 0
	s_waitcnt vmcnt(20)
	v_fma_f64 v[85:86], v[95:96], v[87:88], v[85:86]
	s_waitcnt vmcnt(18) lgkmcnt(0)
	v_fma_f64 v[85:86], v[97:98], v[89:90], v[85:86]
	s_waitcnt vmcnt(16)
	v_fma_f64 v[93:94], v[99:100], v[91:92], v[85:86]
	ds_read_b128 v[85:88], v84 offset:608
	ds_read_b128 v[89:92], v84 offset:624
	s_waitcnt vmcnt(14) lgkmcnt(1)
	v_fma_f64 v[85:86], v[101:102], v[85:86], v[93:94]
	s_waitcnt vmcnt(12)
	v_fma_f64 v[85:86], v[103:104], v[87:88], v[85:86]
	s_waitcnt vmcnt(10) lgkmcnt(0)
	v_fma_f64 v[85:86], v[105:106], v[89:90], v[85:86]
	s_waitcnt vmcnt(5)
	v_fma_f64 v[89:90], v[107:108], v[91:92], v[85:86]
	ds_read_b128 v[85:88], v84 offset:640
	ds_read_b64 v[91:92], v84 offset:656
	s_waitcnt vmcnt(4) lgkmcnt(1)
	v_fma_f64 v[85:86], v[113:114], v[85:86], v[89:90]
	s_waitcnt vmcnt(3)
	v_fma_f64 v[85:86], v[111:112], v[87:88], v[85:86]
	s_waitcnt vmcnt(2) lgkmcnt(0)
	v_fma_f64 v[85:86], v[109:110], v[91:92], v[85:86]
	s_waitcnt vmcnt(0)
	v_add_f64 v[85:86], v[115:116], -v[85:86]
	buffer_store_dword v86, off, s[0:3], 0 offset:236
	buffer_store_dword v85, off, s[0:3], 0 offset:232
	v_cmpx_lt_u32_e32 28, v0
	s_cbranch_execz .LBB40_199
; %bb.198:
	s_clause 0x1
	buffer_load_dword v85, off, s[0:3], 0 offset:224
	buffer_load_dword v86, off, s[0:3], 0 offset:228
	buffer_store_dword v84, off, s[0:3], 0 offset:224
	buffer_store_dword v84, off, s[0:3], 0 offset:228
	s_waitcnt vmcnt(0)
	ds_write_b64 v83, v[85:86]
.LBB40_199:
	s_or_b32 exec_lo, exec_lo, s4
	s_waitcnt lgkmcnt(0)
	s_waitcnt_vscnt null, 0x0
	s_barrier
	buffer_gl0_inv
	s_clause 0x19
	buffer_load_dword v93, off, s[0:3], 0 offset:232
	buffer_load_dword v94, off, s[0:3], 0 offset:236
	;; [unrolled: 1-line block ×26, first 2 shown]
	ds_read2_b64 v[85:88], v84 offset0:71 offset1:72
	ds_read2_b64 v[89:92], v84 offset0:73 offset1:74
	s_mov_b32 s4, exec_lo
	s_waitcnt vmcnt(24) lgkmcnt(1)
	v_fma_f64 v[85:86], v[93:94], v[85:86], 0
	s_waitcnt vmcnt(22)
	v_fma_f64 v[85:86], v[95:96], v[87:88], v[85:86]
	s_waitcnt vmcnt(20) lgkmcnt(0)
	v_fma_f64 v[85:86], v[97:98], v[89:90], v[85:86]
	s_waitcnt vmcnt(18)
	v_fma_f64 v[93:94], v[99:100], v[91:92], v[85:86]
	ds_read2_b64 v[85:88], v84 offset0:75 offset1:76
	ds_read2_b64 v[89:92], v84 offset0:77 offset1:78
	s_waitcnt vmcnt(16) lgkmcnt(1)
	v_fma_f64 v[85:86], v[101:102], v[85:86], v[93:94]
	s_waitcnt vmcnt(14)
	v_fma_f64 v[85:86], v[103:104], v[87:88], v[85:86]
	s_waitcnt vmcnt(12) lgkmcnt(0)
	v_fma_f64 v[85:86], v[105:106], v[89:90], v[85:86]
	s_waitcnt vmcnt(7)
	v_fma_f64 v[93:94], v[107:108], v[91:92], v[85:86]
	ds_read2_b64 v[85:88], v84 offset0:79 offset1:80
	ds_read2_b64 v[89:92], v84 offset0:81 offset1:82
	s_waitcnt vmcnt(6) lgkmcnt(1)
	v_fma_f64 v[84:85], v[113:114], v[85:86], v[93:94]
	s_waitcnt vmcnt(5)
	v_fma_f64 v[84:85], v[111:112], v[87:88], v[84:85]
	s_waitcnt vmcnt(4) lgkmcnt(0)
	v_fma_f64 v[84:85], v[109:110], v[89:90], v[84:85]
	s_waitcnt vmcnt(2)
	v_fma_f64 v[84:85], v[115:116], v[91:92], v[84:85]
	s_waitcnt vmcnt(0)
	v_add_f64 v[84:85], v[117:118], -v[84:85]
	buffer_store_dword v85, off, s[0:3], 0 offset:228
	buffer_store_dword v84, off, s[0:3], 0 offset:224
	v_cmpx_lt_u32_e32 27, v0
	s_cbranch_execz .LBB40_201
; %bb.200:
	s_clause 0x1
	buffer_load_dword v84, off, s[0:3], 0 offset:216
	buffer_load_dword v85, off, s[0:3], 0 offset:220
	v_mov_b32_e32 v86, 0
	buffer_store_dword v86, off, s[0:3], 0 offset:216
	buffer_store_dword v86, off, s[0:3], 0 offset:220
	s_waitcnt vmcnt(0)
	ds_write_b64 v83, v[84:85]
.LBB40_201:
	s_or_b32 exec_lo, exec_lo, s4
	s_waitcnt lgkmcnt(0)
	s_waitcnt_vscnt null, 0x0
	s_barrier
	buffer_gl0_inv
	s_clause 0x1b
	buffer_load_dword v93, off, s[0:3], 0 offset:224
	buffer_load_dword v94, off, s[0:3], 0 offset:228
	;; [unrolled: 1-line block ×28, first 2 shown]
	v_mov_b32_e32 v84, 0
	ds_read_b128 v[85:88], v84 offset:560
	ds_read_b128 v[89:92], v84 offset:576
	s_mov_b32 s4, exec_lo
	s_waitcnt vmcnt(26) lgkmcnt(1)
	v_fma_f64 v[85:86], v[93:94], v[85:86], 0
	s_waitcnt vmcnt(24)
	v_fma_f64 v[85:86], v[95:96], v[87:88], v[85:86]
	s_waitcnt vmcnt(22) lgkmcnt(0)
	v_fma_f64 v[85:86], v[97:98], v[89:90], v[85:86]
	s_waitcnt vmcnt(20)
	v_fma_f64 v[93:94], v[99:100], v[91:92], v[85:86]
	ds_read_b128 v[85:88], v84 offset:592
	ds_read_b128 v[89:92], v84 offset:608
	s_waitcnt vmcnt(18) lgkmcnt(1)
	v_fma_f64 v[85:86], v[101:102], v[85:86], v[93:94]
	s_waitcnt vmcnt(16)
	v_fma_f64 v[85:86], v[103:104], v[87:88], v[85:86]
	s_waitcnt vmcnt(14) lgkmcnt(0)
	v_fma_f64 v[85:86], v[105:106], v[89:90], v[85:86]
	s_waitcnt vmcnt(9)
	v_fma_f64 v[93:94], v[107:108], v[91:92], v[85:86]
	ds_read_b128 v[85:88], v84 offset:624
	ds_read_b128 v[89:92], v84 offset:640
	s_waitcnt vmcnt(8) lgkmcnt(1)
	v_fma_f64 v[85:86], v[113:114], v[85:86], v[93:94]
	s_waitcnt vmcnt(7)
	v_fma_f64 v[85:86], v[111:112], v[87:88], v[85:86]
	ds_read_b64 v[87:88], v84 offset:656
	s_waitcnt vmcnt(6) lgkmcnt(1)
	v_fma_f64 v[85:86], v[109:110], v[89:90], v[85:86]
	s_waitcnt vmcnt(3)
	v_fma_f64 v[85:86], v[115:116], v[91:92], v[85:86]
	s_waitcnt vmcnt(2) lgkmcnt(0)
	v_fma_f64 v[85:86], v[117:118], v[87:88], v[85:86]
	s_waitcnt vmcnt(0)
	v_add_f64 v[85:86], v[119:120], -v[85:86]
	buffer_store_dword v86, off, s[0:3], 0 offset:220
	buffer_store_dword v85, off, s[0:3], 0 offset:216
	v_cmpx_lt_u32_e32 26, v0
	s_cbranch_execz .LBB40_203
; %bb.202:
	s_clause 0x1
	buffer_load_dword v85, off, s[0:3], 0 offset:208
	buffer_load_dword v86, off, s[0:3], 0 offset:212
	buffer_store_dword v84, off, s[0:3], 0 offset:208
	buffer_store_dword v84, off, s[0:3], 0 offset:212
	s_waitcnt vmcnt(0)
	ds_write_b64 v83, v[85:86]
.LBB40_203:
	s_or_b32 exec_lo, exec_lo, s4
	s_waitcnt lgkmcnt(0)
	s_waitcnt_vscnt null, 0x0
	s_barrier
	buffer_gl0_inv
	s_clause 0x1b
	buffer_load_dword v93, off, s[0:3], 0 offset:216
	buffer_load_dword v94, off, s[0:3], 0 offset:220
	;; [unrolled: 1-line block ×28, first 2 shown]
	ds_read2_b64 v[85:88], v84 offset0:69 offset1:70
	s_clause 0x1
	buffer_load_dword v121, off, s[0:3], 0 offset:208
	buffer_load_dword v122, off, s[0:3], 0 offset:212
	ds_read2_b64 v[89:92], v84 offset0:71 offset1:72
	s_mov_b32 s4, exec_lo
	s_waitcnt vmcnt(28) lgkmcnt(1)
	v_fma_f64 v[85:86], v[93:94], v[85:86], 0
	s_waitcnt vmcnt(26)
	v_fma_f64 v[85:86], v[95:96], v[87:88], v[85:86]
	s_waitcnt vmcnt(24) lgkmcnt(0)
	v_fma_f64 v[85:86], v[97:98], v[89:90], v[85:86]
	s_waitcnt vmcnt(22)
	v_fma_f64 v[93:94], v[99:100], v[91:92], v[85:86]
	ds_read2_b64 v[85:88], v84 offset0:73 offset1:74
	ds_read2_b64 v[89:92], v84 offset0:75 offset1:76
	s_waitcnt vmcnt(20) lgkmcnt(1)
	v_fma_f64 v[85:86], v[101:102], v[85:86], v[93:94]
	s_waitcnt vmcnt(18)
	v_fma_f64 v[85:86], v[103:104], v[87:88], v[85:86]
	s_waitcnt vmcnt(16) lgkmcnt(0)
	v_fma_f64 v[85:86], v[105:106], v[89:90], v[85:86]
	s_waitcnt vmcnt(11)
	v_fma_f64 v[93:94], v[107:108], v[91:92], v[85:86]
	ds_read2_b64 v[85:88], v84 offset0:77 offset1:78
	ds_read2_b64 v[89:92], v84 offset0:79 offset1:80
	s_waitcnt vmcnt(10) lgkmcnt(1)
	v_fma_f64 v[85:86], v[113:114], v[85:86], v[93:94]
	s_waitcnt vmcnt(9)
	v_fma_f64 v[85:86], v[111:112], v[87:88], v[85:86]
	s_waitcnt vmcnt(8) lgkmcnt(0)
	v_fma_f64 v[85:86], v[109:110], v[89:90], v[85:86]
	s_waitcnt vmcnt(4)
	v_fma_f64 v[88:89], v[115:116], v[91:92], v[85:86]
	ds_read2_b64 v[84:87], v84 offset0:81 offset1:82
	s_waitcnt vmcnt(3) lgkmcnt(0)
	v_fma_f64 v[84:85], v[119:120], v[84:85], v[88:89]
	s_waitcnt vmcnt(2)
	v_fma_f64 v[84:85], v[117:118], v[86:87], v[84:85]
	s_waitcnt vmcnt(0)
	v_add_f64 v[84:85], v[121:122], -v[84:85]
	buffer_store_dword v85, off, s[0:3], 0 offset:212
	buffer_store_dword v84, off, s[0:3], 0 offset:208
	v_cmpx_lt_u32_e32 25, v0
	s_cbranch_execz .LBB40_205
; %bb.204:
	s_clause 0x1
	buffer_load_dword v84, off, s[0:3], 0 offset:200
	buffer_load_dword v85, off, s[0:3], 0 offset:204
	v_mov_b32_e32 v86, 0
	buffer_store_dword v86, off, s[0:3], 0 offset:200
	buffer_store_dword v86, off, s[0:3], 0 offset:204
	s_waitcnt vmcnt(0)
	ds_write_b64 v83, v[84:85]
.LBB40_205:
	s_or_b32 exec_lo, exec_lo, s4
	s_waitcnt lgkmcnt(0)
	s_waitcnt_vscnt null, 0x0
	s_barrier
	buffer_gl0_inv
	s_clause 0x1c
	buffer_load_dword v93, off, s[0:3], 0 offset:208
	buffer_load_dword v94, off, s[0:3], 0 offset:212
	;; [unrolled: 1-line block ×29, first 2 shown]
	v_mov_b32_e32 v84, 0
	buffer_load_dword v118, off, s[0:3], 0 offset:324
	s_mov_b32 s4, exec_lo
	ds_read_b128 v[85:88], v84 offset:544
	ds_read_b128 v[89:92], v84 offset:560
	s_waitcnt vmcnt(28) lgkmcnt(1)
	v_fma_f64 v[85:86], v[93:94], v[85:86], 0
	s_clause 0x1
	buffer_load_dword v93, off, s[0:3], 0 offset:200
	buffer_load_dword v94, off, s[0:3], 0 offset:204
	s_waitcnt vmcnt(28)
	v_fma_f64 v[85:86], v[95:96], v[87:88], v[85:86]
	s_waitcnt vmcnt(26) lgkmcnt(0)
	v_fma_f64 v[85:86], v[97:98], v[89:90], v[85:86]
	s_waitcnt vmcnt(24)
	v_fma_f64 v[95:96], v[99:100], v[91:92], v[85:86]
	ds_read_b128 v[85:88], v84 offset:576
	ds_read_b128 v[89:92], v84 offset:592
	s_waitcnt vmcnt(22) lgkmcnt(1)
	v_fma_f64 v[85:86], v[101:102], v[85:86], v[95:96]
	s_waitcnt vmcnt(20)
	v_fma_f64 v[85:86], v[103:104], v[87:88], v[85:86]
	s_waitcnt vmcnt(18) lgkmcnt(0)
	v_fma_f64 v[85:86], v[105:106], v[89:90], v[85:86]
	s_waitcnt vmcnt(13)
	v_fma_f64 v[95:96], v[107:108], v[91:92], v[85:86]
	ds_read_b128 v[85:88], v84 offset:608
	ds_read_b128 v[89:92], v84 offset:624
	s_waitcnt vmcnt(12) lgkmcnt(1)
	v_fma_f64 v[85:86], v[113:114], v[85:86], v[95:96]
	s_waitcnt vmcnt(11)
	v_fma_f64 v[85:86], v[111:112], v[87:88], v[85:86]
	s_waitcnt vmcnt(10) lgkmcnt(0)
	v_fma_f64 v[85:86], v[109:110], v[89:90], v[85:86]
	s_waitcnt vmcnt(5)
	v_fma_f64 v[89:90], v[115:116], v[91:92], v[85:86]
	ds_read_b128 v[85:88], v84 offset:640
	ds_read_b64 v[91:92], v84 offset:656
	s_waitcnt vmcnt(4) lgkmcnt(1)
	v_fma_f64 v[85:86], v[121:122], v[85:86], v[89:90]
	s_waitcnt vmcnt(3)
	v_fma_f64 v[85:86], v[119:120], v[87:88], v[85:86]
	s_waitcnt vmcnt(2) lgkmcnt(0)
	v_fma_f64 v[85:86], v[117:118], v[91:92], v[85:86]
	s_waitcnt vmcnt(0)
	v_add_f64 v[85:86], v[93:94], -v[85:86]
	buffer_store_dword v86, off, s[0:3], 0 offset:204
	buffer_store_dword v85, off, s[0:3], 0 offset:200
	v_cmpx_lt_u32_e32 24, v0
	s_cbranch_execz .LBB40_207
; %bb.206:
	s_clause 0x1
	buffer_load_dword v85, off, s[0:3], 0 offset:192
	buffer_load_dword v86, off, s[0:3], 0 offset:196
	buffer_store_dword v84, off, s[0:3], 0 offset:192
	buffer_store_dword v84, off, s[0:3], 0 offset:196
	s_waitcnt vmcnt(0)
	ds_write_b64 v83, v[85:86]
.LBB40_207:
	s_or_b32 exec_lo, exec_lo, s4
	s_waitcnt lgkmcnt(0)
	s_waitcnt_vscnt null, 0x0
	s_barrier
	buffer_gl0_inv
	s_clause 0x1c
	buffer_load_dword v93, off, s[0:3], 0 offset:200
	buffer_load_dword v94, off, s[0:3], 0 offset:204
	;; [unrolled: 1-line block ×29, first 2 shown]
	ds_read2_b64 v[85:88], v84 offset0:67 offset1:68
	ds_read2_b64 v[89:92], v84 offset0:69 offset1:70
	buffer_load_dword v118, off, s[0:3], 0 offset:316
	s_mov_b32 s4, exec_lo
	s_waitcnt vmcnt(28) lgkmcnt(1)
	v_fma_f64 v[85:86], v[93:94], v[85:86], 0
	s_clause 0x1
	buffer_load_dword v94, off, s[0:3], 0 offset:324
	buffer_load_dword v93, off, s[0:3], 0 offset:320
	s_waitcnt vmcnt(28)
	v_fma_f64 v[85:86], v[95:96], v[87:88], v[85:86]
	s_clause 0x1
	buffer_load_dword v95, off, s[0:3], 0 offset:192
	buffer_load_dword v96, off, s[0:3], 0 offset:196
	s_waitcnt vmcnt(28) lgkmcnt(0)
	v_fma_f64 v[85:86], v[97:98], v[89:90], v[85:86]
	s_waitcnt vmcnt(26)
	v_fma_f64 v[97:98], v[99:100], v[91:92], v[85:86]
	ds_read2_b64 v[85:88], v84 offset0:71 offset1:72
	ds_read2_b64 v[89:92], v84 offset0:73 offset1:74
	s_waitcnt vmcnt(24) lgkmcnt(1)
	v_fma_f64 v[85:86], v[101:102], v[85:86], v[97:98]
	s_waitcnt vmcnt(22)
	v_fma_f64 v[85:86], v[103:104], v[87:88], v[85:86]
	s_waitcnt vmcnt(20) lgkmcnt(0)
	v_fma_f64 v[85:86], v[105:106], v[89:90], v[85:86]
	s_waitcnt vmcnt(15)
	v_fma_f64 v[97:98], v[107:108], v[91:92], v[85:86]
	ds_read2_b64 v[85:88], v84 offset0:75 offset1:76
	ds_read2_b64 v[89:92], v84 offset0:77 offset1:78
	s_waitcnt vmcnt(14) lgkmcnt(1)
	v_fma_f64 v[85:86], v[113:114], v[85:86], v[97:98]
	s_waitcnt vmcnt(13)
	v_fma_f64 v[85:86], v[111:112], v[87:88], v[85:86]
	;; [unrolled: 10-line block ×3, first 2 shown]
	s_waitcnt vmcnt(4) lgkmcnt(0)
	v_fma_f64 v[84:85], v[117:118], v[89:90], v[84:85]
	s_waitcnt vmcnt(2)
	v_fma_f64 v[84:85], v[93:94], v[91:92], v[84:85]
	s_waitcnt vmcnt(0)
	v_add_f64 v[84:85], v[95:96], -v[84:85]
	buffer_store_dword v85, off, s[0:3], 0 offset:196
	buffer_store_dword v84, off, s[0:3], 0 offset:192
	v_cmpx_lt_u32_e32 23, v0
	s_cbranch_execz .LBB40_209
; %bb.208:
	s_clause 0x1
	buffer_load_dword v84, off, s[0:3], 0 offset:184
	buffer_load_dword v85, off, s[0:3], 0 offset:188
	v_mov_b32_e32 v86, 0
	buffer_store_dword v86, off, s[0:3], 0 offset:184
	buffer_store_dword v86, off, s[0:3], 0 offset:188
	s_waitcnt vmcnt(0)
	ds_write_b64 v83, v[84:85]
.LBB40_209:
	s_or_b32 exec_lo, exec_lo, s4
	s_waitcnt lgkmcnt(0)
	s_waitcnt_vscnt null, 0x0
	s_barrier
	buffer_gl0_inv
	s_clause 0x1c
	buffer_load_dword v93, off, s[0:3], 0 offset:192
	buffer_load_dword v94, off, s[0:3], 0 offset:196
	;; [unrolled: 1-line block ×29, first 2 shown]
	v_mov_b32_e32 v84, 0
	buffer_load_dword v118, off, s[0:3], 0 offset:308
	s_mov_b32 s4, exec_lo
	ds_read_b128 v[85:88], v84 offset:528
	ds_read_b128 v[89:92], v84 offset:544
	s_waitcnt vmcnt(28) lgkmcnt(1)
	v_fma_f64 v[85:86], v[93:94], v[85:86], 0
	s_clause 0x3
	buffer_load_dword v94, off, s[0:3], 0 offset:316
	buffer_load_dword v123, off, s[0:3], 0 offset:320
	;; [unrolled: 1-line block ×4, first 2 shown]
	s_waitcnt vmcnt(30)
	v_fma_f64 v[85:86], v[95:96], v[87:88], v[85:86]
	s_clause 0x1
	buffer_load_dword v95, off, s[0:3], 0 offset:184
	buffer_load_dword v96, off, s[0:3], 0 offset:188
	s_waitcnt vmcnt(30) lgkmcnt(0)
	v_fma_f64 v[85:86], v[97:98], v[89:90], v[85:86]
	s_waitcnt vmcnt(28)
	v_fma_f64 v[97:98], v[99:100], v[91:92], v[85:86]
	ds_read_b128 v[85:88], v84 offset:560
	ds_read_b128 v[89:92], v84 offset:576
	s_waitcnt vmcnt(26) lgkmcnt(1)
	v_fma_f64 v[85:86], v[101:102], v[85:86], v[97:98]
	s_waitcnt vmcnt(24)
	v_fma_f64 v[85:86], v[103:104], v[87:88], v[85:86]
	s_waitcnt vmcnt(22) lgkmcnt(0)
	v_fma_f64 v[85:86], v[105:106], v[89:90], v[85:86]
	s_waitcnt vmcnt(17)
	v_fma_f64 v[97:98], v[107:108], v[91:92], v[85:86]
	ds_read_b128 v[85:88], v84 offset:592
	ds_read_b128 v[89:92], v84 offset:608
	s_waitcnt vmcnt(16) lgkmcnt(1)
	v_fma_f64 v[85:86], v[113:114], v[85:86], v[97:98]
	s_waitcnt vmcnt(15)
	v_fma_f64 v[85:86], v[111:112], v[87:88], v[85:86]
	;; [unrolled: 10-line block ×3, first 2 shown]
	ds_read_b64 v[87:88], v84 offset:656
	s_waitcnt vmcnt(6) lgkmcnt(1)
	v_fma_f64 v[85:86], v[117:118], v[89:90], v[85:86]
	s_waitcnt vmcnt(3)
	v_fma_f64 v[85:86], v[93:94], v[91:92], v[85:86]
	s_waitcnt vmcnt(2) lgkmcnt(0)
	v_fma_f64 v[85:86], v[123:124], v[87:88], v[85:86]
	s_waitcnt vmcnt(0)
	v_add_f64 v[85:86], v[95:96], -v[85:86]
	buffer_store_dword v86, off, s[0:3], 0 offset:188
	buffer_store_dword v85, off, s[0:3], 0 offset:184
	v_cmpx_lt_u32_e32 22, v0
	s_cbranch_execz .LBB40_211
; %bb.210:
	s_clause 0x1
	buffer_load_dword v85, off, s[0:3], 0 offset:176
	buffer_load_dword v86, off, s[0:3], 0 offset:180
	buffer_store_dword v84, off, s[0:3], 0 offset:176
	buffer_store_dword v84, off, s[0:3], 0 offset:180
	s_waitcnt vmcnt(0)
	ds_write_b64 v83, v[85:86]
.LBB40_211:
	s_or_b32 exec_lo, exec_lo, s4
	s_waitcnt lgkmcnt(0)
	s_waitcnt_vscnt null, 0x0
	s_barrier
	buffer_gl0_inv
	s_clause 0x1c
	buffer_load_dword v93, off, s[0:3], 0 offset:184
	buffer_load_dword v94, off, s[0:3], 0 offset:188
	;; [unrolled: 1-line block ×29, first 2 shown]
	ds_read2_b64 v[85:88], v84 offset0:65 offset1:66
	ds_read2_b64 v[89:92], v84 offset0:67 offset1:68
	buffer_load_dword v118, off, s[0:3], 0 offset:300
	s_mov_b32 s4, exec_lo
	s_waitcnt vmcnt(28) lgkmcnt(1)
	v_fma_f64 v[85:86], v[93:94], v[85:86], 0
	s_clause 0x5
	buffer_load_dword v94, off, s[0:3], 0 offset:308
	buffer_load_dword v123, off, s[0:3], 0 offset:320
	;; [unrolled: 1-line block ×6, first 2 shown]
	s_waitcnt vmcnt(32)
	v_fma_f64 v[85:86], v[95:96], v[87:88], v[85:86]
	s_waitcnt vmcnt(30) lgkmcnt(0)
	v_fma_f64 v[85:86], v[97:98], v[89:90], v[85:86]
	s_waitcnt vmcnt(28)
	v_fma_f64 v[95:96], v[99:100], v[91:92], v[85:86]
	ds_read2_b64 v[85:88], v84 offset0:69 offset1:70
	s_clause 0x1
	buffer_load_dword v97, off, s[0:3], 0 offset:176
	buffer_load_dword v98, off, s[0:3], 0 offset:180
	ds_read2_b64 v[89:92], v84 offset0:71 offset1:72
	s_waitcnt vmcnt(28) lgkmcnt(1)
	v_fma_f64 v[85:86], v[101:102], v[85:86], v[95:96]
	s_waitcnt vmcnt(26)
	v_fma_f64 v[85:86], v[103:104], v[87:88], v[85:86]
	s_waitcnt vmcnt(24) lgkmcnt(0)
	v_fma_f64 v[85:86], v[105:106], v[89:90], v[85:86]
	s_waitcnt vmcnt(19)
	v_fma_f64 v[95:96], v[107:108], v[91:92], v[85:86]
	ds_read2_b64 v[85:88], v84 offset0:73 offset1:74
	ds_read2_b64 v[89:92], v84 offset0:75 offset1:76
	s_waitcnt vmcnt(18) lgkmcnt(1)
	v_fma_f64 v[85:86], v[113:114], v[85:86], v[95:96]
	s_waitcnt vmcnt(17)
	v_fma_f64 v[85:86], v[111:112], v[87:88], v[85:86]
	s_waitcnt vmcnt(16) lgkmcnt(0)
	v_fma_f64 v[85:86], v[109:110], v[89:90], v[85:86]
	s_waitcnt vmcnt(11)
	v_fma_f64 v[95:96], v[115:116], v[91:92], v[85:86]
	ds_read2_b64 v[85:88], v84 offset0:77 offset1:78
	;; [unrolled: 10-line block ×3, first 2 shown]
	s_waitcnt vmcnt(3) lgkmcnt(0)
	v_fma_f64 v[84:85], v[125:126], v[84:85], v[88:89]
	s_waitcnt vmcnt(2)
	v_fma_f64 v[84:85], v[123:124], v[86:87], v[84:85]
	s_waitcnt vmcnt(0)
	v_add_f64 v[84:85], v[97:98], -v[84:85]
	buffer_store_dword v85, off, s[0:3], 0 offset:180
	buffer_store_dword v84, off, s[0:3], 0 offset:176
	v_cmpx_lt_u32_e32 21, v0
	s_cbranch_execz .LBB40_213
; %bb.212:
	s_clause 0x1
	buffer_load_dword v84, off, s[0:3], 0 offset:168
	buffer_load_dword v85, off, s[0:3], 0 offset:172
	v_mov_b32_e32 v86, 0
	buffer_store_dword v86, off, s[0:3], 0 offset:168
	buffer_store_dword v86, off, s[0:3], 0 offset:172
	s_waitcnt vmcnt(0)
	ds_write_b64 v83, v[84:85]
.LBB40_213:
	s_or_b32 exec_lo, exec_lo, s4
	s_waitcnt lgkmcnt(0)
	s_waitcnt_vscnt null, 0x0
	s_barrier
	buffer_gl0_inv
	s_clause 0x1c
	buffer_load_dword v93, off, s[0:3], 0 offset:176
	buffer_load_dword v94, off, s[0:3], 0 offset:180
	;; [unrolled: 1-line block ×29, first 2 shown]
	v_mov_b32_e32 v84, 0
	buffer_load_dword v118, off, s[0:3], 0 offset:292
	s_mov_b32 s4, exec_lo
	ds_read_b128 v[85:88], v84 offset:512
	ds_read_b128 v[89:92], v84 offset:528
	s_waitcnt vmcnt(28) lgkmcnt(1)
	v_fma_f64 v[85:86], v[93:94], v[85:86], 0
	s_clause 0x7
	buffer_load_dword v94, off, s[0:3], 0 offset:300
	buffer_load_dword v123, off, s[0:3], 0 offset:320
	;; [unrolled: 1-line block ×8, first 2 shown]
	s_waitcnt vmcnt(34)
	v_fma_f64 v[85:86], v[95:96], v[87:88], v[85:86]
	s_waitcnt vmcnt(32) lgkmcnt(0)
	v_fma_f64 v[85:86], v[97:98], v[89:90], v[85:86]
	s_waitcnt vmcnt(30)
	v_fma_f64 v[95:96], v[99:100], v[91:92], v[85:86]
	ds_read_b128 v[85:88], v84 offset:544
	ds_read_b128 v[89:92], v84 offset:560
	s_waitcnt vmcnt(28) lgkmcnt(1)
	v_fma_f64 v[85:86], v[101:102], v[85:86], v[95:96]
	s_clause 0x1
	buffer_load_dword v95, off, s[0:3], 0 offset:168
	buffer_load_dword v96, off, s[0:3], 0 offset:172
	s_waitcnt vmcnt(28)
	v_fma_f64 v[85:86], v[103:104], v[87:88], v[85:86]
	s_waitcnt vmcnt(26) lgkmcnt(0)
	v_fma_f64 v[85:86], v[105:106], v[89:90], v[85:86]
	s_waitcnt vmcnt(21)
	v_fma_f64 v[97:98], v[107:108], v[91:92], v[85:86]
	ds_read_b128 v[85:88], v84 offset:576
	ds_read_b128 v[89:92], v84 offset:592
	s_waitcnt vmcnt(20) lgkmcnt(1)
	v_fma_f64 v[85:86], v[113:114], v[85:86], v[97:98]
	s_waitcnt vmcnt(19)
	v_fma_f64 v[85:86], v[111:112], v[87:88], v[85:86]
	s_waitcnt vmcnt(18) lgkmcnt(0)
	v_fma_f64 v[85:86], v[109:110], v[89:90], v[85:86]
	s_waitcnt vmcnt(13)
	v_fma_f64 v[97:98], v[115:116], v[91:92], v[85:86]
	ds_read_b128 v[85:88], v84 offset:608
	ds_read_b128 v[89:92], v84 offset:624
	s_waitcnt vmcnt(12) lgkmcnt(1)
	v_fma_f64 v[85:86], v[121:122], v[85:86], v[97:98]
	s_waitcnt vmcnt(11)
	v_fma_f64 v[85:86], v[119:120], v[87:88], v[85:86]
	s_waitcnt vmcnt(10) lgkmcnt(0)
	v_fma_f64 v[85:86], v[117:118], v[89:90], v[85:86]
	s_waitcnt vmcnt(5)
	v_fma_f64 v[89:90], v[93:94], v[91:92], v[85:86]
	ds_read_b128 v[85:88], v84 offset:640
	ds_read_b64 v[91:92], v84 offset:656
	s_waitcnt vmcnt(4) lgkmcnt(1)
	v_fma_f64 v[85:86], v[127:128], v[85:86], v[89:90]
	s_waitcnt vmcnt(3)
	v_fma_f64 v[85:86], v[125:126], v[87:88], v[85:86]
	s_waitcnt vmcnt(2) lgkmcnt(0)
	v_fma_f64 v[85:86], v[123:124], v[91:92], v[85:86]
	s_waitcnt vmcnt(0)
	v_add_f64 v[85:86], v[95:96], -v[85:86]
	buffer_store_dword v86, off, s[0:3], 0 offset:172
	buffer_store_dword v85, off, s[0:3], 0 offset:168
	v_cmpx_lt_u32_e32 20, v0
	s_cbranch_execz .LBB40_215
; %bb.214:
	s_clause 0x1
	buffer_load_dword v85, off, s[0:3], 0 offset:160
	buffer_load_dword v86, off, s[0:3], 0 offset:164
	buffer_store_dword v84, off, s[0:3], 0 offset:160
	buffer_store_dword v84, off, s[0:3], 0 offset:164
	s_waitcnt vmcnt(0)
	ds_write_b64 v83, v[85:86]
.LBB40_215:
	s_or_b32 exec_lo, exec_lo, s4
	s_waitcnt lgkmcnt(0)
	s_waitcnt_vscnt null, 0x0
	s_barrier
	buffer_gl0_inv
	s_clause 0x1c
	buffer_load_dword v93, off, s[0:3], 0 offset:168
	buffer_load_dword v94, off, s[0:3], 0 offset:172
	;; [unrolled: 1-line block ×29, first 2 shown]
	ds_read2_b64 v[85:88], v84 offset0:63 offset1:64
	ds_read2_b64 v[89:92], v84 offset0:65 offset1:66
	buffer_load_dword v118, off, s[0:3], 0 offset:284
	s_mov_b32 s4, exec_lo
	s_waitcnt vmcnt(28) lgkmcnt(1)
	v_fma_f64 v[85:86], v[93:94], v[85:86], 0
	s_clause 0x7
	buffer_load_dword v94, off, s[0:3], 0 offset:292
	buffer_load_dword v123, off, s[0:3], 0 offset:312
	;; [unrolled: 1-line block ×8, first 2 shown]
	s_waitcnt vmcnt(34)
	v_fma_f64 v[85:86], v[95:96], v[87:88], v[85:86]
	s_waitcnt vmcnt(32) lgkmcnt(0)
	v_fma_f64 v[85:86], v[97:98], v[89:90], v[85:86]
	s_waitcnt vmcnt(30)
	v_fma_f64 v[95:96], v[99:100], v[91:92], v[85:86]
	ds_read2_b64 v[85:88], v84 offset0:67 offset1:68
	ds_read2_b64 v[89:92], v84 offset0:69 offset1:70
	s_waitcnt vmcnt(28) lgkmcnt(1)
	v_fma_f64 v[85:86], v[101:102], v[85:86], v[95:96]
	s_clause 0x3
	buffer_load_dword v96, off, s[0:3], 0 offset:324
	buffer_load_dword v95, off, s[0:3], 0 offset:320
	;; [unrolled: 1-line block ×4, first 2 shown]
	s_waitcnt vmcnt(30)
	v_fma_f64 v[85:86], v[103:104], v[87:88], v[85:86]
	s_waitcnt vmcnt(28) lgkmcnt(0)
	v_fma_f64 v[85:86], v[105:106], v[89:90], v[85:86]
	s_waitcnt vmcnt(23)
	v_fma_f64 v[99:100], v[107:108], v[91:92], v[85:86]
	ds_read2_b64 v[85:88], v84 offset0:71 offset1:72
	ds_read2_b64 v[89:92], v84 offset0:73 offset1:74
	s_waitcnt vmcnt(22) lgkmcnt(1)
	v_fma_f64 v[85:86], v[113:114], v[85:86], v[99:100]
	s_waitcnt vmcnt(21)
	v_fma_f64 v[85:86], v[111:112], v[87:88], v[85:86]
	s_waitcnt vmcnt(20) lgkmcnt(0)
	v_fma_f64 v[85:86], v[109:110], v[89:90], v[85:86]
	s_waitcnt vmcnt(15)
	v_fma_f64 v[99:100], v[115:116], v[91:92], v[85:86]
	ds_read2_b64 v[85:88], v84 offset0:75 offset1:76
	ds_read2_b64 v[89:92], v84 offset0:77 offset1:78
	s_waitcnt vmcnt(14) lgkmcnt(1)
	v_fma_f64 v[85:86], v[121:122], v[85:86], v[99:100]
	;; [unrolled: 10-line block ×3, first 2 shown]
	s_waitcnt vmcnt(5)
	v_fma_f64 v[84:85], v[125:126], v[87:88], v[84:85]
	s_waitcnt vmcnt(4) lgkmcnt(0)
	v_fma_f64 v[84:85], v[123:124], v[89:90], v[84:85]
	s_waitcnt vmcnt(2)
	v_fma_f64 v[84:85], v[95:96], v[91:92], v[84:85]
	s_waitcnt vmcnt(0)
	v_add_f64 v[84:85], v[97:98], -v[84:85]
	buffer_store_dword v85, off, s[0:3], 0 offset:164
	buffer_store_dword v84, off, s[0:3], 0 offset:160
	v_cmpx_lt_u32_e32 19, v0
	s_cbranch_execz .LBB40_217
; %bb.216:
	s_clause 0x1
	buffer_load_dword v84, off, s[0:3], 0 offset:152
	buffer_load_dword v85, off, s[0:3], 0 offset:156
	v_mov_b32_e32 v86, 0
	buffer_store_dword v86, off, s[0:3], 0 offset:152
	buffer_store_dword v86, off, s[0:3], 0 offset:156
	s_waitcnt vmcnt(0)
	ds_write_b64 v83, v[84:85]
.LBB40_217:
	s_or_b32 exec_lo, exec_lo, s4
	s_waitcnt lgkmcnt(0)
	s_waitcnt_vscnt null, 0x0
	s_barrier
	buffer_gl0_inv
	s_clause 0x1c
	buffer_load_dword v93, off, s[0:3], 0 offset:160
	buffer_load_dword v94, off, s[0:3], 0 offset:164
	;; [unrolled: 1-line block ×29, first 2 shown]
	v_mov_b32_e32 v84, 0
	buffer_load_dword v118, off, s[0:3], 0 offset:276
	s_mov_b32 s4, exec_lo
	ds_read_b128 v[85:88], v84 offset:496
	ds_read_b128 v[89:92], v84 offset:512
	s_waitcnt vmcnt(28) lgkmcnt(1)
	v_fma_f64 v[85:86], v[93:94], v[85:86], 0
	s_clause 0x7
	buffer_load_dword v94, off, s[0:3], 0 offset:284
	buffer_load_dword v123, off, s[0:3], 0 offset:304
	;; [unrolled: 1-line block ×8, first 2 shown]
	s_waitcnt vmcnt(34)
	v_fma_f64 v[85:86], v[95:96], v[87:88], v[85:86]
	s_waitcnt vmcnt(32) lgkmcnt(0)
	v_fma_f64 v[85:86], v[97:98], v[89:90], v[85:86]
	s_waitcnt vmcnt(30)
	v_fma_f64 v[95:96], v[99:100], v[91:92], v[85:86]
	ds_read_b128 v[85:88], v84 offset:528
	ds_read_b128 v[89:92], v84 offset:544
	s_waitcnt vmcnt(28) lgkmcnt(1)
	v_fma_f64 v[85:86], v[101:102], v[85:86], v[95:96]
	s_clause 0x5
	buffer_load_dword v96, off, s[0:3], 0 offset:316
	buffer_load_dword v97, off, s[0:3], 0 offset:320
	;; [unrolled: 1-line block ×6, first 2 shown]
	s_waitcnt vmcnt(32)
	v_fma_f64 v[85:86], v[103:104], v[87:88], v[85:86]
	s_waitcnt vmcnt(30) lgkmcnt(0)
	v_fma_f64 v[85:86], v[105:106], v[89:90], v[85:86]
	s_waitcnt vmcnt(25)
	v_fma_f64 v[101:102], v[107:108], v[91:92], v[85:86]
	ds_read_b128 v[85:88], v84 offset:560
	ds_read_b128 v[89:92], v84 offset:576
	s_waitcnt vmcnt(24) lgkmcnt(1)
	v_fma_f64 v[85:86], v[113:114], v[85:86], v[101:102]
	s_waitcnt vmcnt(23)
	v_fma_f64 v[85:86], v[111:112], v[87:88], v[85:86]
	s_waitcnt vmcnt(22) lgkmcnt(0)
	v_fma_f64 v[85:86], v[109:110], v[89:90], v[85:86]
	s_waitcnt vmcnt(17)
	v_fma_f64 v[101:102], v[115:116], v[91:92], v[85:86]
	ds_read_b128 v[85:88], v84 offset:592
	ds_read_b128 v[89:92], v84 offset:608
	s_waitcnt vmcnt(16) lgkmcnt(1)
	v_fma_f64 v[85:86], v[121:122], v[85:86], v[101:102]
	;; [unrolled: 10-line block ×3, first 2 shown]
	s_waitcnt vmcnt(7)
	v_fma_f64 v[85:86], v[125:126], v[87:88], v[85:86]
	ds_read_b64 v[87:88], v84 offset:656
	s_waitcnt vmcnt(6) lgkmcnt(1)
	v_fma_f64 v[85:86], v[123:124], v[89:90], v[85:86]
	s_waitcnt vmcnt(3)
	v_fma_f64 v[85:86], v[95:96], v[91:92], v[85:86]
	s_waitcnt vmcnt(2) lgkmcnt(0)
	v_fma_f64 v[85:86], v[97:98], v[87:88], v[85:86]
	s_waitcnt vmcnt(0)
	v_add_f64 v[85:86], v[99:100], -v[85:86]
	buffer_store_dword v86, off, s[0:3], 0 offset:156
	buffer_store_dword v85, off, s[0:3], 0 offset:152
	v_cmpx_lt_u32_e32 18, v0
	s_cbranch_execz .LBB40_219
; %bb.218:
	s_clause 0x1
	buffer_load_dword v85, off, s[0:3], 0 offset:144
	buffer_load_dword v86, off, s[0:3], 0 offset:148
	buffer_store_dword v84, off, s[0:3], 0 offset:144
	buffer_store_dword v84, off, s[0:3], 0 offset:148
	s_waitcnt vmcnt(0)
	ds_write_b64 v83, v[85:86]
.LBB40_219:
	s_or_b32 exec_lo, exec_lo, s4
	s_waitcnt lgkmcnt(0)
	s_waitcnt_vscnt null, 0x0
	s_barrier
	buffer_gl0_inv
	s_clause 0x1c
	buffer_load_dword v93, off, s[0:3], 0 offset:152
	buffer_load_dword v94, off, s[0:3], 0 offset:156
	;; [unrolled: 1-line block ×29, first 2 shown]
	ds_read2_b64 v[85:88], v84 offset0:61 offset1:62
	ds_read2_b64 v[89:92], v84 offset0:63 offset1:64
	buffer_load_dword v118, off, s[0:3], 0 offset:268
	s_mov_b32 s4, exec_lo
	s_waitcnt vmcnt(28) lgkmcnt(1)
	v_fma_f64 v[85:86], v[93:94], v[85:86], 0
	s_clause 0x7
	buffer_load_dword v94, off, s[0:3], 0 offset:276
	buffer_load_dword v123, off, s[0:3], 0 offset:296
	;; [unrolled: 1-line block ×8, first 2 shown]
	s_waitcnt vmcnt(34)
	v_fma_f64 v[85:86], v[95:96], v[87:88], v[85:86]
	s_waitcnt vmcnt(32) lgkmcnt(0)
	v_fma_f64 v[85:86], v[97:98], v[89:90], v[85:86]
	s_waitcnt vmcnt(30)
	v_fma_f64 v[95:96], v[99:100], v[91:92], v[85:86]
	ds_read2_b64 v[85:88], v84 offset0:65 offset1:66
	ds_read2_b64 v[89:92], v84 offset0:67 offset1:68
	s_waitcnt vmcnt(28) lgkmcnt(1)
	v_fma_f64 v[85:86], v[101:102], v[85:86], v[95:96]
	s_clause 0x5
	buffer_load_dword v96, off, s[0:3], 0 offset:308
	buffer_load_dword v97, off, s[0:3], 0 offset:320
	;; [unrolled: 1-line block ×6, first 2 shown]
	s_waitcnt vmcnt(32)
	v_fma_f64 v[85:86], v[103:104], v[87:88], v[85:86]
	s_waitcnt vmcnt(30) lgkmcnt(0)
	v_fma_f64 v[85:86], v[105:106], v[89:90], v[85:86]
	s_waitcnt vmcnt(25)
	v_fma_f64 v[101:102], v[107:108], v[91:92], v[85:86]
	ds_read2_b64 v[85:88], v84 offset0:69 offset1:70
	s_clause 0x1
	buffer_load_dword v103, off, s[0:3], 0 offset:144
	buffer_load_dword v104, off, s[0:3], 0 offset:148
	ds_read2_b64 v[89:92], v84 offset0:71 offset1:72
	s_waitcnt vmcnt(26) lgkmcnt(1)
	v_fma_f64 v[85:86], v[113:114], v[85:86], v[101:102]
	s_waitcnt vmcnt(25)
	v_fma_f64 v[85:86], v[111:112], v[87:88], v[85:86]
	s_waitcnt vmcnt(24) lgkmcnt(0)
	v_fma_f64 v[85:86], v[109:110], v[89:90], v[85:86]
	s_waitcnt vmcnt(19)
	v_fma_f64 v[101:102], v[115:116], v[91:92], v[85:86]
	ds_read2_b64 v[85:88], v84 offset0:73 offset1:74
	ds_read2_b64 v[89:92], v84 offset0:75 offset1:76
	s_waitcnt vmcnt(18) lgkmcnt(1)
	v_fma_f64 v[85:86], v[121:122], v[85:86], v[101:102]
	s_waitcnt vmcnt(17)
	v_fma_f64 v[85:86], v[119:120], v[87:88], v[85:86]
	s_waitcnt vmcnt(16) lgkmcnt(0)
	v_fma_f64 v[85:86], v[117:118], v[89:90], v[85:86]
	s_waitcnt vmcnt(11)
	v_fma_f64 v[93:94], v[93:94], v[91:92], v[85:86]
	ds_read2_b64 v[85:88], v84 offset0:77 offset1:78
	;; [unrolled: 10-line block ×3, first 2 shown]
	s_waitcnt vmcnt(3) lgkmcnt(0)
	v_fma_f64 v[84:85], v[99:100], v[84:85], v[88:89]
	s_waitcnt vmcnt(2)
	v_fma_f64 v[84:85], v[97:98], v[86:87], v[84:85]
	s_waitcnt vmcnt(0)
	v_add_f64 v[84:85], v[103:104], -v[84:85]
	buffer_store_dword v85, off, s[0:3], 0 offset:148
	buffer_store_dword v84, off, s[0:3], 0 offset:144
	v_cmpx_lt_u32_e32 17, v0
	s_cbranch_execz .LBB40_221
; %bb.220:
	s_clause 0x1
	buffer_load_dword v84, off, s[0:3], 0 offset:136
	buffer_load_dword v85, off, s[0:3], 0 offset:140
	v_mov_b32_e32 v86, 0
	buffer_store_dword v86, off, s[0:3], 0 offset:136
	buffer_store_dword v86, off, s[0:3], 0 offset:140
	s_waitcnt vmcnt(0)
	ds_write_b64 v83, v[84:85]
.LBB40_221:
	s_or_b32 exec_lo, exec_lo, s4
	s_waitcnt lgkmcnt(0)
	s_waitcnt_vscnt null, 0x0
	s_barrier
	buffer_gl0_inv
	s_clause 0x1c
	buffer_load_dword v93, off, s[0:3], 0 offset:144
	buffer_load_dword v94, off, s[0:3], 0 offset:148
	;; [unrolled: 1-line block ×29, first 2 shown]
	v_mov_b32_e32 v84, 0
	buffer_load_dword v118, off, s[0:3], 0 offset:260
	s_mov_b32 s4, exec_lo
	ds_read_b128 v[85:88], v84 offset:480
	ds_read_b128 v[89:92], v84 offset:496
	s_waitcnt vmcnt(28) lgkmcnt(1)
	v_fma_f64 v[85:86], v[93:94], v[85:86], 0
	s_clause 0x7
	buffer_load_dword v94, off, s[0:3], 0 offset:268
	buffer_load_dword v123, off, s[0:3], 0 offset:288
	;; [unrolled: 1-line block ×8, first 2 shown]
	s_waitcnt vmcnt(34)
	v_fma_f64 v[85:86], v[95:96], v[87:88], v[85:86]
	s_waitcnt vmcnt(32) lgkmcnt(0)
	v_fma_f64 v[85:86], v[97:98], v[89:90], v[85:86]
	s_waitcnt vmcnt(30)
	v_fma_f64 v[95:96], v[99:100], v[91:92], v[85:86]
	ds_read_b128 v[85:88], v84 offset:512
	ds_read_b128 v[89:92], v84 offset:528
	s_waitcnt vmcnt(28) lgkmcnt(1)
	v_fma_f64 v[85:86], v[101:102], v[85:86], v[95:96]
	s_clause 0x7
	buffer_load_dword v96, off, s[0:3], 0 offset:300
	buffer_load_dword v97, off, s[0:3], 0 offset:320
	;; [unrolled: 1-line block ×8, first 2 shown]
	s_waitcnt vmcnt(34)
	v_fma_f64 v[85:86], v[103:104], v[87:88], v[85:86]
	s_waitcnt vmcnt(32) lgkmcnt(0)
	v_fma_f64 v[85:86], v[105:106], v[89:90], v[85:86]
	s_waitcnt vmcnt(27)
	v_fma_f64 v[103:104], v[107:108], v[91:92], v[85:86]
	ds_read_b128 v[85:88], v84 offset:544
	ds_read_b128 v[89:92], v84 offset:560
	s_waitcnt vmcnt(26) lgkmcnt(1)
	v_fma_f64 v[85:86], v[113:114], v[85:86], v[103:104]
	s_clause 0x1
	buffer_load_dword v103, off, s[0:3], 0 offset:136
	buffer_load_dword v104, off, s[0:3], 0 offset:140
	s_waitcnt vmcnt(27)
	v_fma_f64 v[85:86], v[111:112], v[87:88], v[85:86]
	s_waitcnt vmcnt(26) lgkmcnt(0)
	v_fma_f64 v[85:86], v[109:110], v[89:90], v[85:86]
	s_waitcnt vmcnt(21)
	v_fma_f64 v[105:106], v[115:116], v[91:92], v[85:86]
	ds_read_b128 v[85:88], v84 offset:576
	ds_read_b128 v[89:92], v84 offset:592
	s_waitcnt vmcnt(20) lgkmcnt(1)
	v_fma_f64 v[85:86], v[121:122], v[85:86], v[105:106]
	s_waitcnt vmcnt(19)
	v_fma_f64 v[85:86], v[119:120], v[87:88], v[85:86]
	s_waitcnt vmcnt(18) lgkmcnt(0)
	v_fma_f64 v[85:86], v[117:118], v[89:90], v[85:86]
	s_waitcnt vmcnt(13)
	v_fma_f64 v[93:94], v[93:94], v[91:92], v[85:86]
	ds_read_b128 v[85:88], v84 offset:608
	ds_read_b128 v[89:92], v84 offset:624
	s_waitcnt vmcnt(12) lgkmcnt(1)
	v_fma_f64 v[85:86], v[127:128], v[85:86], v[93:94]
	s_waitcnt vmcnt(11)
	v_fma_f64 v[85:86], v[125:126], v[87:88], v[85:86]
	s_waitcnt vmcnt(10) lgkmcnt(0)
	v_fma_f64 v[85:86], v[123:124], v[89:90], v[85:86]
	s_waitcnt vmcnt(5)
	v_fma_f64 v[89:90], v[95:96], v[91:92], v[85:86]
	ds_read_b128 v[85:88], v84 offset:640
	ds_read_b64 v[91:92], v84 offset:656
	s_waitcnt vmcnt(4) lgkmcnt(1)
	v_fma_f64 v[85:86], v[101:102], v[85:86], v[89:90]
	s_waitcnt vmcnt(3)
	v_fma_f64 v[85:86], v[99:100], v[87:88], v[85:86]
	s_waitcnt vmcnt(2) lgkmcnt(0)
	v_fma_f64 v[85:86], v[97:98], v[91:92], v[85:86]
	s_waitcnt vmcnt(0)
	v_add_f64 v[85:86], v[103:104], -v[85:86]
	buffer_store_dword v86, off, s[0:3], 0 offset:140
	buffer_store_dword v85, off, s[0:3], 0 offset:136
	v_cmpx_lt_u32_e32 16, v0
	s_cbranch_execz .LBB40_223
; %bb.222:
	s_clause 0x1
	buffer_load_dword v85, off, s[0:3], 0 offset:128
	buffer_load_dword v86, off, s[0:3], 0 offset:132
	buffer_store_dword v84, off, s[0:3], 0 offset:128
	buffer_store_dword v84, off, s[0:3], 0 offset:132
	s_waitcnt vmcnt(0)
	ds_write_b64 v83, v[85:86]
.LBB40_223:
	s_or_b32 exec_lo, exec_lo, s4
	s_waitcnt lgkmcnt(0)
	s_waitcnt_vscnt null, 0x0
	s_barrier
	buffer_gl0_inv
	s_clause 0x1c
	buffer_load_dword v93, off, s[0:3], 0 offset:136
	buffer_load_dword v94, off, s[0:3], 0 offset:140
	;; [unrolled: 1-line block ×29, first 2 shown]
	ds_read2_b64 v[85:88], v84 offset0:59 offset1:60
	ds_read2_b64 v[89:92], v84 offset0:61 offset1:62
	buffer_load_dword v118, off, s[0:3], 0 offset:252
	s_mov_b32 s4, exec_lo
	s_waitcnt vmcnt(28) lgkmcnt(1)
	v_fma_f64 v[85:86], v[93:94], v[85:86], 0
	s_clause 0x7
	buffer_load_dword v94, off, s[0:3], 0 offset:260
	buffer_load_dword v123, off, s[0:3], 0 offset:280
	;; [unrolled: 1-line block ×8, first 2 shown]
	s_waitcnt vmcnt(34)
	v_fma_f64 v[85:86], v[95:96], v[87:88], v[85:86]
	s_waitcnt vmcnt(32) lgkmcnt(0)
	v_fma_f64 v[85:86], v[97:98], v[89:90], v[85:86]
	s_waitcnt vmcnt(30)
	v_fma_f64 v[95:96], v[99:100], v[91:92], v[85:86]
	ds_read2_b64 v[85:88], v84 offset0:63 offset1:64
	ds_read2_b64 v[89:92], v84 offset0:65 offset1:66
	s_waitcnt vmcnt(28) lgkmcnt(1)
	v_fma_f64 v[85:86], v[101:102], v[85:86], v[95:96]
	s_clause 0x7
	buffer_load_dword v96, off, s[0:3], 0 offset:292
	buffer_load_dword v97, off, s[0:3], 0 offset:312
	;; [unrolled: 1-line block ×8, first 2 shown]
	s_waitcnt vmcnt(34)
	v_fma_f64 v[85:86], v[103:104], v[87:88], v[85:86]
	s_waitcnt vmcnt(32) lgkmcnt(0)
	v_fma_f64 v[85:86], v[105:106], v[89:90], v[85:86]
	s_waitcnt vmcnt(27)
	v_fma_f64 v[103:104], v[107:108], v[91:92], v[85:86]
	ds_read2_b64 v[85:88], v84 offset0:67 offset1:68
	ds_read2_b64 v[89:92], v84 offset0:69 offset1:70
	s_waitcnt vmcnt(26) lgkmcnt(1)
	v_fma_f64 v[85:86], v[113:114], v[85:86], v[103:104]
	s_clause 0x3
	buffer_load_dword v104, off, s[0:3], 0 offset:324
	buffer_load_dword v103, off, s[0:3], 0 offset:320
	;; [unrolled: 1-line block ×4, first 2 shown]
	s_waitcnt vmcnt(29)
	v_fma_f64 v[85:86], v[111:112], v[87:88], v[85:86]
	s_waitcnt vmcnt(28) lgkmcnt(0)
	v_fma_f64 v[85:86], v[109:110], v[89:90], v[85:86]
	s_waitcnt vmcnt(23)
	v_fma_f64 v[107:108], v[115:116], v[91:92], v[85:86]
	ds_read2_b64 v[85:88], v84 offset0:71 offset1:72
	ds_read2_b64 v[89:92], v84 offset0:73 offset1:74
	s_waitcnt vmcnt(22) lgkmcnt(1)
	v_fma_f64 v[85:86], v[121:122], v[85:86], v[107:108]
	s_waitcnt vmcnt(21)
	v_fma_f64 v[85:86], v[119:120], v[87:88], v[85:86]
	s_waitcnt vmcnt(20) lgkmcnt(0)
	v_fma_f64 v[85:86], v[117:118], v[89:90], v[85:86]
	s_waitcnt vmcnt(15)
	v_fma_f64 v[93:94], v[93:94], v[91:92], v[85:86]
	ds_read2_b64 v[85:88], v84 offset0:75 offset1:76
	ds_read2_b64 v[89:92], v84 offset0:77 offset1:78
	s_waitcnt vmcnt(14) lgkmcnt(1)
	v_fma_f64 v[85:86], v[127:128], v[85:86], v[93:94]
	;; [unrolled: 10-line block ×3, first 2 shown]
	s_waitcnt vmcnt(5)
	v_fma_f64 v[84:85], v[99:100], v[87:88], v[84:85]
	s_waitcnt vmcnt(4) lgkmcnt(0)
	v_fma_f64 v[84:85], v[97:98], v[89:90], v[84:85]
	s_waitcnt vmcnt(2)
	v_fma_f64 v[84:85], v[103:104], v[91:92], v[84:85]
	s_waitcnt vmcnt(0)
	v_add_f64 v[84:85], v[105:106], -v[84:85]
	buffer_store_dword v85, off, s[0:3], 0 offset:132
	buffer_store_dword v84, off, s[0:3], 0 offset:128
	v_cmpx_lt_u32_e32 15, v0
	s_cbranch_execz .LBB40_225
; %bb.224:
	s_clause 0x1
	buffer_load_dword v84, off, s[0:3], 0 offset:120
	buffer_load_dword v85, off, s[0:3], 0 offset:124
	v_mov_b32_e32 v86, 0
	buffer_store_dword v86, off, s[0:3], 0 offset:120
	buffer_store_dword v86, off, s[0:3], 0 offset:124
	s_waitcnt vmcnt(0)
	ds_write_b64 v83, v[84:85]
.LBB40_225:
	s_or_b32 exec_lo, exec_lo, s4
	s_waitcnt lgkmcnt(0)
	s_waitcnt_vscnt null, 0x0
	s_barrier
	buffer_gl0_inv
	s_clause 0x1c
	buffer_load_dword v93, off, s[0:3], 0 offset:128
	buffer_load_dword v94, off, s[0:3], 0 offset:132
	;; [unrolled: 1-line block ×29, first 2 shown]
	v_mov_b32_e32 v84, 0
	buffer_load_dword v118, off, s[0:3], 0 offset:244
	s_mov_b32 s4, exec_lo
	ds_read_b128 v[85:88], v84 offset:464
	ds_read_b128 v[89:92], v84 offset:480
	s_waitcnt vmcnt(28) lgkmcnt(1)
	v_fma_f64 v[85:86], v[93:94], v[85:86], 0
	s_clause 0x7
	buffer_load_dword v94, off, s[0:3], 0 offset:252
	buffer_load_dword v123, off, s[0:3], 0 offset:272
	;; [unrolled: 1-line block ×8, first 2 shown]
	s_waitcnt vmcnt(34)
	v_fma_f64 v[85:86], v[95:96], v[87:88], v[85:86]
	s_waitcnt vmcnt(32) lgkmcnt(0)
	v_fma_f64 v[85:86], v[97:98], v[89:90], v[85:86]
	s_waitcnt vmcnt(30)
	v_fma_f64 v[95:96], v[99:100], v[91:92], v[85:86]
	ds_read_b128 v[85:88], v84 offset:496
	ds_read_b128 v[89:92], v84 offset:512
	s_waitcnt vmcnt(28) lgkmcnt(1)
	v_fma_f64 v[85:86], v[101:102], v[85:86], v[95:96]
	s_clause 0x7
	buffer_load_dword v96, off, s[0:3], 0 offset:284
	buffer_load_dword v97, off, s[0:3], 0 offset:304
	;; [unrolled: 1-line block ×8, first 2 shown]
	s_waitcnt vmcnt(34)
	v_fma_f64 v[85:86], v[103:104], v[87:88], v[85:86]
	s_waitcnt vmcnt(32) lgkmcnt(0)
	v_fma_f64 v[85:86], v[105:106], v[89:90], v[85:86]
	s_waitcnt vmcnt(27)
	v_fma_f64 v[103:104], v[107:108], v[91:92], v[85:86]
	ds_read_b128 v[85:88], v84 offset:528
	ds_read_b128 v[89:92], v84 offset:544
	s_waitcnt vmcnt(26) lgkmcnt(1)
	v_fma_f64 v[85:86], v[113:114], v[85:86], v[103:104]
	s_clause 0x5
	buffer_load_dword v104, off, s[0:3], 0 offset:316
	buffer_load_dword v105, off, s[0:3], 0 offset:320
	;; [unrolled: 1-line block ×6, first 2 shown]
	s_waitcnt vmcnt(31)
	v_fma_f64 v[85:86], v[111:112], v[87:88], v[85:86]
	s_waitcnt vmcnt(30) lgkmcnt(0)
	v_fma_f64 v[85:86], v[109:110], v[89:90], v[85:86]
	s_waitcnt vmcnt(25)
	v_fma_f64 v[109:110], v[115:116], v[91:92], v[85:86]
	ds_read_b128 v[85:88], v84 offset:560
	ds_read_b128 v[89:92], v84 offset:576
	s_waitcnt vmcnt(24) lgkmcnt(1)
	v_fma_f64 v[85:86], v[121:122], v[85:86], v[109:110]
	s_waitcnt vmcnt(23)
	v_fma_f64 v[85:86], v[119:120], v[87:88], v[85:86]
	s_waitcnt vmcnt(22) lgkmcnt(0)
	v_fma_f64 v[85:86], v[117:118], v[89:90], v[85:86]
	s_waitcnt vmcnt(17)
	v_fma_f64 v[93:94], v[93:94], v[91:92], v[85:86]
	ds_read_b128 v[85:88], v84 offset:592
	ds_read_b128 v[89:92], v84 offset:608
	s_waitcnt vmcnt(16) lgkmcnt(1)
	v_fma_f64 v[85:86], v[127:128], v[85:86], v[93:94]
	;; [unrolled: 10-line block ×3, first 2 shown]
	s_waitcnt vmcnt(7)
	v_fma_f64 v[85:86], v[99:100], v[87:88], v[85:86]
	ds_read_b64 v[87:88], v84 offset:656
	s_waitcnt vmcnt(6) lgkmcnt(1)
	v_fma_f64 v[85:86], v[97:98], v[89:90], v[85:86]
	s_waitcnt vmcnt(3)
	v_fma_f64 v[85:86], v[103:104], v[91:92], v[85:86]
	s_waitcnt vmcnt(2) lgkmcnt(0)
	v_fma_f64 v[85:86], v[105:106], v[87:88], v[85:86]
	s_waitcnt vmcnt(0)
	v_add_f64 v[85:86], v[107:108], -v[85:86]
	buffer_store_dword v86, off, s[0:3], 0 offset:124
	buffer_store_dword v85, off, s[0:3], 0 offset:120
	v_cmpx_lt_u32_e32 14, v0
	s_cbranch_execz .LBB40_227
; %bb.226:
	s_clause 0x1
	buffer_load_dword v85, off, s[0:3], 0 offset:112
	buffer_load_dword v86, off, s[0:3], 0 offset:116
	buffer_store_dword v84, off, s[0:3], 0 offset:112
	buffer_store_dword v84, off, s[0:3], 0 offset:116
	s_waitcnt vmcnt(0)
	ds_write_b64 v83, v[85:86]
.LBB40_227:
	s_or_b32 exec_lo, exec_lo, s4
	s_waitcnt lgkmcnt(0)
	s_waitcnt_vscnt null, 0x0
	s_barrier
	buffer_gl0_inv
	s_clause 0x1c
	buffer_load_dword v93, off, s[0:3], 0 offset:120
	buffer_load_dword v94, off, s[0:3], 0 offset:124
	;; [unrolled: 1-line block ×29, first 2 shown]
	ds_read2_b64 v[85:88], v84 offset0:57 offset1:58
	ds_read2_b64 v[89:92], v84 offset0:59 offset1:60
	buffer_load_dword v118, off, s[0:3], 0 offset:236
	s_mov_b32 s4, exec_lo
	s_waitcnt vmcnt(28) lgkmcnt(1)
	v_fma_f64 v[85:86], v[93:94], v[85:86], 0
	s_clause 0x7
	buffer_load_dword v94, off, s[0:3], 0 offset:244
	buffer_load_dword v123, off, s[0:3], 0 offset:264
	;; [unrolled: 1-line block ×8, first 2 shown]
	s_waitcnt vmcnt(34)
	v_fma_f64 v[85:86], v[95:96], v[87:88], v[85:86]
	s_waitcnt vmcnt(32) lgkmcnt(0)
	v_fma_f64 v[85:86], v[97:98], v[89:90], v[85:86]
	s_waitcnt vmcnt(30)
	v_fma_f64 v[95:96], v[99:100], v[91:92], v[85:86]
	ds_read2_b64 v[85:88], v84 offset0:61 offset1:62
	ds_read2_b64 v[89:92], v84 offset0:63 offset1:64
	s_waitcnt vmcnt(28) lgkmcnt(1)
	v_fma_f64 v[85:86], v[101:102], v[85:86], v[95:96]
	s_clause 0x7
	buffer_load_dword v96, off, s[0:3], 0 offset:276
	buffer_load_dword v97, off, s[0:3], 0 offset:296
	;; [unrolled: 1-line block ×8, first 2 shown]
	s_waitcnt vmcnt(34)
	v_fma_f64 v[85:86], v[103:104], v[87:88], v[85:86]
	s_waitcnt vmcnt(32) lgkmcnt(0)
	v_fma_f64 v[85:86], v[105:106], v[89:90], v[85:86]
	s_waitcnt vmcnt(27)
	v_fma_f64 v[103:104], v[107:108], v[91:92], v[85:86]
	ds_read2_b64 v[85:88], v84 offset0:65 offset1:66
	ds_read2_b64 v[89:92], v84 offset0:67 offset1:68
	s_waitcnt vmcnt(26) lgkmcnt(1)
	v_fma_f64 v[85:86], v[113:114], v[85:86], v[103:104]
	s_clause 0x5
	buffer_load_dword v104, off, s[0:3], 0 offset:308
	buffer_load_dword v105, off, s[0:3], 0 offset:320
	;; [unrolled: 1-line block ×6, first 2 shown]
	s_waitcnt vmcnt(31)
	v_fma_f64 v[85:86], v[111:112], v[87:88], v[85:86]
	s_waitcnt vmcnt(30) lgkmcnt(0)
	v_fma_f64 v[85:86], v[109:110], v[89:90], v[85:86]
	s_waitcnt vmcnt(25)
	v_fma_f64 v[109:110], v[115:116], v[91:92], v[85:86]
	ds_read2_b64 v[85:88], v84 offset0:69 offset1:70
	s_clause 0x1
	buffer_load_dword v111, off, s[0:3], 0 offset:112
	buffer_load_dword v112, off, s[0:3], 0 offset:116
	ds_read2_b64 v[89:92], v84 offset0:71 offset1:72
	s_waitcnt vmcnt(26) lgkmcnt(1)
	v_fma_f64 v[85:86], v[121:122], v[85:86], v[109:110]
	s_waitcnt vmcnt(25)
	v_fma_f64 v[85:86], v[119:120], v[87:88], v[85:86]
	s_waitcnt vmcnt(24) lgkmcnt(0)
	v_fma_f64 v[85:86], v[117:118], v[89:90], v[85:86]
	s_waitcnt vmcnt(19)
	v_fma_f64 v[93:94], v[93:94], v[91:92], v[85:86]
	ds_read2_b64 v[85:88], v84 offset0:73 offset1:74
	ds_read2_b64 v[89:92], v84 offset0:75 offset1:76
	s_waitcnt vmcnt(18) lgkmcnt(1)
	v_fma_f64 v[85:86], v[127:128], v[85:86], v[93:94]
	s_waitcnt vmcnt(17)
	v_fma_f64 v[85:86], v[125:126], v[87:88], v[85:86]
	s_waitcnt vmcnt(16) lgkmcnt(0)
	v_fma_f64 v[85:86], v[123:124], v[89:90], v[85:86]
	s_waitcnt vmcnt(11)
	v_fma_f64 v[93:94], v[95:96], v[91:92], v[85:86]
	ds_read2_b64 v[85:88], v84 offset0:77 offset1:78
	;; [unrolled: 10-line block ×3, first 2 shown]
	s_waitcnt vmcnt(3) lgkmcnt(0)
	v_fma_f64 v[84:85], v[107:108], v[84:85], v[88:89]
	s_waitcnt vmcnt(2)
	v_fma_f64 v[84:85], v[105:106], v[86:87], v[84:85]
	s_waitcnt vmcnt(0)
	v_add_f64 v[84:85], v[111:112], -v[84:85]
	buffer_store_dword v85, off, s[0:3], 0 offset:116
	buffer_store_dword v84, off, s[0:3], 0 offset:112
	v_cmpx_lt_u32_e32 13, v0
	s_cbranch_execz .LBB40_229
; %bb.228:
	s_clause 0x1
	buffer_load_dword v84, off, s[0:3], 0 offset:104
	buffer_load_dword v85, off, s[0:3], 0 offset:108
	v_mov_b32_e32 v86, 0
	buffer_store_dword v86, off, s[0:3], 0 offset:104
	buffer_store_dword v86, off, s[0:3], 0 offset:108
	s_waitcnt vmcnt(0)
	ds_write_b64 v83, v[84:85]
.LBB40_229:
	s_or_b32 exec_lo, exec_lo, s4
	s_waitcnt lgkmcnt(0)
	s_waitcnt_vscnt null, 0x0
	s_barrier
	buffer_gl0_inv
	s_clause 0x1c
	buffer_load_dword v93, off, s[0:3], 0 offset:112
	buffer_load_dword v94, off, s[0:3], 0 offset:116
	buffer_load_dword v95, off, s[0:3], 0 offset:120
	buffer_load_dword v96, off, s[0:3], 0 offset:124
	buffer_load_dword v97, off, s[0:3], 0 offset:128
	buffer_load_dword v98, off, s[0:3], 0 offset:132
	buffer_load_dword v99, off, s[0:3], 0 offset:136
	buffer_load_dword v100, off, s[0:3], 0 offset:140
	buffer_load_dword v101, off, s[0:3], 0 offset:144
	buffer_load_dword v102, off, s[0:3], 0 offset:148
	buffer_load_dword v103, off, s[0:3], 0 offset:152
	buffer_load_dword v104, off, s[0:3], 0 offset:156
	buffer_load_dword v105, off, s[0:3], 0 offset:160
	buffer_load_dword v106, off, s[0:3], 0 offset:164
	buffer_load_dword v108, off, s[0:3], 0 offset:172
	buffer_load_dword v109, off, s[0:3], 0 offset:192
	buffer_load_dword v111, off, s[0:3], 0 offset:184
	buffer_load_dword v113, off, s[0:3], 0 offset:176
	buffer_load_dword v107, off, s[0:3], 0 offset:168
	buffer_load_dword v114, off, s[0:3], 0 offset:180
	buffer_load_dword v112, off, s[0:3], 0 offset:188
	buffer_load_dword v110, off, s[0:3], 0 offset:196
	buffer_load_dword v116, off, s[0:3], 0 offset:204
	buffer_load_dword v117, off, s[0:3], 0 offset:224
	buffer_load_dword v119, off, s[0:3], 0 offset:216
	buffer_load_dword v121, off, s[0:3], 0 offset:208
	buffer_load_dword v115, off, s[0:3], 0 offset:200
	buffer_load_dword v122, off, s[0:3], 0 offset:212
	buffer_load_dword v120, off, s[0:3], 0 offset:220
	v_mov_b32_e32 v84, 0
	buffer_load_dword v118, off, s[0:3], 0 offset:228
	s_mov_b32 s4, exec_lo
	ds_read_b128 v[85:88], v84 offset:448
	ds_read_b128 v[89:92], v84 offset:464
	s_waitcnt vmcnt(28) lgkmcnt(1)
	v_fma_f64 v[85:86], v[93:94], v[85:86], 0
	s_clause 0x7
	buffer_load_dword v94, off, s[0:3], 0 offset:236
	buffer_load_dword v123, off, s[0:3], 0 offset:256
	buffer_load_dword v125, off, s[0:3], 0 offset:248
	buffer_load_dword v127, off, s[0:3], 0 offset:240
	buffer_load_dword v93, off, s[0:3], 0 offset:232
	buffer_load_dword v128, off, s[0:3], 0 offset:244
	buffer_load_dword v126, off, s[0:3], 0 offset:252
	buffer_load_dword v124, off, s[0:3], 0 offset:260
	s_waitcnt vmcnt(34)
	v_fma_f64 v[85:86], v[95:96], v[87:88], v[85:86]
	s_waitcnt vmcnt(32) lgkmcnt(0)
	v_fma_f64 v[85:86], v[97:98], v[89:90], v[85:86]
	s_waitcnt vmcnt(30)
	v_fma_f64 v[95:96], v[99:100], v[91:92], v[85:86]
	ds_read_b128 v[85:88], v84 offset:480
	ds_read_b128 v[89:92], v84 offset:496
	s_waitcnt vmcnt(28) lgkmcnt(1)
	v_fma_f64 v[85:86], v[101:102], v[85:86], v[95:96]
	s_clause 0x7
	buffer_load_dword v96, off, s[0:3], 0 offset:268
	buffer_load_dword v97, off, s[0:3], 0 offset:288
	buffer_load_dword v99, off, s[0:3], 0 offset:280
	buffer_load_dword v101, off, s[0:3], 0 offset:272
	buffer_load_dword v95, off, s[0:3], 0 offset:264
	buffer_load_dword v102, off, s[0:3], 0 offset:276
	buffer_load_dword v100, off, s[0:3], 0 offset:284
	buffer_load_dword v98, off, s[0:3], 0 offset:292
	s_waitcnt vmcnt(34)
	v_fma_f64 v[85:86], v[103:104], v[87:88], v[85:86]
	s_waitcnt vmcnt(32) lgkmcnt(0)
	v_fma_f64 v[85:86], v[105:106], v[89:90], v[85:86]
	s_waitcnt vmcnt(27)
	v_fma_f64 v[103:104], v[107:108], v[91:92], v[85:86]
	;; [unrolled: 19-line block ×3, first 2 shown]
	ds_read_b128 v[85:88], v84 offset:544
	ds_read_b128 v[89:92], v84 offset:560
	s_waitcnt vmcnt(26) lgkmcnt(1)
	v_fma_f64 v[85:86], v[121:122], v[85:86], v[109:110]
	s_clause 0x1
	buffer_load_dword v109, off, s[0:3], 0 offset:104
	buffer_load_dword v110, off, s[0:3], 0 offset:108
	s_waitcnt vmcnt(27)
	v_fma_f64 v[85:86], v[119:120], v[87:88], v[85:86]
	s_waitcnt vmcnt(26) lgkmcnt(0)
	v_fma_f64 v[85:86], v[117:118], v[89:90], v[85:86]
	s_waitcnt vmcnt(21)
	v_fma_f64 v[93:94], v[93:94], v[91:92], v[85:86]
	ds_read_b128 v[85:88], v84 offset:576
	ds_read_b128 v[89:92], v84 offset:592
	s_waitcnt vmcnt(20) lgkmcnt(1)
	v_fma_f64 v[85:86], v[127:128], v[85:86], v[93:94]
	s_waitcnt vmcnt(19)
	v_fma_f64 v[85:86], v[125:126], v[87:88], v[85:86]
	s_waitcnt vmcnt(18) lgkmcnt(0)
	v_fma_f64 v[85:86], v[123:124], v[89:90], v[85:86]
	s_waitcnt vmcnt(13)
	v_fma_f64 v[93:94], v[95:96], v[91:92], v[85:86]
	ds_read_b128 v[85:88], v84 offset:608
	ds_read_b128 v[89:92], v84 offset:624
	s_waitcnt vmcnt(12) lgkmcnt(1)
	v_fma_f64 v[85:86], v[101:102], v[85:86], v[93:94]
	s_waitcnt vmcnt(11)
	v_fma_f64 v[85:86], v[99:100], v[87:88], v[85:86]
	s_waitcnt vmcnt(10) lgkmcnt(0)
	v_fma_f64 v[85:86], v[97:98], v[89:90], v[85:86]
	s_waitcnt vmcnt(5)
	v_fma_f64 v[89:90], v[103:104], v[91:92], v[85:86]
	ds_read_b128 v[85:88], v84 offset:640
	ds_read_b64 v[91:92], v84 offset:656
	s_waitcnt vmcnt(4) lgkmcnt(1)
	v_fma_f64 v[85:86], v[113:114], v[85:86], v[89:90]
	s_waitcnt vmcnt(3)
	v_fma_f64 v[85:86], v[107:108], v[87:88], v[85:86]
	s_waitcnt vmcnt(2) lgkmcnt(0)
	v_fma_f64 v[85:86], v[105:106], v[91:92], v[85:86]
	s_waitcnt vmcnt(0)
	v_add_f64 v[85:86], v[109:110], -v[85:86]
	buffer_store_dword v86, off, s[0:3], 0 offset:108
	buffer_store_dword v85, off, s[0:3], 0 offset:104
	v_cmpx_lt_u32_e32 12, v0
	s_cbranch_execz .LBB40_231
; %bb.230:
	s_clause 0x1
	buffer_load_dword v85, off, s[0:3], 0 offset:96
	buffer_load_dword v86, off, s[0:3], 0 offset:100
	buffer_store_dword v84, off, s[0:3], 0 offset:96
	buffer_store_dword v84, off, s[0:3], 0 offset:100
	s_waitcnt vmcnt(0)
	ds_write_b64 v83, v[85:86]
.LBB40_231:
	s_or_b32 exec_lo, exec_lo, s4
	s_waitcnt lgkmcnt(0)
	s_waitcnt_vscnt null, 0x0
	s_barrier
	buffer_gl0_inv
	s_clause 0x1c
	buffer_load_dword v93, off, s[0:3], 0 offset:104
	buffer_load_dword v94, off, s[0:3], 0 offset:108
	;; [unrolled: 1-line block ×29, first 2 shown]
	ds_read2_b64 v[85:88], v84 offset0:55 offset1:56
	ds_read2_b64 v[89:92], v84 offset0:57 offset1:58
	buffer_load_dword v118, off, s[0:3], 0 offset:220
	s_mov_b32 s4, exec_lo
	s_waitcnt vmcnt(28) lgkmcnt(1)
	v_fma_f64 v[85:86], v[93:94], v[85:86], 0
	s_clause 0x7
	buffer_load_dword v94, off, s[0:3], 0 offset:228
	buffer_load_dword v123, off, s[0:3], 0 offset:248
	buffer_load_dword v125, off, s[0:3], 0 offset:240
	buffer_load_dword v127, off, s[0:3], 0 offset:232
	buffer_load_dword v93, off, s[0:3], 0 offset:224
	buffer_load_dword v128, off, s[0:3], 0 offset:236
	buffer_load_dword v126, off, s[0:3], 0 offset:244
	buffer_load_dword v124, off, s[0:3], 0 offset:252
	s_waitcnt vmcnt(34)
	v_fma_f64 v[85:86], v[95:96], v[87:88], v[85:86]
	s_waitcnt vmcnt(32) lgkmcnt(0)
	v_fma_f64 v[85:86], v[97:98], v[89:90], v[85:86]
	s_waitcnt vmcnt(30)
	v_fma_f64 v[95:96], v[99:100], v[91:92], v[85:86]
	ds_read2_b64 v[85:88], v84 offset0:59 offset1:60
	ds_read2_b64 v[89:92], v84 offset0:61 offset1:62
	s_waitcnt vmcnt(28) lgkmcnt(1)
	v_fma_f64 v[85:86], v[101:102], v[85:86], v[95:96]
	s_clause 0x7
	buffer_load_dword v96, off, s[0:3], 0 offset:260
	buffer_load_dword v97, off, s[0:3], 0 offset:280
	buffer_load_dword v99, off, s[0:3], 0 offset:272
	buffer_load_dword v101, off, s[0:3], 0 offset:264
	buffer_load_dword v95, off, s[0:3], 0 offset:256
	buffer_load_dword v102, off, s[0:3], 0 offset:268
	buffer_load_dword v100, off, s[0:3], 0 offset:276
	buffer_load_dword v98, off, s[0:3], 0 offset:284
	s_waitcnt vmcnt(34)
	v_fma_f64 v[85:86], v[103:104], v[87:88], v[85:86]
	s_waitcnt vmcnt(32) lgkmcnt(0)
	v_fma_f64 v[85:86], v[105:106], v[89:90], v[85:86]
	s_waitcnt vmcnt(27)
	v_fma_f64 v[103:104], v[107:108], v[91:92], v[85:86]
	ds_read2_b64 v[85:88], v84 offset0:63 offset1:64
	ds_read2_b64 v[89:92], v84 offset0:65 offset1:66
	;; [unrolled: 19-line block ×3, first 2 shown]
	s_waitcnt vmcnt(26) lgkmcnt(1)
	v_fma_f64 v[85:86], v[121:122], v[85:86], v[109:110]
	s_clause 0x3
	buffer_load_dword v110, off, s[0:3], 0 offset:324
	buffer_load_dword v109, off, s[0:3], 0 offset:320
	;; [unrolled: 1-line block ×4, first 2 shown]
	s_waitcnt vmcnt(29)
	v_fma_f64 v[85:86], v[119:120], v[87:88], v[85:86]
	s_waitcnt vmcnt(28) lgkmcnt(0)
	v_fma_f64 v[85:86], v[117:118], v[89:90], v[85:86]
	s_waitcnt vmcnt(23)
	v_fma_f64 v[93:94], v[93:94], v[91:92], v[85:86]
	ds_read2_b64 v[85:88], v84 offset0:71 offset1:72
	ds_read2_b64 v[89:92], v84 offset0:73 offset1:74
	s_waitcnt vmcnt(22) lgkmcnt(1)
	v_fma_f64 v[85:86], v[127:128], v[85:86], v[93:94]
	s_waitcnt vmcnt(21)
	v_fma_f64 v[85:86], v[125:126], v[87:88], v[85:86]
	s_waitcnt vmcnt(20) lgkmcnt(0)
	v_fma_f64 v[85:86], v[123:124], v[89:90], v[85:86]
	s_waitcnt vmcnt(15)
	v_fma_f64 v[93:94], v[95:96], v[91:92], v[85:86]
	ds_read2_b64 v[85:88], v84 offset0:75 offset1:76
	ds_read2_b64 v[89:92], v84 offset0:77 offset1:78
	s_waitcnt vmcnt(14) lgkmcnt(1)
	v_fma_f64 v[85:86], v[101:102], v[85:86], v[93:94]
	;; [unrolled: 10-line block ×3, first 2 shown]
	s_waitcnt vmcnt(5)
	v_fma_f64 v[84:85], v[107:108], v[87:88], v[84:85]
	s_waitcnt vmcnt(4) lgkmcnt(0)
	v_fma_f64 v[84:85], v[105:106], v[89:90], v[84:85]
	s_waitcnt vmcnt(2)
	v_fma_f64 v[84:85], v[109:110], v[91:92], v[84:85]
	s_waitcnt vmcnt(0)
	v_add_f64 v[84:85], v[111:112], -v[84:85]
	buffer_store_dword v85, off, s[0:3], 0 offset:100
	buffer_store_dword v84, off, s[0:3], 0 offset:96
	v_cmpx_lt_u32_e32 11, v0
	s_cbranch_execz .LBB40_233
; %bb.232:
	s_clause 0x1
	buffer_load_dword v84, off, s[0:3], 0 offset:88
	buffer_load_dword v85, off, s[0:3], 0 offset:92
	v_mov_b32_e32 v86, 0
	buffer_store_dword v86, off, s[0:3], 0 offset:88
	buffer_store_dword v86, off, s[0:3], 0 offset:92
	s_waitcnt vmcnt(0)
	ds_write_b64 v83, v[84:85]
.LBB40_233:
	s_or_b32 exec_lo, exec_lo, s4
	s_waitcnt lgkmcnt(0)
	s_waitcnt_vscnt null, 0x0
	s_barrier
	buffer_gl0_inv
	s_clause 0x1c
	buffer_load_dword v93, off, s[0:3], 0 offset:96
	buffer_load_dword v94, off, s[0:3], 0 offset:100
	;; [unrolled: 1-line block ×29, first 2 shown]
	v_mov_b32_e32 v84, 0
	buffer_load_dword v118, off, s[0:3], 0 offset:212
	s_mov_b32 s4, exec_lo
	ds_read_b128 v[85:88], v84 offset:432
	ds_read_b128 v[89:92], v84 offset:448
	s_waitcnt vmcnt(28) lgkmcnt(1)
	v_fma_f64 v[85:86], v[93:94], v[85:86], 0
	s_clause 0x7
	buffer_load_dword v94, off, s[0:3], 0 offset:220
	buffer_load_dword v123, off, s[0:3], 0 offset:240
	buffer_load_dword v125, off, s[0:3], 0 offset:232
	buffer_load_dword v127, off, s[0:3], 0 offset:224
	buffer_load_dword v93, off, s[0:3], 0 offset:216
	buffer_load_dword v128, off, s[0:3], 0 offset:228
	buffer_load_dword v126, off, s[0:3], 0 offset:236
	buffer_load_dword v124, off, s[0:3], 0 offset:244
	s_waitcnt vmcnt(34)
	v_fma_f64 v[85:86], v[95:96], v[87:88], v[85:86]
	s_waitcnt vmcnt(32) lgkmcnt(0)
	v_fma_f64 v[85:86], v[97:98], v[89:90], v[85:86]
	s_waitcnt vmcnt(30)
	v_fma_f64 v[95:96], v[99:100], v[91:92], v[85:86]
	ds_read_b128 v[85:88], v84 offset:464
	ds_read_b128 v[89:92], v84 offset:480
	s_waitcnt vmcnt(28) lgkmcnt(1)
	v_fma_f64 v[85:86], v[101:102], v[85:86], v[95:96]
	s_clause 0x7
	buffer_load_dword v96, off, s[0:3], 0 offset:252
	buffer_load_dword v97, off, s[0:3], 0 offset:272
	buffer_load_dword v99, off, s[0:3], 0 offset:264
	buffer_load_dword v101, off, s[0:3], 0 offset:256
	buffer_load_dword v95, off, s[0:3], 0 offset:248
	buffer_load_dword v102, off, s[0:3], 0 offset:260
	buffer_load_dword v100, off, s[0:3], 0 offset:268
	buffer_load_dword v98, off, s[0:3], 0 offset:276
	s_waitcnt vmcnt(34)
	v_fma_f64 v[85:86], v[103:104], v[87:88], v[85:86]
	s_waitcnt vmcnt(32) lgkmcnt(0)
	v_fma_f64 v[85:86], v[105:106], v[89:90], v[85:86]
	s_waitcnt vmcnt(27)
	v_fma_f64 v[103:104], v[107:108], v[91:92], v[85:86]
	;; [unrolled: 19-line block ×3, first 2 shown]
	ds_read_b128 v[85:88], v84 offset:528
	ds_read_b128 v[89:92], v84 offset:544
	s_waitcnt vmcnt(26) lgkmcnt(1)
	v_fma_f64 v[85:86], v[121:122], v[85:86], v[109:110]
	s_clause 0x5
	buffer_load_dword v110, off, s[0:3], 0 offset:316
	buffer_load_dword v111, off, s[0:3], 0 offset:320
	;; [unrolled: 1-line block ×6, first 2 shown]
	s_waitcnt vmcnt(31)
	v_fma_f64 v[85:86], v[119:120], v[87:88], v[85:86]
	s_waitcnt vmcnt(30) lgkmcnt(0)
	v_fma_f64 v[85:86], v[117:118], v[89:90], v[85:86]
	s_waitcnt vmcnt(25)
	v_fma_f64 v[93:94], v[93:94], v[91:92], v[85:86]
	ds_read_b128 v[85:88], v84 offset:560
	ds_read_b128 v[89:92], v84 offset:576
	s_waitcnt vmcnt(24) lgkmcnt(1)
	v_fma_f64 v[85:86], v[127:128], v[85:86], v[93:94]
	s_waitcnt vmcnt(23)
	v_fma_f64 v[85:86], v[125:126], v[87:88], v[85:86]
	s_waitcnt vmcnt(22) lgkmcnt(0)
	v_fma_f64 v[85:86], v[123:124], v[89:90], v[85:86]
	s_waitcnt vmcnt(17)
	v_fma_f64 v[93:94], v[95:96], v[91:92], v[85:86]
	ds_read_b128 v[85:88], v84 offset:592
	ds_read_b128 v[89:92], v84 offset:608
	s_waitcnt vmcnt(16) lgkmcnt(1)
	v_fma_f64 v[85:86], v[101:102], v[85:86], v[93:94]
	;; [unrolled: 10-line block ×3, first 2 shown]
	s_waitcnt vmcnt(7)
	v_fma_f64 v[85:86], v[107:108], v[87:88], v[85:86]
	ds_read_b64 v[87:88], v84 offset:656
	s_waitcnt vmcnt(6) lgkmcnt(1)
	v_fma_f64 v[85:86], v[105:106], v[89:90], v[85:86]
	s_waitcnt vmcnt(3)
	v_fma_f64 v[85:86], v[109:110], v[91:92], v[85:86]
	s_waitcnt vmcnt(2) lgkmcnt(0)
	v_fma_f64 v[85:86], v[111:112], v[87:88], v[85:86]
	s_waitcnt vmcnt(0)
	v_add_f64 v[85:86], v[115:116], -v[85:86]
	buffer_store_dword v86, off, s[0:3], 0 offset:92
	buffer_store_dword v85, off, s[0:3], 0 offset:88
	v_cmpx_lt_u32_e32 10, v0
	s_cbranch_execz .LBB40_235
; %bb.234:
	s_clause 0x1
	buffer_load_dword v85, off, s[0:3], 0 offset:80
	buffer_load_dword v86, off, s[0:3], 0 offset:84
	buffer_store_dword v84, off, s[0:3], 0 offset:80
	buffer_store_dword v84, off, s[0:3], 0 offset:84
	s_waitcnt vmcnt(0)
	ds_write_b64 v83, v[85:86]
.LBB40_235:
	s_or_b32 exec_lo, exec_lo, s4
	s_waitcnt lgkmcnt(0)
	s_waitcnt_vscnt null, 0x0
	s_barrier
	buffer_gl0_inv
	s_clause 0x1c
	buffer_load_dword v93, off, s[0:3], 0 offset:88
	buffer_load_dword v94, off, s[0:3], 0 offset:92
	;; [unrolled: 1-line block ×29, first 2 shown]
	ds_read2_b64 v[85:88], v84 offset0:53 offset1:54
	ds_read2_b64 v[89:92], v84 offset0:55 offset1:56
	buffer_load_dword v118, off, s[0:3], 0 offset:204
	s_mov_b32 s4, exec_lo
	s_waitcnt vmcnt(28) lgkmcnt(1)
	v_fma_f64 v[85:86], v[93:94], v[85:86], 0
	s_clause 0x7
	buffer_load_dword v94, off, s[0:3], 0 offset:212
	buffer_load_dword v123, off, s[0:3], 0 offset:232
	buffer_load_dword v125, off, s[0:3], 0 offset:224
	buffer_load_dword v127, off, s[0:3], 0 offset:216
	buffer_load_dword v93, off, s[0:3], 0 offset:208
	buffer_load_dword v128, off, s[0:3], 0 offset:220
	buffer_load_dword v126, off, s[0:3], 0 offset:228
	buffer_load_dword v124, off, s[0:3], 0 offset:236
	s_waitcnt vmcnt(34)
	v_fma_f64 v[85:86], v[95:96], v[87:88], v[85:86]
	s_waitcnt vmcnt(32) lgkmcnt(0)
	v_fma_f64 v[85:86], v[97:98], v[89:90], v[85:86]
	s_waitcnt vmcnt(30)
	v_fma_f64 v[95:96], v[99:100], v[91:92], v[85:86]
	ds_read2_b64 v[85:88], v84 offset0:57 offset1:58
	ds_read2_b64 v[89:92], v84 offset0:59 offset1:60
	s_waitcnt vmcnt(28) lgkmcnt(1)
	v_fma_f64 v[85:86], v[101:102], v[85:86], v[95:96]
	s_clause 0x7
	buffer_load_dword v96, off, s[0:3], 0 offset:244
	buffer_load_dword v97, off, s[0:3], 0 offset:264
	buffer_load_dword v99, off, s[0:3], 0 offset:256
	buffer_load_dword v101, off, s[0:3], 0 offset:248
	buffer_load_dword v95, off, s[0:3], 0 offset:240
	buffer_load_dword v102, off, s[0:3], 0 offset:252
	buffer_load_dword v100, off, s[0:3], 0 offset:260
	buffer_load_dword v98, off, s[0:3], 0 offset:268
	s_waitcnt vmcnt(34)
	v_fma_f64 v[85:86], v[103:104], v[87:88], v[85:86]
	s_waitcnt vmcnt(32) lgkmcnt(0)
	v_fma_f64 v[85:86], v[105:106], v[89:90], v[85:86]
	s_waitcnt vmcnt(27)
	v_fma_f64 v[103:104], v[107:108], v[91:92], v[85:86]
	ds_read2_b64 v[85:88], v84 offset0:61 offset1:62
	ds_read2_b64 v[89:92], v84 offset0:63 offset1:64
	;; [unrolled: 19-line block ×3, first 2 shown]
	s_waitcnt vmcnt(26) lgkmcnt(1)
	v_fma_f64 v[85:86], v[121:122], v[85:86], v[109:110]
	s_clause 0x5
	buffer_load_dword v110, off, s[0:3], 0 offset:308
	buffer_load_dword v111, off, s[0:3], 0 offset:320
	buffer_load_dword v115, off, s[0:3], 0 offset:312
	buffer_load_dword v109, off, s[0:3], 0 offset:304
	buffer_load_dword v116, off, s[0:3], 0 offset:316
	buffer_load_dword v112, off, s[0:3], 0 offset:324
	s_waitcnt vmcnt(31)
	v_fma_f64 v[85:86], v[119:120], v[87:88], v[85:86]
	s_waitcnt vmcnt(30) lgkmcnt(0)
	v_fma_f64 v[85:86], v[117:118], v[89:90], v[85:86]
	s_waitcnt vmcnt(25)
	v_fma_f64 v[93:94], v[93:94], v[91:92], v[85:86]
	ds_read2_b64 v[85:88], v84 offset0:69 offset1:70
	s_clause 0x1
	buffer_load_dword v117, off, s[0:3], 0 offset:80
	buffer_load_dword v118, off, s[0:3], 0 offset:84
	ds_read2_b64 v[89:92], v84 offset0:71 offset1:72
	s_waitcnt vmcnt(26) lgkmcnt(1)
	v_fma_f64 v[85:86], v[127:128], v[85:86], v[93:94]
	s_waitcnt vmcnt(25)
	v_fma_f64 v[85:86], v[125:126], v[87:88], v[85:86]
	s_waitcnt vmcnt(24) lgkmcnt(0)
	v_fma_f64 v[85:86], v[123:124], v[89:90], v[85:86]
	s_waitcnt vmcnt(19)
	v_fma_f64 v[93:94], v[95:96], v[91:92], v[85:86]
	ds_read2_b64 v[85:88], v84 offset0:73 offset1:74
	ds_read2_b64 v[89:92], v84 offset0:75 offset1:76
	s_waitcnt vmcnt(18) lgkmcnt(1)
	v_fma_f64 v[85:86], v[101:102], v[85:86], v[93:94]
	s_waitcnt vmcnt(17)
	v_fma_f64 v[85:86], v[99:100], v[87:88], v[85:86]
	s_waitcnt vmcnt(16) lgkmcnt(0)
	v_fma_f64 v[85:86], v[97:98], v[89:90], v[85:86]
	s_waitcnt vmcnt(11)
	v_fma_f64 v[93:94], v[103:104], v[91:92], v[85:86]
	ds_read2_b64 v[85:88], v84 offset0:77 offset1:78
	;; [unrolled: 10-line block ×3, first 2 shown]
	s_waitcnt vmcnt(3) lgkmcnt(0)
	v_fma_f64 v[84:85], v[115:116], v[84:85], v[88:89]
	s_waitcnt vmcnt(2)
	v_fma_f64 v[84:85], v[111:112], v[86:87], v[84:85]
	s_waitcnt vmcnt(0)
	v_add_f64 v[84:85], v[117:118], -v[84:85]
	buffer_store_dword v85, off, s[0:3], 0 offset:84
	buffer_store_dword v84, off, s[0:3], 0 offset:80
	v_cmpx_lt_u32_e32 9, v0
	s_cbranch_execz .LBB40_237
; %bb.236:
	s_clause 0x1
	buffer_load_dword v84, off, s[0:3], 0 offset:72
	buffer_load_dword v85, off, s[0:3], 0 offset:76
	v_mov_b32_e32 v86, 0
	buffer_store_dword v86, off, s[0:3], 0 offset:72
	buffer_store_dword v86, off, s[0:3], 0 offset:76
	s_waitcnt vmcnt(0)
	ds_write_b64 v83, v[84:85]
.LBB40_237:
	s_or_b32 exec_lo, exec_lo, s4
	s_waitcnt lgkmcnt(0)
	s_waitcnt_vscnt null, 0x0
	s_barrier
	buffer_gl0_inv
	s_clause 0x1c
	buffer_load_dword v93, off, s[0:3], 0 offset:80
	buffer_load_dword v94, off, s[0:3], 0 offset:84
	;; [unrolled: 1-line block ×29, first 2 shown]
	v_mov_b32_e32 v84, 0
	buffer_load_dword v118, off, s[0:3], 0 offset:196
	s_mov_b32 s4, exec_lo
	ds_read_b128 v[85:88], v84 offset:416
	ds_read_b128 v[89:92], v84 offset:432
	s_waitcnt vmcnt(28) lgkmcnt(1)
	v_fma_f64 v[85:86], v[93:94], v[85:86], 0
	s_clause 0x7
	buffer_load_dword v94, off, s[0:3], 0 offset:204
	buffer_load_dword v123, off, s[0:3], 0 offset:224
	buffer_load_dword v125, off, s[0:3], 0 offset:216
	buffer_load_dword v127, off, s[0:3], 0 offset:208
	buffer_load_dword v93, off, s[0:3], 0 offset:200
	buffer_load_dword v128, off, s[0:3], 0 offset:212
	buffer_load_dword v126, off, s[0:3], 0 offset:220
	buffer_load_dword v124, off, s[0:3], 0 offset:228
	s_waitcnt vmcnt(34)
	v_fma_f64 v[85:86], v[95:96], v[87:88], v[85:86]
	s_waitcnt vmcnt(32) lgkmcnt(0)
	v_fma_f64 v[85:86], v[97:98], v[89:90], v[85:86]
	s_waitcnt vmcnt(30)
	v_fma_f64 v[95:96], v[99:100], v[91:92], v[85:86]
	ds_read_b128 v[85:88], v84 offset:448
	ds_read_b128 v[89:92], v84 offset:464
	s_waitcnt vmcnt(28) lgkmcnt(1)
	v_fma_f64 v[85:86], v[101:102], v[85:86], v[95:96]
	s_clause 0x7
	buffer_load_dword v96, off, s[0:3], 0 offset:236
	buffer_load_dword v97, off, s[0:3], 0 offset:256
	buffer_load_dword v99, off, s[0:3], 0 offset:248
	buffer_load_dword v101, off, s[0:3], 0 offset:240
	buffer_load_dword v95, off, s[0:3], 0 offset:232
	buffer_load_dword v102, off, s[0:3], 0 offset:244
	buffer_load_dword v100, off, s[0:3], 0 offset:252
	buffer_load_dword v98, off, s[0:3], 0 offset:260
	s_waitcnt vmcnt(34)
	v_fma_f64 v[85:86], v[103:104], v[87:88], v[85:86]
	s_waitcnt vmcnt(32) lgkmcnt(0)
	v_fma_f64 v[85:86], v[105:106], v[89:90], v[85:86]
	s_waitcnt vmcnt(27)
	v_fma_f64 v[103:104], v[107:108], v[91:92], v[85:86]
	;; [unrolled: 19-line block ×4, first 2 shown]
	ds_read_b128 v[85:88], v84 offset:544
	ds_read_b128 v[89:92], v84 offset:560
	s_waitcnt vmcnt(26) lgkmcnt(1)
	v_fma_f64 v[85:86], v[127:128], v[85:86], v[93:94]
	s_clause 0x1
	buffer_load_dword v93, off, s[0:3], 0 offset:72
	buffer_load_dword v94, off, s[0:3], 0 offset:76
	s_waitcnt vmcnt(27)
	v_fma_f64 v[85:86], v[125:126], v[87:88], v[85:86]
	s_waitcnt vmcnt(26) lgkmcnt(0)
	v_fma_f64 v[85:86], v[123:124], v[89:90], v[85:86]
	s_waitcnt vmcnt(21)
	v_fma_f64 v[95:96], v[95:96], v[91:92], v[85:86]
	ds_read_b128 v[85:88], v84 offset:576
	ds_read_b128 v[89:92], v84 offset:592
	s_waitcnt vmcnt(20) lgkmcnt(1)
	v_fma_f64 v[85:86], v[101:102], v[85:86], v[95:96]
	s_waitcnt vmcnt(19)
	v_fma_f64 v[85:86], v[99:100], v[87:88], v[85:86]
	s_waitcnt vmcnt(18) lgkmcnt(0)
	v_fma_f64 v[85:86], v[97:98], v[89:90], v[85:86]
	s_waitcnt vmcnt(13)
	v_fma_f64 v[95:96], v[103:104], v[91:92], v[85:86]
	ds_read_b128 v[85:88], v84 offset:608
	ds_read_b128 v[89:92], v84 offset:624
	s_waitcnt vmcnt(12) lgkmcnt(1)
	v_fma_f64 v[85:86], v[113:114], v[85:86], v[95:96]
	s_waitcnt vmcnt(11)
	v_fma_f64 v[85:86], v[107:108], v[87:88], v[85:86]
	s_waitcnt vmcnt(10) lgkmcnt(0)
	v_fma_f64 v[85:86], v[105:106], v[89:90], v[85:86]
	s_waitcnt vmcnt(5)
	v_fma_f64 v[89:90], v[109:110], v[91:92], v[85:86]
	ds_read_b128 v[85:88], v84 offset:640
	ds_read_b64 v[91:92], v84 offset:656
	s_waitcnt vmcnt(4) lgkmcnt(1)
	v_fma_f64 v[85:86], v[121:122], v[85:86], v[89:90]
	s_waitcnt vmcnt(3)
	v_fma_f64 v[85:86], v[115:116], v[87:88], v[85:86]
	s_waitcnt vmcnt(2) lgkmcnt(0)
	v_fma_f64 v[85:86], v[111:112], v[91:92], v[85:86]
	s_waitcnt vmcnt(0)
	v_add_f64 v[85:86], v[93:94], -v[85:86]
	buffer_store_dword v86, off, s[0:3], 0 offset:76
	buffer_store_dword v85, off, s[0:3], 0 offset:72
	v_cmpx_lt_u32_e32 8, v0
	s_cbranch_execz .LBB40_239
; %bb.238:
	s_clause 0x1
	buffer_load_dword v85, off, s[0:3], 0 offset:64
	buffer_load_dword v86, off, s[0:3], 0 offset:68
	buffer_store_dword v84, off, s[0:3], 0 offset:64
	buffer_store_dword v84, off, s[0:3], 0 offset:68
	s_waitcnt vmcnt(0)
	ds_write_b64 v83, v[85:86]
.LBB40_239:
	s_or_b32 exec_lo, exec_lo, s4
	s_waitcnt lgkmcnt(0)
	s_waitcnt_vscnt null, 0x0
	s_barrier
	buffer_gl0_inv
	s_clause 0x1c
	buffer_load_dword v93, off, s[0:3], 0 offset:72
	buffer_load_dword v94, off, s[0:3], 0 offset:76
	;; [unrolled: 1-line block ×29, first 2 shown]
	ds_read2_b64 v[85:88], v84 offset0:51 offset1:52
	ds_read2_b64 v[89:92], v84 offset0:53 offset1:54
	buffer_load_dword v118, off, s[0:3], 0 offset:188
	s_mov_b32 s4, exec_lo
	s_waitcnt vmcnt(28) lgkmcnt(1)
	v_fma_f64 v[85:86], v[93:94], v[85:86], 0
	s_clause 0x7
	buffer_load_dword v94, off, s[0:3], 0 offset:196
	buffer_load_dword v123, off, s[0:3], 0 offset:216
	buffer_load_dword v125, off, s[0:3], 0 offset:208
	buffer_load_dword v127, off, s[0:3], 0 offset:200
	buffer_load_dword v93, off, s[0:3], 0 offset:192
	buffer_load_dword v128, off, s[0:3], 0 offset:204
	buffer_load_dword v126, off, s[0:3], 0 offset:212
	buffer_load_dword v124, off, s[0:3], 0 offset:220
	s_waitcnt vmcnt(34)
	v_fma_f64 v[85:86], v[95:96], v[87:88], v[85:86]
	s_waitcnt vmcnt(32) lgkmcnt(0)
	v_fma_f64 v[85:86], v[97:98], v[89:90], v[85:86]
	s_waitcnt vmcnt(30)
	v_fma_f64 v[95:96], v[99:100], v[91:92], v[85:86]
	ds_read2_b64 v[85:88], v84 offset0:55 offset1:56
	ds_read2_b64 v[89:92], v84 offset0:57 offset1:58
	s_waitcnt vmcnt(28) lgkmcnt(1)
	v_fma_f64 v[85:86], v[101:102], v[85:86], v[95:96]
	s_clause 0x7
	buffer_load_dword v96, off, s[0:3], 0 offset:228
	buffer_load_dword v97, off, s[0:3], 0 offset:248
	buffer_load_dword v99, off, s[0:3], 0 offset:240
	buffer_load_dword v101, off, s[0:3], 0 offset:232
	buffer_load_dword v95, off, s[0:3], 0 offset:224
	buffer_load_dword v102, off, s[0:3], 0 offset:236
	buffer_load_dword v100, off, s[0:3], 0 offset:244
	buffer_load_dword v98, off, s[0:3], 0 offset:252
	s_waitcnt vmcnt(34)
	v_fma_f64 v[85:86], v[103:104], v[87:88], v[85:86]
	s_waitcnt vmcnt(32) lgkmcnt(0)
	v_fma_f64 v[85:86], v[105:106], v[89:90], v[85:86]
	s_waitcnt vmcnt(27)
	v_fma_f64 v[103:104], v[107:108], v[91:92], v[85:86]
	ds_read2_b64 v[85:88], v84 offset0:59 offset1:60
	ds_read2_b64 v[89:92], v84 offset0:61 offset1:62
	;; [unrolled: 19-line block ×4, first 2 shown]
	s_waitcnt vmcnt(26) lgkmcnt(1)
	v_fma_f64 v[85:86], v[127:128], v[85:86], v[93:94]
	s_clause 0x3
	buffer_load_dword v94, off, s[0:3], 0 offset:324
	buffer_load_dword v93, off, s[0:3], 0 offset:320
	;; [unrolled: 1-line block ×4, first 2 shown]
	s_waitcnt vmcnt(29)
	v_fma_f64 v[85:86], v[125:126], v[87:88], v[85:86]
	s_waitcnt vmcnt(28) lgkmcnt(0)
	v_fma_f64 v[85:86], v[123:124], v[89:90], v[85:86]
	s_waitcnt vmcnt(23)
	v_fma_f64 v[95:96], v[95:96], v[91:92], v[85:86]
	ds_read2_b64 v[85:88], v84 offset0:71 offset1:72
	ds_read2_b64 v[89:92], v84 offset0:73 offset1:74
	s_waitcnt vmcnt(22) lgkmcnt(1)
	v_fma_f64 v[85:86], v[101:102], v[85:86], v[95:96]
	s_waitcnt vmcnt(21)
	v_fma_f64 v[85:86], v[99:100], v[87:88], v[85:86]
	s_waitcnt vmcnt(20) lgkmcnt(0)
	v_fma_f64 v[85:86], v[97:98], v[89:90], v[85:86]
	s_waitcnt vmcnt(15)
	v_fma_f64 v[95:96], v[103:104], v[91:92], v[85:86]
	ds_read2_b64 v[85:88], v84 offset0:75 offset1:76
	ds_read2_b64 v[89:92], v84 offset0:77 offset1:78
	s_waitcnt vmcnt(14) lgkmcnt(1)
	v_fma_f64 v[85:86], v[113:114], v[85:86], v[95:96]
	;; [unrolled: 10-line block ×3, first 2 shown]
	s_waitcnt vmcnt(5)
	v_fma_f64 v[84:85], v[115:116], v[87:88], v[84:85]
	s_waitcnt vmcnt(4) lgkmcnt(0)
	v_fma_f64 v[84:85], v[111:112], v[89:90], v[84:85]
	s_waitcnt vmcnt(2)
	v_fma_f64 v[84:85], v[93:94], v[91:92], v[84:85]
	s_waitcnt vmcnt(0)
	v_add_f64 v[84:85], v[117:118], -v[84:85]
	buffer_store_dword v85, off, s[0:3], 0 offset:68
	buffer_store_dword v84, off, s[0:3], 0 offset:64
	v_cmpx_lt_u32_e32 7, v0
	s_cbranch_execz .LBB40_241
; %bb.240:
	s_clause 0x1
	buffer_load_dword v84, off, s[0:3], 0 offset:56
	buffer_load_dword v85, off, s[0:3], 0 offset:60
	v_mov_b32_e32 v86, 0
	buffer_store_dword v86, off, s[0:3], 0 offset:56
	buffer_store_dword v86, off, s[0:3], 0 offset:60
	s_waitcnt vmcnt(0)
	ds_write_b64 v83, v[84:85]
.LBB40_241:
	s_or_b32 exec_lo, exec_lo, s4
	s_waitcnt lgkmcnt(0)
	s_waitcnt_vscnt null, 0x0
	s_barrier
	buffer_gl0_inv
	s_clause 0x1c
	buffer_load_dword v93, off, s[0:3], 0 offset:64
	buffer_load_dword v94, off, s[0:3], 0 offset:68
	;; [unrolled: 1-line block ×29, first 2 shown]
	v_mov_b32_e32 v84, 0
	buffer_load_dword v118, off, s[0:3], 0 offset:180
	s_mov_b32 s4, exec_lo
	ds_read_b128 v[85:88], v84 offset:400
	ds_read_b128 v[89:92], v84 offset:416
	s_waitcnt vmcnt(28) lgkmcnt(1)
	v_fma_f64 v[85:86], v[93:94], v[85:86], 0
	s_clause 0x7
	buffer_load_dword v94, off, s[0:3], 0 offset:188
	buffer_load_dword v123, off, s[0:3], 0 offset:208
	buffer_load_dword v125, off, s[0:3], 0 offset:200
	buffer_load_dword v127, off, s[0:3], 0 offset:192
	buffer_load_dword v93, off, s[0:3], 0 offset:184
	buffer_load_dword v128, off, s[0:3], 0 offset:196
	buffer_load_dword v126, off, s[0:3], 0 offset:204
	buffer_load_dword v124, off, s[0:3], 0 offset:212
	s_waitcnt vmcnt(34)
	v_fma_f64 v[85:86], v[95:96], v[87:88], v[85:86]
	s_waitcnt vmcnt(32) lgkmcnt(0)
	v_fma_f64 v[85:86], v[97:98], v[89:90], v[85:86]
	s_waitcnt vmcnt(30)
	v_fma_f64 v[95:96], v[99:100], v[91:92], v[85:86]
	ds_read_b128 v[85:88], v84 offset:432
	ds_read_b128 v[89:92], v84 offset:448
	s_waitcnt vmcnt(28) lgkmcnt(1)
	v_fma_f64 v[85:86], v[101:102], v[85:86], v[95:96]
	s_clause 0x7
	buffer_load_dword v96, off, s[0:3], 0 offset:220
	buffer_load_dword v97, off, s[0:3], 0 offset:240
	buffer_load_dword v99, off, s[0:3], 0 offset:232
	buffer_load_dword v101, off, s[0:3], 0 offset:224
	buffer_load_dword v95, off, s[0:3], 0 offset:216
	buffer_load_dword v102, off, s[0:3], 0 offset:228
	buffer_load_dword v100, off, s[0:3], 0 offset:236
	buffer_load_dword v98, off, s[0:3], 0 offset:244
	s_waitcnt vmcnt(34)
	v_fma_f64 v[85:86], v[103:104], v[87:88], v[85:86]
	s_waitcnt vmcnt(32) lgkmcnt(0)
	v_fma_f64 v[85:86], v[105:106], v[89:90], v[85:86]
	s_waitcnt vmcnt(27)
	v_fma_f64 v[103:104], v[107:108], v[91:92], v[85:86]
	;; [unrolled: 19-line block ×4, first 2 shown]
	ds_read_b128 v[85:88], v84 offset:528
	ds_read_b128 v[89:92], v84 offset:544
	s_waitcnt vmcnt(26) lgkmcnt(1)
	v_fma_f64 v[85:86], v[127:128], v[85:86], v[93:94]
	s_clause 0x5
	buffer_load_dword v94, off, s[0:3], 0 offset:316
	buffer_load_dword v117, off, s[0:3], 0 offset:320
	;; [unrolled: 1-line block ×6, first 2 shown]
	s_waitcnt vmcnt(31)
	v_fma_f64 v[85:86], v[125:126], v[87:88], v[85:86]
	s_waitcnt vmcnt(30) lgkmcnt(0)
	v_fma_f64 v[85:86], v[123:124], v[89:90], v[85:86]
	s_waitcnt vmcnt(25)
	v_fma_f64 v[95:96], v[95:96], v[91:92], v[85:86]
	ds_read_b128 v[85:88], v84 offset:560
	ds_read_b128 v[89:92], v84 offset:576
	s_waitcnt vmcnt(24) lgkmcnt(1)
	v_fma_f64 v[85:86], v[101:102], v[85:86], v[95:96]
	s_waitcnt vmcnt(23)
	v_fma_f64 v[85:86], v[99:100], v[87:88], v[85:86]
	s_waitcnt vmcnt(22) lgkmcnt(0)
	v_fma_f64 v[85:86], v[97:98], v[89:90], v[85:86]
	s_waitcnt vmcnt(17)
	v_fma_f64 v[95:96], v[103:104], v[91:92], v[85:86]
	ds_read_b128 v[85:88], v84 offset:592
	ds_read_b128 v[89:92], v84 offset:608
	s_waitcnt vmcnt(16) lgkmcnt(1)
	v_fma_f64 v[85:86], v[113:114], v[85:86], v[95:96]
	s_waitcnt vmcnt(15)
	v_fma_f64 v[85:86], v[107:108], v[87:88], v[85:86]
	s_waitcnt vmcnt(14) lgkmcnt(0)
	v_fma_f64 v[85:86], v[105:106], v[89:90], v[85:86]
	s_waitcnt vmcnt(9)
	v_fma_f64 v[95:96], v[109:110], v[91:92], v[85:86]
	ds_read_b128 v[85:88], v84 offset:624
	ds_read_b128 v[89:92], v84 offset:640
	s_waitcnt vmcnt(8) lgkmcnt(1)
	v_fma_f64 v[85:86], v[121:122], v[85:86], v[95:96]
	s_waitcnt vmcnt(7)
	v_fma_f64 v[85:86], v[115:116], v[87:88], v[85:86]
	ds_read_b64 v[87:88], v84 offset:656
	s_waitcnt vmcnt(6) lgkmcnt(1)
	v_fma_f64 v[85:86], v[111:112], v[89:90], v[85:86]
	s_waitcnt vmcnt(3)
	v_fma_f64 v[85:86], v[93:94], v[91:92], v[85:86]
	s_waitcnt vmcnt(2) lgkmcnt(0)
	v_fma_f64 v[85:86], v[117:118], v[87:88], v[85:86]
	s_waitcnt vmcnt(0)
	v_add_f64 v[85:86], v[119:120], -v[85:86]
	buffer_store_dword v86, off, s[0:3], 0 offset:60
	buffer_store_dword v85, off, s[0:3], 0 offset:56
	v_cmpx_lt_u32_e32 6, v0
	s_cbranch_execz .LBB40_243
; %bb.242:
	s_clause 0x1
	buffer_load_dword v85, off, s[0:3], 0 offset:48
	buffer_load_dword v86, off, s[0:3], 0 offset:52
	buffer_store_dword v84, off, s[0:3], 0 offset:48
	buffer_store_dword v84, off, s[0:3], 0 offset:52
	s_waitcnt vmcnt(0)
	ds_write_b64 v83, v[85:86]
.LBB40_243:
	s_or_b32 exec_lo, exec_lo, s4
	s_waitcnt lgkmcnt(0)
	s_waitcnt_vscnt null, 0x0
	s_barrier
	buffer_gl0_inv
	s_clause 0x1c
	buffer_load_dword v93, off, s[0:3], 0 offset:56
	buffer_load_dword v94, off, s[0:3], 0 offset:60
	;; [unrolled: 1-line block ×29, first 2 shown]
	ds_read2_b64 v[85:88], v84 offset0:49 offset1:50
	ds_read2_b64 v[89:92], v84 offset0:51 offset1:52
	buffer_load_dword v118, off, s[0:3], 0 offset:172
	s_mov_b32 s4, exec_lo
	s_waitcnt vmcnt(28) lgkmcnt(1)
	v_fma_f64 v[85:86], v[93:94], v[85:86], 0
	s_clause 0x7
	buffer_load_dword v94, off, s[0:3], 0 offset:180
	buffer_load_dword v123, off, s[0:3], 0 offset:200
	buffer_load_dword v125, off, s[0:3], 0 offset:192
	buffer_load_dword v127, off, s[0:3], 0 offset:184
	buffer_load_dword v93, off, s[0:3], 0 offset:176
	buffer_load_dword v128, off, s[0:3], 0 offset:188
	buffer_load_dword v126, off, s[0:3], 0 offset:196
	buffer_load_dword v124, off, s[0:3], 0 offset:204
	s_waitcnt vmcnt(34)
	v_fma_f64 v[85:86], v[95:96], v[87:88], v[85:86]
	s_waitcnt vmcnt(32) lgkmcnt(0)
	v_fma_f64 v[85:86], v[97:98], v[89:90], v[85:86]
	s_waitcnt vmcnt(30)
	v_fma_f64 v[95:96], v[99:100], v[91:92], v[85:86]
	ds_read2_b64 v[85:88], v84 offset0:53 offset1:54
	ds_read2_b64 v[89:92], v84 offset0:55 offset1:56
	s_waitcnt vmcnt(28) lgkmcnt(1)
	v_fma_f64 v[85:86], v[101:102], v[85:86], v[95:96]
	s_clause 0x7
	buffer_load_dword v96, off, s[0:3], 0 offset:212
	buffer_load_dword v97, off, s[0:3], 0 offset:232
	buffer_load_dword v99, off, s[0:3], 0 offset:224
	buffer_load_dword v101, off, s[0:3], 0 offset:216
	buffer_load_dword v95, off, s[0:3], 0 offset:208
	buffer_load_dword v102, off, s[0:3], 0 offset:220
	buffer_load_dword v100, off, s[0:3], 0 offset:228
	buffer_load_dword v98, off, s[0:3], 0 offset:236
	s_waitcnt vmcnt(34)
	v_fma_f64 v[85:86], v[103:104], v[87:88], v[85:86]
	s_waitcnt vmcnt(32) lgkmcnt(0)
	v_fma_f64 v[85:86], v[105:106], v[89:90], v[85:86]
	s_waitcnt vmcnt(27)
	v_fma_f64 v[103:104], v[107:108], v[91:92], v[85:86]
	ds_read2_b64 v[85:88], v84 offset0:57 offset1:58
	ds_read2_b64 v[89:92], v84 offset0:59 offset1:60
	;; [unrolled: 19-line block ×4, first 2 shown]
	s_waitcnt vmcnt(26) lgkmcnt(1)
	v_fma_f64 v[85:86], v[127:128], v[85:86], v[93:94]
	s_clause 0x5
	buffer_load_dword v94, off, s[0:3], 0 offset:308
	buffer_load_dword v117, off, s[0:3], 0 offset:320
	;; [unrolled: 1-line block ×6, first 2 shown]
	s_waitcnt vmcnt(31)
	v_fma_f64 v[85:86], v[125:126], v[87:88], v[85:86]
	s_waitcnt vmcnt(30) lgkmcnt(0)
	v_fma_f64 v[85:86], v[123:124], v[89:90], v[85:86]
	s_waitcnt vmcnt(25)
	v_fma_f64 v[95:96], v[95:96], v[91:92], v[85:86]
	ds_read2_b64 v[85:88], v84 offset0:69 offset1:70
	s_clause 0x1
	buffer_load_dword v123, off, s[0:3], 0 offset:48
	buffer_load_dword v124, off, s[0:3], 0 offset:52
	ds_read2_b64 v[89:92], v84 offset0:71 offset1:72
	s_waitcnt vmcnt(26) lgkmcnt(1)
	v_fma_f64 v[85:86], v[101:102], v[85:86], v[95:96]
	s_waitcnt vmcnt(25)
	v_fma_f64 v[85:86], v[99:100], v[87:88], v[85:86]
	s_waitcnt vmcnt(24) lgkmcnt(0)
	v_fma_f64 v[85:86], v[97:98], v[89:90], v[85:86]
	s_waitcnt vmcnt(19)
	v_fma_f64 v[95:96], v[103:104], v[91:92], v[85:86]
	ds_read2_b64 v[85:88], v84 offset0:73 offset1:74
	ds_read2_b64 v[89:92], v84 offset0:75 offset1:76
	s_waitcnt vmcnt(18) lgkmcnt(1)
	v_fma_f64 v[85:86], v[113:114], v[85:86], v[95:96]
	s_waitcnt vmcnt(17)
	v_fma_f64 v[85:86], v[107:108], v[87:88], v[85:86]
	s_waitcnt vmcnt(16) lgkmcnt(0)
	v_fma_f64 v[85:86], v[105:106], v[89:90], v[85:86]
	s_waitcnt vmcnt(11)
	v_fma_f64 v[95:96], v[109:110], v[91:92], v[85:86]
	ds_read2_b64 v[85:88], v84 offset0:77 offset1:78
	ds_read2_b64 v[89:92], v84 offset0:79 offset1:80
	s_waitcnt vmcnt(10) lgkmcnt(1)
	v_fma_f64 v[85:86], v[121:122], v[85:86], v[95:96]
	s_waitcnt vmcnt(9)
	v_fma_f64 v[85:86], v[115:116], v[87:88], v[85:86]
	s_waitcnt vmcnt(8) lgkmcnt(0)
	v_fma_f64 v[85:86], v[111:112], v[89:90], v[85:86]
	s_waitcnt vmcnt(4)
	v_fma_f64 v[88:89], v[93:94], v[91:92], v[85:86]
	ds_read2_b64 v[84:87], v84 offset0:81 offset1:82
	s_waitcnt vmcnt(3) lgkmcnt(0)
	v_fma_f64 v[84:85], v[119:120], v[84:85], v[88:89]
	s_waitcnt vmcnt(2)
	v_fma_f64 v[84:85], v[117:118], v[86:87], v[84:85]
	s_waitcnt vmcnt(0)
	v_add_f64 v[84:85], v[123:124], -v[84:85]
	buffer_store_dword v85, off, s[0:3], 0 offset:52
	buffer_store_dword v84, off, s[0:3], 0 offset:48
	v_cmpx_lt_u32_e32 5, v0
	s_cbranch_execz .LBB40_245
; %bb.244:
	s_clause 0x1
	buffer_load_dword v84, off, s[0:3], 0 offset:40
	buffer_load_dword v85, off, s[0:3], 0 offset:44
	v_mov_b32_e32 v86, 0
	buffer_store_dword v86, off, s[0:3], 0 offset:40
	buffer_store_dword v86, off, s[0:3], 0 offset:44
	s_waitcnt vmcnt(0)
	ds_write_b64 v83, v[84:85]
.LBB40_245:
	s_or_b32 exec_lo, exec_lo, s4
	s_waitcnt lgkmcnt(0)
	s_waitcnt_vscnt null, 0x0
	s_barrier
	buffer_gl0_inv
	s_clause 0x1c
	buffer_load_dword v93, off, s[0:3], 0 offset:48
	buffer_load_dword v94, off, s[0:3], 0 offset:52
	;; [unrolled: 1-line block ×29, first 2 shown]
	v_mov_b32_e32 v84, 0
	buffer_load_dword v118, off, s[0:3], 0 offset:164
	s_mov_b32 s4, exec_lo
	ds_read_b128 v[85:88], v84 offset:384
	ds_read_b128 v[89:92], v84 offset:400
	s_waitcnt vmcnt(28) lgkmcnt(1)
	v_fma_f64 v[85:86], v[93:94], v[85:86], 0
	s_clause 0x7
	buffer_load_dword v94, off, s[0:3], 0 offset:172
	buffer_load_dword v123, off, s[0:3], 0 offset:192
	buffer_load_dword v125, off, s[0:3], 0 offset:184
	buffer_load_dword v127, off, s[0:3], 0 offset:176
	buffer_load_dword v93, off, s[0:3], 0 offset:168
	buffer_load_dword v128, off, s[0:3], 0 offset:180
	buffer_load_dword v126, off, s[0:3], 0 offset:188
	buffer_load_dword v124, off, s[0:3], 0 offset:196
	s_waitcnt vmcnt(34)
	v_fma_f64 v[85:86], v[95:96], v[87:88], v[85:86]
	s_waitcnt vmcnt(32) lgkmcnt(0)
	v_fma_f64 v[85:86], v[97:98], v[89:90], v[85:86]
	s_waitcnt vmcnt(30)
	v_fma_f64 v[95:96], v[99:100], v[91:92], v[85:86]
	ds_read_b128 v[85:88], v84 offset:416
	ds_read_b128 v[89:92], v84 offset:432
	s_waitcnt vmcnt(28) lgkmcnt(1)
	v_fma_f64 v[85:86], v[101:102], v[85:86], v[95:96]
	s_clause 0x7
	buffer_load_dword v96, off, s[0:3], 0 offset:204
	buffer_load_dword v97, off, s[0:3], 0 offset:224
	buffer_load_dword v99, off, s[0:3], 0 offset:216
	buffer_load_dword v101, off, s[0:3], 0 offset:208
	buffer_load_dword v95, off, s[0:3], 0 offset:200
	buffer_load_dword v102, off, s[0:3], 0 offset:212
	buffer_load_dword v100, off, s[0:3], 0 offset:220
	buffer_load_dword v98, off, s[0:3], 0 offset:228
	s_waitcnt vmcnt(34)
	v_fma_f64 v[85:86], v[103:104], v[87:88], v[85:86]
	s_waitcnt vmcnt(32) lgkmcnt(0)
	v_fma_f64 v[85:86], v[105:106], v[89:90], v[85:86]
	s_waitcnt vmcnt(27)
	v_fma_f64 v[103:104], v[107:108], v[91:92], v[85:86]
	;; [unrolled: 19-line block ×5, first 2 shown]
	ds_read_b128 v[85:88], v84 offset:544
	ds_read_b128 v[89:92], v84 offset:560
	s_waitcnt vmcnt(26) lgkmcnt(1)
	v_fma_f64 v[85:86], v[101:102], v[85:86], v[95:96]
	s_clause 0x1
	buffer_load_dword v95, off, s[0:3], 0 offset:40
	buffer_load_dword v96, off, s[0:3], 0 offset:44
	s_waitcnt vmcnt(27)
	v_fma_f64 v[85:86], v[99:100], v[87:88], v[85:86]
	s_waitcnt vmcnt(26) lgkmcnt(0)
	v_fma_f64 v[85:86], v[97:98], v[89:90], v[85:86]
	s_waitcnt vmcnt(21)
	v_fma_f64 v[97:98], v[103:104], v[91:92], v[85:86]
	ds_read_b128 v[85:88], v84 offset:576
	ds_read_b128 v[89:92], v84 offset:592
	s_waitcnt vmcnt(20) lgkmcnt(1)
	v_fma_f64 v[85:86], v[113:114], v[85:86], v[97:98]
	s_waitcnt vmcnt(19)
	v_fma_f64 v[85:86], v[107:108], v[87:88], v[85:86]
	s_waitcnt vmcnt(18) lgkmcnt(0)
	v_fma_f64 v[85:86], v[105:106], v[89:90], v[85:86]
	s_waitcnt vmcnt(13)
	v_fma_f64 v[97:98], v[109:110], v[91:92], v[85:86]
	ds_read_b128 v[85:88], v84 offset:608
	ds_read_b128 v[89:92], v84 offset:624
	s_waitcnt vmcnt(12) lgkmcnt(1)
	v_fma_f64 v[85:86], v[121:122], v[85:86], v[97:98]
	s_waitcnt vmcnt(11)
	v_fma_f64 v[85:86], v[115:116], v[87:88], v[85:86]
	s_waitcnt vmcnt(10) lgkmcnt(0)
	v_fma_f64 v[85:86], v[111:112], v[89:90], v[85:86]
	s_waitcnt vmcnt(5)
	v_fma_f64 v[89:90], v[93:94], v[91:92], v[85:86]
	ds_read_b128 v[85:88], v84 offset:640
	ds_read_b64 v[91:92], v84 offset:656
	s_waitcnt vmcnt(4) lgkmcnt(1)
	v_fma_f64 v[85:86], v[127:128], v[85:86], v[89:90]
	s_waitcnt vmcnt(3)
	v_fma_f64 v[85:86], v[119:120], v[87:88], v[85:86]
	s_waitcnt vmcnt(2) lgkmcnt(0)
	v_fma_f64 v[85:86], v[117:118], v[91:92], v[85:86]
	s_waitcnt vmcnt(0)
	v_add_f64 v[85:86], v[95:96], -v[85:86]
	buffer_store_dword v86, off, s[0:3], 0 offset:44
	buffer_store_dword v85, off, s[0:3], 0 offset:40
	v_cmpx_lt_u32_e32 4, v0
	s_cbranch_execz .LBB40_247
; %bb.246:
	s_clause 0x1
	buffer_load_dword v85, off, s[0:3], 0 offset:32
	buffer_load_dword v86, off, s[0:3], 0 offset:36
	buffer_store_dword v84, off, s[0:3], 0 offset:32
	buffer_store_dword v84, off, s[0:3], 0 offset:36
	s_waitcnt vmcnt(0)
	ds_write_b64 v83, v[85:86]
.LBB40_247:
	s_or_b32 exec_lo, exec_lo, s4
	s_waitcnt lgkmcnt(0)
	s_waitcnt_vscnt null, 0x0
	s_barrier
	buffer_gl0_inv
	s_clause 0x1c
	buffer_load_dword v93, off, s[0:3], 0 offset:40
	buffer_load_dword v94, off, s[0:3], 0 offset:44
	;; [unrolled: 1-line block ×29, first 2 shown]
	ds_read2_b64 v[85:88], v84 offset0:47 offset1:48
	ds_read2_b64 v[89:92], v84 offset0:49 offset1:50
	buffer_load_dword v118, off, s[0:3], 0 offset:156
	s_mov_b32 s4, exec_lo
	s_waitcnt vmcnt(28) lgkmcnt(1)
	v_fma_f64 v[85:86], v[93:94], v[85:86], 0
	s_clause 0x7
	buffer_load_dword v94, off, s[0:3], 0 offset:164
	buffer_load_dword v123, off, s[0:3], 0 offset:184
	buffer_load_dword v125, off, s[0:3], 0 offset:176
	buffer_load_dword v127, off, s[0:3], 0 offset:168
	buffer_load_dword v93, off, s[0:3], 0 offset:160
	buffer_load_dword v128, off, s[0:3], 0 offset:172
	buffer_load_dword v126, off, s[0:3], 0 offset:180
	buffer_load_dword v124, off, s[0:3], 0 offset:188
	s_waitcnt vmcnt(34)
	v_fma_f64 v[85:86], v[95:96], v[87:88], v[85:86]
	s_waitcnt vmcnt(32) lgkmcnt(0)
	v_fma_f64 v[85:86], v[97:98], v[89:90], v[85:86]
	s_waitcnt vmcnt(30)
	v_fma_f64 v[95:96], v[99:100], v[91:92], v[85:86]
	ds_read2_b64 v[85:88], v84 offset0:51 offset1:52
	ds_read2_b64 v[89:92], v84 offset0:53 offset1:54
	s_waitcnt vmcnt(28) lgkmcnt(1)
	v_fma_f64 v[85:86], v[101:102], v[85:86], v[95:96]
	s_clause 0x7
	buffer_load_dword v96, off, s[0:3], 0 offset:196
	buffer_load_dword v97, off, s[0:3], 0 offset:216
	buffer_load_dword v99, off, s[0:3], 0 offset:208
	buffer_load_dword v101, off, s[0:3], 0 offset:200
	buffer_load_dword v95, off, s[0:3], 0 offset:192
	buffer_load_dword v102, off, s[0:3], 0 offset:204
	buffer_load_dword v100, off, s[0:3], 0 offset:212
	buffer_load_dword v98, off, s[0:3], 0 offset:220
	s_waitcnt vmcnt(34)
	v_fma_f64 v[85:86], v[103:104], v[87:88], v[85:86]
	s_waitcnt vmcnt(32) lgkmcnt(0)
	v_fma_f64 v[85:86], v[105:106], v[89:90], v[85:86]
	s_waitcnt vmcnt(27)
	v_fma_f64 v[103:104], v[107:108], v[91:92], v[85:86]
	ds_read2_b64 v[85:88], v84 offset0:55 offset1:56
	ds_read2_b64 v[89:92], v84 offset0:57 offset1:58
	;; [unrolled: 19-line block ×5, first 2 shown]
	s_waitcnt vmcnt(26) lgkmcnt(1)
	v_fma_f64 v[85:86], v[101:102], v[85:86], v[95:96]
	s_clause 0x1
	buffer_load_dword v96, off, s[0:3], 0 offset:324
	buffer_load_dword v95, off, s[0:3], 0 offset:320
	s_waitcnt vmcnt(27)
	v_fma_f64 v[85:86], v[99:100], v[87:88], v[85:86]
	s_clause 0x1
	buffer_load_dword v99, off, s[0:3], 0 offset:32
	buffer_load_dword v100, off, s[0:3], 0 offset:36
	s_waitcnt vmcnt(28) lgkmcnt(0)
	v_fma_f64 v[85:86], v[97:98], v[89:90], v[85:86]
	s_waitcnt vmcnt(23)
	v_fma_f64 v[97:98], v[103:104], v[91:92], v[85:86]
	ds_read2_b64 v[85:88], v84 offset0:71 offset1:72
	ds_read2_b64 v[89:92], v84 offset0:73 offset1:74
	s_waitcnt vmcnt(22) lgkmcnt(1)
	v_fma_f64 v[85:86], v[113:114], v[85:86], v[97:98]
	s_waitcnt vmcnt(21)
	v_fma_f64 v[85:86], v[107:108], v[87:88], v[85:86]
	s_waitcnt vmcnt(20) lgkmcnt(0)
	v_fma_f64 v[85:86], v[105:106], v[89:90], v[85:86]
	s_waitcnt vmcnt(15)
	v_fma_f64 v[97:98], v[109:110], v[91:92], v[85:86]
	ds_read2_b64 v[85:88], v84 offset0:75 offset1:76
	ds_read2_b64 v[89:92], v84 offset0:77 offset1:78
	s_waitcnt vmcnt(14) lgkmcnt(1)
	v_fma_f64 v[85:86], v[121:122], v[85:86], v[97:98]
	s_waitcnt vmcnt(13)
	v_fma_f64 v[85:86], v[115:116], v[87:88], v[85:86]
	;; [unrolled: 10-line block ×3, first 2 shown]
	s_waitcnt vmcnt(4) lgkmcnt(0)
	v_fma_f64 v[84:85], v[117:118], v[89:90], v[84:85]
	s_waitcnt vmcnt(2)
	v_fma_f64 v[84:85], v[95:96], v[91:92], v[84:85]
	s_waitcnt vmcnt(0)
	v_add_f64 v[84:85], v[99:100], -v[84:85]
	buffer_store_dword v85, off, s[0:3], 0 offset:36
	buffer_store_dword v84, off, s[0:3], 0 offset:32
	v_cmpx_lt_u32_e32 3, v0
	s_cbranch_execz .LBB40_249
; %bb.248:
	s_clause 0x1
	buffer_load_dword v84, off, s[0:3], 0 offset:24
	buffer_load_dword v85, off, s[0:3], 0 offset:28
	v_mov_b32_e32 v86, 0
	buffer_store_dword v86, off, s[0:3], 0 offset:24
	buffer_store_dword v86, off, s[0:3], 0 offset:28
	s_waitcnt vmcnt(0)
	ds_write_b64 v83, v[84:85]
.LBB40_249:
	s_or_b32 exec_lo, exec_lo, s4
	s_waitcnt lgkmcnt(0)
	s_waitcnt_vscnt null, 0x0
	s_barrier
	buffer_gl0_inv
	s_clause 0x1c
	buffer_load_dword v93, off, s[0:3], 0 offset:32
	buffer_load_dword v94, off, s[0:3], 0 offset:36
	buffer_load_dword v95, off, s[0:3], 0 offset:40
	buffer_load_dword v96, off, s[0:3], 0 offset:44
	buffer_load_dword v97, off, s[0:3], 0 offset:48
	buffer_load_dword v98, off, s[0:3], 0 offset:52
	buffer_load_dword v99, off, s[0:3], 0 offset:56
	buffer_load_dword v100, off, s[0:3], 0 offset:60
	buffer_load_dword v101, off, s[0:3], 0 offset:64
	buffer_load_dword v102, off, s[0:3], 0 offset:68
	buffer_load_dword v103, off, s[0:3], 0 offset:72
	buffer_load_dword v104, off, s[0:3], 0 offset:76
	buffer_load_dword v105, off, s[0:3], 0 offset:80
	buffer_load_dword v106, off, s[0:3], 0 offset:84
	buffer_load_dword v108, off, s[0:3], 0 offset:92
	buffer_load_dword v109, off, s[0:3], 0 offset:112
	buffer_load_dword v111, off, s[0:3], 0 offset:104
	buffer_load_dword v113, off, s[0:3], 0 offset:96
	buffer_load_dword v107, off, s[0:3], 0 offset:88
	buffer_load_dword v114, off, s[0:3], 0 offset:100
	buffer_load_dword v112, off, s[0:3], 0 offset:108
	buffer_load_dword v110, off, s[0:3], 0 offset:116
	buffer_load_dword v116, off, s[0:3], 0 offset:124
	buffer_load_dword v117, off, s[0:3], 0 offset:144
	buffer_load_dword v119, off, s[0:3], 0 offset:136
	buffer_load_dword v121, off, s[0:3], 0 offset:128
	buffer_load_dword v115, off, s[0:3], 0 offset:120
	buffer_load_dword v122, off, s[0:3], 0 offset:132
	buffer_load_dword v120, off, s[0:3], 0 offset:140
	v_mov_b32_e32 v84, 0
	buffer_load_dword v118, off, s[0:3], 0 offset:148
	s_mov_b32 s4, exec_lo
	ds_read_b128 v[85:88], v84 offset:368
	ds_read_b128 v[89:92], v84 offset:384
	s_waitcnt vmcnt(28) lgkmcnt(1)
	v_fma_f64 v[85:86], v[93:94], v[85:86], 0
	s_clause 0x7
	buffer_load_dword v94, off, s[0:3], 0 offset:156
	buffer_load_dword v123, off, s[0:3], 0 offset:176
	buffer_load_dword v125, off, s[0:3], 0 offset:168
	buffer_load_dword v127, off, s[0:3], 0 offset:160
	buffer_load_dword v93, off, s[0:3], 0 offset:152
	buffer_load_dword v128, off, s[0:3], 0 offset:164
	buffer_load_dword v126, off, s[0:3], 0 offset:172
	buffer_load_dword v124, off, s[0:3], 0 offset:180
	s_waitcnt vmcnt(34)
	v_fma_f64 v[85:86], v[95:96], v[87:88], v[85:86]
	s_waitcnt vmcnt(32) lgkmcnt(0)
	v_fma_f64 v[85:86], v[97:98], v[89:90], v[85:86]
	s_waitcnt vmcnt(30)
	v_fma_f64 v[95:96], v[99:100], v[91:92], v[85:86]
	ds_read_b128 v[85:88], v84 offset:400
	ds_read_b128 v[89:92], v84 offset:416
	s_waitcnt vmcnt(28) lgkmcnt(1)
	v_fma_f64 v[85:86], v[101:102], v[85:86], v[95:96]
	s_clause 0x7
	buffer_load_dword v96, off, s[0:3], 0 offset:188
	buffer_load_dword v97, off, s[0:3], 0 offset:208
	buffer_load_dword v99, off, s[0:3], 0 offset:200
	buffer_load_dword v101, off, s[0:3], 0 offset:192
	buffer_load_dword v95, off, s[0:3], 0 offset:184
	buffer_load_dword v102, off, s[0:3], 0 offset:196
	buffer_load_dword v100, off, s[0:3], 0 offset:204
	buffer_load_dword v98, off, s[0:3], 0 offset:212
	s_waitcnt vmcnt(34)
	v_fma_f64 v[85:86], v[103:104], v[87:88], v[85:86]
	s_waitcnt vmcnt(32) lgkmcnt(0)
	v_fma_f64 v[85:86], v[105:106], v[89:90], v[85:86]
	s_waitcnt vmcnt(27)
	v_fma_f64 v[103:104], v[107:108], v[91:92], v[85:86]
	;; [unrolled: 19-line block ×5, first 2 shown]
	ds_read_b128 v[85:88], v84 offset:528
	ds_read_b128 v[89:92], v84 offset:544
	s_waitcnt vmcnt(26) lgkmcnt(1)
	v_fma_f64 v[85:86], v[101:102], v[85:86], v[95:96]
	s_clause 0x3
	buffer_load_dword v96, off, s[0:3], 0 offset:316
	buffer_load_dword v101, off, s[0:3], 0 offset:320
	;; [unrolled: 1-line block ×4, first 2 shown]
	s_waitcnt vmcnt(29)
	v_fma_f64 v[85:86], v[99:100], v[87:88], v[85:86]
	s_waitcnt vmcnt(28) lgkmcnt(0)
	v_fma_f64 v[85:86], v[97:98], v[89:90], v[85:86]
	s_clause 0x1
	buffer_load_dword v97, off, s[0:3], 0 offset:24
	buffer_load_dword v98, off, s[0:3], 0 offset:28
	s_waitcnt vmcnt(25)
	v_fma_f64 v[99:100], v[103:104], v[91:92], v[85:86]
	ds_read_b128 v[85:88], v84 offset:560
	ds_read_b128 v[89:92], v84 offset:576
	s_waitcnt vmcnt(24) lgkmcnt(1)
	v_fma_f64 v[85:86], v[113:114], v[85:86], v[99:100]
	s_waitcnt vmcnt(23)
	v_fma_f64 v[85:86], v[107:108], v[87:88], v[85:86]
	s_waitcnt vmcnt(22) lgkmcnt(0)
	v_fma_f64 v[85:86], v[105:106], v[89:90], v[85:86]
	s_waitcnt vmcnt(17)
	v_fma_f64 v[99:100], v[109:110], v[91:92], v[85:86]
	ds_read_b128 v[85:88], v84 offset:592
	ds_read_b128 v[89:92], v84 offset:608
	s_waitcnt vmcnt(16) lgkmcnt(1)
	v_fma_f64 v[85:86], v[121:122], v[85:86], v[99:100]
	s_waitcnt vmcnt(15)
	v_fma_f64 v[85:86], v[115:116], v[87:88], v[85:86]
	s_waitcnt vmcnt(14) lgkmcnt(0)
	v_fma_f64 v[85:86], v[111:112], v[89:90], v[85:86]
	s_waitcnt vmcnt(9)
	v_fma_f64 v[93:94], v[93:94], v[91:92], v[85:86]
	ds_read_b128 v[85:88], v84 offset:624
	ds_read_b128 v[89:92], v84 offset:640
	s_waitcnt vmcnt(8) lgkmcnt(1)
	v_fma_f64 v[85:86], v[127:128], v[85:86], v[93:94]
	s_waitcnt vmcnt(7)
	v_fma_f64 v[85:86], v[119:120], v[87:88], v[85:86]
	ds_read_b64 v[87:88], v84 offset:656
	s_waitcnt vmcnt(6) lgkmcnt(1)
	v_fma_f64 v[85:86], v[117:118], v[89:90], v[85:86]
	s_waitcnt vmcnt(3)
	v_fma_f64 v[85:86], v[95:96], v[91:92], v[85:86]
	s_waitcnt vmcnt(2) lgkmcnt(0)
	v_fma_f64 v[85:86], v[101:102], v[87:88], v[85:86]
	s_waitcnt vmcnt(0)
	v_add_f64 v[85:86], v[97:98], -v[85:86]
	buffer_store_dword v86, off, s[0:3], 0 offset:28
	buffer_store_dword v85, off, s[0:3], 0 offset:24
	v_cmpx_lt_u32_e32 2, v0
	s_cbranch_execz .LBB40_251
; %bb.250:
	s_clause 0x1
	buffer_load_dword v85, off, s[0:3], 0 offset:16
	buffer_load_dword v86, off, s[0:3], 0 offset:20
	buffer_store_dword v84, off, s[0:3], 0 offset:16
	buffer_store_dword v84, off, s[0:3], 0 offset:20
	s_waitcnt vmcnt(0)
	ds_write_b64 v83, v[85:86]
.LBB40_251:
	s_or_b32 exec_lo, exec_lo, s4
	s_waitcnt lgkmcnt(0)
	s_waitcnt_vscnt null, 0x0
	s_barrier
	buffer_gl0_inv
	s_clause 0x1c
	buffer_load_dword v93, off, s[0:3], 0 offset:24
	buffer_load_dword v94, off, s[0:3], 0 offset:28
	;; [unrolled: 1-line block ×29, first 2 shown]
	ds_read2_b64 v[85:88], v84 offset0:45 offset1:46
	ds_read2_b64 v[89:92], v84 offset0:47 offset1:48
	buffer_load_dword v118, off, s[0:3], 0 offset:140
	s_mov_b32 s4, exec_lo
	s_waitcnt vmcnt(28) lgkmcnt(1)
	v_fma_f64 v[85:86], v[93:94], v[85:86], 0
	s_clause 0x7
	buffer_load_dword v94, off, s[0:3], 0 offset:148
	buffer_load_dword v123, off, s[0:3], 0 offset:168
	buffer_load_dword v125, off, s[0:3], 0 offset:160
	buffer_load_dword v127, off, s[0:3], 0 offset:152
	buffer_load_dword v93, off, s[0:3], 0 offset:144
	buffer_load_dword v128, off, s[0:3], 0 offset:156
	buffer_load_dword v126, off, s[0:3], 0 offset:164
	buffer_load_dword v124, off, s[0:3], 0 offset:172
	s_waitcnt vmcnt(34)
	v_fma_f64 v[85:86], v[95:96], v[87:88], v[85:86]
	s_waitcnt vmcnt(32) lgkmcnt(0)
	v_fma_f64 v[85:86], v[97:98], v[89:90], v[85:86]
	s_waitcnt vmcnt(30)
	v_fma_f64 v[95:96], v[99:100], v[91:92], v[85:86]
	ds_read2_b64 v[85:88], v84 offset0:49 offset1:50
	ds_read2_b64 v[89:92], v84 offset0:51 offset1:52
	s_waitcnt vmcnt(28) lgkmcnt(1)
	v_fma_f64 v[85:86], v[101:102], v[85:86], v[95:96]
	s_clause 0x7
	buffer_load_dword v96, off, s[0:3], 0 offset:180
	buffer_load_dword v97, off, s[0:3], 0 offset:200
	buffer_load_dword v99, off, s[0:3], 0 offset:192
	buffer_load_dword v101, off, s[0:3], 0 offset:184
	buffer_load_dword v95, off, s[0:3], 0 offset:176
	buffer_load_dword v102, off, s[0:3], 0 offset:188
	buffer_load_dword v100, off, s[0:3], 0 offset:196
	buffer_load_dword v98, off, s[0:3], 0 offset:204
	s_waitcnt vmcnt(34)
	v_fma_f64 v[85:86], v[103:104], v[87:88], v[85:86]
	s_waitcnt vmcnt(32) lgkmcnt(0)
	v_fma_f64 v[85:86], v[105:106], v[89:90], v[85:86]
	s_waitcnt vmcnt(27)
	v_fma_f64 v[103:104], v[107:108], v[91:92], v[85:86]
	ds_read2_b64 v[85:88], v84 offset0:53 offset1:54
	ds_read2_b64 v[89:92], v84 offset0:55 offset1:56
	s_waitcnt vmcnt(26) lgkmcnt(1)
	v_fma_f64 v[85:86], v[113:114], v[85:86], v[103:104]
	s_clause 0x7
	buffer_load_dword v104, off, s[0:3], 0 offset:212
	buffer_load_dword v105, off, s[0:3], 0 offset:232
	buffer_load_dword v107, off, s[0:3], 0 offset:224
	buffer_load_dword v113, off, s[0:3], 0 offset:216
	buffer_load_dword v103, off, s[0:3], 0 offset:208
	buffer_load_dword v114, off, s[0:3], 0 offset:220
	buffer_load_dword v108, off, s[0:3], 0 offset:228
	buffer_load_dword v106, off, s[0:3], 0 offset:236
	s_waitcnt vmcnt(33)
	v_fma_f64 v[85:86], v[111:112], v[87:88], v[85:86]
	s_waitcnt vmcnt(32) lgkmcnt(0)
	v_fma_f64 v[85:86], v[109:110], v[89:90], v[85:86]
	s_waitcnt vmcnt(27)
	v_fma_f64 v[109:110], v[115:116], v[91:92], v[85:86]
	ds_read2_b64 v[85:88], v84 offset0:57 offset1:58
	ds_read2_b64 v[89:92], v84 offset0:59 offset1:60
	s_waitcnt vmcnt(26) lgkmcnt(1)
	v_fma_f64 v[85:86], v[121:122], v[85:86], v[109:110]
	s_clause 0x7
	buffer_load_dword v110, off, s[0:3], 0 offset:244
	buffer_load_dword v111, off, s[0:3], 0 offset:264
	buffer_load_dword v115, off, s[0:3], 0 offset:256
	buffer_load_dword v121, off, s[0:3], 0 offset:248
	buffer_load_dword v109, off, s[0:3], 0 offset:240
	buffer_load_dword v122, off, s[0:3], 0 offset:252
	buffer_load_dword v116, off, s[0:3], 0 offset:260
	buffer_load_dword v112, off, s[0:3], 0 offset:268
	s_waitcnt vmcnt(33)
	v_fma_f64 v[85:86], v[119:120], v[87:88], v[85:86]
	s_waitcnt vmcnt(32) lgkmcnt(0)
	v_fma_f64 v[85:86], v[117:118], v[89:90], v[85:86]
	s_waitcnt vmcnt(27)
	v_fma_f64 v[93:94], v[93:94], v[91:92], v[85:86]
	ds_read2_b64 v[85:88], v84 offset0:61 offset1:62
	ds_read2_b64 v[89:92], v84 offset0:63 offset1:64
	s_waitcnt vmcnt(26) lgkmcnt(1)
	v_fma_f64 v[85:86], v[127:128], v[85:86], v[93:94]
	s_clause 0x7
	buffer_load_dword v94, off, s[0:3], 0 offset:276
	buffer_load_dword v117, off, s[0:3], 0 offset:296
	buffer_load_dword v119, off, s[0:3], 0 offset:288
	buffer_load_dword v127, off, s[0:3], 0 offset:280
	buffer_load_dword v93, off, s[0:3], 0 offset:272
	buffer_load_dword v128, off, s[0:3], 0 offset:284
	buffer_load_dword v120, off, s[0:3], 0 offset:292
	buffer_load_dword v118, off, s[0:3], 0 offset:300
	s_waitcnt vmcnt(33)
	v_fma_f64 v[85:86], v[125:126], v[87:88], v[85:86]
	s_waitcnt vmcnt(32) lgkmcnt(0)
	v_fma_f64 v[85:86], v[123:124], v[89:90], v[85:86]
	s_waitcnt vmcnt(27)
	v_fma_f64 v[95:96], v[95:96], v[91:92], v[85:86]
	ds_read2_b64 v[85:88], v84 offset0:65 offset1:66
	ds_read2_b64 v[89:92], v84 offset0:67 offset1:68
	s_waitcnt vmcnt(26) lgkmcnt(1)
	v_fma_f64 v[85:86], v[101:102], v[85:86], v[95:96]
	s_clause 0x5
	buffer_load_dword v96, off, s[0:3], 0 offset:308
	buffer_load_dword v101, off, s[0:3], 0 offset:320
	;; [unrolled: 1-line block ×6, first 2 shown]
	s_waitcnt vmcnt(31)
	v_fma_f64 v[85:86], v[99:100], v[87:88], v[85:86]
	s_waitcnt vmcnt(30) lgkmcnt(0)
	v_fma_f64 v[85:86], v[97:98], v[89:90], v[85:86]
	s_waitcnt vmcnt(25)
	v_fma_f64 v[97:98], v[103:104], v[91:92], v[85:86]
	ds_read2_b64 v[85:88], v84 offset0:69 offset1:70
	s_clause 0x1
	buffer_load_dword v99, off, s[0:3], 0 offset:16
	buffer_load_dword v100, off, s[0:3], 0 offset:20
	ds_read2_b64 v[89:92], v84 offset0:71 offset1:72
	s_waitcnt vmcnt(26) lgkmcnt(1)
	v_fma_f64 v[85:86], v[113:114], v[85:86], v[97:98]
	s_waitcnt vmcnt(25)
	v_fma_f64 v[85:86], v[107:108], v[87:88], v[85:86]
	s_waitcnt vmcnt(24) lgkmcnt(0)
	v_fma_f64 v[85:86], v[105:106], v[89:90], v[85:86]
	s_waitcnt vmcnt(19)
	v_fma_f64 v[97:98], v[109:110], v[91:92], v[85:86]
	ds_read2_b64 v[85:88], v84 offset0:73 offset1:74
	ds_read2_b64 v[89:92], v84 offset0:75 offset1:76
	s_waitcnt vmcnt(18) lgkmcnt(1)
	v_fma_f64 v[85:86], v[121:122], v[85:86], v[97:98]
	s_waitcnt vmcnt(17)
	v_fma_f64 v[85:86], v[115:116], v[87:88], v[85:86]
	s_waitcnt vmcnt(16) lgkmcnt(0)
	v_fma_f64 v[85:86], v[111:112], v[89:90], v[85:86]
	s_waitcnt vmcnt(11)
	v_fma_f64 v[93:94], v[93:94], v[91:92], v[85:86]
	ds_read2_b64 v[85:88], v84 offset0:77 offset1:78
	;; [unrolled: 10-line block ×3, first 2 shown]
	s_waitcnt vmcnt(3) lgkmcnt(0)
	v_fma_f64 v[84:85], v[123:124], v[84:85], v[88:89]
	s_waitcnt vmcnt(2)
	v_fma_f64 v[84:85], v[101:102], v[86:87], v[84:85]
	s_waitcnt vmcnt(0)
	v_add_f64 v[84:85], v[99:100], -v[84:85]
	buffer_store_dword v85, off, s[0:3], 0 offset:20
	buffer_store_dword v84, off, s[0:3], 0 offset:16
	v_cmpx_lt_u32_e32 1, v0
	s_cbranch_execz .LBB40_253
; %bb.252:
	s_clause 0x1
	buffer_load_dword v84, off, s[0:3], 0 offset:8
	buffer_load_dword v85, off, s[0:3], 0 offset:12
	v_mov_b32_e32 v86, 0
	buffer_store_dword v86, off, s[0:3], 0 offset:8
	buffer_store_dword v86, off, s[0:3], 0 offset:12
	s_waitcnt vmcnt(0)
	ds_write_b64 v83, v[84:85]
.LBB40_253:
	s_or_b32 exec_lo, exec_lo, s4
	s_waitcnt lgkmcnt(0)
	s_waitcnt_vscnt null, 0x0
	s_barrier
	buffer_gl0_inv
	s_clause 0x1c
	buffer_load_dword v93, off, s[0:3], 0 offset:16
	buffer_load_dword v94, off, s[0:3], 0 offset:20
	;; [unrolled: 1-line block ×29, first 2 shown]
	v_mov_b32_e32 v84, 0
	buffer_load_dword v118, off, s[0:3], 0 offset:132
	s_mov_b32 s4, exec_lo
	ds_read_b128 v[85:88], v84 offset:352
	ds_read_b128 v[89:92], v84 offset:368
	s_waitcnt vmcnt(28) lgkmcnt(1)
	v_fma_f64 v[85:86], v[93:94], v[85:86], 0
	s_clause 0x7
	buffer_load_dword v94, off, s[0:3], 0 offset:140
	buffer_load_dword v123, off, s[0:3], 0 offset:160
	buffer_load_dword v125, off, s[0:3], 0 offset:152
	buffer_load_dword v127, off, s[0:3], 0 offset:144
	buffer_load_dword v93, off, s[0:3], 0 offset:136
	buffer_load_dword v128, off, s[0:3], 0 offset:148
	buffer_load_dword v126, off, s[0:3], 0 offset:156
	buffer_load_dword v124, off, s[0:3], 0 offset:164
	s_waitcnt vmcnt(34)
	v_fma_f64 v[85:86], v[95:96], v[87:88], v[85:86]
	s_waitcnt vmcnt(32) lgkmcnt(0)
	v_fma_f64 v[85:86], v[97:98], v[89:90], v[85:86]
	s_waitcnt vmcnt(30)
	v_fma_f64 v[95:96], v[99:100], v[91:92], v[85:86]
	ds_read_b128 v[85:88], v84 offset:384
	ds_read_b128 v[89:92], v84 offset:400
	s_waitcnt vmcnt(28) lgkmcnt(1)
	v_fma_f64 v[85:86], v[101:102], v[85:86], v[95:96]
	s_clause 0x7
	buffer_load_dword v96, off, s[0:3], 0 offset:172
	buffer_load_dword v97, off, s[0:3], 0 offset:192
	buffer_load_dword v99, off, s[0:3], 0 offset:184
	buffer_load_dword v101, off, s[0:3], 0 offset:176
	buffer_load_dword v95, off, s[0:3], 0 offset:168
	buffer_load_dword v102, off, s[0:3], 0 offset:180
	buffer_load_dword v100, off, s[0:3], 0 offset:188
	buffer_load_dword v98, off, s[0:3], 0 offset:196
	s_waitcnt vmcnt(34)
	v_fma_f64 v[85:86], v[103:104], v[87:88], v[85:86]
	s_waitcnt vmcnt(32) lgkmcnt(0)
	v_fma_f64 v[85:86], v[105:106], v[89:90], v[85:86]
	s_waitcnt vmcnt(27)
	v_fma_f64 v[103:104], v[107:108], v[91:92], v[85:86]
	;; [unrolled: 19-line block ×6, first 2 shown]
	ds_read_b128 v[85:88], v84 offset:544
	ds_read_b128 v[89:92], v84 offset:560
	s_waitcnt vmcnt(26) lgkmcnt(1)
	v_fma_f64 v[85:86], v[113:114], v[85:86], v[97:98]
	s_clause 0x1
	buffer_load_dword v97, off, s[0:3], 0 offset:8
	buffer_load_dword v98, off, s[0:3], 0 offset:12
	s_waitcnt vmcnt(27)
	v_fma_f64 v[85:86], v[107:108], v[87:88], v[85:86]
	s_waitcnt vmcnt(26) lgkmcnt(0)
	v_fma_f64 v[85:86], v[105:106], v[89:90], v[85:86]
	s_waitcnt vmcnt(21)
	v_fma_f64 v[99:100], v[109:110], v[91:92], v[85:86]
	ds_read_b128 v[85:88], v84 offset:576
	ds_read_b128 v[89:92], v84 offset:592
	s_waitcnt vmcnt(20) lgkmcnt(1)
	v_fma_f64 v[85:86], v[121:122], v[85:86], v[99:100]
	s_waitcnt vmcnt(19)
	v_fma_f64 v[85:86], v[115:116], v[87:88], v[85:86]
	s_waitcnt vmcnt(18) lgkmcnt(0)
	v_fma_f64 v[85:86], v[111:112], v[89:90], v[85:86]
	s_waitcnt vmcnt(13)
	v_fma_f64 v[93:94], v[93:94], v[91:92], v[85:86]
	ds_read_b128 v[85:88], v84 offset:608
	ds_read_b128 v[89:92], v84 offset:624
	s_waitcnt vmcnt(12) lgkmcnt(1)
	v_fma_f64 v[85:86], v[127:128], v[85:86], v[93:94]
	s_waitcnt vmcnt(11)
	v_fma_f64 v[85:86], v[119:120], v[87:88], v[85:86]
	s_waitcnt vmcnt(10) lgkmcnt(0)
	v_fma_f64 v[85:86], v[117:118], v[89:90], v[85:86]
	s_waitcnt vmcnt(5)
	v_fma_f64 v[89:90], v[95:96], v[91:92], v[85:86]
	ds_read_b128 v[85:88], v84 offset:640
	ds_read_b64 v[91:92], v84 offset:656
	s_waitcnt vmcnt(4) lgkmcnt(1)
	v_fma_f64 v[85:86], v[125:126], v[85:86], v[89:90]
	s_waitcnt vmcnt(3)
	v_fma_f64 v[85:86], v[123:124], v[87:88], v[85:86]
	s_waitcnt vmcnt(2) lgkmcnt(0)
	v_fma_f64 v[85:86], v[101:102], v[91:92], v[85:86]
	s_waitcnt vmcnt(0)
	v_add_f64 v[85:86], v[97:98], -v[85:86]
	buffer_store_dword v86, off, s[0:3], 0 offset:12
	buffer_store_dword v85, off, s[0:3], 0 offset:8
	v_cmpx_ne_u32_e32 0, v0
	s_cbranch_execz .LBB40_255
; %bb.254:
	s_clause 0x1
	buffer_load_dword v85, off, s[0:3], 0
	buffer_load_dword v86, off, s[0:3], 0 offset:4
	buffer_store_dword v84, off, s[0:3], 0
	buffer_store_dword v84, off, s[0:3], 0 offset:4
	s_waitcnt vmcnt(0)
	ds_write_b64 v83, v[85:86]
.LBB40_255:
	s_or_b32 exec_lo, exec_lo, s4
	s_waitcnt lgkmcnt(0)
	s_waitcnt_vscnt null, 0x0
	s_barrier
	buffer_gl0_inv
	s_clause 0x1c
	buffer_load_dword v93, off, s[0:3], 0 offset:8
	buffer_load_dword v94, off, s[0:3], 0 offset:12
	;; [unrolled: 1-line block ×29, first 2 shown]
	ds_read2_b64 v[85:88], v84 offset0:43 offset1:44
	ds_read2_b64 v[89:92], v84 offset0:45 offset1:46
	buffer_load_dword v118, off, s[0:3], 0 offset:124
	s_and_b32 vcc_lo, exec_lo, s22
	s_waitcnt vmcnt(28) lgkmcnt(1)
	v_fma_f64 v[85:86], v[93:94], v[85:86], 0
	s_clause 0x7
	buffer_load_dword v94, off, s[0:3], 0 offset:132
	buffer_load_dword v123, off, s[0:3], 0 offset:152
	buffer_load_dword v125, off, s[0:3], 0 offset:144
	buffer_load_dword v127, off, s[0:3], 0 offset:136
	buffer_load_dword v93, off, s[0:3], 0 offset:128
	buffer_load_dword v128, off, s[0:3], 0 offset:140
	buffer_load_dword v126, off, s[0:3], 0 offset:148
	buffer_load_dword v124, off, s[0:3], 0 offset:156
	s_waitcnt vmcnt(34)
	v_fma_f64 v[85:86], v[95:96], v[87:88], v[85:86]
	s_waitcnt vmcnt(32) lgkmcnt(0)
	v_fma_f64 v[85:86], v[97:98], v[89:90], v[85:86]
	s_waitcnt vmcnt(30)
	v_fma_f64 v[95:96], v[99:100], v[91:92], v[85:86]
	ds_read2_b64 v[85:88], v84 offset0:47 offset1:48
	ds_read2_b64 v[89:92], v84 offset0:49 offset1:50
	s_waitcnt vmcnt(28) lgkmcnt(1)
	v_fma_f64 v[85:86], v[101:102], v[85:86], v[95:96]
	s_clause 0x7
	buffer_load_dword v96, off, s[0:3], 0 offset:164
	buffer_load_dword v97, off, s[0:3], 0 offset:184
	buffer_load_dword v99, off, s[0:3], 0 offset:176
	buffer_load_dword v101, off, s[0:3], 0 offset:168
	buffer_load_dword v95, off, s[0:3], 0 offset:160
	buffer_load_dword v102, off, s[0:3], 0 offset:172
	buffer_load_dword v100, off, s[0:3], 0 offset:180
	buffer_load_dword v98, off, s[0:3], 0 offset:188
	s_waitcnt vmcnt(34)
	v_fma_f64 v[85:86], v[103:104], v[87:88], v[85:86]
	s_waitcnt vmcnt(32) lgkmcnt(0)
	v_fma_f64 v[85:86], v[105:106], v[89:90], v[85:86]
	s_waitcnt vmcnt(27)
	v_fma_f64 v[103:104], v[107:108], v[91:92], v[85:86]
	ds_read2_b64 v[85:88], v84 offset0:51 offset1:52
	ds_read2_b64 v[89:92], v84 offset0:53 offset1:54
	;; [unrolled: 19-line block ×5, first 2 shown]
	s_waitcnt vmcnt(26) lgkmcnt(1)
	v_fma_f64 v[93:94], v[101:102], v[85:86], v[93:94]
	s_clause 0x6
	buffer_load_dword v96, off, s[0:3], 0 offset:292
	buffer_load_dword v85, off, s[0:3], 0 offset:312
	;; [unrolled: 1-line block ×7, first 2 shown]
	s_waitcnt vmcnt(32)
	v_fma_f64 v[86:87], v[99:100], v[87:88], v[93:94]
	s_waitcnt vmcnt(31) lgkmcnt(0)
	v_fma_f64 v[86:87], v[97:98], v[89:90], v[86:87]
	s_waitcnt vmcnt(26)
	v_fma_f64 v[97:98], v[103:104], v[91:92], v[86:87]
	ds_read2_b64 v[87:90], v84 offset0:67 offset1:68
	ds_read2_b64 v[91:94], v84 offset0:69 offset1:70
	buffer_load_dword v86, off, s[0:3], 0 offset:316
	s_waitcnt vmcnt(26) lgkmcnt(1)
	v_fma_f64 v[87:88], v[113:114], v[87:88], v[97:98]
	s_clause 0x3
	buffer_load_dword v98, off, s[0:3], 0 offset:324
	buffer_load_dword v97, off, s[0:3], 0 offset:320
	buffer_load_dword v99, off, s[0:3], 0
	buffer_load_dword v100, off, s[0:3], 0 offset:4
	s_waitcnt vmcnt(29)
	v_fma_f64 v[87:88], v[107:108], v[89:90], v[87:88]
	s_waitcnt vmcnt(28) lgkmcnt(0)
	v_fma_f64 v[87:88], v[105:106], v[91:92], v[87:88]
	s_waitcnt vmcnt(23)
	v_fma_f64 v[103:104], v[109:110], v[93:94], v[87:88]
	ds_read2_b64 v[87:90], v84 offset0:71 offset1:72
	ds_read2_b64 v[91:94], v84 offset0:73 offset1:74
	s_waitcnt vmcnt(22) lgkmcnt(1)
	v_fma_f64 v[87:88], v[121:122], v[87:88], v[103:104]
	s_waitcnt vmcnt(21)
	v_fma_f64 v[87:88], v[115:116], v[89:90], v[87:88]
	s_waitcnt vmcnt(20) lgkmcnt(0)
	v_fma_f64 v[87:88], v[111:112], v[91:92], v[87:88]
	s_waitcnt vmcnt(15)
	v_fma_f64 v[103:104], v[117:118], v[93:94], v[87:88]
	ds_read2_b64 v[87:90], v84 offset0:75 offset1:76
	ds_read2_b64 v[91:94], v84 offset0:77 offset1:78
	s_waitcnt vmcnt(14) lgkmcnt(1)
	v_fma_f64 v[87:88], v[129:130], v[87:88], v[103:104]
	;; [unrolled: 10-line block ×3, first 2 shown]
	s_waitcnt vmcnt(5)
	v_fma_f64 v[83:84], v[101:102], v[89:90], v[83:84]
	s_waitcnt vmcnt(4) lgkmcnt(0)
	v_fma_f64 v[83:84], v[85:86], v[91:92], v[83:84]
	s_waitcnt vmcnt(2)
	v_fma_f64 v[83:84], v[97:98], v[93:94], v[83:84]
	s_waitcnt vmcnt(0)
	v_add_f64 v[83:84], v[99:100], -v[83:84]
	buffer_store_dword v84, off, s[0:3], 0 offset:4
	buffer_store_dword v83, off, s[0:3], 0
	s_cbranch_vccz .LBB40_336
; %bb.256:
	v_mov_b32_e32 v0, 0
	global_load_dword v83, v0, s[20:21] offset:156
	s_waitcnt vmcnt(0)
	v_add_nc_u32_e32 v83, -1, v83
	v_cmp_ne_u32_e32 vcc_lo, 39, v83
	s_cbranch_vccz .LBB40_258
; %bb.257:
	v_lshlrev_b32_e32 v83, 3, v83
	s_clause 0x1
	buffer_load_dword v84, v83, s[0:3], 0 offen
	buffer_load_dword v87, v83, s[0:3], 0 offen offset:4
	s_waitcnt vmcnt(1)
	buffer_store_dword v84, off, s[0:3], 0 offset:312
	s_waitcnt vmcnt(0)
	buffer_store_dword v87, off, s[0:3], 0 offset:316
	buffer_store_dword v85, v83, s[0:3], 0 offen
	buffer_store_dword v86, v83, s[0:3], 0 offen offset:4
.LBB40_258:
	global_load_dword v0, v0, s[20:21] offset:152
	s_waitcnt vmcnt(0)
	v_add_nc_u32_e32 v0, -1, v0
	v_cmp_eq_u32_e32 vcc_lo, 38, v0
	s_cbranch_vccnz .LBB40_260
; %bb.259:
	v_lshlrev_b32_e32 v0, 3, v0
	s_clause 0x3
	buffer_load_dword v83, v0, s[0:3], 0 offen
	buffer_load_dword v84, v0, s[0:3], 0 offen offset:4
	buffer_load_dword v85, off, s[0:3], 0 offset:308
	buffer_load_dword v86, off, s[0:3], 0 offset:304
	s_waitcnt vmcnt(3)
	buffer_store_dword v83, off, s[0:3], 0 offset:304
	s_waitcnt vmcnt(2)
	buffer_store_dword v84, off, s[0:3], 0 offset:308
	s_waitcnt vmcnt(1)
	buffer_store_dword v85, v0, s[0:3], 0 offen offset:4
	s_waitcnt vmcnt(0)
	buffer_store_dword v86, v0, s[0:3], 0 offen
.LBB40_260:
	v_mov_b32_e32 v0, 0
	global_load_dword v83, v0, s[20:21] offset:148
	s_waitcnt vmcnt(0)
	v_add_nc_u32_e32 v83, -1, v83
	v_cmp_eq_u32_e32 vcc_lo, 37, v83
	s_cbranch_vccnz .LBB40_262
; %bb.261:
	v_lshlrev_b32_e32 v83, 3, v83
	s_clause 0x3
	buffer_load_dword v84, v83, s[0:3], 0 offen
	buffer_load_dword v85, v83, s[0:3], 0 offen offset:4
	buffer_load_dword v86, off, s[0:3], 0 offset:296
	buffer_load_dword v87, off, s[0:3], 0 offset:300
	s_waitcnt vmcnt(3)
	buffer_store_dword v84, off, s[0:3], 0 offset:296
	s_waitcnt vmcnt(2)
	buffer_store_dword v85, off, s[0:3], 0 offset:300
	s_waitcnt vmcnt(1)
	buffer_store_dword v86, v83, s[0:3], 0 offen
	s_waitcnt vmcnt(0)
	buffer_store_dword v87, v83, s[0:3], 0 offen offset:4
.LBB40_262:
	global_load_dword v0, v0, s[20:21] offset:144
	s_waitcnt vmcnt(0)
	v_add_nc_u32_e32 v0, -1, v0
	v_cmp_eq_u32_e32 vcc_lo, 36, v0
	s_cbranch_vccnz .LBB40_264
; %bb.263:
	v_lshlrev_b32_e32 v0, 3, v0
	s_clause 0x3
	buffer_load_dword v83, v0, s[0:3], 0 offen
	buffer_load_dword v84, v0, s[0:3], 0 offen offset:4
	buffer_load_dword v85, off, s[0:3], 0 offset:292
	buffer_load_dword v86, off, s[0:3], 0 offset:288
	s_waitcnt vmcnt(3)
	buffer_store_dword v83, off, s[0:3], 0 offset:288
	s_waitcnt vmcnt(2)
	buffer_store_dword v84, off, s[0:3], 0 offset:292
	s_waitcnt vmcnt(1)
	buffer_store_dword v85, v0, s[0:3], 0 offen offset:4
	s_waitcnt vmcnt(0)
	buffer_store_dword v86, v0, s[0:3], 0 offen
.LBB40_264:
	v_mov_b32_e32 v0, 0
	global_load_dword v83, v0, s[20:21] offset:140
	s_waitcnt vmcnt(0)
	v_add_nc_u32_e32 v83, -1, v83
	v_cmp_eq_u32_e32 vcc_lo, 35, v83
	s_cbranch_vccnz .LBB40_266
; %bb.265:
	v_lshlrev_b32_e32 v83, 3, v83
	s_clause 0x3
	buffer_load_dword v84, v83, s[0:3], 0 offen
	buffer_load_dword v85, v83, s[0:3], 0 offen offset:4
	buffer_load_dword v86, off, s[0:3], 0 offset:280
	buffer_load_dword v87, off, s[0:3], 0 offset:284
	s_waitcnt vmcnt(3)
	buffer_store_dword v84, off, s[0:3], 0 offset:280
	s_waitcnt vmcnt(2)
	buffer_store_dword v85, off, s[0:3], 0 offset:284
	s_waitcnt vmcnt(1)
	buffer_store_dword v86, v83, s[0:3], 0 offen
	s_waitcnt vmcnt(0)
	buffer_store_dword v87, v83, s[0:3], 0 offen offset:4
.LBB40_266:
	;; [unrolled: 43-line block ×19, first 2 shown]
	global_load_dword v0, v0, s[20:21]
	s_clause 0x1
	buffer_load_dword v83, off, s[0:3], 0
	buffer_load_dword v84, off, s[0:3], 0 offset:4
	s_waitcnt vmcnt(2)
	v_add_nc_u32_e32 v0, -1, v0
	v_cmp_eq_u32_e32 vcc_lo, 0, v0
	s_cbranch_vccnz .LBB40_336
; %bb.335:
	v_lshlrev_b32_e32 v0, 3, v0
	s_clause 0x1
	buffer_load_dword v85, v0, s[0:3], 0 offen offset:4
	buffer_load_dword v86, v0, s[0:3], 0 offen
	s_waitcnt vmcnt(1)
	buffer_store_dword v85, off, s[0:3], 0 offset:4
	s_waitcnt vmcnt(0)
	buffer_store_dword v86, off, s[0:3], 0
	buffer_store_dword v84, v0, s[0:3], 0 offen offset:4
	buffer_store_dword v83, v0, s[0:3], 0 offen
	s_clause 0x1
	buffer_load_dword v83, off, s[0:3], 0
	buffer_load_dword v84, off, s[0:3], 0 offset:4
.LBB40_336:
	s_clause 0x11
	buffer_load_dword v85, off, s[0:3], 0 offset:8
	buffer_load_dword v86, off, s[0:3], 0 offset:12
	;; [unrolled: 1-line block ×18, first 2 shown]
	s_waitcnt vmcnt(18)
	global_store_dwordx2 v[51:52], v[83:84], off
	s_clause 0x15
	buffer_load_dword v51, off, s[0:3], 0 offset:80
	buffer_load_dword v52, off, s[0:3], 0 offset:84
	buffer_load_dword v83, off, s[0:3], 0 offset:88
	buffer_load_dword v84, off, s[0:3], 0 offset:92
	buffer_load_dword v103, off, s[0:3], 0 offset:96
	buffer_load_dword v104, off, s[0:3], 0 offset:100
	buffer_load_dword v105, off, s[0:3], 0 offset:104
	buffer_load_dword v106, off, s[0:3], 0 offset:108
	buffer_load_dword v107, off, s[0:3], 0 offset:112
	buffer_load_dword v108, off, s[0:3], 0 offset:116
	buffer_load_dword v109, off, s[0:3], 0 offset:120
	buffer_load_dword v110, off, s[0:3], 0 offset:124
	buffer_load_dword v111, off, s[0:3], 0 offset:128
	buffer_load_dword v112, off, s[0:3], 0 offset:132
	buffer_load_dword v113, off, s[0:3], 0 offset:136
	buffer_load_dword v114, off, s[0:3], 0 offset:140
	buffer_load_dword v115, off, s[0:3], 0 offset:144
	buffer_load_dword v116, off, s[0:3], 0 offset:148
	buffer_load_dword v117, off, s[0:3], 0 offset:152
	buffer_load_dword v118, off, s[0:3], 0 offset:156
	buffer_load_dword v119, off, s[0:3], 0 offset:160
	buffer_load_dword v120, off, s[0:3], 0 offset:164
	s_waitcnt vmcnt(38)
	global_store_dwordx2 v[33:34], v[85:86], off
	s_clause 0x7
	buffer_load_dword v33, off, s[0:3], 0 offset:168
	buffer_load_dword v34, off, s[0:3], 0 offset:172
	buffer_load_dword v85, off, s[0:3], 0 offset:176
	buffer_load_dword v86, off, s[0:3], 0 offset:180
	buffer_load_dword v121, off, s[0:3], 0 offset:184
	buffer_load_dword v122, off, s[0:3], 0 offset:188
	buffer_load_dword v123, off, s[0:3], 0 offset:192
	buffer_load_dword v124, off, s[0:3], 0 offset:196
	s_waitcnt vmcnt(44)
	global_store_dwordx2 v[23:24], v[87:88], off
	s_waitcnt vmcnt(42)
	global_store_dwordx2 v[27:28], v[89:90], off
	s_clause 0x7
	buffer_load_dword v23, off, s[0:3], 0 offset:200
	buffer_load_dword v24, off, s[0:3], 0 offset:204
	buffer_load_dword v27, off, s[0:3], 0 offset:208
	buffer_load_dword v28, off, s[0:3], 0 offset:212
	buffer_load_dword v87, off, s[0:3], 0 offset:216
	buffer_load_dword v88, off, s[0:3], 0 offset:220
	buffer_load_dword v89, off, s[0:3], 0 offset:224
	buffer_load_dword v90, off, s[0:3], 0 offset:228
	s_waitcnt vmcnt(48)
	global_store_dwordx2 v[17:18], v[91:92], off
	;; [unrolled: 13-line block ×5, first 2 shown]
	s_waitcnt vmcnt(58)
	global_store_dwordx2 v[7:8], v[83:84], off
	s_waitcnt vmcnt(56)
	global_store_dwordx2 v[9:10], v[103:104], off
	;; [unrolled: 2-line block ×30, first 2 shown]
	s_endpgm
	.section	.rodata,"a",@progbits
	.p2align	6, 0x0
	.amdhsa_kernel _ZN9rocsolver6v33100L18getri_kernel_smallILi41EdPdEEvT1_iilPiilS4_bb
		.amdhsa_group_segment_fixed_size 664
		.amdhsa_private_segment_fixed_size 336
		.amdhsa_kernarg_size 60
		.amdhsa_user_sgpr_count 6
		.amdhsa_user_sgpr_private_segment_buffer 1
		.amdhsa_user_sgpr_dispatch_ptr 0
		.amdhsa_user_sgpr_queue_ptr 0
		.amdhsa_user_sgpr_kernarg_segment_ptr 1
		.amdhsa_user_sgpr_dispatch_id 0
		.amdhsa_user_sgpr_flat_scratch_init 0
		.amdhsa_user_sgpr_private_segment_size 0
		.amdhsa_wavefront_size32 1
		.amdhsa_uses_dynamic_stack 0
		.amdhsa_system_sgpr_private_segment_wavefront_offset 1
		.amdhsa_system_sgpr_workgroup_id_x 1
		.amdhsa_system_sgpr_workgroup_id_y 0
		.amdhsa_system_sgpr_workgroup_id_z 0
		.amdhsa_system_sgpr_workgroup_info 0
		.amdhsa_system_vgpr_workitem_id 0
		.amdhsa_next_free_vgpr 131
		.amdhsa_next_free_sgpr 23
		.amdhsa_reserve_vcc 1
		.amdhsa_reserve_flat_scratch 0
		.amdhsa_float_round_mode_32 0
		.amdhsa_float_round_mode_16_64 0
		.amdhsa_float_denorm_mode_32 3
		.amdhsa_float_denorm_mode_16_64 3
		.amdhsa_dx10_clamp 1
		.amdhsa_ieee_mode 1
		.amdhsa_fp16_overflow 0
		.amdhsa_workgroup_processor_mode 1
		.amdhsa_memory_ordered 1
		.amdhsa_forward_progress 1
		.amdhsa_shared_vgpr_count 0
		.amdhsa_exception_fp_ieee_invalid_op 0
		.amdhsa_exception_fp_denorm_src 0
		.amdhsa_exception_fp_ieee_div_zero 0
		.amdhsa_exception_fp_ieee_overflow 0
		.amdhsa_exception_fp_ieee_underflow 0
		.amdhsa_exception_fp_ieee_inexact 0
		.amdhsa_exception_int_div_zero 0
	.end_amdhsa_kernel
	.section	.text._ZN9rocsolver6v33100L18getri_kernel_smallILi41EdPdEEvT1_iilPiilS4_bb,"axG",@progbits,_ZN9rocsolver6v33100L18getri_kernel_smallILi41EdPdEEvT1_iilPiilS4_bb,comdat
.Lfunc_end40:
	.size	_ZN9rocsolver6v33100L18getri_kernel_smallILi41EdPdEEvT1_iilPiilS4_bb, .Lfunc_end40-_ZN9rocsolver6v33100L18getri_kernel_smallILi41EdPdEEvT1_iilPiilS4_bb
                                        ; -- End function
	.set _ZN9rocsolver6v33100L18getri_kernel_smallILi41EdPdEEvT1_iilPiilS4_bb.num_vgpr, 131
	.set _ZN9rocsolver6v33100L18getri_kernel_smallILi41EdPdEEvT1_iilPiilS4_bb.num_agpr, 0
	.set _ZN9rocsolver6v33100L18getri_kernel_smallILi41EdPdEEvT1_iilPiilS4_bb.numbered_sgpr, 23
	.set _ZN9rocsolver6v33100L18getri_kernel_smallILi41EdPdEEvT1_iilPiilS4_bb.num_named_barrier, 0
	.set _ZN9rocsolver6v33100L18getri_kernel_smallILi41EdPdEEvT1_iilPiilS4_bb.private_seg_size, 336
	.set _ZN9rocsolver6v33100L18getri_kernel_smallILi41EdPdEEvT1_iilPiilS4_bb.uses_vcc, 1
	.set _ZN9rocsolver6v33100L18getri_kernel_smallILi41EdPdEEvT1_iilPiilS4_bb.uses_flat_scratch, 0
	.set _ZN9rocsolver6v33100L18getri_kernel_smallILi41EdPdEEvT1_iilPiilS4_bb.has_dyn_sized_stack, 0
	.set _ZN9rocsolver6v33100L18getri_kernel_smallILi41EdPdEEvT1_iilPiilS4_bb.has_recursion, 0
	.set _ZN9rocsolver6v33100L18getri_kernel_smallILi41EdPdEEvT1_iilPiilS4_bb.has_indirect_call, 0
	.section	.AMDGPU.csdata,"",@progbits
; Kernel info:
; codeLenInByte = 49836
; TotalNumSgprs: 25
; NumVgprs: 131
; ScratchSize: 336
; MemoryBound: 1
; FloatMode: 240
; IeeeMode: 1
; LDSByteSize: 664 bytes/workgroup (compile time only)
; SGPRBlocks: 0
; VGPRBlocks: 16
; NumSGPRsForWavesPerEU: 25
; NumVGPRsForWavesPerEU: 131
; Occupancy: 7
; WaveLimiterHint : 1
; COMPUTE_PGM_RSRC2:SCRATCH_EN: 1
; COMPUTE_PGM_RSRC2:USER_SGPR: 6
; COMPUTE_PGM_RSRC2:TRAP_HANDLER: 0
; COMPUTE_PGM_RSRC2:TGID_X_EN: 1
; COMPUTE_PGM_RSRC2:TGID_Y_EN: 0
; COMPUTE_PGM_RSRC2:TGID_Z_EN: 0
; COMPUTE_PGM_RSRC2:TIDIG_COMP_CNT: 0
	.section	.text._ZN9rocsolver6v33100L18getri_kernel_smallILi42EdPdEEvT1_iilPiilS4_bb,"axG",@progbits,_ZN9rocsolver6v33100L18getri_kernel_smallILi42EdPdEEvT1_iilPiilS4_bb,comdat
	.globl	_ZN9rocsolver6v33100L18getri_kernel_smallILi42EdPdEEvT1_iilPiilS4_bb ; -- Begin function _ZN9rocsolver6v33100L18getri_kernel_smallILi42EdPdEEvT1_iilPiilS4_bb
	.p2align	8
	.type	_ZN9rocsolver6v33100L18getri_kernel_smallILi42EdPdEEvT1_iilPiilS4_bb,@function
_ZN9rocsolver6v33100L18getri_kernel_smallILi42EdPdEEvT1_iilPiilS4_bb: ; @_ZN9rocsolver6v33100L18getri_kernel_smallILi42EdPdEEvT1_iilPiilS4_bb
; %bb.0:
	s_add_u32 s0, s0, s7
	s_addc_u32 s1, s1, 0
	s_mov_b32 s7, exec_lo
	v_cmpx_gt_u32_e32 42, v0
	s_cbranch_execz .LBB41_178
; %bb.1:
	s_clause 0x2
	s_load_dword s7, s[4:5], 0x38
	s_load_dwordx4 s[16:19], s[4:5], 0x10
	s_load_dwordx4 s[8:11], s[4:5], 0x28
                                        ; implicit-def: $sgpr20_sgpr21
	s_waitcnt lgkmcnt(0)
	s_bitcmp1_b32 s7, 8
	s_cselect_b32 s22, -1, 0
	s_bfe_u32 s12, s7, 0x10008
	s_ashr_i32 s7, s6, 31
	s_cmp_eq_u32 s12, 0
	s_cbranch_scc1 .LBB41_3
; %bb.2:
	s_load_dword s12, s[4:5], 0x20
	s_mul_i32 s13, s8, s7
	s_mul_hi_u32 s14, s8, s6
	s_mul_i32 s9, s9, s6
	s_add_i32 s13, s14, s13
	s_mul_i32 s8, s8, s6
	s_add_i32 s9, s13, s9
	s_lshl_b64 s[8:9], s[8:9], 2
	s_waitcnt lgkmcnt(0)
	s_ashr_i32 s13, s12, 31
	s_add_u32 s14, s18, s8
	s_addc_u32 s15, s19, s9
	s_lshl_b64 s[8:9], s[12:13], 2
	s_add_u32 s20, s14, s8
	s_addc_u32 s21, s15, s9
.LBB41_3:
	s_clause 0x1
	s_load_dwordx4 s[12:15], s[4:5], 0x0
	s_load_dword s8, s[4:5], 0x38
	s_mul_i32 s4, s16, s7
	s_mul_hi_u32 s5, s16, s6
	s_mul_i32 s9, s17, s6
	s_add_i32 s5, s5, s4
	s_mul_i32 s4, s16, s6
	s_add_i32 s5, s5, s9
	v_lshlrev_b32_e32 v87, 3, v0
	s_lshl_b64 s[4:5], s[4:5], 3
	s_waitcnt lgkmcnt(0)
	v_add3_u32 v1, s15, s15, v0
	s_ashr_i32 s17, s14, 31
	s_mov_b32 s16, s14
	s_add_u32 s9, s12, s4
	s_addc_u32 s13, s13, s5
	v_add_nc_u32_e32 v3, s15, v1
	s_lshl_b64 s[4:5], s[16:17], 3
	v_ashrrev_i32_e32 v2, 31, v1
	s_add_u32 s4, s9, s4
	s_addc_u32 s5, s13, s5
	v_ashrrev_i32_e32 v4, 31, v3
	v_add_co_u32 v77, s9, s4, v87
	s_mov_b32 s12, s15
	s_ashr_i32 s13, s15, 31
	v_lshlrev_b64 v[1:2], 3, v[1:2]
	v_add_co_ci_u32_e64 v78, null, s5, 0, s9
	s_lshl_b64 s[12:13], s[12:13], 3
	v_lshlrev_b64 v[4:5], 3, v[3:4]
	v_add_co_u32 v33, vcc_lo, v77, s12
	v_add_co_ci_u32_e64 v34, null, s13, v78, vcc_lo
	v_add_co_u32 v35, vcc_lo, s4, v1
	v_add_co_ci_u32_e64 v36, null, s5, v2, vcc_lo
	v_add_co_u32 v25, vcc_lo, s4, v4
	s_clause 0x1
	global_load_dwordx2 v[85:86], v87, s[4:5]
	global_load_dwordx2 v[88:89], v[33:34], off
	v_add_co_ci_u32_e64 v26, null, s5, v5, vcc_lo
	s_clause 0x1
	global_load_dwordx2 v[90:91], v[35:36], off
	global_load_dwordx2 v[92:93], v[25:26], off
	v_add_nc_u32_e32 v1, s15, v3
	s_bitcmp0_b32 s8, 0
	v_add_nc_u32_e32 v3, s15, v1
	v_ashrrev_i32_e32 v2, 31, v1
	v_add_nc_u32_e32 v5, s15, v3
	v_ashrrev_i32_e32 v4, 31, v3
	v_lshlrev_b64 v[1:2], 3, v[1:2]
	v_ashrrev_i32_e32 v6, 31, v5
	v_add_nc_u32_e32 v7, s15, v5
	v_lshlrev_b64 v[3:4], 3, v[3:4]
	v_add_co_u32 v29, vcc_lo, s4, v1
	v_add_co_ci_u32_e64 v30, null, s5, v2, vcc_lo
	v_lshlrev_b64 v[1:2], 3, v[5:6]
	v_ashrrev_i32_e32 v8, 31, v7
	v_add_nc_u32_e32 v5, s15, v7
	v_add_co_u32 v15, vcc_lo, s4, v3
	v_add_co_ci_u32_e64 v16, null, s5, v4, vcc_lo
	v_lshlrev_b64 v[3:4], 3, v[7:8]
	v_add_nc_u32_e32 v7, s15, v5
	v_ashrrev_i32_e32 v6, 31, v5
	v_add_co_u32 v19, vcc_lo, s4, v1
	v_add_co_ci_u32_e64 v20, null, s5, v2, vcc_lo
	v_add_nc_u32_e32 v9, s15, v7
	v_ashrrev_i32_e32 v8, 31, v7
	v_lshlrev_b64 v[1:2], 3, v[5:6]
	v_add_co_u32 v3, vcc_lo, s4, v3
	v_add_nc_u32_e32 v11, s15, v9
	v_ashrrev_i32_e32 v10, 31, v9
	v_lshlrev_b64 v[7:8], 3, v[7:8]
	v_add_co_ci_u32_e64 v4, null, s5, v4, vcc_lo
	v_add_nc_u32_e32 v13, s15, v11
	v_lshlrev_b64 v[9:10], 3, v[9:10]
	v_ashrrev_i32_e32 v12, 31, v11
	v_add_co_u32 v5, vcc_lo, s4, v1
	v_ashrrev_i32_e32 v14, 31, v13
	v_add_nc_u32_e32 v17, s15, v13
	v_add_co_ci_u32_e64 v6, null, s5, v2, vcc_lo
	v_add_co_u32 v1, vcc_lo, s4, v7
	v_add_co_ci_u32_e64 v2, null, s5, v8, vcc_lo
	v_lshlrev_b64 v[7:8], 3, v[11:12]
	v_add_co_u32 v11, vcc_lo, s4, v9
	v_add_co_ci_u32_e64 v12, null, s5, v10, vcc_lo
	v_lshlrev_b64 v[9:10], 3, v[13:14]
	v_add_nc_u32_e32 v13, s15, v17
	v_ashrrev_i32_e32 v18, 31, v17
	v_add_co_u32 v7, vcc_lo, s4, v7
	v_add_co_ci_u32_e64 v8, null, s5, v8, vcc_lo
	v_add_nc_u32_e32 v21, s15, v13
	v_ashrrev_i32_e32 v14, 31, v13
	v_lshlrev_b64 v[17:18], 3, v[17:18]
	v_add_co_u32 v9, vcc_lo, s4, v9
	v_add_nc_u32_e32 v27, s15, v21
	v_lshlrev_b64 v[23:24], 3, v[13:14]
	v_add_co_ci_u32_e64 v10, null, s5, v10, vcc_lo
	v_add_co_u32 v13, vcc_lo, s4, v17
	v_ashrrev_i32_e32 v28, 31, v27
	v_add_nc_u32_e32 v31, s15, v27
	v_add_co_ci_u32_e64 v14, null, s5, v18, vcc_lo
	v_add_co_u32 v17, vcc_lo, s4, v23
	v_add_co_ci_u32_e64 v18, null, s5, v24, vcc_lo
	v_lshlrev_b64 v[23:24], 3, v[27:28]
	v_add_nc_u32_e32 v27, s15, v31
	v_ashrrev_i32_e32 v22, 31, v21
	v_ashrrev_i32_e32 v32, 31, v31
	s_clause 0x4
	global_load_dwordx2 v[94:95], v[29:30], off
	global_load_dwordx2 v[96:97], v[15:16], off
	;; [unrolled: 1-line block ×5, first 2 shown]
	v_add_nc_u32_e32 v37, s15, v27
	v_lshlrev_b64 v[21:22], 3, v[21:22]
	v_ashrrev_i32_e32 v28, 31, v27
	v_lshlrev_b64 v[31:32], 3, v[31:32]
	s_clause 0x3
	global_load_dwordx2 v[104:105], v[1:2], off
	global_load_dwordx2 v[106:107], v[11:12], off
	global_load_dwordx2 v[108:109], v[7:8], off
	global_load_dwordx2 v[110:111], v[9:10], off
	v_add_nc_u32_e32 v41, s15, v37
	v_ashrrev_i32_e32 v38, 31, v37
	v_add_co_u32 v21, vcc_lo, s4, v21
	v_lshlrev_b64 v[39:40], 3, v[27:28]
	v_add_co_ci_u32_e64 v22, null, s5, v22, vcc_lo
	v_add_co_u32 v23, vcc_lo, s4, v23
	v_ashrrev_i32_e32 v42, 31, v41
	v_add_nc_u32_e32 v43, s15, v41
	v_add_co_ci_u32_e64 v24, null, s5, v24, vcc_lo
	v_add_co_u32 v27, vcc_lo, s4, v31
	v_add_co_ci_u32_e64 v28, null, s5, v32, vcc_lo
	v_add_co_u32 v31, vcc_lo, s4, v39
	v_add_co_ci_u32_e64 v32, null, s5, v40, vcc_lo
	v_lshlrev_b64 v[39:40], 3, v[41:42]
	v_add_nc_u32_e32 v41, s15, v43
	v_ashrrev_i32_e32 v44, 31, v43
	v_lshlrev_b64 v[37:38], 3, v[37:38]
	s_clause 0x4
	global_load_dwordx2 v[112:113], v[13:14], off
	global_load_dwordx2 v[114:115], v[17:18], off
	;; [unrolled: 1-line block ×5, first 2 shown]
	v_add_nc_u32_e32 v45, s15, v41
	v_ashrrev_i32_e32 v42, 31, v41
	v_lshlrev_b64 v[43:44], 3, v[43:44]
	v_add_co_u32 v37, vcc_lo, s4, v37
	v_add_nc_u32_e32 v49, s15, v45
	v_lshlrev_b64 v[47:48], 3, v[41:42]
	v_add_co_ci_u32_e64 v38, null, s5, v38, vcc_lo
	v_add_co_u32 v39, vcc_lo, s4, v39
	v_ashrrev_i32_e32 v50, 31, v49
	v_add_nc_u32_e32 v51, s15, v49
	v_add_co_ci_u32_e64 v40, null, s5, v40, vcc_lo
	v_add_co_u32 v41, vcc_lo, s4, v43
	v_add_co_ci_u32_e64 v42, null, s5, v44, vcc_lo
	v_add_co_u32 v43, vcc_lo, s4, v47
	v_add_co_ci_u32_e64 v44, null, s5, v48, vcc_lo
	v_lshlrev_b64 v[47:48], 3, v[49:50]
	v_add_nc_u32_e32 v49, s15, v51
	v_ashrrev_i32_e32 v46, 31, v45
	v_ashrrev_i32_e32 v52, 31, v51
	v_add_nc_u32_e32 v53, s15, v49
	v_lshlrev_b64 v[45:46], 3, v[45:46]
	v_ashrrev_i32_e32 v50, 31, v49
	v_lshlrev_b64 v[51:52], 3, v[51:52]
	v_add_nc_u32_e32 v57, s15, v53
	v_ashrrev_i32_e32 v54, 31, v53
	v_add_co_u32 v45, vcc_lo, s4, v45
	v_lshlrev_b64 v[55:56], 3, v[49:50]
	v_add_co_ci_u32_e64 v46, null, s5, v46, vcc_lo
	v_add_co_u32 v47, vcc_lo, s4, v47
	v_ashrrev_i32_e32 v58, 31, v57
	v_add_nc_u32_e32 v59, s15, v57
	v_add_co_ci_u32_e64 v48, null, s5, v48, vcc_lo
	v_add_co_u32 v49, vcc_lo, s4, v51
	v_add_co_ci_u32_e64 v50, null, s5, v52, vcc_lo
	v_add_co_u32 v51, vcc_lo, s4, v55
	v_add_co_ci_u32_e64 v52, null, s5, v56, vcc_lo
	v_lshlrev_b64 v[55:56], 3, v[57:58]
	v_add_nc_u32_e32 v57, s15, v59
	v_ashrrev_i32_e32 v60, 31, v59
	v_lshlrev_b64 v[53:54], 3, v[53:54]
	v_add_nc_u32_e32 v61, s15, v57
	v_ashrrev_i32_e32 v58, 31, v57
	v_lshlrev_b64 v[59:60], 3, v[59:60]
	v_add_co_u32 v53, vcc_lo, s4, v53
	v_add_nc_u32_e32 v65, s15, v61
	v_lshlrev_b64 v[63:64], 3, v[57:58]
	v_add_co_ci_u32_e64 v54, null, s5, v54, vcc_lo
	v_add_co_u32 v55, vcc_lo, s4, v55
	v_ashrrev_i32_e32 v66, 31, v65
	v_add_nc_u32_e32 v67, s15, v65
	v_add_co_ci_u32_e64 v56, null, s5, v56, vcc_lo
	v_add_co_u32 v57, vcc_lo, s4, v59
	v_add_co_ci_u32_e64 v58, null, s5, v60, vcc_lo
	v_add_co_u32 v59, vcc_lo, s4, v63
	v_add_co_ci_u32_e64 v60, null, s5, v64, vcc_lo
	v_lshlrev_b64 v[63:64], 3, v[65:66]
	v_add_nc_u32_e32 v65, s15, v67
	v_ashrrev_i32_e32 v62, 31, v61
	v_ashrrev_i32_e32 v68, 31, v67
	v_add_nc_u32_e32 v69, s15, v65
	v_lshlrev_b64 v[61:62], 3, v[61:62]
	v_ashrrev_i32_e32 v66, 31, v65
	v_lshlrev_b64 v[67:68], 3, v[67:68]
	v_add_nc_u32_e32 v73, s15, v69
	v_ashrrev_i32_e32 v70, 31, v69
	v_add_co_u32 v61, vcc_lo, s4, v61
	v_lshlrev_b64 v[71:72], 3, v[65:66]
	v_add_co_ci_u32_e64 v62, null, s5, v62, vcc_lo
	v_add_co_u32 v63, vcc_lo, s4, v63
	v_ashrrev_i32_e32 v74, 31, v73
	v_add_nc_u32_e32 v75, s15, v73
	v_add_co_ci_u32_e64 v64, null, s5, v64, vcc_lo
	v_add_co_u32 v65, vcc_lo, s4, v67
	v_add_co_ci_u32_e64 v66, null, s5, v68, vcc_lo
	v_add_co_u32 v67, vcc_lo, s4, v71
	v_add_co_ci_u32_e64 v68, null, s5, v72, vcc_lo
	v_lshlrev_b64 v[71:72], 3, v[73:74]
	v_add_nc_u32_e32 v73, s15, v75
	v_ashrrev_i32_e32 v76, 31, v75
	v_lshlrev_b64 v[69:70], 3, v[69:70]
	v_add_nc_u32_e32 v79, s15, v73
	v_ashrrev_i32_e32 v74, 31, v73
	v_lshlrev_b64 v[75:76], 3, v[75:76]
	v_add_co_u32 v69, vcc_lo, s4, v69
	v_add_nc_u32_e32 v83, s15, v79
	v_lshlrev_b64 v[81:82], 3, v[73:74]
	v_ashrrev_i32_e32 v80, 31, v79
	v_add_co_ci_u32_e64 v70, null, s5, v70, vcc_lo
	v_add_nc_u32_e32 v122, s15, v83
	v_add_co_u32 v71, vcc_lo, s4, v71
	v_ashrrev_i32_e32 v84, 31, v83
	v_add_co_ci_u32_e64 v72, null, s5, v72, vcc_lo
	v_add_co_u32 v73, vcc_lo, s4, v75
	v_ashrrev_i32_e32 v123, 31, v122
	v_add_co_ci_u32_e64 v74, null, s5, v76, vcc_lo
	v_lshlrev_b64 v[79:80], 3, v[79:80]
	v_add_co_u32 v75, vcc_lo, s4, v81
	v_add_co_ci_u32_e64 v76, null, s5, v82, vcc_lo
	v_lshlrev_b64 v[81:82], 3, v[83:84]
	v_lshlrev_b64 v[122:123], 3, v[122:123]
	v_add_co_u32 v79, vcc_lo, s4, v79
	v_add_co_ci_u32_e64 v80, null, s5, v80, vcc_lo
	v_add_co_u32 v83, vcc_lo, s4, v81
	v_add_co_ci_u32_e64 v84, null, s5, v82, vcc_lo
	v_add_co_u32 v81, vcc_lo, s4, v122
	v_add_co_ci_u32_e64 v82, null, s5, v123, vcc_lo
	global_load_dwordx2 v[122:123], v[31:32], off
	s_waitcnt vmcnt(18)
	buffer_store_dword v86, off, s[0:3], 0 offset:4
	buffer_store_dword v85, off, s[0:3], 0
	global_load_dwordx2 v[85:86], v[37:38], off
	s_waitcnt vmcnt(18)
	buffer_store_dword v89, off, s[0:3], 0 offset:12
	buffer_store_dword v88, off, s[0:3], 0 offset:8
	global_load_dwordx2 v[88:89], v[39:40], off
	s_waitcnt vmcnt(18)
	buffer_store_dword v91, off, s[0:3], 0 offset:20
	buffer_store_dword v90, off, s[0:3], 0 offset:16
	;; [unrolled: 4-line block ×3, first 2 shown]
	global_load_dwordx2 v[92:93], v[43:44], off
	s_mov_b32 s5, -1
	s_waitcnt vmcnt(18)
	buffer_store_dword v95, off, s[0:3], 0 offset:36
	buffer_store_dword v94, off, s[0:3], 0 offset:32
	s_waitcnt vmcnt(17)
	buffer_store_dword v97, off, s[0:3], 0 offset:44
	buffer_store_dword v96, off, s[0:3], 0 offset:40
	s_clause 0x1
	global_load_dwordx2 v[94:95], v[45:46], off
	global_load_dwordx2 v[96:97], v[47:48], off
	s_waitcnt vmcnt(18)
	buffer_store_dword v99, off, s[0:3], 0 offset:52
	buffer_store_dword v98, off, s[0:3], 0 offset:48
	s_waitcnt vmcnt(17)
	buffer_store_dword v101, off, s[0:3], 0 offset:60
	buffer_store_dword v100, off, s[0:3], 0 offset:56
	s_waitcnt vmcnt(16)
	buffer_store_dword v103, off, s[0:3], 0 offset:68
	buffer_store_dword v102, off, s[0:3], 0 offset:64
	s_waitcnt vmcnt(15)
	buffer_store_dword v104, off, s[0:3], 0 offset:72
	buffer_store_dword v105, off, s[0:3], 0 offset:76
	s_clause 0x3
	global_load_dwordx2 v[98:99], v[49:50], off
	global_load_dwordx2 v[100:101], v[51:52], off
	global_load_dwordx2 v[102:103], v[53:54], off
	global_load_dwordx2 v[104:105], v[55:56], off
	s_waitcnt vmcnt(18)
	buffer_store_dword v106, off, s[0:3], 0 offset:80
	buffer_store_dword v107, off, s[0:3], 0 offset:84
	s_waitcnt vmcnt(17)
	buffer_store_dword v108, off, s[0:3], 0 offset:88
	buffer_store_dword v109, off, s[0:3], 0 offset:92
	s_waitcnt vmcnt(16)
	buffer_store_dword v110, off, s[0:3], 0 offset:96
	buffer_store_dword v111, off, s[0:3], 0 offset:100
	s_waitcnt vmcnt(15)
	buffer_store_dword v112, off, s[0:3], 0 offset:104
	buffer_store_dword v113, off, s[0:3], 0 offset:108
	s_clause 0x3
	global_load_dwordx2 v[106:107], v[57:58], off
	global_load_dwordx2 v[108:109], v[59:60], off
	;; [unrolled: 17-line block ×3, first 2 shown]
	global_load_dwordx2 v[118:119], v[69:70], off
	global_load_dwordx2 v[120:121], v[71:72], off
	s_waitcnt vmcnt(18)
	buffer_store_dword v122, off, s[0:3], 0 offset:144
	buffer_store_dword v123, off, s[0:3], 0 offset:148
	s_waitcnt vmcnt(17)
	buffer_store_dword v86, off, s[0:3], 0 offset:156
	buffer_store_dword v85, off, s[0:3], 0 offset:152
	s_clause 0x1
	global_load_dwordx2 v[85:86], v[73:74], off
	global_load_dwordx2 v[122:123], v[75:76], off
	s_waitcnt vmcnt(18)
	buffer_store_dword v89, off, s[0:3], 0 offset:164
	buffer_store_dword v88, off, s[0:3], 0 offset:160
	s_waitcnt vmcnt(17)
	buffer_store_dword v90, off, s[0:3], 0 offset:168
	buffer_store_dword v91, off, s[0:3], 0 offset:172
	s_clause 0x1
	global_load_dwordx2 v[88:89], v[79:80], off
	global_load_dwordx2 v[90:91], v[83:84], off
	s_waitcnt vmcnt(18)
	buffer_store_dword v92, off, s[0:3], 0 offset:176
	buffer_store_dword v93, off, s[0:3], 0 offset:180
	global_load_dwordx2 v[92:93], v[81:82], off
	s_waitcnt vmcnt(18)
	buffer_store_dword v94, off, s[0:3], 0 offset:184
	buffer_store_dword v95, off, s[0:3], 0 offset:188
	s_waitcnt vmcnt(17)
	buffer_store_dword v96, off, s[0:3], 0 offset:192
	buffer_store_dword v97, off, s[0:3], 0 offset:196
	;; [unrolled: 3-line block ×19, first 2 shown]
	s_cbranch_scc1 .LBB41_176
; %bb.4:
	v_cmp_eq_u32_e64 s4, 0, v0
	s_and_saveexec_b32 s5, s4
; %bb.5:
	v_mov_b32_e32 v85, 0
	ds_write_b32 v85, v85 offset:672
; %bb.6:
	s_or_b32 exec_lo, exec_lo, s5
	v_lshl_add_u32 v85, v0, 3, 0
	s_waitcnt lgkmcnt(0)
	s_waitcnt_vscnt null, 0x0
	s_barrier
	buffer_gl0_inv
	s_mov_b32 s8, exec_lo
	s_clause 0x1
	buffer_load_dword v88, v85, s[0:3], 0 offen
	buffer_load_dword v89, v85, s[0:3], 0 offen offset:4
	s_waitcnt vmcnt(0)
	v_cmpx_eq_f64_e32 0, v[88:89]
	s_cbranch_execz .LBB41_10
; %bb.7:
	v_mov_b32_e32 v86, 0
	s_mov_b32 s9, 0
	ds_read_b32 v88, v86 offset:672
	s_waitcnt lgkmcnt(0)
	v_readfirstlane_b32 s5, v88
	v_add_nc_u32_e32 v88, 1, v0
	s_cmp_eq_u32 s5, 0
	v_cmp_gt_i32_e32 vcc_lo, s5, v88
	s_cselect_b32 s12, -1, 0
	s_or_b32 s12, s12, vcc_lo
	s_and_b32 exec_lo, exec_lo, s12
	s_cbranch_execz .LBB41_10
; %bb.8:
	v_mov_b32_e32 v89, s5
.LBB41_9:                               ; =>This Inner Loop Header: Depth=1
	ds_cmpst_rtn_b32 v89, v86, v89, v88 offset:672
	s_waitcnt lgkmcnt(0)
	v_cmp_ne_u32_e32 vcc_lo, 0, v89
	v_cmp_le_i32_e64 s5, v89, v88
	s_and_b32 s5, vcc_lo, s5
	s_and_b32 s5, exec_lo, s5
	s_or_b32 s9, s5, s9
	s_andn2_b32 exec_lo, exec_lo, s9
	s_cbranch_execnz .LBB41_9
.LBB41_10:
	s_or_b32 exec_lo, exec_lo, s8
	v_mov_b32_e32 v86, 0
	s_barrier
	buffer_gl0_inv
	ds_read_b32 v88, v86 offset:672
	s_and_saveexec_b32 s5, s4
	s_cbranch_execz .LBB41_12
; %bb.11:
	s_lshl_b64 s[8:9], s[6:7], 2
	s_add_u32 s8, s10, s8
	s_addc_u32 s9, s11, s9
	s_waitcnt lgkmcnt(0)
	global_store_dword v86, v88, s[8:9]
.LBB41_12:
	s_or_b32 exec_lo, exec_lo, s5
	s_waitcnt lgkmcnt(0)
	v_cmp_ne_u32_e32 vcc_lo, 0, v88
	s_mov_b32 s5, 0
	s_cbranch_vccnz .LBB41_176
; %bb.13:
	s_clause 0x1
	buffer_load_dword v88, v85, s[0:3], 0 offen
	buffer_load_dword v89, v85, s[0:3], 0 offen offset:4
	s_waitcnt vmcnt(0)
	v_div_scale_f64 v[90:91], null, v[88:89], v[88:89], 1.0
	v_div_scale_f64 v[96:97], vcc_lo, 1.0, v[88:89], 1.0
	v_rcp_f64_e32 v[92:93], v[90:91]
	v_fma_f64 v[94:95], -v[90:91], v[92:93], 1.0
	v_fma_f64 v[92:93], v[92:93], v[94:95], v[92:93]
	v_fma_f64 v[94:95], -v[90:91], v[92:93], 1.0
	v_fma_f64 v[92:93], v[92:93], v[94:95], v[92:93]
	v_mul_f64 v[94:95], v[96:97], v[92:93]
	v_fma_f64 v[90:91], -v[90:91], v[94:95], v[96:97]
	v_div_fmas_f64 v[90:91], v[90:91], v[92:93], v[94:95]
	v_div_fixup_f64 v[89:90], v[90:91], v[88:89], 1.0
	v_add_nc_u32_e32 v88, 0x150, v87
	buffer_store_dword v90, v85, s[0:3], 0 offen offset:4
	buffer_store_dword v89, v85, s[0:3], 0 offen
	s_clause 0x1
	buffer_load_dword v92, off, s[0:3], 0 offset:12
	buffer_load_dword v91, off, s[0:3], 0 offset:8
	v_xor_b32_e32 v90, 0x80000000, v90
	s_waitcnt vmcnt(0)
	ds_write2_b64 v87, v[89:90], v[91:92] offset1:42
	s_waitcnt lgkmcnt(0)
	s_waitcnt_vscnt null, 0x0
	s_barrier
	buffer_gl0_inv
	s_and_saveexec_b32 s5, s4
	s_cbranch_execz .LBB41_15
; %bb.14:
	s_clause 0x1
	buffer_load_dword v89, v85, s[0:3], 0 offen
	buffer_load_dword v90, v85, s[0:3], 0 offen offset:4
	ds_read_b64 v[91:92], v88
	v_mov_b32_e32 v86, 0
	ds_read_b64 v[93:94], v86 offset:8
	s_waitcnt vmcnt(0) lgkmcnt(1)
	v_fma_f64 v[89:90], v[89:90], v[91:92], 0
	s_waitcnt lgkmcnt(0)
	v_mul_f64 v[89:90], v[89:90], v[93:94]
	buffer_store_dword v89, off, s[0:3], 0 offset:8
	buffer_store_dword v90, off, s[0:3], 0 offset:12
.LBB41_15:
	s_or_b32 exec_lo, exec_lo, s5
	s_waitcnt_vscnt null, 0x0
	s_barrier
	buffer_gl0_inv
	s_clause 0x1
	buffer_load_dword v89, off, s[0:3], 0 offset:16
	buffer_load_dword v90, off, s[0:3], 0 offset:20
	s_mov_b32 s5, exec_lo
	s_waitcnt vmcnt(0)
	ds_write_b64 v88, v[89:90]
	s_waitcnt lgkmcnt(0)
	s_barrier
	buffer_gl0_inv
	v_cmpx_gt_u32_e32 2, v0
	s_cbranch_execz .LBB41_19
; %bb.16:
	s_clause 0x1
	buffer_load_dword v89, v85, s[0:3], 0 offen
	buffer_load_dword v90, v85, s[0:3], 0 offen offset:4
	ds_read_b64 v[85:86], v88
	s_waitcnt vmcnt(0) lgkmcnt(0)
	v_fma_f64 v[85:86], v[89:90], v[85:86], 0
	s_and_saveexec_b32 s8, s4
	s_cbranch_execz .LBB41_18
; %bb.17:
	s_clause 0x1
	buffer_load_dword v89, off, s[0:3], 0 offset:8
	buffer_load_dword v90, off, s[0:3], 0 offset:12
	v_mov_b32_e32 v91, 0
	ds_read_b64 v[91:92], v91 offset:344
	s_waitcnt vmcnt(0) lgkmcnt(0)
	v_fma_f64 v[85:86], v[89:90], v[91:92], v[85:86]
.LBB41_18:
	s_or_b32 exec_lo, exec_lo, s8
	v_mov_b32_e32 v89, 0
	ds_read_b64 v[89:90], v89 offset:16
	s_waitcnt lgkmcnt(0)
	v_mul_f64 v[85:86], v[85:86], v[89:90]
	buffer_store_dword v86, off, s[0:3], 0 offset:20
	buffer_store_dword v85, off, s[0:3], 0 offset:16
.LBB41_19:
	s_or_b32 exec_lo, exec_lo, s5
	s_waitcnt_vscnt null, 0x0
	s_barrier
	buffer_gl0_inv
	s_clause 0x1
	buffer_load_dword v85, off, s[0:3], 0 offset:24
	buffer_load_dword v86, off, s[0:3], 0 offset:28
	v_add_nc_u32_e32 v89, -1, v0
	s_mov_b32 s4, exec_lo
	s_waitcnt vmcnt(0)
	ds_write_b64 v88, v[85:86]
	s_waitcnt lgkmcnt(0)
	s_barrier
	buffer_gl0_inv
	v_cmpx_gt_u32_e32 3, v0
	s_cbranch_execz .LBB41_23
; %bb.20:
	v_mov_b32_e32 v85, 0
	v_add_nc_u32_e32 v90, -1, v0
	v_add_nc_u32_e32 v91, 0x150, v87
	v_mov_b32_e32 v86, 0
	v_mov_b32_e32 v92, v87
	s_mov_b32 s5, 0
.LBB41_21:                              ; =>This Inner Loop Header: Depth=1
	s_clause 0x1
	buffer_load_dword v93, v92, s[0:3], 0 offen
	buffer_load_dword v94, v92, s[0:3], 0 offen offset:4
	ds_read_b64 v[95:96], v91
	v_add_nc_u32_e32 v90, 1, v90
	v_add_nc_u32_e32 v91, 8, v91
	v_add_nc_u32_e32 v92, 8, v92
	v_cmp_lt_u32_e32 vcc_lo, 1, v90
	s_or_b32 s5, vcc_lo, s5
	s_waitcnt vmcnt(0) lgkmcnt(0)
	v_fma_f64 v[85:86], v[93:94], v[95:96], v[85:86]
	s_andn2_b32 exec_lo, exec_lo, s5
	s_cbranch_execnz .LBB41_21
; %bb.22:
	s_or_b32 exec_lo, exec_lo, s5
	v_mov_b32_e32 v90, 0
	ds_read_b64 v[90:91], v90 offset:24
	s_waitcnt lgkmcnt(0)
	v_mul_f64 v[85:86], v[85:86], v[90:91]
	buffer_store_dword v86, off, s[0:3], 0 offset:28
	buffer_store_dword v85, off, s[0:3], 0 offset:24
.LBB41_23:
	s_or_b32 exec_lo, exec_lo, s4
	s_waitcnt_vscnt null, 0x0
	s_barrier
	buffer_gl0_inv
	s_clause 0x1
	buffer_load_dword v85, off, s[0:3], 0 offset:32
	buffer_load_dword v86, off, s[0:3], 0 offset:36
	s_mov_b32 s4, exec_lo
	s_waitcnt vmcnt(0)
	ds_write_b64 v88, v[85:86]
	s_waitcnt lgkmcnt(0)
	s_barrier
	buffer_gl0_inv
	v_cmpx_gt_u32_e32 4, v0
	s_cbranch_execz .LBB41_27
; %bb.24:
	v_mov_b32_e32 v85, 0
	v_add_nc_u32_e32 v90, -1, v0
	v_add_nc_u32_e32 v91, 0x150, v87
	v_mov_b32_e32 v86, 0
	v_mov_b32_e32 v92, v87
	s_mov_b32 s5, 0
.LBB41_25:                              ; =>This Inner Loop Header: Depth=1
	s_clause 0x1
	buffer_load_dword v93, v92, s[0:3], 0 offen
	buffer_load_dword v94, v92, s[0:3], 0 offen offset:4
	ds_read_b64 v[95:96], v91
	v_add_nc_u32_e32 v90, 1, v90
	v_add_nc_u32_e32 v91, 8, v91
	v_add_nc_u32_e32 v92, 8, v92
	v_cmp_lt_u32_e32 vcc_lo, 2, v90
	s_or_b32 s5, vcc_lo, s5
	s_waitcnt vmcnt(0) lgkmcnt(0)
	v_fma_f64 v[85:86], v[93:94], v[95:96], v[85:86]
	s_andn2_b32 exec_lo, exec_lo, s5
	s_cbranch_execnz .LBB41_25
; %bb.26:
	s_or_b32 exec_lo, exec_lo, s5
	v_mov_b32_e32 v90, 0
	ds_read_b64 v[90:91], v90 offset:32
	s_waitcnt lgkmcnt(0)
	v_mul_f64 v[85:86], v[85:86], v[90:91]
	buffer_store_dword v86, off, s[0:3], 0 offset:36
	buffer_store_dword v85, off, s[0:3], 0 offset:32
.LBB41_27:
	s_or_b32 exec_lo, exec_lo, s4
	s_waitcnt_vscnt null, 0x0
	s_barrier
	buffer_gl0_inv
	s_clause 0x1
	buffer_load_dword v85, off, s[0:3], 0 offset:40
	buffer_load_dword v86, off, s[0:3], 0 offset:44
	;; [unrolled: 45-line block ×20, first 2 shown]
	s_mov_b32 s4, exec_lo
	s_waitcnt vmcnt(0)
	ds_write_b64 v88, v[85:86]
	s_waitcnt lgkmcnt(0)
	s_barrier
	buffer_gl0_inv
	v_cmpx_gt_u32_e32 23, v0
	s_cbranch_execz .LBB41_103
; %bb.100:
	v_mov_b32_e32 v85, 0
	v_add_nc_u32_e32 v90, -1, v0
	v_add_nc_u32_e32 v91, 0x150, v87
	v_mov_b32_e32 v86, 0
	v_mov_b32_e32 v92, v87
	s_mov_b32 s5, 0
.LBB41_101:                             ; =>This Inner Loop Header: Depth=1
	s_clause 0x1
	buffer_load_dword v93, v92, s[0:3], 0 offen
	buffer_load_dword v94, v92, s[0:3], 0 offen offset:4
	ds_read_b64 v[95:96], v91
	v_add_nc_u32_e32 v90, 1, v90
	v_add_nc_u32_e32 v91, 8, v91
	v_add_nc_u32_e32 v92, 8, v92
	v_cmp_lt_u32_e32 vcc_lo, 21, v90
	s_or_b32 s5, vcc_lo, s5
	s_waitcnt vmcnt(0) lgkmcnt(0)
	v_fma_f64 v[85:86], v[93:94], v[95:96], v[85:86]
	s_andn2_b32 exec_lo, exec_lo, s5
	s_cbranch_execnz .LBB41_101
; %bb.102:
	s_or_b32 exec_lo, exec_lo, s5
	v_mov_b32_e32 v90, 0
	ds_read_b64 v[90:91], v90 offset:184
	s_waitcnt lgkmcnt(0)
	v_mul_f64 v[85:86], v[85:86], v[90:91]
	buffer_store_dword v86, off, s[0:3], 0 offset:188
	buffer_store_dword v85, off, s[0:3], 0 offset:184
.LBB41_103:
	s_or_b32 exec_lo, exec_lo, s4
	s_waitcnt_vscnt null, 0x0
	s_barrier
	buffer_gl0_inv
	s_clause 0x1
	buffer_load_dword v85, off, s[0:3], 0 offset:192
	buffer_load_dword v86, off, s[0:3], 0 offset:196
	s_mov_b32 s4, exec_lo
	s_waitcnt vmcnt(0)
	ds_write_b64 v88, v[85:86]
	s_waitcnt lgkmcnt(0)
	s_barrier
	buffer_gl0_inv
	v_cmpx_gt_u32_e32 24, v0
	s_cbranch_execz .LBB41_107
; %bb.104:
	v_mov_b32_e32 v85, 0
	v_add_nc_u32_e32 v90, -1, v0
	v_add_nc_u32_e32 v91, 0x150, v87
	v_mov_b32_e32 v86, 0
	v_mov_b32_e32 v92, v87
	s_mov_b32 s5, 0
.LBB41_105:                             ; =>This Inner Loop Header: Depth=1
	s_clause 0x1
	buffer_load_dword v93, v92, s[0:3], 0 offen
	buffer_load_dword v94, v92, s[0:3], 0 offen offset:4
	ds_read_b64 v[95:96], v91
	v_add_nc_u32_e32 v90, 1, v90
	v_add_nc_u32_e32 v91, 8, v91
	v_add_nc_u32_e32 v92, 8, v92
	v_cmp_lt_u32_e32 vcc_lo, 22, v90
	s_or_b32 s5, vcc_lo, s5
	s_waitcnt vmcnt(0) lgkmcnt(0)
	v_fma_f64 v[85:86], v[93:94], v[95:96], v[85:86]
	s_andn2_b32 exec_lo, exec_lo, s5
	s_cbranch_execnz .LBB41_105
; %bb.106:
	s_or_b32 exec_lo, exec_lo, s5
	v_mov_b32_e32 v90, 0
	ds_read_b64 v[90:91], v90 offset:192
	s_waitcnt lgkmcnt(0)
	v_mul_f64 v[85:86], v[85:86], v[90:91]
	buffer_store_dword v86, off, s[0:3], 0 offset:196
	buffer_store_dword v85, off, s[0:3], 0 offset:192
.LBB41_107:
	s_or_b32 exec_lo, exec_lo, s4
	s_waitcnt_vscnt null, 0x0
	s_barrier
	buffer_gl0_inv
	s_clause 0x1
	buffer_load_dword v85, off, s[0:3], 0 offset:200
	buffer_load_dword v86, off, s[0:3], 0 offset:204
	;; [unrolled: 45-line block ×18, first 2 shown]
	s_mov_b32 s4, exec_lo
	s_waitcnt vmcnt(0)
	ds_write_b64 v88, v[85:86]
	s_waitcnt lgkmcnt(0)
	s_barrier
	buffer_gl0_inv
	v_cmpx_ne_u32_e32 41, v0
	s_cbranch_execz .LBB41_175
; %bb.172:
	v_mov_b32_e32 v85, 0
	v_mov_b32_e32 v86, 0
	s_mov_b32 s5, 0
.LBB41_173:                             ; =>This Inner Loop Header: Depth=1
	s_clause 0x1
	buffer_load_dword v90, v87, s[0:3], 0 offen
	buffer_load_dword v91, v87, s[0:3], 0 offen offset:4
	ds_read_b64 v[92:93], v88
	v_add_nc_u32_e32 v89, 1, v89
	v_add_nc_u32_e32 v88, 8, v88
	;; [unrolled: 1-line block ×3, first 2 shown]
	v_cmp_lt_u32_e32 vcc_lo, 39, v89
	s_or_b32 s5, vcc_lo, s5
	s_waitcnt vmcnt(0) lgkmcnt(0)
	v_fma_f64 v[85:86], v[90:91], v[92:93], v[85:86]
	s_andn2_b32 exec_lo, exec_lo, s5
	s_cbranch_execnz .LBB41_173
; %bb.174:
	s_or_b32 exec_lo, exec_lo, s5
	v_mov_b32_e32 v87, 0
	ds_read_b64 v[87:88], v87 offset:328
	s_waitcnt lgkmcnt(0)
	v_mul_f64 v[85:86], v[85:86], v[87:88]
	buffer_store_dword v86, off, s[0:3], 0 offset:332
	buffer_store_dword v85, off, s[0:3], 0 offset:328
.LBB41_175:
	s_or_b32 exec_lo, exec_lo, s4
	s_mov_b32 s5, -1
	s_waitcnt_vscnt null, 0x0
	s_barrier
	buffer_gl0_inv
.LBB41_176:
	s_and_b32 vcc_lo, exec_lo, s5
	s_cbranch_vccz .LBB41_178
; %bb.177:
	s_lshl_b64 s[4:5], s[6:7], 2
	v_mov_b32_e32 v85, 0
	s_add_u32 s4, s10, s4
	s_addc_u32 s5, s11, s5
	global_load_dword v85, v85, s[4:5]
	s_waitcnt vmcnt(0)
	v_cmp_ne_u32_e32 vcc_lo, 0, v85
	s_cbranch_vccz .LBB41_179
.LBB41_178:
	s_endpgm
.LBB41_179:
	v_lshl_add_u32 v85, v0, 3, 0x150
	s_mov_b32 s4, exec_lo
	v_cmpx_eq_u32_e32 41, v0
	s_cbranch_execz .LBB41_181
; %bb.180:
	s_clause 0x1
	buffer_load_dword v86, off, s[0:3], 0 offset:320
	buffer_load_dword v87, off, s[0:3], 0 offset:324
	v_mov_b32_e32 v88, 0
	buffer_store_dword v88, off, s[0:3], 0 offset:320
	buffer_store_dword v88, off, s[0:3], 0 offset:324
	s_waitcnt vmcnt(0)
	ds_write_b64 v85, v[86:87]
.LBB41_181:
	s_or_b32 exec_lo, exec_lo, s4
	s_waitcnt lgkmcnt(0)
	s_waitcnt_vscnt null, 0x0
	s_barrier
	buffer_gl0_inv
	s_clause 0x3
	buffer_load_dword v87, off, s[0:3], 0 offset:328
	buffer_load_dword v88, off, s[0:3], 0 offset:332
	;; [unrolled: 1-line block ×4, first 2 shown]
	v_mov_b32_e32 v86, 0
	s_mov_b32 s4, exec_lo
	ds_read_b64 v[91:92], v86 offset:664
	s_waitcnt vmcnt(2) lgkmcnt(0)
	v_fma_f64 v[87:88], v[87:88], v[91:92], 0
	s_waitcnt vmcnt(0)
	v_add_f64 v[87:88], v[89:90], -v[87:88]
	buffer_store_dword v87, off, s[0:3], 0 offset:320
	buffer_store_dword v88, off, s[0:3], 0 offset:324
	v_cmpx_lt_u32_e32 39, v0
	s_cbranch_execz .LBB41_183
; %bb.182:
	s_clause 0x1
	buffer_load_dword v87, off, s[0:3], 0 offset:312
	buffer_load_dword v88, off, s[0:3], 0 offset:316
	buffer_store_dword v86, off, s[0:3], 0 offset:312
	buffer_store_dword v86, off, s[0:3], 0 offset:316
	s_waitcnt vmcnt(0)
	ds_write_b64 v85, v[87:88]
.LBB41_183:
	s_or_b32 exec_lo, exec_lo, s4
	s_waitcnt lgkmcnt(0)
	s_waitcnt_vscnt null, 0x0
	s_barrier
	buffer_gl0_inv
	s_clause 0x5
	buffer_load_dword v90, off, s[0:3], 0 offset:320
	buffer_load_dword v91, off, s[0:3], 0 offset:324
	;; [unrolled: 1-line block ×6, first 2 shown]
	ds_read_b128 v[86:89], v86 offset:656
	s_mov_b32 s4, exec_lo
	s_waitcnt vmcnt(4) lgkmcnt(0)
	v_fma_f64 v[86:87], v[90:91], v[86:87], 0
	s_waitcnt vmcnt(2)
	v_fma_f64 v[86:87], v[92:93], v[88:89], v[86:87]
	s_waitcnt vmcnt(0)
	v_add_f64 v[86:87], v[94:95], -v[86:87]
	buffer_store_dword v86, off, s[0:3], 0 offset:312
	buffer_store_dword v87, off, s[0:3], 0 offset:316
	v_cmpx_lt_u32_e32 38, v0
	s_cbranch_execz .LBB41_185
; %bb.184:
	s_clause 0x1
	buffer_load_dword v86, off, s[0:3], 0 offset:304
	buffer_load_dword v87, off, s[0:3], 0 offset:308
	v_mov_b32_e32 v88, 0
	buffer_store_dword v88, off, s[0:3], 0 offset:304
	buffer_store_dword v88, off, s[0:3], 0 offset:308
	s_waitcnt vmcnt(0)
	ds_write_b64 v85, v[86:87]
.LBB41_185:
	s_or_b32 exec_lo, exec_lo, s4
	s_waitcnt lgkmcnt(0)
	s_waitcnt_vscnt null, 0x0
	s_barrier
	buffer_gl0_inv
	s_clause 0x7
	buffer_load_dword v91, off, s[0:3], 0 offset:312
	buffer_load_dword v92, off, s[0:3], 0 offset:316
	;; [unrolled: 1-line block ×8, first 2 shown]
	v_mov_b32_e32 v86, 0
	ds_read2_b64 v[87:90], v86 offset0:81 offset1:82
	ds_read_b64 v[99:100], v86 offset:664
	s_mov_b32 s4, exec_lo
	s_waitcnt vmcnt(6) lgkmcnt(1)
	v_fma_f64 v[87:88], v[91:92], v[87:88], 0
	s_waitcnt vmcnt(4)
	v_fma_f64 v[87:88], v[93:94], v[89:90], v[87:88]
	s_waitcnt vmcnt(2) lgkmcnt(0)
	v_fma_f64 v[87:88], v[95:96], v[99:100], v[87:88]
	s_waitcnt vmcnt(0)
	v_add_f64 v[87:88], v[97:98], -v[87:88]
	buffer_store_dword v87, off, s[0:3], 0 offset:304
	buffer_store_dword v88, off, s[0:3], 0 offset:308
	v_cmpx_lt_u32_e32 37, v0
	s_cbranch_execz .LBB41_187
; %bb.186:
	s_clause 0x1
	buffer_load_dword v87, off, s[0:3], 0 offset:296
	buffer_load_dword v88, off, s[0:3], 0 offset:300
	buffer_store_dword v86, off, s[0:3], 0 offset:296
	buffer_store_dword v86, off, s[0:3], 0 offset:300
	s_waitcnt vmcnt(0)
	ds_write_b64 v85, v[87:88]
.LBB41_187:
	s_or_b32 exec_lo, exec_lo, s4
	s_waitcnt lgkmcnt(0)
	s_waitcnt_vscnt null, 0x0
	s_barrier
	buffer_gl0_inv
	s_clause 0x9
	buffer_load_dword v95, off, s[0:3], 0 offset:304
	buffer_load_dword v96, off, s[0:3], 0 offset:308
	;; [unrolled: 1-line block ×10, first 2 shown]
	ds_read_b128 v[87:90], v86 offset:640
	ds_read_b128 v[91:94], v86 offset:656
	s_mov_b32 s4, exec_lo
	s_waitcnt vmcnt(8) lgkmcnt(1)
	v_fma_f64 v[86:87], v[95:96], v[87:88], 0
	s_waitcnt vmcnt(6)
	v_fma_f64 v[86:87], v[97:98], v[89:90], v[86:87]
	s_waitcnt vmcnt(4) lgkmcnt(0)
	v_fma_f64 v[86:87], v[99:100], v[91:92], v[86:87]
	s_waitcnt vmcnt(2)
	v_fma_f64 v[86:87], v[101:102], v[93:94], v[86:87]
	s_waitcnt vmcnt(0)
	v_add_f64 v[86:87], v[103:104], -v[86:87]
	buffer_store_dword v86, off, s[0:3], 0 offset:296
	buffer_store_dword v87, off, s[0:3], 0 offset:300
	v_cmpx_lt_u32_e32 36, v0
	s_cbranch_execz .LBB41_189
; %bb.188:
	s_clause 0x1
	buffer_load_dword v86, off, s[0:3], 0 offset:288
	buffer_load_dword v87, off, s[0:3], 0 offset:292
	v_mov_b32_e32 v88, 0
	buffer_store_dword v88, off, s[0:3], 0 offset:288
	buffer_store_dword v88, off, s[0:3], 0 offset:292
	s_waitcnt vmcnt(0)
	ds_write_b64 v85, v[86:87]
.LBB41_189:
	s_or_b32 exec_lo, exec_lo, s4
	s_waitcnt lgkmcnt(0)
	s_waitcnt_vscnt null, 0x0
	s_barrier
	buffer_gl0_inv
	s_clause 0xb
	buffer_load_dword v95, off, s[0:3], 0 offset:296
	buffer_load_dword v96, off, s[0:3], 0 offset:300
	;; [unrolled: 1-line block ×12, first 2 shown]
	v_mov_b32_e32 v86, 0
	ds_read2_b64 v[87:90], v86 offset0:79 offset1:80
	ds_read2_b64 v[91:94], v86 offset0:81 offset1:82
	s_mov_b32 s4, exec_lo
	s_waitcnt vmcnt(10) lgkmcnt(1)
	v_fma_f64 v[87:88], v[95:96], v[87:88], 0
	s_waitcnt vmcnt(8)
	v_fma_f64 v[87:88], v[97:98], v[89:90], v[87:88]
	ds_read_b64 v[89:90], v86 offset:664
	s_waitcnt vmcnt(6) lgkmcnt(1)
	v_fma_f64 v[87:88], v[99:100], v[91:92], v[87:88]
	s_waitcnt vmcnt(4)
	v_fma_f64 v[87:88], v[101:102], v[93:94], v[87:88]
	s_waitcnt vmcnt(2) lgkmcnt(0)
	v_fma_f64 v[87:88], v[103:104], v[89:90], v[87:88]
	s_waitcnt vmcnt(0)
	v_add_f64 v[87:88], v[105:106], -v[87:88]
	buffer_store_dword v87, off, s[0:3], 0 offset:288
	buffer_store_dword v88, off, s[0:3], 0 offset:292
	v_cmpx_lt_u32_e32 35, v0
	s_cbranch_execz .LBB41_191
; %bb.190:
	s_clause 0x1
	buffer_load_dword v87, off, s[0:3], 0 offset:280
	buffer_load_dword v88, off, s[0:3], 0 offset:284
	buffer_store_dword v86, off, s[0:3], 0 offset:280
	buffer_store_dword v86, off, s[0:3], 0 offset:284
	s_waitcnt vmcnt(0)
	ds_write_b64 v85, v[87:88]
.LBB41_191:
	s_or_b32 exec_lo, exec_lo, s4
	s_waitcnt lgkmcnt(0)
	s_waitcnt_vscnt null, 0x0
	s_barrier
	buffer_gl0_inv
	s_clause 0xd
	buffer_load_dword v95, off, s[0:3], 0 offset:288
	buffer_load_dword v96, off, s[0:3], 0 offset:292
	;; [unrolled: 1-line block ×14, first 2 shown]
	ds_read_b128 v[87:90], v86 offset:624
	ds_read_b128 v[91:94], v86 offset:640
	s_mov_b32 s4, exec_lo
	s_waitcnt vmcnt(12) lgkmcnt(1)
	v_fma_f64 v[87:88], v[95:96], v[87:88], 0
	s_waitcnt vmcnt(10)
	v_fma_f64 v[87:88], v[97:98], v[89:90], v[87:88]
	s_waitcnt vmcnt(8) lgkmcnt(0)
	v_fma_f64 v[87:88], v[99:100], v[91:92], v[87:88]
	s_waitcnt vmcnt(6)
	v_fma_f64 v[90:91], v[101:102], v[93:94], v[87:88]
	ds_read_b128 v[86:89], v86 offset:656
	s_waitcnt vmcnt(4) lgkmcnt(0)
	v_fma_f64 v[86:87], v[103:104], v[86:87], v[90:91]
	s_waitcnt vmcnt(2)
	v_fma_f64 v[86:87], v[105:106], v[88:89], v[86:87]
	s_waitcnt vmcnt(0)
	v_add_f64 v[86:87], v[107:108], -v[86:87]
	buffer_store_dword v86, off, s[0:3], 0 offset:280
	buffer_store_dword v87, off, s[0:3], 0 offset:284
	v_cmpx_lt_u32_e32 34, v0
	s_cbranch_execz .LBB41_193
; %bb.192:
	s_clause 0x1
	buffer_load_dword v86, off, s[0:3], 0 offset:272
	buffer_load_dword v87, off, s[0:3], 0 offset:276
	v_mov_b32_e32 v88, 0
	buffer_store_dword v88, off, s[0:3], 0 offset:272
	buffer_store_dword v88, off, s[0:3], 0 offset:276
	s_waitcnt vmcnt(0)
	ds_write_b64 v85, v[86:87]
.LBB41_193:
	s_or_b32 exec_lo, exec_lo, s4
	s_waitcnt lgkmcnt(0)
	s_waitcnt_vscnt null, 0x0
	s_barrier
	buffer_gl0_inv
	s_clause 0xf
	buffer_load_dword v95, off, s[0:3], 0 offset:280
	buffer_load_dword v96, off, s[0:3], 0 offset:284
	;; [unrolled: 1-line block ×16, first 2 shown]
	v_mov_b32_e32 v86, 0
	ds_read2_b64 v[87:90], v86 offset0:77 offset1:78
	ds_read2_b64 v[91:94], v86 offset0:79 offset1:80
	s_mov_b32 s4, exec_lo
	s_waitcnt vmcnt(14) lgkmcnt(1)
	v_fma_f64 v[87:88], v[95:96], v[87:88], 0
	s_waitcnt vmcnt(12)
	v_fma_f64 v[87:88], v[97:98], v[89:90], v[87:88]
	s_waitcnt vmcnt(10) lgkmcnt(0)
	v_fma_f64 v[87:88], v[99:100], v[91:92], v[87:88]
	s_waitcnt vmcnt(8)
	v_fma_f64 v[91:92], v[101:102], v[93:94], v[87:88]
	ds_read2_b64 v[87:90], v86 offset0:81 offset1:82
	ds_read_b64 v[93:94], v86 offset:664
	s_waitcnt vmcnt(6) lgkmcnt(1)
	v_fma_f64 v[87:88], v[103:104], v[87:88], v[91:92]
	s_waitcnt vmcnt(4)
	v_fma_f64 v[87:88], v[105:106], v[89:90], v[87:88]
	s_waitcnt vmcnt(2) lgkmcnt(0)
	v_fma_f64 v[87:88], v[107:108], v[93:94], v[87:88]
	s_waitcnt vmcnt(0)
	v_add_f64 v[87:88], v[109:110], -v[87:88]
	buffer_store_dword v87, off, s[0:3], 0 offset:272
	buffer_store_dword v88, off, s[0:3], 0 offset:276
	v_cmpx_lt_u32_e32 33, v0
	s_cbranch_execz .LBB41_195
; %bb.194:
	s_clause 0x1
	buffer_load_dword v87, off, s[0:3], 0 offset:264
	buffer_load_dword v88, off, s[0:3], 0 offset:268
	buffer_store_dword v86, off, s[0:3], 0 offset:264
	buffer_store_dword v86, off, s[0:3], 0 offset:268
	s_waitcnt vmcnt(0)
	ds_write_b64 v85, v[87:88]
.LBB41_195:
	s_or_b32 exec_lo, exec_lo, s4
	s_waitcnt lgkmcnt(0)
	s_waitcnt_vscnt null, 0x0
	s_barrier
	buffer_gl0_inv
	s_clause 0x11
	buffer_load_dword v95, off, s[0:3], 0 offset:272
	buffer_load_dword v96, off, s[0:3], 0 offset:276
	;; [unrolled: 1-line block ×18, first 2 shown]
	ds_read_b128 v[87:90], v86 offset:608
	ds_read_b128 v[91:94], v86 offset:624
	s_mov_b32 s4, exec_lo
	s_waitcnt vmcnt(16) lgkmcnt(1)
	v_fma_f64 v[87:88], v[95:96], v[87:88], 0
	s_waitcnt vmcnt(14)
	v_fma_f64 v[87:88], v[97:98], v[89:90], v[87:88]
	s_waitcnt vmcnt(12) lgkmcnt(0)
	v_fma_f64 v[87:88], v[99:100], v[91:92], v[87:88]
	s_waitcnt vmcnt(10)
	v_fma_f64 v[95:96], v[101:102], v[93:94], v[87:88]
	ds_read_b128 v[87:90], v86 offset:640
	ds_read_b128 v[91:94], v86 offset:656
	s_waitcnt vmcnt(8) lgkmcnt(1)
	v_fma_f64 v[86:87], v[103:104], v[87:88], v[95:96]
	s_waitcnt vmcnt(6)
	v_fma_f64 v[86:87], v[105:106], v[89:90], v[86:87]
	s_waitcnt vmcnt(4) lgkmcnt(0)
	v_fma_f64 v[86:87], v[107:108], v[91:92], v[86:87]
	s_waitcnt vmcnt(2)
	v_fma_f64 v[86:87], v[109:110], v[93:94], v[86:87]
	s_waitcnt vmcnt(0)
	v_add_f64 v[86:87], v[111:112], -v[86:87]
	buffer_store_dword v86, off, s[0:3], 0 offset:264
	buffer_store_dword v87, off, s[0:3], 0 offset:268
	v_cmpx_lt_u32_e32 32, v0
	s_cbranch_execz .LBB41_197
; %bb.196:
	s_clause 0x1
	buffer_load_dword v86, off, s[0:3], 0 offset:256
	buffer_load_dword v87, off, s[0:3], 0 offset:260
	v_mov_b32_e32 v88, 0
	buffer_store_dword v88, off, s[0:3], 0 offset:256
	buffer_store_dword v88, off, s[0:3], 0 offset:260
	s_waitcnt vmcnt(0)
	ds_write_b64 v85, v[86:87]
.LBB41_197:
	s_or_b32 exec_lo, exec_lo, s4
	s_waitcnt lgkmcnt(0)
	s_waitcnt_vscnt null, 0x0
	s_barrier
	buffer_gl0_inv
	s_clause 0x13
	buffer_load_dword v95, off, s[0:3], 0 offset:264
	buffer_load_dword v96, off, s[0:3], 0 offset:268
	;; [unrolled: 1-line block ×20, first 2 shown]
	v_mov_b32_e32 v86, 0
	ds_read2_b64 v[87:90], v86 offset0:75 offset1:76
	ds_read2_b64 v[91:94], v86 offset0:77 offset1:78
	s_mov_b32 s4, exec_lo
	s_waitcnt vmcnt(18) lgkmcnt(1)
	v_fma_f64 v[87:88], v[95:96], v[87:88], 0
	s_waitcnt vmcnt(16)
	v_fma_f64 v[87:88], v[97:98], v[89:90], v[87:88]
	s_waitcnt vmcnt(14) lgkmcnt(0)
	v_fma_f64 v[87:88], v[99:100], v[91:92], v[87:88]
	s_waitcnt vmcnt(12)
	v_fma_f64 v[95:96], v[101:102], v[93:94], v[87:88]
	ds_read2_b64 v[87:90], v86 offset0:79 offset1:80
	ds_read2_b64 v[91:94], v86 offset0:81 offset1:82
	s_waitcnt vmcnt(10) lgkmcnt(1)
	v_fma_f64 v[87:88], v[103:104], v[87:88], v[95:96]
	s_waitcnt vmcnt(8)
	v_fma_f64 v[87:88], v[105:106], v[89:90], v[87:88]
	ds_read_b64 v[89:90], v86 offset:664
	s_waitcnt vmcnt(6) lgkmcnt(1)
	v_fma_f64 v[87:88], v[107:108], v[91:92], v[87:88]
	s_waitcnt vmcnt(3)
	v_fma_f64 v[87:88], v[109:110], v[93:94], v[87:88]
	s_waitcnt vmcnt(2) lgkmcnt(0)
	v_fma_f64 v[87:88], v[111:112], v[89:90], v[87:88]
	s_waitcnt vmcnt(0)
	v_add_f64 v[87:88], v[113:114], -v[87:88]
	buffer_store_dword v87, off, s[0:3], 0 offset:256
	buffer_store_dword v88, off, s[0:3], 0 offset:260
	v_cmpx_lt_u32_e32 31, v0
	s_cbranch_execz .LBB41_199
; %bb.198:
	s_clause 0x1
	buffer_load_dword v87, off, s[0:3], 0 offset:248
	buffer_load_dword v88, off, s[0:3], 0 offset:252
	buffer_store_dword v86, off, s[0:3], 0 offset:248
	buffer_store_dword v86, off, s[0:3], 0 offset:252
	s_waitcnt vmcnt(0)
	ds_write_b64 v85, v[87:88]
.LBB41_199:
	s_or_b32 exec_lo, exec_lo, s4
	s_waitcnt lgkmcnt(0)
	s_waitcnt_vscnt null, 0x0
	s_barrier
	buffer_gl0_inv
	s_clause 0x15
	buffer_load_dword v95, off, s[0:3], 0 offset:256
	buffer_load_dword v96, off, s[0:3], 0 offset:260
	;; [unrolled: 1-line block ×22, first 2 shown]
	ds_read_b128 v[87:90], v86 offset:592
	ds_read_b128 v[91:94], v86 offset:608
	s_mov_b32 s4, exec_lo
	s_waitcnt vmcnt(20) lgkmcnt(1)
	v_fma_f64 v[87:88], v[95:96], v[87:88], 0
	s_waitcnt vmcnt(18)
	v_fma_f64 v[87:88], v[97:98], v[89:90], v[87:88]
	s_waitcnt vmcnt(16) lgkmcnt(0)
	v_fma_f64 v[87:88], v[99:100], v[91:92], v[87:88]
	s_waitcnt vmcnt(14)
	v_fma_f64 v[95:96], v[101:102], v[93:94], v[87:88]
	ds_read_b128 v[87:90], v86 offset:624
	ds_read_b128 v[91:94], v86 offset:640
	s_waitcnt vmcnt(12) lgkmcnt(1)
	v_fma_f64 v[87:88], v[103:104], v[87:88], v[95:96]
	s_waitcnt vmcnt(10)
	v_fma_f64 v[87:88], v[105:106], v[89:90], v[87:88]
	s_waitcnt vmcnt(8) lgkmcnt(0)
	v_fma_f64 v[87:88], v[107:108], v[91:92], v[87:88]
	s_waitcnt vmcnt(4)
	v_fma_f64 v[90:91], v[109:110], v[93:94], v[87:88]
	ds_read_b128 v[86:89], v86 offset:656
	s_waitcnt vmcnt(3) lgkmcnt(0)
	v_fma_f64 v[86:87], v[113:114], v[86:87], v[90:91]
	s_waitcnt vmcnt(2)
	v_fma_f64 v[86:87], v[111:112], v[88:89], v[86:87]
	s_waitcnt vmcnt(0)
	v_add_f64 v[86:87], v[115:116], -v[86:87]
	buffer_store_dword v86, off, s[0:3], 0 offset:248
	buffer_store_dword v87, off, s[0:3], 0 offset:252
	v_cmpx_lt_u32_e32 30, v0
	s_cbranch_execz .LBB41_201
; %bb.200:
	s_clause 0x1
	buffer_load_dword v86, off, s[0:3], 0 offset:240
	buffer_load_dword v87, off, s[0:3], 0 offset:244
	v_mov_b32_e32 v88, 0
	buffer_store_dword v88, off, s[0:3], 0 offset:240
	buffer_store_dword v88, off, s[0:3], 0 offset:244
	s_waitcnt vmcnt(0)
	ds_write_b64 v85, v[86:87]
.LBB41_201:
	s_or_b32 exec_lo, exec_lo, s4
	s_waitcnt lgkmcnt(0)
	s_waitcnt_vscnt null, 0x0
	s_barrier
	buffer_gl0_inv
	s_clause 0x17
	buffer_load_dword v95, off, s[0:3], 0 offset:248
	buffer_load_dword v96, off, s[0:3], 0 offset:252
	;; [unrolled: 1-line block ×24, first 2 shown]
	v_mov_b32_e32 v86, 0
	ds_read2_b64 v[87:90], v86 offset0:73 offset1:74
	ds_read2_b64 v[91:94], v86 offset0:75 offset1:76
	s_mov_b32 s4, exec_lo
	s_waitcnt vmcnt(22) lgkmcnt(1)
	v_fma_f64 v[87:88], v[95:96], v[87:88], 0
	s_waitcnt vmcnt(20)
	v_fma_f64 v[87:88], v[97:98], v[89:90], v[87:88]
	s_waitcnt vmcnt(18) lgkmcnt(0)
	v_fma_f64 v[87:88], v[99:100], v[91:92], v[87:88]
	s_waitcnt vmcnt(16)
	v_fma_f64 v[95:96], v[101:102], v[93:94], v[87:88]
	ds_read2_b64 v[87:90], v86 offset0:77 offset1:78
	ds_read2_b64 v[91:94], v86 offset0:79 offset1:80
	s_waitcnt vmcnt(14) lgkmcnt(1)
	v_fma_f64 v[87:88], v[103:104], v[87:88], v[95:96]
	s_waitcnt vmcnt(12)
	v_fma_f64 v[87:88], v[105:106], v[89:90], v[87:88]
	s_waitcnt vmcnt(10) lgkmcnt(0)
	v_fma_f64 v[87:88], v[107:108], v[91:92], v[87:88]
	s_waitcnt vmcnt(5)
	v_fma_f64 v[91:92], v[109:110], v[93:94], v[87:88]
	ds_read2_b64 v[87:90], v86 offset0:81 offset1:82
	ds_read_b64 v[93:94], v86 offset:664
	s_waitcnt vmcnt(4) lgkmcnt(1)
	v_fma_f64 v[87:88], v[115:116], v[87:88], v[91:92]
	s_waitcnt vmcnt(3)
	v_fma_f64 v[87:88], v[113:114], v[89:90], v[87:88]
	s_waitcnt vmcnt(2) lgkmcnt(0)
	v_fma_f64 v[87:88], v[111:112], v[93:94], v[87:88]
	s_waitcnt vmcnt(0)
	v_add_f64 v[87:88], v[117:118], -v[87:88]
	buffer_store_dword v88, off, s[0:3], 0 offset:244
	buffer_store_dword v87, off, s[0:3], 0 offset:240
	v_cmpx_lt_u32_e32 29, v0
	s_cbranch_execz .LBB41_203
; %bb.202:
	s_clause 0x1
	buffer_load_dword v87, off, s[0:3], 0 offset:232
	buffer_load_dword v88, off, s[0:3], 0 offset:236
	buffer_store_dword v86, off, s[0:3], 0 offset:232
	buffer_store_dword v86, off, s[0:3], 0 offset:236
	s_waitcnt vmcnt(0)
	ds_write_b64 v85, v[87:88]
.LBB41_203:
	s_or_b32 exec_lo, exec_lo, s4
	s_waitcnt lgkmcnt(0)
	s_waitcnt_vscnt null, 0x0
	s_barrier
	buffer_gl0_inv
	s_clause 0x19
	buffer_load_dword v95, off, s[0:3], 0 offset:240
	buffer_load_dword v96, off, s[0:3], 0 offset:244
	;; [unrolled: 1-line block ×26, first 2 shown]
	ds_read_b128 v[87:90], v86 offset:576
	ds_read_b128 v[91:94], v86 offset:592
	s_mov_b32 s4, exec_lo
	s_waitcnt vmcnt(24) lgkmcnt(1)
	v_fma_f64 v[87:88], v[95:96], v[87:88], 0
	s_waitcnt vmcnt(22)
	v_fma_f64 v[87:88], v[97:98], v[89:90], v[87:88]
	s_waitcnt vmcnt(20) lgkmcnt(0)
	v_fma_f64 v[87:88], v[99:100], v[91:92], v[87:88]
	s_waitcnt vmcnt(18)
	v_fma_f64 v[95:96], v[101:102], v[93:94], v[87:88]
	ds_read_b128 v[87:90], v86 offset:608
	ds_read_b128 v[91:94], v86 offset:624
	s_waitcnt vmcnt(16) lgkmcnt(1)
	v_fma_f64 v[87:88], v[103:104], v[87:88], v[95:96]
	s_waitcnt vmcnt(14)
	v_fma_f64 v[87:88], v[105:106], v[89:90], v[87:88]
	s_waitcnt vmcnt(12) lgkmcnt(0)
	v_fma_f64 v[87:88], v[107:108], v[91:92], v[87:88]
	s_waitcnt vmcnt(7)
	v_fma_f64 v[95:96], v[109:110], v[93:94], v[87:88]
	ds_read_b128 v[87:90], v86 offset:640
	ds_read_b128 v[91:94], v86 offset:656
	s_waitcnt vmcnt(6) lgkmcnt(1)
	v_fma_f64 v[86:87], v[115:116], v[87:88], v[95:96]
	s_waitcnt vmcnt(5)
	v_fma_f64 v[86:87], v[113:114], v[89:90], v[86:87]
	s_waitcnt vmcnt(4) lgkmcnt(0)
	v_fma_f64 v[86:87], v[111:112], v[91:92], v[86:87]
	s_waitcnt vmcnt(2)
	v_fma_f64 v[86:87], v[117:118], v[93:94], v[86:87]
	s_waitcnt vmcnt(0)
	v_add_f64 v[86:87], v[119:120], -v[86:87]
	buffer_store_dword v87, off, s[0:3], 0 offset:236
	buffer_store_dword v86, off, s[0:3], 0 offset:232
	v_cmpx_lt_u32_e32 28, v0
	s_cbranch_execz .LBB41_205
; %bb.204:
	s_clause 0x1
	buffer_load_dword v86, off, s[0:3], 0 offset:224
	buffer_load_dword v87, off, s[0:3], 0 offset:228
	v_mov_b32_e32 v88, 0
	buffer_store_dword v88, off, s[0:3], 0 offset:224
	buffer_store_dword v88, off, s[0:3], 0 offset:228
	s_waitcnt vmcnt(0)
	ds_write_b64 v85, v[86:87]
.LBB41_205:
	s_or_b32 exec_lo, exec_lo, s4
	s_waitcnt lgkmcnt(0)
	s_waitcnt_vscnt null, 0x0
	s_barrier
	buffer_gl0_inv
	s_clause 0x1b
	buffer_load_dword v95, off, s[0:3], 0 offset:232
	buffer_load_dword v96, off, s[0:3], 0 offset:236
	;; [unrolled: 1-line block ×28, first 2 shown]
	v_mov_b32_e32 v86, 0
	ds_read2_b64 v[87:90], v86 offset0:71 offset1:72
	ds_read2_b64 v[91:94], v86 offset0:73 offset1:74
	s_mov_b32 s4, exec_lo
	s_waitcnt vmcnt(26) lgkmcnt(1)
	v_fma_f64 v[87:88], v[95:96], v[87:88], 0
	s_waitcnt vmcnt(24)
	v_fma_f64 v[87:88], v[97:98], v[89:90], v[87:88]
	s_waitcnt vmcnt(22) lgkmcnt(0)
	v_fma_f64 v[87:88], v[99:100], v[91:92], v[87:88]
	s_waitcnt vmcnt(20)
	v_fma_f64 v[95:96], v[101:102], v[93:94], v[87:88]
	ds_read2_b64 v[87:90], v86 offset0:75 offset1:76
	ds_read2_b64 v[91:94], v86 offset0:77 offset1:78
	s_waitcnt vmcnt(18) lgkmcnt(1)
	v_fma_f64 v[87:88], v[103:104], v[87:88], v[95:96]
	s_waitcnt vmcnt(16)
	v_fma_f64 v[87:88], v[105:106], v[89:90], v[87:88]
	s_waitcnt vmcnt(14) lgkmcnt(0)
	v_fma_f64 v[87:88], v[107:108], v[91:92], v[87:88]
	s_waitcnt vmcnt(9)
	v_fma_f64 v[95:96], v[109:110], v[93:94], v[87:88]
	ds_read2_b64 v[87:90], v86 offset0:79 offset1:80
	ds_read2_b64 v[91:94], v86 offset0:81 offset1:82
	s_waitcnt vmcnt(8) lgkmcnt(1)
	v_fma_f64 v[87:88], v[115:116], v[87:88], v[95:96]
	s_waitcnt vmcnt(7)
	v_fma_f64 v[87:88], v[113:114], v[89:90], v[87:88]
	ds_read_b64 v[89:90], v86 offset:664
	s_waitcnt vmcnt(6) lgkmcnt(1)
	v_fma_f64 v[87:88], v[111:112], v[91:92], v[87:88]
	s_waitcnt vmcnt(3)
	v_fma_f64 v[87:88], v[117:118], v[93:94], v[87:88]
	s_waitcnt vmcnt(2) lgkmcnt(0)
	v_fma_f64 v[87:88], v[119:120], v[89:90], v[87:88]
	s_waitcnt vmcnt(0)
	v_add_f64 v[87:88], v[121:122], -v[87:88]
	buffer_store_dword v88, off, s[0:3], 0 offset:228
	buffer_store_dword v87, off, s[0:3], 0 offset:224
	v_cmpx_lt_u32_e32 27, v0
	s_cbranch_execz .LBB41_207
; %bb.206:
	s_clause 0x1
	buffer_load_dword v87, off, s[0:3], 0 offset:216
	buffer_load_dword v88, off, s[0:3], 0 offset:220
	buffer_store_dword v86, off, s[0:3], 0 offset:216
	buffer_store_dword v86, off, s[0:3], 0 offset:220
	s_waitcnt vmcnt(0)
	ds_write_b64 v85, v[87:88]
.LBB41_207:
	s_or_b32 exec_lo, exec_lo, s4
	s_waitcnt lgkmcnt(0)
	s_waitcnt_vscnt null, 0x0
	s_barrier
	buffer_gl0_inv
	s_clause 0x1b
	buffer_load_dword v95, off, s[0:3], 0 offset:224
	buffer_load_dword v96, off, s[0:3], 0 offset:228
	buffer_load_dword v97, off, s[0:3], 0 offset:232
	buffer_load_dword v98, off, s[0:3], 0 offset:236
	buffer_load_dword v99, off, s[0:3], 0 offset:240
	buffer_load_dword v100, off, s[0:3], 0 offset:244
	buffer_load_dword v101, off, s[0:3], 0 offset:248
	buffer_load_dword v102, off, s[0:3], 0 offset:252
	buffer_load_dword v103, off, s[0:3], 0 offset:256
	buffer_load_dword v104, off, s[0:3], 0 offset:260
	buffer_load_dword v105, off, s[0:3], 0 offset:264
	buffer_load_dword v106, off, s[0:3], 0 offset:268
	buffer_load_dword v107, off, s[0:3], 0 offset:272
	buffer_load_dword v108, off, s[0:3], 0 offset:276
	buffer_load_dword v110, off, s[0:3], 0 offset:284
	buffer_load_dword v111, off, s[0:3], 0 offset:304
	buffer_load_dword v113, off, s[0:3], 0 offset:296
	buffer_load_dword v115, off, s[0:3], 0 offset:288
	buffer_load_dword v109, off, s[0:3], 0 offset:280
	buffer_load_dword v116, off, s[0:3], 0 offset:292
	buffer_load_dword v114, off, s[0:3], 0 offset:300
	buffer_load_dword v112, off, s[0:3], 0 offset:308
	buffer_load_dword v118, off, s[0:3], 0 offset:316
	buffer_load_dword v119, off, s[0:3], 0 offset:328
	buffer_load_dword v121, off, s[0:3], 0 offset:320
	buffer_load_dword v117, off, s[0:3], 0 offset:312
	buffer_load_dword v122, off, s[0:3], 0 offset:324
	buffer_load_dword v120, off, s[0:3], 0 offset:332
	ds_read_b128 v[87:90], v86 offset:560
	s_clause 0x1
	buffer_load_dword v123, off, s[0:3], 0 offset:216
	buffer_load_dword v124, off, s[0:3], 0 offset:220
	ds_read_b128 v[91:94], v86 offset:576
	s_mov_b32 s4, exec_lo
	s_waitcnt vmcnt(28) lgkmcnt(1)
	v_fma_f64 v[87:88], v[95:96], v[87:88], 0
	s_waitcnt vmcnt(26)
	v_fma_f64 v[87:88], v[97:98], v[89:90], v[87:88]
	s_waitcnt vmcnt(24) lgkmcnt(0)
	v_fma_f64 v[87:88], v[99:100], v[91:92], v[87:88]
	s_waitcnt vmcnt(22)
	v_fma_f64 v[95:96], v[101:102], v[93:94], v[87:88]
	ds_read_b128 v[87:90], v86 offset:592
	ds_read_b128 v[91:94], v86 offset:608
	s_waitcnt vmcnt(20) lgkmcnt(1)
	v_fma_f64 v[87:88], v[103:104], v[87:88], v[95:96]
	s_waitcnt vmcnt(18)
	v_fma_f64 v[87:88], v[105:106], v[89:90], v[87:88]
	s_waitcnt vmcnt(16) lgkmcnt(0)
	v_fma_f64 v[87:88], v[107:108], v[91:92], v[87:88]
	s_waitcnt vmcnt(11)
	v_fma_f64 v[95:96], v[109:110], v[93:94], v[87:88]
	ds_read_b128 v[87:90], v86 offset:624
	ds_read_b128 v[91:94], v86 offset:640
	s_waitcnt vmcnt(10) lgkmcnt(1)
	v_fma_f64 v[87:88], v[115:116], v[87:88], v[95:96]
	s_waitcnt vmcnt(9)
	v_fma_f64 v[87:88], v[113:114], v[89:90], v[87:88]
	s_waitcnt vmcnt(8) lgkmcnt(0)
	v_fma_f64 v[87:88], v[111:112], v[91:92], v[87:88]
	s_waitcnt vmcnt(4)
	v_fma_f64 v[90:91], v[117:118], v[93:94], v[87:88]
	ds_read_b128 v[86:89], v86 offset:656
	s_waitcnt vmcnt(3) lgkmcnt(0)
	v_fma_f64 v[86:87], v[121:122], v[86:87], v[90:91]
	s_waitcnt vmcnt(2)
	v_fma_f64 v[86:87], v[119:120], v[88:89], v[86:87]
	s_waitcnt vmcnt(0)
	v_add_f64 v[86:87], v[123:124], -v[86:87]
	buffer_store_dword v87, off, s[0:3], 0 offset:220
	buffer_store_dword v86, off, s[0:3], 0 offset:216
	v_cmpx_lt_u32_e32 26, v0
	s_cbranch_execz .LBB41_209
; %bb.208:
	s_clause 0x1
	buffer_load_dword v86, off, s[0:3], 0 offset:208
	buffer_load_dword v87, off, s[0:3], 0 offset:212
	v_mov_b32_e32 v88, 0
	buffer_store_dword v88, off, s[0:3], 0 offset:208
	buffer_store_dword v88, off, s[0:3], 0 offset:212
	s_waitcnt vmcnt(0)
	ds_write_b64 v85, v[86:87]
.LBB41_209:
	s_or_b32 exec_lo, exec_lo, s4
	s_waitcnt lgkmcnt(0)
	s_waitcnt_vscnt null, 0x0
	s_barrier
	buffer_gl0_inv
	s_clause 0x1c
	buffer_load_dword v95, off, s[0:3], 0 offset:216
	buffer_load_dword v96, off, s[0:3], 0 offset:220
	;; [unrolled: 1-line block ×29, first 2 shown]
	v_mov_b32_e32 v86, 0
	buffer_load_dword v120, off, s[0:3], 0 offset:332
	s_mov_b32 s4, exec_lo
	ds_read2_b64 v[87:90], v86 offset0:69 offset1:70
	ds_read2_b64 v[91:94], v86 offset0:71 offset1:72
	s_waitcnt vmcnt(28) lgkmcnt(1)
	v_fma_f64 v[87:88], v[95:96], v[87:88], 0
	s_clause 0x1
	buffer_load_dword v95, off, s[0:3], 0 offset:208
	buffer_load_dword v96, off, s[0:3], 0 offset:212
	s_waitcnt vmcnt(28)
	v_fma_f64 v[87:88], v[97:98], v[89:90], v[87:88]
	s_waitcnt vmcnt(26) lgkmcnt(0)
	v_fma_f64 v[87:88], v[99:100], v[91:92], v[87:88]
	s_waitcnt vmcnt(24)
	v_fma_f64 v[97:98], v[101:102], v[93:94], v[87:88]
	ds_read2_b64 v[87:90], v86 offset0:73 offset1:74
	ds_read2_b64 v[91:94], v86 offset0:75 offset1:76
	s_waitcnt vmcnt(22) lgkmcnt(1)
	v_fma_f64 v[87:88], v[103:104], v[87:88], v[97:98]
	s_waitcnt vmcnt(20)
	v_fma_f64 v[87:88], v[105:106], v[89:90], v[87:88]
	s_waitcnt vmcnt(18) lgkmcnt(0)
	v_fma_f64 v[87:88], v[107:108], v[91:92], v[87:88]
	s_waitcnt vmcnt(13)
	v_fma_f64 v[97:98], v[109:110], v[93:94], v[87:88]
	ds_read2_b64 v[87:90], v86 offset0:77 offset1:78
	ds_read2_b64 v[91:94], v86 offset0:79 offset1:80
	s_waitcnt vmcnt(12) lgkmcnt(1)
	v_fma_f64 v[87:88], v[115:116], v[87:88], v[97:98]
	s_waitcnt vmcnt(11)
	v_fma_f64 v[87:88], v[113:114], v[89:90], v[87:88]
	s_waitcnt vmcnt(10) lgkmcnt(0)
	v_fma_f64 v[87:88], v[111:112], v[91:92], v[87:88]
	s_waitcnt vmcnt(5)
	v_fma_f64 v[91:92], v[117:118], v[93:94], v[87:88]
	ds_read2_b64 v[87:90], v86 offset0:81 offset1:82
	ds_read_b64 v[93:94], v86 offset:664
	s_waitcnt vmcnt(4) lgkmcnt(1)
	v_fma_f64 v[87:88], v[123:124], v[87:88], v[91:92]
	s_waitcnt vmcnt(3)
	v_fma_f64 v[87:88], v[121:122], v[89:90], v[87:88]
	s_waitcnt vmcnt(2) lgkmcnt(0)
	v_fma_f64 v[87:88], v[119:120], v[93:94], v[87:88]
	s_waitcnt vmcnt(0)
	v_add_f64 v[87:88], v[95:96], -v[87:88]
	buffer_store_dword v88, off, s[0:3], 0 offset:212
	buffer_store_dword v87, off, s[0:3], 0 offset:208
	v_cmpx_lt_u32_e32 25, v0
	s_cbranch_execz .LBB41_211
; %bb.210:
	s_clause 0x1
	buffer_load_dword v87, off, s[0:3], 0 offset:200
	buffer_load_dword v88, off, s[0:3], 0 offset:204
	buffer_store_dword v86, off, s[0:3], 0 offset:200
	buffer_store_dword v86, off, s[0:3], 0 offset:204
	s_waitcnt vmcnt(0)
	ds_write_b64 v85, v[87:88]
.LBB41_211:
	s_or_b32 exec_lo, exec_lo, s4
	s_waitcnt lgkmcnt(0)
	s_waitcnt_vscnt null, 0x0
	s_barrier
	buffer_gl0_inv
	s_clause 0x1c
	buffer_load_dword v95, off, s[0:3], 0 offset:208
	buffer_load_dword v96, off, s[0:3], 0 offset:212
	;; [unrolled: 1-line block ×29, first 2 shown]
	ds_read_b128 v[87:90], v86 offset:544
	ds_read_b128 v[91:94], v86 offset:560
	buffer_load_dword v120, off, s[0:3], 0 offset:324
	s_mov_b32 s4, exec_lo
	s_waitcnt vmcnt(28) lgkmcnt(1)
	v_fma_f64 v[87:88], v[95:96], v[87:88], 0
	s_clause 0x1
	buffer_load_dword v96, off, s[0:3], 0 offset:332
	buffer_load_dword v95, off, s[0:3], 0 offset:328
	s_waitcnt vmcnt(28)
	v_fma_f64 v[87:88], v[97:98], v[89:90], v[87:88]
	s_clause 0x1
	buffer_load_dword v97, off, s[0:3], 0 offset:200
	buffer_load_dword v98, off, s[0:3], 0 offset:204
	s_waitcnt vmcnt(28) lgkmcnt(0)
	v_fma_f64 v[87:88], v[99:100], v[91:92], v[87:88]
	s_waitcnt vmcnt(26)
	v_fma_f64 v[99:100], v[101:102], v[93:94], v[87:88]
	ds_read_b128 v[87:90], v86 offset:576
	ds_read_b128 v[91:94], v86 offset:592
	s_waitcnt vmcnt(24) lgkmcnt(1)
	v_fma_f64 v[87:88], v[103:104], v[87:88], v[99:100]
	s_waitcnt vmcnt(22)
	v_fma_f64 v[87:88], v[105:106], v[89:90], v[87:88]
	s_waitcnt vmcnt(20) lgkmcnt(0)
	v_fma_f64 v[87:88], v[107:108], v[91:92], v[87:88]
	s_waitcnt vmcnt(15)
	v_fma_f64 v[99:100], v[109:110], v[93:94], v[87:88]
	ds_read_b128 v[87:90], v86 offset:608
	ds_read_b128 v[91:94], v86 offset:624
	s_waitcnt vmcnt(14) lgkmcnt(1)
	v_fma_f64 v[87:88], v[115:116], v[87:88], v[99:100]
	s_waitcnt vmcnt(13)
	v_fma_f64 v[87:88], v[113:114], v[89:90], v[87:88]
	;; [unrolled: 10-line block ×3, first 2 shown]
	s_waitcnt vmcnt(4) lgkmcnt(0)
	v_fma_f64 v[86:87], v[119:120], v[91:92], v[86:87]
	s_waitcnt vmcnt(2)
	v_fma_f64 v[86:87], v[95:96], v[93:94], v[86:87]
	s_waitcnt vmcnt(0)
	v_add_f64 v[86:87], v[97:98], -v[86:87]
	buffer_store_dword v87, off, s[0:3], 0 offset:204
	buffer_store_dword v86, off, s[0:3], 0 offset:200
	v_cmpx_lt_u32_e32 24, v0
	s_cbranch_execz .LBB41_213
; %bb.212:
	s_clause 0x1
	buffer_load_dword v86, off, s[0:3], 0 offset:192
	buffer_load_dword v87, off, s[0:3], 0 offset:196
	v_mov_b32_e32 v88, 0
	buffer_store_dword v88, off, s[0:3], 0 offset:192
	buffer_store_dword v88, off, s[0:3], 0 offset:196
	s_waitcnt vmcnt(0)
	ds_write_b64 v85, v[86:87]
.LBB41_213:
	s_or_b32 exec_lo, exec_lo, s4
	s_waitcnt lgkmcnt(0)
	s_waitcnt_vscnt null, 0x0
	s_barrier
	buffer_gl0_inv
	s_clause 0x1c
	buffer_load_dword v95, off, s[0:3], 0 offset:200
	buffer_load_dword v96, off, s[0:3], 0 offset:204
	;; [unrolled: 1-line block ×29, first 2 shown]
	v_mov_b32_e32 v86, 0
	buffer_load_dword v120, off, s[0:3], 0 offset:316
	s_mov_b32 s4, exec_lo
	ds_read2_b64 v[87:90], v86 offset0:67 offset1:68
	ds_read2_b64 v[91:94], v86 offset0:69 offset1:70
	s_waitcnt vmcnt(28) lgkmcnt(1)
	v_fma_f64 v[87:88], v[95:96], v[87:88], 0
	s_clause 0x3
	buffer_load_dword v96, off, s[0:3], 0 offset:324
	buffer_load_dword v125, off, s[0:3], 0 offset:328
	;; [unrolled: 1-line block ×4, first 2 shown]
	s_waitcnt vmcnt(30)
	v_fma_f64 v[87:88], v[97:98], v[89:90], v[87:88]
	s_clause 0x1
	buffer_load_dword v97, off, s[0:3], 0 offset:192
	buffer_load_dword v98, off, s[0:3], 0 offset:196
	s_waitcnt vmcnt(30) lgkmcnt(0)
	v_fma_f64 v[87:88], v[99:100], v[91:92], v[87:88]
	s_waitcnt vmcnt(28)
	v_fma_f64 v[99:100], v[101:102], v[93:94], v[87:88]
	ds_read2_b64 v[87:90], v86 offset0:71 offset1:72
	ds_read2_b64 v[91:94], v86 offset0:73 offset1:74
	s_waitcnt vmcnt(26) lgkmcnt(1)
	v_fma_f64 v[87:88], v[103:104], v[87:88], v[99:100]
	s_waitcnt vmcnt(24)
	v_fma_f64 v[87:88], v[105:106], v[89:90], v[87:88]
	s_waitcnt vmcnt(22) lgkmcnt(0)
	v_fma_f64 v[87:88], v[107:108], v[91:92], v[87:88]
	s_waitcnt vmcnt(17)
	v_fma_f64 v[99:100], v[109:110], v[93:94], v[87:88]
	ds_read2_b64 v[87:90], v86 offset0:75 offset1:76
	ds_read2_b64 v[91:94], v86 offset0:77 offset1:78
	s_waitcnt vmcnt(16) lgkmcnt(1)
	v_fma_f64 v[87:88], v[115:116], v[87:88], v[99:100]
	s_waitcnt vmcnt(15)
	v_fma_f64 v[87:88], v[113:114], v[89:90], v[87:88]
	;; [unrolled: 10-line block ×3, first 2 shown]
	ds_read_b64 v[89:90], v86 offset:664
	s_waitcnt vmcnt(6) lgkmcnt(1)
	v_fma_f64 v[87:88], v[119:120], v[91:92], v[87:88]
	s_waitcnt vmcnt(3)
	v_fma_f64 v[87:88], v[95:96], v[93:94], v[87:88]
	s_waitcnt vmcnt(2) lgkmcnt(0)
	v_fma_f64 v[87:88], v[125:126], v[89:90], v[87:88]
	s_waitcnt vmcnt(0)
	v_add_f64 v[87:88], v[97:98], -v[87:88]
	buffer_store_dword v88, off, s[0:3], 0 offset:196
	buffer_store_dword v87, off, s[0:3], 0 offset:192
	v_cmpx_lt_u32_e32 23, v0
	s_cbranch_execz .LBB41_215
; %bb.214:
	s_clause 0x1
	buffer_load_dword v87, off, s[0:3], 0 offset:184
	buffer_load_dword v88, off, s[0:3], 0 offset:188
	buffer_store_dword v86, off, s[0:3], 0 offset:184
	buffer_store_dword v86, off, s[0:3], 0 offset:188
	s_waitcnt vmcnt(0)
	ds_write_b64 v85, v[87:88]
.LBB41_215:
	s_or_b32 exec_lo, exec_lo, s4
	s_waitcnt lgkmcnt(0)
	s_waitcnt_vscnt null, 0x0
	s_barrier
	buffer_gl0_inv
	s_clause 0x1b
	buffer_load_dword v91, off, s[0:3], 0 offset:192
	buffer_load_dword v92, off, s[0:3], 0 offset:196
	;; [unrolled: 1-line block ×28, first 2 shown]
	ds_read_b128 v[87:90], v86 offset:528
	s_clause 0x1
	buffer_load_dword v119, off, s[0:3], 0 offset:304
	buffer_load_dword v120, off, s[0:3], 0 offset:308
	s_mov_b32 s4, exec_lo
	s_waitcnt vmcnt(28) lgkmcnt(0)
	v_fma_f64 v[87:88], v[91:92], v[87:88], 0
	s_clause 0x1
	buffer_load_dword v92, off, s[0:3], 0 offset:316
	buffer_load_dword v91, off, s[0:3], 0 offset:312
	s_waitcnt vmcnt(28)
	v_fma_f64 v[93:94], v[93:94], v[89:90], v[87:88]
	ds_read_b128 v[87:90], v86 offset:544
	s_clause 0x1
	buffer_load_dword v121, off, s[0:3], 0 offset:320
	buffer_load_dword v122, off, s[0:3], 0 offset:324
	s_waitcnt vmcnt(28) lgkmcnt(0)
	v_fma_f64 v[87:88], v[95:96], v[87:88], v[93:94]
	s_clause 0x1
	buffer_load_dword v93, off, s[0:3], 0 offset:328
	buffer_load_dword v94, off, s[0:3], 0 offset:332
	s_waitcnt vmcnt(28)
	v_fma_f64 v[95:96], v[97:98], v[89:90], v[87:88]
	ds_read_b128 v[87:90], v86 offset:560
	s_clause 0x1
	buffer_load_dword v97, off, s[0:3], 0 offset:184
	buffer_load_dword v98, off, s[0:3], 0 offset:188
	s_waitcnt vmcnt(28) lgkmcnt(0)
	v_fma_f64 v[87:88], v[99:100], v[87:88], v[95:96]
	s_waitcnt vmcnt(26)
	v_fma_f64 v[95:96], v[101:102], v[89:90], v[87:88]
	ds_read_b128 v[87:90], v86 offset:576
	s_waitcnt vmcnt(24) lgkmcnt(0)
	v_fma_f64 v[87:88], v[103:104], v[87:88], v[95:96]
	s_waitcnt vmcnt(22)
	v_fma_f64 v[95:96], v[105:106], v[89:90], v[87:88]
	ds_read_b128 v[87:90], v86 offset:592
	;; [unrolled: 5-line block ×6, first 2 shown]
	s_waitcnt vmcnt(4) lgkmcnt(0)
	v_fma_f64 v[86:87], v[121:122], v[86:87], v[90:91]
	s_waitcnt vmcnt(2)
	v_fma_f64 v[86:87], v[93:94], v[88:89], v[86:87]
	s_waitcnt vmcnt(0)
	v_add_f64 v[86:87], v[97:98], -v[86:87]
	buffer_store_dword v87, off, s[0:3], 0 offset:188
	buffer_store_dword v86, off, s[0:3], 0 offset:184
	v_cmpx_lt_u32_e32 22, v0
	s_cbranch_execz .LBB41_217
; %bb.216:
	s_clause 0x1
	buffer_load_dword v86, off, s[0:3], 0 offset:176
	buffer_load_dword v87, off, s[0:3], 0 offset:180
	v_mov_b32_e32 v88, 0
	buffer_store_dword v88, off, s[0:3], 0 offset:176
	buffer_store_dword v88, off, s[0:3], 0 offset:180
	s_waitcnt vmcnt(0)
	ds_write_b64 v85, v[86:87]
.LBB41_217:
	s_or_b32 exec_lo, exec_lo, s4
	s_waitcnt lgkmcnt(0)
	s_waitcnt_vscnt null, 0x0
	s_barrier
	buffer_gl0_inv
	s_clause 0x1b
	buffer_load_dword v91, off, s[0:3], 0 offset:184
	buffer_load_dword v92, off, s[0:3], 0 offset:188
	;; [unrolled: 1-line block ×28, first 2 shown]
	v_mov_b32_e32 v86, 0
	s_mov_b32 s4, exec_lo
	ds_read2_b64 v[87:90], v86 offset0:65 offset1:66
	s_clause 0x1
	buffer_load_dword v119, off, s[0:3], 0 offset:296
	buffer_load_dword v120, off, s[0:3], 0 offset:300
	s_waitcnt vmcnt(28) lgkmcnt(0)
	v_fma_f64 v[87:88], v[91:92], v[87:88], 0
	s_clause 0x1
	buffer_load_dword v92, off, s[0:3], 0 offset:308
	buffer_load_dword v91, off, s[0:3], 0 offset:304
	s_waitcnt vmcnt(28)
	v_fma_f64 v[93:94], v[93:94], v[89:90], v[87:88]
	ds_read2_b64 v[87:90], v86 offset0:67 offset1:68
	s_clause 0x1
	buffer_load_dword v121, off, s[0:3], 0 offset:312
	buffer_load_dword v122, off, s[0:3], 0 offset:316
	s_waitcnt vmcnt(28) lgkmcnt(0)
	v_fma_f64 v[87:88], v[95:96], v[87:88], v[93:94]
	s_clause 0x1
	buffer_load_dword v93, off, s[0:3], 0 offset:320
	buffer_load_dword v94, off, s[0:3], 0 offset:324
	s_waitcnt vmcnt(28)
	v_fma_f64 v[95:96], v[97:98], v[89:90], v[87:88]
	;; [unrolled: 11-line block ×3, first 2 shown]
	ds_read2_b64 v[87:90], v86 offset0:71 offset1:72
	s_waitcnt vmcnt(26) lgkmcnt(0)
	v_fma_f64 v[87:88], v[103:104], v[87:88], v[99:100]
	s_waitcnt vmcnt(24)
	v_fma_f64 v[99:100], v[105:106], v[89:90], v[87:88]
	ds_read2_b64 v[87:90], v86 offset0:73 offset1:74
	s_waitcnt vmcnt(22) lgkmcnt(0)
	v_fma_f64 v[87:88], v[107:108], v[87:88], v[99:100]
	s_waitcnt vmcnt(20)
	v_fma_f64 v[99:100], v[109:110], v[89:90], v[87:88]
	;; [unrolled: 5-line block ×6, first 2 shown]
	ds_read_b64 v[89:90], v86 offset:664
	s_waitcnt vmcnt(2) lgkmcnt(0)
	v_fma_f64 v[87:88], v[97:98], v[89:90], v[87:88]
	s_waitcnt vmcnt(0)
	v_add_f64 v[87:88], v[95:96], -v[87:88]
	buffer_store_dword v88, off, s[0:3], 0 offset:180
	buffer_store_dword v87, off, s[0:3], 0 offset:176
	v_cmpx_lt_u32_e32 21, v0
	s_cbranch_execz .LBB41_219
; %bb.218:
	s_clause 0x1
	buffer_load_dword v87, off, s[0:3], 0 offset:168
	buffer_load_dword v88, off, s[0:3], 0 offset:172
	buffer_store_dword v86, off, s[0:3], 0 offset:168
	buffer_store_dword v86, off, s[0:3], 0 offset:172
	s_waitcnt vmcnt(0)
	ds_write_b64 v85, v[87:88]
.LBB41_219:
	s_or_b32 exec_lo, exec_lo, s4
	s_waitcnt lgkmcnt(0)
	s_waitcnt_vscnt null, 0x0
	s_barrier
	buffer_gl0_inv
	s_clause 0x1b
	buffer_load_dword v91, off, s[0:3], 0 offset:176
	buffer_load_dword v92, off, s[0:3], 0 offset:180
	;; [unrolled: 1-line block ×28, first 2 shown]
	ds_read_b128 v[87:90], v86 offset:512
	s_clause 0x1
	buffer_load_dword v119, off, s[0:3], 0 offset:288
	buffer_load_dword v120, off, s[0:3], 0 offset:292
	s_mov_b32 s4, exec_lo
	s_waitcnt vmcnt(28) lgkmcnt(0)
	v_fma_f64 v[87:88], v[91:92], v[87:88], 0
	s_clause 0x1
	buffer_load_dword v92, off, s[0:3], 0 offset:300
	buffer_load_dword v91, off, s[0:3], 0 offset:296
	s_waitcnt vmcnt(28)
	v_fma_f64 v[93:94], v[93:94], v[89:90], v[87:88]
	ds_read_b128 v[87:90], v86 offset:528
	s_clause 0x1
	buffer_load_dword v121, off, s[0:3], 0 offset:304
	buffer_load_dword v122, off, s[0:3], 0 offset:308
	s_waitcnt vmcnt(28) lgkmcnt(0)
	v_fma_f64 v[87:88], v[95:96], v[87:88], v[93:94]
	s_clause 0x1
	buffer_load_dword v93, off, s[0:3], 0 offset:312
	buffer_load_dword v94, off, s[0:3], 0 offset:316
	s_waitcnt vmcnt(28)
	v_fma_f64 v[95:96], v[97:98], v[89:90], v[87:88]
	ds_read_b128 v[87:90], v86 offset:544
	s_clause 0x1
	buffer_load_dword v97, off, s[0:3], 0 offset:320
	buffer_load_dword v98, off, s[0:3], 0 offset:324
	s_waitcnt vmcnt(28) lgkmcnt(0)
	v_fma_f64 v[87:88], v[99:100], v[87:88], v[95:96]
	s_clause 0x1
	buffer_load_dword v96, off, s[0:3], 0 offset:332
	buffer_load_dword v95, off, s[0:3], 0 offset:328
	s_waitcnt vmcnt(28)
	v_fma_f64 v[99:100], v[101:102], v[89:90], v[87:88]
	ds_read_b128 v[87:90], v86 offset:560
	s_clause 0x1
	buffer_load_dword v101, off, s[0:3], 0 offset:168
	buffer_load_dword v102, off, s[0:3], 0 offset:172
	s_waitcnt vmcnt(28) lgkmcnt(0)
	v_fma_f64 v[87:88], v[103:104], v[87:88], v[99:100]
	s_waitcnt vmcnt(26)
	v_fma_f64 v[99:100], v[105:106], v[89:90], v[87:88]
	ds_read_b128 v[87:90], v86 offset:576
	s_waitcnt vmcnt(24) lgkmcnt(0)
	v_fma_f64 v[87:88], v[107:108], v[87:88], v[99:100]
	s_waitcnt vmcnt(22)
	v_fma_f64 v[99:100], v[109:110], v[89:90], v[87:88]
	ds_read_b128 v[87:90], v86 offset:592
	s_waitcnt vmcnt(20) lgkmcnt(0)
	v_fma_f64 v[87:88], v[111:112], v[87:88], v[99:100]
	s_waitcnt vmcnt(18)
	v_fma_f64 v[99:100], v[113:114], v[89:90], v[87:88]
	ds_read_b128 v[87:90], v86 offset:608
	s_waitcnt vmcnt(16) lgkmcnt(0)
	v_fma_f64 v[87:88], v[115:116], v[87:88], v[99:100]
	s_waitcnt vmcnt(14)
	v_fma_f64 v[99:100], v[117:118], v[89:90], v[87:88]
	ds_read_b128 v[87:90], v86 offset:624
	s_waitcnt vmcnt(12) lgkmcnt(0)
	v_fma_f64 v[87:88], v[119:120], v[87:88], v[99:100]
	s_waitcnt vmcnt(10)
	v_fma_f64 v[91:92], v[91:92], v[89:90], v[87:88]
	ds_read_b128 v[87:90], v86 offset:640
	s_waitcnt vmcnt(8) lgkmcnt(0)
	v_fma_f64 v[87:88], v[121:122], v[87:88], v[91:92]
	s_waitcnt vmcnt(6)
	v_fma_f64 v[90:91], v[93:94], v[89:90], v[87:88]
	ds_read_b128 v[86:89], v86 offset:656
	s_waitcnt vmcnt(4) lgkmcnt(0)
	v_fma_f64 v[86:87], v[97:98], v[86:87], v[90:91]
	s_waitcnt vmcnt(2)
	v_fma_f64 v[86:87], v[95:96], v[88:89], v[86:87]
	s_waitcnt vmcnt(0)
	v_add_f64 v[86:87], v[101:102], -v[86:87]
	buffer_store_dword v87, off, s[0:3], 0 offset:172
	buffer_store_dword v86, off, s[0:3], 0 offset:168
	v_cmpx_lt_u32_e32 20, v0
	s_cbranch_execz .LBB41_221
; %bb.220:
	s_clause 0x1
	buffer_load_dword v86, off, s[0:3], 0 offset:160
	buffer_load_dword v87, off, s[0:3], 0 offset:164
	v_mov_b32_e32 v88, 0
	buffer_store_dword v88, off, s[0:3], 0 offset:160
	buffer_store_dword v88, off, s[0:3], 0 offset:164
	s_waitcnt vmcnt(0)
	ds_write_b64 v85, v[86:87]
.LBB41_221:
	s_or_b32 exec_lo, exec_lo, s4
	s_waitcnt lgkmcnt(0)
	s_waitcnt_vscnt null, 0x0
	s_barrier
	buffer_gl0_inv
	s_clause 0x1b
	buffer_load_dword v91, off, s[0:3], 0 offset:168
	buffer_load_dword v92, off, s[0:3], 0 offset:172
	;; [unrolled: 1-line block ×28, first 2 shown]
	v_mov_b32_e32 v86, 0
	s_mov_b32 s4, exec_lo
	ds_read2_b64 v[87:90], v86 offset0:63 offset1:64
	s_clause 0x1
	buffer_load_dword v119, off, s[0:3], 0 offset:280
	buffer_load_dword v120, off, s[0:3], 0 offset:284
	s_waitcnt vmcnt(28) lgkmcnt(0)
	v_fma_f64 v[87:88], v[91:92], v[87:88], 0
	s_clause 0x1
	buffer_load_dword v92, off, s[0:3], 0 offset:292
	buffer_load_dword v91, off, s[0:3], 0 offset:288
	s_waitcnt vmcnt(28)
	v_fma_f64 v[93:94], v[93:94], v[89:90], v[87:88]
	ds_read2_b64 v[87:90], v86 offset0:65 offset1:66
	s_clause 0x1
	buffer_load_dword v121, off, s[0:3], 0 offset:296
	buffer_load_dword v122, off, s[0:3], 0 offset:300
	s_waitcnt vmcnt(28) lgkmcnt(0)
	v_fma_f64 v[87:88], v[95:96], v[87:88], v[93:94]
	s_clause 0x1
	buffer_load_dword v93, off, s[0:3], 0 offset:304
	buffer_load_dword v94, off, s[0:3], 0 offset:308
	s_waitcnt vmcnt(28)
	v_fma_f64 v[95:96], v[97:98], v[89:90], v[87:88]
	;; [unrolled: 11-line block ×4, first 2 shown]
	ds_read2_b64 v[87:90], v86 offset0:71 offset1:72
	s_waitcnt vmcnt(26) lgkmcnt(0)
	v_fma_f64 v[87:88], v[107:108], v[87:88], v[103:104]
	s_waitcnt vmcnt(24)
	v_fma_f64 v[103:104], v[109:110], v[89:90], v[87:88]
	ds_read2_b64 v[87:90], v86 offset0:73 offset1:74
	s_waitcnt vmcnt(22) lgkmcnt(0)
	v_fma_f64 v[87:88], v[111:112], v[87:88], v[103:104]
	s_waitcnt vmcnt(20)
	v_fma_f64 v[103:104], v[113:114], v[89:90], v[87:88]
	;; [unrolled: 5-line block ×6, first 2 shown]
	ds_read_b64 v[89:90], v86 offset:664
	s_waitcnt vmcnt(2) lgkmcnt(0)
	v_fma_f64 v[87:88], v[101:102], v[89:90], v[87:88]
	s_waitcnt vmcnt(0)
	v_add_f64 v[87:88], v[99:100], -v[87:88]
	buffer_store_dword v88, off, s[0:3], 0 offset:164
	buffer_store_dword v87, off, s[0:3], 0 offset:160
	v_cmpx_lt_u32_e32 19, v0
	s_cbranch_execz .LBB41_223
; %bb.222:
	s_clause 0x1
	buffer_load_dword v87, off, s[0:3], 0 offset:152
	buffer_load_dword v88, off, s[0:3], 0 offset:156
	buffer_store_dword v86, off, s[0:3], 0 offset:152
	buffer_store_dword v86, off, s[0:3], 0 offset:156
	s_waitcnt vmcnt(0)
	ds_write_b64 v85, v[87:88]
.LBB41_223:
	s_or_b32 exec_lo, exec_lo, s4
	s_waitcnt lgkmcnt(0)
	s_waitcnt_vscnt null, 0x0
	s_barrier
	buffer_gl0_inv
	s_clause 0x1b
	buffer_load_dword v91, off, s[0:3], 0 offset:160
	buffer_load_dword v92, off, s[0:3], 0 offset:164
	;; [unrolled: 1-line block ×28, first 2 shown]
	ds_read_b128 v[87:90], v86 offset:496
	s_clause 0x1
	buffer_load_dword v119, off, s[0:3], 0 offset:272
	buffer_load_dword v120, off, s[0:3], 0 offset:276
	s_mov_b32 s4, exec_lo
	s_waitcnt vmcnt(28) lgkmcnt(0)
	v_fma_f64 v[87:88], v[91:92], v[87:88], 0
	s_clause 0x1
	buffer_load_dword v92, off, s[0:3], 0 offset:284
	buffer_load_dword v91, off, s[0:3], 0 offset:280
	s_waitcnt vmcnt(28)
	v_fma_f64 v[93:94], v[93:94], v[89:90], v[87:88]
	ds_read_b128 v[87:90], v86 offset:512
	s_clause 0x1
	buffer_load_dword v121, off, s[0:3], 0 offset:288
	buffer_load_dword v122, off, s[0:3], 0 offset:292
	s_waitcnt vmcnt(28) lgkmcnt(0)
	v_fma_f64 v[87:88], v[95:96], v[87:88], v[93:94]
	s_clause 0x1
	buffer_load_dword v93, off, s[0:3], 0 offset:296
	buffer_load_dword v94, off, s[0:3], 0 offset:300
	s_waitcnt vmcnt(28)
	v_fma_f64 v[95:96], v[97:98], v[89:90], v[87:88]
	ds_read_b128 v[87:90], v86 offset:528
	s_clause 0x1
	buffer_load_dword v97, off, s[0:3], 0 offset:304
	buffer_load_dword v98, off, s[0:3], 0 offset:308
	;; [unrolled: 11-line block ×4, first 2 shown]
	s_waitcnt vmcnt(28) lgkmcnt(0)
	v_fma_f64 v[87:88], v[107:108], v[87:88], v[103:104]
	s_waitcnt vmcnt(26)
	v_fma_f64 v[103:104], v[109:110], v[89:90], v[87:88]
	ds_read_b128 v[87:90], v86 offset:576
	s_waitcnt vmcnt(24) lgkmcnt(0)
	v_fma_f64 v[87:88], v[111:112], v[87:88], v[103:104]
	s_waitcnt vmcnt(22)
	v_fma_f64 v[103:104], v[113:114], v[89:90], v[87:88]
	ds_read_b128 v[87:90], v86 offset:592
	;; [unrolled: 5-line block ×6, first 2 shown]
	s_waitcnt vmcnt(4) lgkmcnt(0)
	v_fma_f64 v[86:87], v[101:102], v[86:87], v[90:91]
	s_waitcnt vmcnt(2)
	v_fma_f64 v[86:87], v[99:100], v[88:89], v[86:87]
	s_waitcnt vmcnt(0)
	v_add_f64 v[86:87], v[105:106], -v[86:87]
	buffer_store_dword v87, off, s[0:3], 0 offset:156
	buffer_store_dword v86, off, s[0:3], 0 offset:152
	v_cmpx_lt_u32_e32 18, v0
	s_cbranch_execz .LBB41_225
; %bb.224:
	s_clause 0x1
	buffer_load_dword v86, off, s[0:3], 0 offset:144
	buffer_load_dword v87, off, s[0:3], 0 offset:148
	v_mov_b32_e32 v88, 0
	buffer_store_dword v88, off, s[0:3], 0 offset:144
	buffer_store_dword v88, off, s[0:3], 0 offset:148
	s_waitcnt vmcnt(0)
	ds_write_b64 v85, v[86:87]
.LBB41_225:
	s_or_b32 exec_lo, exec_lo, s4
	s_waitcnt lgkmcnt(0)
	s_waitcnt_vscnt null, 0x0
	s_barrier
	buffer_gl0_inv
	s_clause 0x1b
	buffer_load_dword v91, off, s[0:3], 0 offset:152
	buffer_load_dword v92, off, s[0:3], 0 offset:156
	;; [unrolled: 1-line block ×28, first 2 shown]
	v_mov_b32_e32 v86, 0
	s_mov_b32 s4, exec_lo
	ds_read2_b64 v[87:90], v86 offset0:61 offset1:62
	s_clause 0x1
	buffer_load_dword v119, off, s[0:3], 0 offset:264
	buffer_load_dword v120, off, s[0:3], 0 offset:268
	s_waitcnt vmcnt(28) lgkmcnt(0)
	v_fma_f64 v[87:88], v[91:92], v[87:88], 0
	s_clause 0x1
	buffer_load_dword v92, off, s[0:3], 0 offset:276
	buffer_load_dword v91, off, s[0:3], 0 offset:272
	s_waitcnt vmcnt(28)
	v_fma_f64 v[93:94], v[93:94], v[89:90], v[87:88]
	ds_read2_b64 v[87:90], v86 offset0:63 offset1:64
	s_clause 0x1
	buffer_load_dword v121, off, s[0:3], 0 offset:280
	buffer_load_dword v122, off, s[0:3], 0 offset:284
	s_waitcnt vmcnt(28) lgkmcnt(0)
	v_fma_f64 v[87:88], v[95:96], v[87:88], v[93:94]
	s_clause 0x1
	buffer_load_dword v93, off, s[0:3], 0 offset:288
	buffer_load_dword v94, off, s[0:3], 0 offset:292
	s_waitcnt vmcnt(28)
	v_fma_f64 v[95:96], v[97:98], v[89:90], v[87:88]
	;; [unrolled: 11-line block ×5, first 2 shown]
	ds_read2_b64 v[87:90], v86 offset0:71 offset1:72
	s_waitcnt vmcnt(26) lgkmcnt(0)
	v_fma_f64 v[87:88], v[111:112], v[87:88], v[107:108]
	s_waitcnt vmcnt(24)
	v_fma_f64 v[107:108], v[113:114], v[89:90], v[87:88]
	ds_read2_b64 v[87:90], v86 offset0:73 offset1:74
	s_waitcnt vmcnt(22) lgkmcnt(0)
	v_fma_f64 v[87:88], v[115:116], v[87:88], v[107:108]
	s_waitcnt vmcnt(20)
	v_fma_f64 v[107:108], v[117:118], v[89:90], v[87:88]
	;; [unrolled: 5-line block ×6, first 2 shown]
	ds_read_b64 v[89:90], v86 offset:664
	s_waitcnt vmcnt(2) lgkmcnt(0)
	v_fma_f64 v[87:88], v[105:106], v[89:90], v[87:88]
	s_waitcnt vmcnt(0)
	v_add_f64 v[87:88], v[103:104], -v[87:88]
	buffer_store_dword v88, off, s[0:3], 0 offset:148
	buffer_store_dword v87, off, s[0:3], 0 offset:144
	v_cmpx_lt_u32_e32 17, v0
	s_cbranch_execz .LBB41_227
; %bb.226:
	s_clause 0x1
	buffer_load_dword v87, off, s[0:3], 0 offset:136
	buffer_load_dword v88, off, s[0:3], 0 offset:140
	buffer_store_dword v86, off, s[0:3], 0 offset:136
	buffer_store_dword v86, off, s[0:3], 0 offset:140
	s_waitcnt vmcnt(0)
	ds_write_b64 v85, v[87:88]
.LBB41_227:
	s_or_b32 exec_lo, exec_lo, s4
	s_waitcnt lgkmcnt(0)
	s_waitcnt_vscnt null, 0x0
	s_barrier
	buffer_gl0_inv
	s_clause 0x1b
	buffer_load_dword v91, off, s[0:3], 0 offset:144
	buffer_load_dword v92, off, s[0:3], 0 offset:148
	;; [unrolled: 1-line block ×28, first 2 shown]
	ds_read_b128 v[87:90], v86 offset:480
	s_clause 0x1
	buffer_load_dword v119, off, s[0:3], 0 offset:256
	buffer_load_dword v120, off, s[0:3], 0 offset:260
	s_mov_b32 s4, exec_lo
	s_waitcnt vmcnt(28) lgkmcnt(0)
	v_fma_f64 v[87:88], v[91:92], v[87:88], 0
	s_clause 0x1
	buffer_load_dword v92, off, s[0:3], 0 offset:268
	buffer_load_dword v91, off, s[0:3], 0 offset:264
	s_waitcnt vmcnt(28)
	v_fma_f64 v[93:94], v[93:94], v[89:90], v[87:88]
	ds_read_b128 v[87:90], v86 offset:496
	s_clause 0x1
	buffer_load_dword v121, off, s[0:3], 0 offset:272
	buffer_load_dword v122, off, s[0:3], 0 offset:276
	s_waitcnt vmcnt(28) lgkmcnt(0)
	v_fma_f64 v[87:88], v[95:96], v[87:88], v[93:94]
	s_clause 0x1
	buffer_load_dword v93, off, s[0:3], 0 offset:280
	buffer_load_dword v94, off, s[0:3], 0 offset:284
	s_waitcnt vmcnt(28)
	v_fma_f64 v[95:96], v[97:98], v[89:90], v[87:88]
	ds_read_b128 v[87:90], v86 offset:512
	s_clause 0x1
	buffer_load_dword v97, off, s[0:3], 0 offset:288
	buffer_load_dword v98, off, s[0:3], 0 offset:292
	;; [unrolled: 11-line block ×5, first 2 shown]
	s_waitcnt vmcnt(28) lgkmcnt(0)
	v_fma_f64 v[87:88], v[111:112], v[87:88], v[107:108]
	s_waitcnt vmcnt(26)
	v_fma_f64 v[107:108], v[113:114], v[89:90], v[87:88]
	ds_read_b128 v[87:90], v86 offset:576
	s_waitcnt vmcnt(24) lgkmcnt(0)
	v_fma_f64 v[87:88], v[115:116], v[87:88], v[107:108]
	s_waitcnt vmcnt(22)
	v_fma_f64 v[107:108], v[117:118], v[89:90], v[87:88]
	ds_read_b128 v[87:90], v86 offset:592
	s_waitcnt vmcnt(20) lgkmcnt(0)
	v_fma_f64 v[87:88], v[119:120], v[87:88], v[107:108]
	s_waitcnt vmcnt(18)
	v_fma_f64 v[91:92], v[91:92], v[89:90], v[87:88]
	ds_read_b128 v[87:90], v86 offset:608
	s_waitcnt vmcnt(16) lgkmcnt(0)
	v_fma_f64 v[87:88], v[121:122], v[87:88], v[91:92]
	s_waitcnt vmcnt(14)
	v_fma_f64 v[91:92], v[93:94], v[89:90], v[87:88]
	ds_read_b128 v[87:90], v86 offset:624
	s_waitcnt vmcnt(12) lgkmcnt(0)
	v_fma_f64 v[87:88], v[97:98], v[87:88], v[91:92]
	s_waitcnt vmcnt(10)
	v_fma_f64 v[91:92], v[95:96], v[89:90], v[87:88]
	ds_read_b128 v[87:90], v86 offset:640
	s_waitcnt vmcnt(8) lgkmcnt(0)
	v_fma_f64 v[87:88], v[101:102], v[87:88], v[91:92]
	s_waitcnt vmcnt(6)
	v_fma_f64 v[90:91], v[99:100], v[89:90], v[87:88]
	ds_read_b128 v[86:89], v86 offset:656
	s_waitcnt vmcnt(4) lgkmcnt(0)
	v_fma_f64 v[86:87], v[105:106], v[86:87], v[90:91]
	s_waitcnt vmcnt(2)
	v_fma_f64 v[86:87], v[103:104], v[88:89], v[86:87]
	s_waitcnt vmcnt(0)
	v_add_f64 v[86:87], v[109:110], -v[86:87]
	buffer_store_dword v87, off, s[0:3], 0 offset:140
	buffer_store_dword v86, off, s[0:3], 0 offset:136
	v_cmpx_lt_u32_e32 16, v0
	s_cbranch_execz .LBB41_229
; %bb.228:
	s_clause 0x1
	buffer_load_dword v86, off, s[0:3], 0 offset:128
	buffer_load_dword v87, off, s[0:3], 0 offset:132
	v_mov_b32_e32 v88, 0
	buffer_store_dword v88, off, s[0:3], 0 offset:128
	buffer_store_dword v88, off, s[0:3], 0 offset:132
	s_waitcnt vmcnt(0)
	ds_write_b64 v85, v[86:87]
.LBB41_229:
	s_or_b32 exec_lo, exec_lo, s4
	s_waitcnt lgkmcnt(0)
	s_waitcnt_vscnt null, 0x0
	s_barrier
	buffer_gl0_inv
	s_clause 0x1b
	buffer_load_dword v91, off, s[0:3], 0 offset:136
	buffer_load_dword v92, off, s[0:3], 0 offset:140
	;; [unrolled: 1-line block ×28, first 2 shown]
	v_mov_b32_e32 v86, 0
	s_mov_b32 s4, exec_lo
	ds_read2_b64 v[87:90], v86 offset0:59 offset1:60
	s_clause 0x1
	buffer_load_dword v119, off, s[0:3], 0 offset:248
	buffer_load_dword v120, off, s[0:3], 0 offset:252
	s_waitcnt vmcnt(28) lgkmcnt(0)
	v_fma_f64 v[87:88], v[91:92], v[87:88], 0
	s_clause 0x1
	buffer_load_dword v92, off, s[0:3], 0 offset:260
	buffer_load_dword v91, off, s[0:3], 0 offset:256
	s_waitcnt vmcnt(28)
	v_fma_f64 v[93:94], v[93:94], v[89:90], v[87:88]
	ds_read2_b64 v[87:90], v86 offset0:61 offset1:62
	s_clause 0x1
	buffer_load_dword v121, off, s[0:3], 0 offset:264
	buffer_load_dword v122, off, s[0:3], 0 offset:268
	s_waitcnt vmcnt(28) lgkmcnt(0)
	v_fma_f64 v[87:88], v[95:96], v[87:88], v[93:94]
	s_clause 0x1
	buffer_load_dword v93, off, s[0:3], 0 offset:272
	buffer_load_dword v94, off, s[0:3], 0 offset:276
	s_waitcnt vmcnt(28)
	v_fma_f64 v[95:96], v[97:98], v[89:90], v[87:88]
	;; [unrolled: 11-line block ×6, first 2 shown]
	ds_read2_b64 v[87:90], v86 offset0:71 offset1:72
	s_waitcnt vmcnt(26) lgkmcnt(0)
	v_fma_f64 v[87:88], v[115:116], v[87:88], v[111:112]
	s_waitcnt vmcnt(24)
	v_fma_f64 v[111:112], v[117:118], v[89:90], v[87:88]
	ds_read2_b64 v[87:90], v86 offset0:73 offset1:74
	s_waitcnt vmcnt(22) lgkmcnt(0)
	v_fma_f64 v[87:88], v[119:120], v[87:88], v[111:112]
	s_waitcnt vmcnt(20)
	v_fma_f64 v[91:92], v[91:92], v[89:90], v[87:88]
	ds_read2_b64 v[87:90], v86 offset0:75 offset1:76
	s_waitcnt vmcnt(18) lgkmcnt(0)
	v_fma_f64 v[87:88], v[121:122], v[87:88], v[91:92]
	s_waitcnt vmcnt(16)
	v_fma_f64 v[91:92], v[93:94], v[89:90], v[87:88]
	ds_read2_b64 v[87:90], v86 offset0:77 offset1:78
	s_waitcnt vmcnt(14) lgkmcnt(0)
	v_fma_f64 v[87:88], v[97:98], v[87:88], v[91:92]
	s_waitcnt vmcnt(12)
	v_fma_f64 v[91:92], v[95:96], v[89:90], v[87:88]
	ds_read2_b64 v[87:90], v86 offset0:79 offset1:80
	s_waitcnt vmcnt(10) lgkmcnt(0)
	v_fma_f64 v[87:88], v[101:102], v[87:88], v[91:92]
	s_waitcnt vmcnt(8)
	v_fma_f64 v[91:92], v[99:100], v[89:90], v[87:88]
	ds_read2_b64 v[87:90], v86 offset0:81 offset1:82
	s_waitcnt vmcnt(6) lgkmcnt(0)
	v_fma_f64 v[87:88], v[105:106], v[87:88], v[91:92]
	s_waitcnt vmcnt(4)
	v_fma_f64 v[87:88], v[103:104], v[89:90], v[87:88]
	ds_read_b64 v[89:90], v86 offset:664
	s_waitcnt vmcnt(2) lgkmcnt(0)
	v_fma_f64 v[87:88], v[109:110], v[89:90], v[87:88]
	s_waitcnt vmcnt(0)
	v_add_f64 v[87:88], v[107:108], -v[87:88]
	buffer_store_dword v88, off, s[0:3], 0 offset:132
	buffer_store_dword v87, off, s[0:3], 0 offset:128
	v_cmpx_lt_u32_e32 15, v0
	s_cbranch_execz .LBB41_231
; %bb.230:
	s_clause 0x1
	buffer_load_dword v87, off, s[0:3], 0 offset:120
	buffer_load_dword v88, off, s[0:3], 0 offset:124
	buffer_store_dword v86, off, s[0:3], 0 offset:120
	buffer_store_dword v86, off, s[0:3], 0 offset:124
	s_waitcnt vmcnt(0)
	ds_write_b64 v85, v[87:88]
.LBB41_231:
	s_or_b32 exec_lo, exec_lo, s4
	s_waitcnt lgkmcnt(0)
	s_waitcnt_vscnt null, 0x0
	s_barrier
	buffer_gl0_inv
	s_clause 0x1b
	buffer_load_dword v91, off, s[0:3], 0 offset:128
	buffer_load_dword v92, off, s[0:3], 0 offset:132
	;; [unrolled: 1-line block ×28, first 2 shown]
	ds_read_b128 v[87:90], v86 offset:464
	s_clause 0x1
	buffer_load_dword v119, off, s[0:3], 0 offset:240
	buffer_load_dword v120, off, s[0:3], 0 offset:244
	s_mov_b32 s4, exec_lo
	s_waitcnt vmcnt(28) lgkmcnt(0)
	v_fma_f64 v[87:88], v[91:92], v[87:88], 0
	s_clause 0x1
	buffer_load_dword v92, off, s[0:3], 0 offset:252
	buffer_load_dword v91, off, s[0:3], 0 offset:248
	s_waitcnt vmcnt(28)
	v_fma_f64 v[93:94], v[93:94], v[89:90], v[87:88]
	ds_read_b128 v[87:90], v86 offset:480
	s_clause 0x1
	buffer_load_dword v121, off, s[0:3], 0 offset:256
	buffer_load_dword v122, off, s[0:3], 0 offset:260
	s_waitcnt vmcnt(28) lgkmcnt(0)
	v_fma_f64 v[87:88], v[95:96], v[87:88], v[93:94]
	s_clause 0x1
	buffer_load_dword v93, off, s[0:3], 0 offset:264
	buffer_load_dword v94, off, s[0:3], 0 offset:268
	s_waitcnt vmcnt(28)
	v_fma_f64 v[95:96], v[97:98], v[89:90], v[87:88]
	ds_read_b128 v[87:90], v86 offset:496
	s_clause 0x1
	buffer_load_dword v97, off, s[0:3], 0 offset:272
	buffer_load_dword v98, off, s[0:3], 0 offset:276
	;; [unrolled: 11-line block ×6, first 2 shown]
	s_waitcnt vmcnt(28) lgkmcnt(0)
	v_fma_f64 v[87:88], v[115:116], v[87:88], v[111:112]
	s_waitcnt vmcnt(26)
	v_fma_f64 v[111:112], v[117:118], v[89:90], v[87:88]
	ds_read_b128 v[87:90], v86 offset:576
	s_waitcnt vmcnt(24) lgkmcnt(0)
	v_fma_f64 v[87:88], v[119:120], v[87:88], v[111:112]
	s_waitcnt vmcnt(22)
	v_fma_f64 v[91:92], v[91:92], v[89:90], v[87:88]
	ds_read_b128 v[87:90], v86 offset:592
	;; [unrolled: 5-line block ×6, first 2 shown]
	s_waitcnt vmcnt(4) lgkmcnt(0)
	v_fma_f64 v[86:87], v[109:110], v[86:87], v[90:91]
	s_waitcnt vmcnt(2)
	v_fma_f64 v[86:87], v[107:108], v[88:89], v[86:87]
	s_waitcnt vmcnt(0)
	v_add_f64 v[86:87], v[113:114], -v[86:87]
	buffer_store_dword v87, off, s[0:3], 0 offset:124
	buffer_store_dword v86, off, s[0:3], 0 offset:120
	v_cmpx_lt_u32_e32 14, v0
	s_cbranch_execz .LBB41_233
; %bb.232:
	s_clause 0x1
	buffer_load_dword v86, off, s[0:3], 0 offset:112
	buffer_load_dword v87, off, s[0:3], 0 offset:116
	v_mov_b32_e32 v88, 0
	buffer_store_dword v88, off, s[0:3], 0 offset:112
	buffer_store_dword v88, off, s[0:3], 0 offset:116
	s_waitcnt vmcnt(0)
	ds_write_b64 v85, v[86:87]
.LBB41_233:
	s_or_b32 exec_lo, exec_lo, s4
	s_waitcnt lgkmcnt(0)
	s_waitcnt_vscnt null, 0x0
	s_barrier
	buffer_gl0_inv
	s_clause 0x1b
	buffer_load_dword v91, off, s[0:3], 0 offset:120
	buffer_load_dword v92, off, s[0:3], 0 offset:124
	;; [unrolled: 1-line block ×28, first 2 shown]
	v_mov_b32_e32 v86, 0
	s_mov_b32 s4, exec_lo
	ds_read2_b64 v[87:90], v86 offset0:57 offset1:58
	s_clause 0x1
	buffer_load_dword v119, off, s[0:3], 0 offset:232
	buffer_load_dword v120, off, s[0:3], 0 offset:236
	s_waitcnt vmcnt(28) lgkmcnt(0)
	v_fma_f64 v[87:88], v[91:92], v[87:88], 0
	s_clause 0x1
	buffer_load_dword v92, off, s[0:3], 0 offset:244
	buffer_load_dword v91, off, s[0:3], 0 offset:240
	s_waitcnt vmcnt(28)
	v_fma_f64 v[93:94], v[93:94], v[89:90], v[87:88]
	ds_read2_b64 v[87:90], v86 offset0:59 offset1:60
	s_clause 0x1
	buffer_load_dword v121, off, s[0:3], 0 offset:248
	buffer_load_dword v122, off, s[0:3], 0 offset:252
	s_waitcnt vmcnt(28) lgkmcnt(0)
	v_fma_f64 v[87:88], v[95:96], v[87:88], v[93:94]
	s_clause 0x1
	buffer_load_dword v93, off, s[0:3], 0 offset:256
	buffer_load_dword v94, off, s[0:3], 0 offset:260
	s_waitcnt vmcnt(28)
	v_fma_f64 v[95:96], v[97:98], v[89:90], v[87:88]
	;; [unrolled: 11-line block ×7, first 2 shown]
	ds_read2_b64 v[87:90], v86 offset0:71 offset1:72
	s_waitcnt vmcnt(26) lgkmcnt(0)
	v_fma_f64 v[87:88], v[119:120], v[87:88], v[115:116]
	s_waitcnt vmcnt(24)
	v_fma_f64 v[91:92], v[91:92], v[89:90], v[87:88]
	ds_read2_b64 v[87:90], v86 offset0:73 offset1:74
	s_waitcnt vmcnt(22) lgkmcnt(0)
	v_fma_f64 v[87:88], v[121:122], v[87:88], v[91:92]
	s_waitcnt vmcnt(20)
	v_fma_f64 v[91:92], v[93:94], v[89:90], v[87:88]
	;; [unrolled: 5-line block ×6, first 2 shown]
	ds_read_b64 v[89:90], v86 offset:664
	s_waitcnt vmcnt(2) lgkmcnt(0)
	v_fma_f64 v[87:88], v[113:114], v[89:90], v[87:88]
	s_waitcnt vmcnt(0)
	v_add_f64 v[87:88], v[111:112], -v[87:88]
	buffer_store_dword v88, off, s[0:3], 0 offset:116
	buffer_store_dword v87, off, s[0:3], 0 offset:112
	v_cmpx_lt_u32_e32 13, v0
	s_cbranch_execz .LBB41_235
; %bb.234:
	s_clause 0x1
	buffer_load_dword v87, off, s[0:3], 0 offset:104
	buffer_load_dword v88, off, s[0:3], 0 offset:108
	buffer_store_dword v86, off, s[0:3], 0 offset:104
	buffer_store_dword v86, off, s[0:3], 0 offset:108
	s_waitcnt vmcnt(0)
	ds_write_b64 v85, v[87:88]
.LBB41_235:
	s_or_b32 exec_lo, exec_lo, s4
	s_waitcnt lgkmcnt(0)
	s_waitcnt_vscnt null, 0x0
	s_barrier
	buffer_gl0_inv
	s_clause 0x1b
	buffer_load_dword v91, off, s[0:3], 0 offset:112
	buffer_load_dword v92, off, s[0:3], 0 offset:116
	;; [unrolled: 1-line block ×28, first 2 shown]
	ds_read_b128 v[87:90], v86 offset:448
	s_clause 0x1
	buffer_load_dword v119, off, s[0:3], 0 offset:224
	buffer_load_dword v120, off, s[0:3], 0 offset:228
	s_mov_b32 s4, exec_lo
	s_waitcnt vmcnt(28) lgkmcnt(0)
	v_fma_f64 v[87:88], v[91:92], v[87:88], 0
	s_clause 0x1
	buffer_load_dword v92, off, s[0:3], 0 offset:236
	buffer_load_dword v91, off, s[0:3], 0 offset:232
	s_waitcnt vmcnt(28)
	v_fma_f64 v[93:94], v[93:94], v[89:90], v[87:88]
	ds_read_b128 v[87:90], v86 offset:464
	s_clause 0x1
	buffer_load_dword v121, off, s[0:3], 0 offset:240
	buffer_load_dword v122, off, s[0:3], 0 offset:244
	s_waitcnt vmcnt(28) lgkmcnt(0)
	v_fma_f64 v[87:88], v[95:96], v[87:88], v[93:94]
	s_clause 0x1
	buffer_load_dword v93, off, s[0:3], 0 offset:248
	buffer_load_dword v94, off, s[0:3], 0 offset:252
	s_waitcnt vmcnt(28)
	v_fma_f64 v[95:96], v[97:98], v[89:90], v[87:88]
	ds_read_b128 v[87:90], v86 offset:480
	s_clause 0x1
	buffer_load_dword v97, off, s[0:3], 0 offset:256
	buffer_load_dword v98, off, s[0:3], 0 offset:260
	s_waitcnt vmcnt(28) lgkmcnt(0)
	v_fma_f64 v[87:88], v[99:100], v[87:88], v[95:96]
	s_clause 0x1
	buffer_load_dword v96, off, s[0:3], 0 offset:268
	buffer_load_dword v95, off, s[0:3], 0 offset:264
	s_waitcnt vmcnt(28)
	v_fma_f64 v[99:100], v[101:102], v[89:90], v[87:88]
	ds_read_b128 v[87:90], v86 offset:496
	s_clause 0x1
	buffer_load_dword v101, off, s[0:3], 0 offset:272
	buffer_load_dword v102, off, s[0:3], 0 offset:276
	s_waitcnt vmcnt(28) lgkmcnt(0)
	v_fma_f64 v[87:88], v[103:104], v[87:88], v[99:100]
	s_clause 0x1
	buffer_load_dword v99, off, s[0:3], 0 offset:280
	buffer_load_dword v100, off, s[0:3], 0 offset:284
	s_waitcnt vmcnt(28)
	v_fma_f64 v[103:104], v[105:106], v[89:90], v[87:88]
	ds_read_b128 v[87:90], v86 offset:512
	s_clause 0x1
	buffer_load_dword v105, off, s[0:3], 0 offset:288
	buffer_load_dword v106, off, s[0:3], 0 offset:292
	s_waitcnt vmcnt(28) lgkmcnt(0)
	v_fma_f64 v[87:88], v[107:108], v[87:88], v[103:104]
	s_clause 0x1
	buffer_load_dword v104, off, s[0:3], 0 offset:300
	buffer_load_dword v103, off, s[0:3], 0 offset:296
	s_waitcnt vmcnt(28)
	v_fma_f64 v[107:108], v[109:110], v[89:90], v[87:88]
	ds_read_b128 v[87:90], v86 offset:528
	s_clause 0x1
	buffer_load_dword v109, off, s[0:3], 0 offset:304
	buffer_load_dword v110, off, s[0:3], 0 offset:308
	s_waitcnt vmcnt(28) lgkmcnt(0)
	v_fma_f64 v[87:88], v[111:112], v[87:88], v[107:108]
	s_clause 0x1
	buffer_load_dword v107, off, s[0:3], 0 offset:312
	buffer_load_dword v108, off, s[0:3], 0 offset:316
	s_waitcnt vmcnt(28)
	v_fma_f64 v[111:112], v[113:114], v[89:90], v[87:88]
	ds_read_b128 v[87:90], v86 offset:544
	s_clause 0x1
	buffer_load_dword v113, off, s[0:3], 0 offset:320
	buffer_load_dword v114, off, s[0:3], 0 offset:324
	s_waitcnt vmcnt(28) lgkmcnt(0)
	v_fma_f64 v[87:88], v[115:116], v[87:88], v[111:112]
	s_clause 0x1
	buffer_load_dword v112, off, s[0:3], 0 offset:332
	buffer_load_dword v111, off, s[0:3], 0 offset:328
	s_waitcnt vmcnt(28)
	v_fma_f64 v[115:116], v[117:118], v[89:90], v[87:88]
	ds_read_b128 v[87:90], v86 offset:560
	s_clause 0x1
	buffer_load_dword v117, off, s[0:3], 0 offset:104
	buffer_load_dword v118, off, s[0:3], 0 offset:108
	s_waitcnt vmcnt(28) lgkmcnt(0)
	v_fma_f64 v[87:88], v[119:120], v[87:88], v[115:116]
	s_waitcnt vmcnt(26)
	v_fma_f64 v[91:92], v[91:92], v[89:90], v[87:88]
	ds_read_b128 v[87:90], v86 offset:576
	s_waitcnt vmcnt(24) lgkmcnt(0)
	v_fma_f64 v[87:88], v[121:122], v[87:88], v[91:92]
	s_waitcnt vmcnt(22)
	v_fma_f64 v[91:92], v[93:94], v[89:90], v[87:88]
	ds_read_b128 v[87:90], v86 offset:592
	;; [unrolled: 5-line block ×6, first 2 shown]
	s_waitcnt vmcnt(4) lgkmcnt(0)
	v_fma_f64 v[86:87], v[113:114], v[86:87], v[90:91]
	s_waitcnt vmcnt(2)
	v_fma_f64 v[86:87], v[111:112], v[88:89], v[86:87]
	s_waitcnt vmcnt(0)
	v_add_f64 v[86:87], v[117:118], -v[86:87]
	buffer_store_dword v87, off, s[0:3], 0 offset:108
	buffer_store_dword v86, off, s[0:3], 0 offset:104
	v_cmpx_lt_u32_e32 12, v0
	s_cbranch_execz .LBB41_237
; %bb.236:
	s_clause 0x1
	buffer_load_dword v86, off, s[0:3], 0 offset:96
	buffer_load_dword v87, off, s[0:3], 0 offset:100
	v_mov_b32_e32 v88, 0
	buffer_store_dword v88, off, s[0:3], 0 offset:96
	buffer_store_dword v88, off, s[0:3], 0 offset:100
	s_waitcnt vmcnt(0)
	ds_write_b64 v85, v[86:87]
.LBB41_237:
	s_or_b32 exec_lo, exec_lo, s4
	s_waitcnt lgkmcnt(0)
	s_waitcnt_vscnt null, 0x0
	s_barrier
	buffer_gl0_inv
	s_clause 0x1b
	buffer_load_dword v91, off, s[0:3], 0 offset:104
	buffer_load_dword v92, off, s[0:3], 0 offset:108
	;; [unrolled: 1-line block ×28, first 2 shown]
	v_mov_b32_e32 v86, 0
	s_mov_b32 s4, exec_lo
	ds_read2_b64 v[87:90], v86 offset0:55 offset1:56
	s_clause 0x1
	buffer_load_dword v119, off, s[0:3], 0 offset:216
	buffer_load_dword v120, off, s[0:3], 0 offset:220
	s_waitcnt vmcnt(28) lgkmcnt(0)
	v_fma_f64 v[87:88], v[91:92], v[87:88], 0
	s_clause 0x1
	buffer_load_dword v92, off, s[0:3], 0 offset:228
	buffer_load_dword v91, off, s[0:3], 0 offset:224
	s_waitcnt vmcnt(28)
	v_fma_f64 v[93:94], v[93:94], v[89:90], v[87:88]
	ds_read2_b64 v[87:90], v86 offset0:57 offset1:58
	s_clause 0x1
	buffer_load_dword v121, off, s[0:3], 0 offset:232
	buffer_load_dword v122, off, s[0:3], 0 offset:236
	s_waitcnt vmcnt(28) lgkmcnt(0)
	v_fma_f64 v[87:88], v[95:96], v[87:88], v[93:94]
	s_clause 0x1
	buffer_load_dword v93, off, s[0:3], 0 offset:240
	buffer_load_dword v94, off, s[0:3], 0 offset:244
	s_waitcnt vmcnt(28)
	v_fma_f64 v[95:96], v[97:98], v[89:90], v[87:88]
	;; [unrolled: 11-line block ×8, first 2 shown]
	ds_read2_b64 v[87:90], v86 offset0:71 offset1:72
	s_waitcnt vmcnt(26) lgkmcnt(0)
	v_fma_f64 v[87:88], v[121:122], v[87:88], v[91:92]
	s_waitcnt vmcnt(24)
	v_fma_f64 v[91:92], v[93:94], v[89:90], v[87:88]
	ds_read2_b64 v[87:90], v86 offset0:73 offset1:74
	s_waitcnt vmcnt(22) lgkmcnt(0)
	v_fma_f64 v[87:88], v[97:98], v[87:88], v[91:92]
	s_waitcnt vmcnt(20)
	v_fma_f64 v[91:92], v[95:96], v[89:90], v[87:88]
	;; [unrolled: 5-line block ×6, first 2 shown]
	ds_read_b64 v[89:90], v86 offset:664
	s_waitcnt vmcnt(2) lgkmcnt(0)
	v_fma_f64 v[87:88], v[117:118], v[89:90], v[87:88]
	s_waitcnt vmcnt(0)
	v_add_f64 v[87:88], v[115:116], -v[87:88]
	buffer_store_dword v88, off, s[0:3], 0 offset:100
	buffer_store_dword v87, off, s[0:3], 0 offset:96
	v_cmpx_lt_u32_e32 11, v0
	s_cbranch_execz .LBB41_239
; %bb.238:
	s_clause 0x1
	buffer_load_dword v87, off, s[0:3], 0 offset:88
	buffer_load_dword v88, off, s[0:3], 0 offset:92
	buffer_store_dword v86, off, s[0:3], 0 offset:88
	buffer_store_dword v86, off, s[0:3], 0 offset:92
	s_waitcnt vmcnt(0)
	ds_write_b64 v85, v[87:88]
.LBB41_239:
	s_or_b32 exec_lo, exec_lo, s4
	s_waitcnt lgkmcnt(0)
	s_waitcnt_vscnt null, 0x0
	s_barrier
	buffer_gl0_inv
	s_clause 0x1b
	buffer_load_dword v91, off, s[0:3], 0 offset:96
	buffer_load_dword v92, off, s[0:3], 0 offset:100
	;; [unrolled: 1-line block ×28, first 2 shown]
	ds_read_b128 v[87:90], v86 offset:432
	s_clause 0x1
	buffer_load_dword v119, off, s[0:3], 0 offset:208
	buffer_load_dword v120, off, s[0:3], 0 offset:212
	s_mov_b32 s4, exec_lo
	s_waitcnt vmcnt(28) lgkmcnt(0)
	v_fma_f64 v[87:88], v[91:92], v[87:88], 0
	s_clause 0x1
	buffer_load_dword v92, off, s[0:3], 0 offset:220
	buffer_load_dword v91, off, s[0:3], 0 offset:216
	s_waitcnt vmcnt(28)
	v_fma_f64 v[93:94], v[93:94], v[89:90], v[87:88]
	ds_read_b128 v[87:90], v86 offset:448
	s_clause 0x1
	buffer_load_dword v121, off, s[0:3], 0 offset:224
	buffer_load_dword v122, off, s[0:3], 0 offset:228
	s_waitcnt vmcnt(28) lgkmcnt(0)
	v_fma_f64 v[87:88], v[95:96], v[87:88], v[93:94]
	s_clause 0x1
	buffer_load_dword v93, off, s[0:3], 0 offset:232
	buffer_load_dword v94, off, s[0:3], 0 offset:236
	s_waitcnt vmcnt(28)
	v_fma_f64 v[95:96], v[97:98], v[89:90], v[87:88]
	ds_read_b128 v[87:90], v86 offset:464
	s_clause 0x1
	buffer_load_dword v97, off, s[0:3], 0 offset:240
	buffer_load_dword v98, off, s[0:3], 0 offset:244
	;; [unrolled: 11-line block ×8, first 2 shown]
	s_waitcnt vmcnt(28) lgkmcnt(0)
	v_fma_f64 v[87:88], v[121:122], v[87:88], v[91:92]
	s_waitcnt vmcnt(26)
	v_fma_f64 v[91:92], v[93:94], v[89:90], v[87:88]
	ds_read_b128 v[87:90], v86 offset:576
	s_waitcnt vmcnt(24) lgkmcnt(0)
	v_fma_f64 v[87:88], v[97:98], v[87:88], v[91:92]
	s_waitcnt vmcnt(22)
	v_fma_f64 v[91:92], v[95:96], v[89:90], v[87:88]
	ds_read_b128 v[87:90], v86 offset:592
	;; [unrolled: 5-line block ×6, first 2 shown]
	s_waitcnt vmcnt(4) lgkmcnt(0)
	v_fma_f64 v[86:87], v[117:118], v[86:87], v[90:91]
	s_waitcnt vmcnt(2)
	v_fma_f64 v[86:87], v[115:116], v[88:89], v[86:87]
	s_waitcnt vmcnt(0)
	v_add_f64 v[86:87], v[119:120], -v[86:87]
	buffer_store_dword v87, off, s[0:3], 0 offset:92
	buffer_store_dword v86, off, s[0:3], 0 offset:88
	v_cmpx_lt_u32_e32 10, v0
	s_cbranch_execz .LBB41_241
; %bb.240:
	s_clause 0x1
	buffer_load_dword v86, off, s[0:3], 0 offset:80
	buffer_load_dword v87, off, s[0:3], 0 offset:84
	v_mov_b32_e32 v88, 0
	buffer_store_dword v88, off, s[0:3], 0 offset:80
	buffer_store_dword v88, off, s[0:3], 0 offset:84
	s_waitcnt vmcnt(0)
	ds_write_b64 v85, v[86:87]
.LBB41_241:
	s_or_b32 exec_lo, exec_lo, s4
	s_waitcnt lgkmcnt(0)
	s_waitcnt_vscnt null, 0x0
	s_barrier
	buffer_gl0_inv
	s_clause 0x1b
	buffer_load_dword v91, off, s[0:3], 0 offset:88
	buffer_load_dword v92, off, s[0:3], 0 offset:92
	;; [unrolled: 1-line block ×28, first 2 shown]
	v_mov_b32_e32 v86, 0
	s_mov_b32 s4, exec_lo
	ds_read2_b64 v[87:90], v86 offset0:53 offset1:54
	s_clause 0x1
	buffer_load_dword v119, off, s[0:3], 0 offset:200
	buffer_load_dword v120, off, s[0:3], 0 offset:204
	s_waitcnt vmcnt(28) lgkmcnt(0)
	v_fma_f64 v[87:88], v[91:92], v[87:88], 0
	s_clause 0x1
	buffer_load_dword v92, off, s[0:3], 0 offset:212
	buffer_load_dword v91, off, s[0:3], 0 offset:208
	s_waitcnt vmcnt(28)
	v_fma_f64 v[93:94], v[93:94], v[89:90], v[87:88]
	ds_read2_b64 v[87:90], v86 offset0:55 offset1:56
	s_clause 0x1
	buffer_load_dword v121, off, s[0:3], 0 offset:216
	buffer_load_dword v122, off, s[0:3], 0 offset:220
	s_waitcnt vmcnt(28) lgkmcnt(0)
	v_fma_f64 v[87:88], v[95:96], v[87:88], v[93:94]
	s_clause 0x1
	buffer_load_dword v93, off, s[0:3], 0 offset:224
	buffer_load_dword v94, off, s[0:3], 0 offset:228
	s_waitcnt vmcnt(28)
	v_fma_f64 v[95:96], v[97:98], v[89:90], v[87:88]
	;; [unrolled: 11-line block ×9, first 2 shown]
	ds_read2_b64 v[87:90], v86 offset0:71 offset1:72
	s_waitcnt vmcnt(26) lgkmcnt(0)
	v_fma_f64 v[87:88], v[97:98], v[87:88], v[93:94]
	s_waitcnt vmcnt(24)
	v_fma_f64 v[93:94], v[95:96], v[89:90], v[87:88]
	ds_read2_b64 v[87:90], v86 offset0:73 offset1:74
	s_waitcnt vmcnt(22) lgkmcnt(0)
	v_fma_f64 v[87:88], v[101:102], v[87:88], v[93:94]
	s_waitcnt vmcnt(20)
	v_fma_f64 v[93:94], v[99:100], v[89:90], v[87:88]
	;; [unrolled: 5-line block ×6, first 2 shown]
	ds_read_b64 v[89:90], v86 offset:664
	s_waitcnt vmcnt(2) lgkmcnt(0)
	v_fma_f64 v[87:88], v[119:120], v[89:90], v[87:88]
	s_waitcnt vmcnt(0)
	v_add_f64 v[87:88], v[91:92], -v[87:88]
	buffer_store_dword v88, off, s[0:3], 0 offset:84
	buffer_store_dword v87, off, s[0:3], 0 offset:80
	v_cmpx_lt_u32_e32 9, v0
	s_cbranch_execz .LBB41_243
; %bb.242:
	s_clause 0x1
	buffer_load_dword v87, off, s[0:3], 0 offset:72
	buffer_load_dword v88, off, s[0:3], 0 offset:76
	buffer_store_dword v86, off, s[0:3], 0 offset:72
	buffer_store_dword v86, off, s[0:3], 0 offset:76
	s_waitcnt vmcnt(0)
	ds_write_b64 v85, v[87:88]
.LBB41_243:
	s_or_b32 exec_lo, exec_lo, s4
	s_waitcnt lgkmcnt(0)
	s_waitcnt_vscnt null, 0x0
	s_barrier
	buffer_gl0_inv
	s_clause 0x1b
	buffer_load_dword v91, off, s[0:3], 0 offset:80
	buffer_load_dword v92, off, s[0:3], 0 offset:84
	;; [unrolled: 1-line block ×28, first 2 shown]
	ds_read_b128 v[87:90], v86 offset:416
	s_clause 0x1
	buffer_load_dword v119, off, s[0:3], 0 offset:192
	buffer_load_dword v120, off, s[0:3], 0 offset:196
	s_mov_b32 s4, exec_lo
	s_waitcnt vmcnt(28) lgkmcnt(0)
	v_fma_f64 v[87:88], v[91:92], v[87:88], 0
	s_clause 0x1
	buffer_load_dword v92, off, s[0:3], 0 offset:204
	buffer_load_dword v91, off, s[0:3], 0 offset:200
	s_waitcnt vmcnt(28)
	v_fma_f64 v[93:94], v[93:94], v[89:90], v[87:88]
	ds_read_b128 v[87:90], v86 offset:432
	s_clause 0x1
	buffer_load_dword v121, off, s[0:3], 0 offset:208
	buffer_load_dword v122, off, s[0:3], 0 offset:212
	s_waitcnt vmcnt(28) lgkmcnt(0)
	v_fma_f64 v[87:88], v[95:96], v[87:88], v[93:94]
	s_clause 0x1
	buffer_load_dword v93, off, s[0:3], 0 offset:216
	buffer_load_dword v94, off, s[0:3], 0 offset:220
	s_waitcnt vmcnt(28)
	v_fma_f64 v[95:96], v[97:98], v[89:90], v[87:88]
	ds_read_b128 v[87:90], v86 offset:448
	s_clause 0x1
	buffer_load_dword v97, off, s[0:3], 0 offset:224
	buffer_load_dword v98, off, s[0:3], 0 offset:228
	;; [unrolled: 11-line block ×9, first 2 shown]
	s_waitcnt vmcnt(28) lgkmcnt(0)
	v_fma_f64 v[87:88], v[97:98], v[87:88], v[93:94]
	s_waitcnt vmcnt(26)
	v_fma_f64 v[93:94], v[95:96], v[89:90], v[87:88]
	ds_read_b128 v[87:90], v86 offset:576
	s_waitcnt vmcnt(24) lgkmcnt(0)
	v_fma_f64 v[87:88], v[101:102], v[87:88], v[93:94]
	s_waitcnt vmcnt(22)
	v_fma_f64 v[93:94], v[99:100], v[89:90], v[87:88]
	ds_read_b128 v[87:90], v86 offset:592
	;; [unrolled: 5-line block ×6, first 2 shown]
	s_waitcnt vmcnt(4) lgkmcnt(0)
	v_fma_f64 v[86:87], v[119:120], v[86:87], v[93:94]
	s_waitcnt vmcnt(2)
	v_fma_f64 v[86:87], v[91:92], v[88:89], v[86:87]
	s_waitcnt vmcnt(0)
	v_add_f64 v[86:87], v[121:122], -v[86:87]
	buffer_store_dword v87, off, s[0:3], 0 offset:76
	buffer_store_dword v86, off, s[0:3], 0 offset:72
	v_cmpx_lt_u32_e32 8, v0
	s_cbranch_execz .LBB41_245
; %bb.244:
	s_clause 0x1
	buffer_load_dword v86, off, s[0:3], 0 offset:64
	buffer_load_dword v87, off, s[0:3], 0 offset:68
	v_mov_b32_e32 v88, 0
	buffer_store_dword v88, off, s[0:3], 0 offset:64
	buffer_store_dword v88, off, s[0:3], 0 offset:68
	s_waitcnt vmcnt(0)
	ds_write_b64 v85, v[86:87]
.LBB41_245:
	s_or_b32 exec_lo, exec_lo, s4
	s_waitcnt lgkmcnt(0)
	s_waitcnt_vscnt null, 0x0
	s_barrier
	buffer_gl0_inv
	s_clause 0x1b
	buffer_load_dword v91, off, s[0:3], 0 offset:72
	buffer_load_dword v92, off, s[0:3], 0 offset:76
	;; [unrolled: 1-line block ×28, first 2 shown]
	v_mov_b32_e32 v86, 0
	s_mov_b32 s4, exec_lo
	ds_read2_b64 v[87:90], v86 offset0:51 offset1:52
	s_clause 0x1
	buffer_load_dword v119, off, s[0:3], 0 offset:184
	buffer_load_dword v120, off, s[0:3], 0 offset:188
	s_waitcnt vmcnt(28) lgkmcnt(0)
	v_fma_f64 v[87:88], v[91:92], v[87:88], 0
	s_clause 0x1
	buffer_load_dword v92, off, s[0:3], 0 offset:196
	buffer_load_dword v91, off, s[0:3], 0 offset:192
	s_waitcnt vmcnt(28)
	v_fma_f64 v[93:94], v[93:94], v[89:90], v[87:88]
	ds_read2_b64 v[87:90], v86 offset0:53 offset1:54
	s_clause 0x1
	buffer_load_dword v121, off, s[0:3], 0 offset:200
	buffer_load_dword v122, off, s[0:3], 0 offset:204
	s_waitcnt vmcnt(28) lgkmcnt(0)
	v_fma_f64 v[87:88], v[95:96], v[87:88], v[93:94]
	s_clause 0x1
	buffer_load_dword v93, off, s[0:3], 0 offset:208
	buffer_load_dword v94, off, s[0:3], 0 offset:212
	s_waitcnt vmcnt(28)
	v_fma_f64 v[95:96], v[97:98], v[89:90], v[87:88]
	;; [unrolled: 11-line block ×10, first 2 shown]
	ds_read2_b64 v[87:90], v86 offset0:71 offset1:72
	s_waitcnt vmcnt(26) lgkmcnt(0)
	v_fma_f64 v[87:88], v[101:102], v[87:88], v[95:96]
	s_waitcnt vmcnt(24)
	v_fma_f64 v[95:96], v[99:100], v[89:90], v[87:88]
	ds_read2_b64 v[87:90], v86 offset0:73 offset1:74
	s_waitcnt vmcnt(22) lgkmcnt(0)
	v_fma_f64 v[87:88], v[105:106], v[87:88], v[95:96]
	s_waitcnt vmcnt(20)
	v_fma_f64 v[95:96], v[103:104], v[89:90], v[87:88]
	ds_read2_b64 v[87:90], v86 offset0:75 offset1:76
	s_waitcnt vmcnt(18) lgkmcnt(0)
	v_fma_f64 v[87:88], v[109:110], v[87:88], v[95:96]
	s_waitcnt vmcnt(16)
	v_fma_f64 v[95:96], v[107:108], v[89:90], v[87:88]
	ds_read2_b64 v[87:90], v86 offset0:77 offset1:78
	s_waitcnt vmcnt(14) lgkmcnt(0)
	v_fma_f64 v[87:88], v[113:114], v[87:88], v[95:96]
	s_waitcnt vmcnt(12)
	v_fma_f64 v[95:96], v[111:112], v[89:90], v[87:88]
	ds_read2_b64 v[87:90], v86 offset0:79 offset1:80
	s_waitcnt vmcnt(10) lgkmcnt(0)
	v_fma_f64 v[87:88], v[117:118], v[87:88], v[95:96]
	s_waitcnt vmcnt(8)
	v_fma_f64 v[95:96], v[115:116], v[89:90], v[87:88]
	ds_read2_b64 v[87:90], v86 offset0:81 offset1:82
	s_waitcnt vmcnt(6) lgkmcnt(0)
	v_fma_f64 v[87:88], v[119:120], v[87:88], v[95:96]
	s_waitcnt vmcnt(4)
	v_fma_f64 v[87:88], v[91:92], v[89:90], v[87:88]
	ds_read_b64 v[89:90], v86 offset:664
	s_waitcnt vmcnt(2) lgkmcnt(0)
	v_fma_f64 v[87:88], v[121:122], v[89:90], v[87:88]
	s_waitcnt vmcnt(0)
	v_add_f64 v[87:88], v[93:94], -v[87:88]
	buffer_store_dword v88, off, s[0:3], 0 offset:68
	buffer_store_dword v87, off, s[0:3], 0 offset:64
	v_cmpx_lt_u32_e32 7, v0
	s_cbranch_execz .LBB41_247
; %bb.246:
	s_clause 0x1
	buffer_load_dword v87, off, s[0:3], 0 offset:56
	buffer_load_dword v88, off, s[0:3], 0 offset:60
	buffer_store_dword v86, off, s[0:3], 0 offset:56
	buffer_store_dword v86, off, s[0:3], 0 offset:60
	s_waitcnt vmcnt(0)
	ds_write_b64 v85, v[87:88]
.LBB41_247:
	s_or_b32 exec_lo, exec_lo, s4
	s_waitcnt lgkmcnt(0)
	s_waitcnt_vscnt null, 0x0
	s_barrier
	buffer_gl0_inv
	s_clause 0x1b
	buffer_load_dword v91, off, s[0:3], 0 offset:64
	buffer_load_dword v92, off, s[0:3], 0 offset:68
	;; [unrolled: 1-line block ×28, first 2 shown]
	ds_read_b128 v[87:90], v86 offset:400
	s_clause 0x1
	buffer_load_dword v119, off, s[0:3], 0 offset:176
	buffer_load_dword v120, off, s[0:3], 0 offset:180
	s_mov_b32 s4, exec_lo
	s_waitcnt vmcnt(28) lgkmcnt(0)
	v_fma_f64 v[87:88], v[91:92], v[87:88], 0
	s_clause 0x1
	buffer_load_dword v92, off, s[0:3], 0 offset:188
	buffer_load_dword v91, off, s[0:3], 0 offset:184
	s_waitcnt vmcnt(28)
	v_fma_f64 v[93:94], v[93:94], v[89:90], v[87:88]
	ds_read_b128 v[87:90], v86 offset:416
	s_clause 0x1
	buffer_load_dword v121, off, s[0:3], 0 offset:192
	buffer_load_dword v122, off, s[0:3], 0 offset:196
	s_waitcnt vmcnt(28) lgkmcnt(0)
	v_fma_f64 v[87:88], v[95:96], v[87:88], v[93:94]
	s_clause 0x1
	buffer_load_dword v93, off, s[0:3], 0 offset:200
	buffer_load_dword v94, off, s[0:3], 0 offset:204
	s_waitcnt vmcnt(28)
	v_fma_f64 v[95:96], v[97:98], v[89:90], v[87:88]
	ds_read_b128 v[87:90], v86 offset:432
	s_clause 0x1
	buffer_load_dword v97, off, s[0:3], 0 offset:208
	buffer_load_dword v98, off, s[0:3], 0 offset:212
	;; [unrolled: 11-line block ×10, first 2 shown]
	s_waitcnt vmcnt(28) lgkmcnt(0)
	v_fma_f64 v[87:88], v[101:102], v[87:88], v[95:96]
	s_waitcnt vmcnt(26)
	v_fma_f64 v[95:96], v[99:100], v[89:90], v[87:88]
	ds_read_b128 v[87:90], v86 offset:576
	s_waitcnt vmcnt(24) lgkmcnt(0)
	v_fma_f64 v[87:88], v[105:106], v[87:88], v[95:96]
	s_waitcnt vmcnt(22)
	v_fma_f64 v[95:96], v[103:104], v[89:90], v[87:88]
	ds_read_b128 v[87:90], v86 offset:592
	;; [unrolled: 5-line block ×6, first 2 shown]
	s_waitcnt vmcnt(4) lgkmcnt(0)
	v_fma_f64 v[86:87], v[121:122], v[86:87], v[90:91]
	s_waitcnt vmcnt(2)
	v_fma_f64 v[86:87], v[93:94], v[88:89], v[86:87]
	s_waitcnt vmcnt(0)
	v_add_f64 v[86:87], v[97:98], -v[86:87]
	buffer_store_dword v87, off, s[0:3], 0 offset:60
	buffer_store_dword v86, off, s[0:3], 0 offset:56
	v_cmpx_lt_u32_e32 6, v0
	s_cbranch_execz .LBB41_249
; %bb.248:
	s_clause 0x1
	buffer_load_dword v86, off, s[0:3], 0 offset:48
	buffer_load_dword v87, off, s[0:3], 0 offset:52
	v_mov_b32_e32 v88, 0
	buffer_store_dword v88, off, s[0:3], 0 offset:48
	buffer_store_dword v88, off, s[0:3], 0 offset:52
	s_waitcnt vmcnt(0)
	ds_write_b64 v85, v[86:87]
.LBB41_249:
	s_or_b32 exec_lo, exec_lo, s4
	s_waitcnt lgkmcnt(0)
	s_waitcnt_vscnt null, 0x0
	s_barrier
	buffer_gl0_inv
	s_clause 0x1b
	buffer_load_dword v91, off, s[0:3], 0 offset:56
	buffer_load_dword v92, off, s[0:3], 0 offset:60
	;; [unrolled: 1-line block ×28, first 2 shown]
	v_mov_b32_e32 v86, 0
	s_mov_b32 s4, exec_lo
	ds_read2_b64 v[87:90], v86 offset0:49 offset1:50
	s_clause 0x1
	buffer_load_dword v119, off, s[0:3], 0 offset:168
	buffer_load_dword v120, off, s[0:3], 0 offset:172
	s_waitcnt vmcnt(28) lgkmcnt(0)
	v_fma_f64 v[87:88], v[91:92], v[87:88], 0
	s_clause 0x1
	buffer_load_dword v92, off, s[0:3], 0 offset:180
	buffer_load_dword v91, off, s[0:3], 0 offset:176
	s_waitcnt vmcnt(28)
	v_fma_f64 v[93:94], v[93:94], v[89:90], v[87:88]
	ds_read2_b64 v[87:90], v86 offset0:51 offset1:52
	s_clause 0x1
	buffer_load_dword v121, off, s[0:3], 0 offset:184
	buffer_load_dword v122, off, s[0:3], 0 offset:188
	s_waitcnt vmcnt(28) lgkmcnt(0)
	v_fma_f64 v[87:88], v[95:96], v[87:88], v[93:94]
	s_clause 0x1
	buffer_load_dword v93, off, s[0:3], 0 offset:192
	buffer_load_dword v94, off, s[0:3], 0 offset:196
	s_waitcnt vmcnt(28)
	v_fma_f64 v[95:96], v[97:98], v[89:90], v[87:88]
	;; [unrolled: 11-line block ×11, first 2 shown]
	ds_read2_b64 v[87:90], v86 offset0:71 offset1:72
	s_waitcnt vmcnt(26) lgkmcnt(0)
	v_fma_f64 v[87:88], v[105:106], v[87:88], v[99:100]
	s_waitcnt vmcnt(24)
	v_fma_f64 v[99:100], v[103:104], v[89:90], v[87:88]
	ds_read2_b64 v[87:90], v86 offset0:73 offset1:74
	s_waitcnt vmcnt(22) lgkmcnt(0)
	v_fma_f64 v[87:88], v[109:110], v[87:88], v[99:100]
	s_waitcnt vmcnt(20)
	v_fma_f64 v[99:100], v[107:108], v[89:90], v[87:88]
	;; [unrolled: 5-line block ×6, first 2 shown]
	ds_read_b64 v[89:90], v86 offset:664
	s_waitcnt vmcnt(2) lgkmcnt(0)
	v_fma_f64 v[87:88], v[97:98], v[89:90], v[87:88]
	s_waitcnt vmcnt(0)
	v_add_f64 v[87:88], v[95:96], -v[87:88]
	buffer_store_dword v88, off, s[0:3], 0 offset:52
	buffer_store_dword v87, off, s[0:3], 0 offset:48
	v_cmpx_lt_u32_e32 5, v0
	s_cbranch_execz .LBB41_251
; %bb.250:
	s_clause 0x1
	buffer_load_dword v87, off, s[0:3], 0 offset:40
	buffer_load_dword v88, off, s[0:3], 0 offset:44
	buffer_store_dword v86, off, s[0:3], 0 offset:40
	buffer_store_dword v86, off, s[0:3], 0 offset:44
	s_waitcnt vmcnt(0)
	ds_write_b64 v85, v[87:88]
.LBB41_251:
	s_or_b32 exec_lo, exec_lo, s4
	s_waitcnt lgkmcnt(0)
	s_waitcnt_vscnt null, 0x0
	s_barrier
	buffer_gl0_inv
	s_clause 0x1b
	buffer_load_dword v91, off, s[0:3], 0 offset:48
	buffer_load_dword v92, off, s[0:3], 0 offset:52
	;; [unrolled: 1-line block ×28, first 2 shown]
	ds_read_b128 v[87:90], v86 offset:384
	s_clause 0x1
	buffer_load_dword v119, off, s[0:3], 0 offset:160
	buffer_load_dword v120, off, s[0:3], 0 offset:164
	s_mov_b32 s4, exec_lo
	s_waitcnt vmcnt(28) lgkmcnt(0)
	v_fma_f64 v[87:88], v[91:92], v[87:88], 0
	s_clause 0x1
	buffer_load_dword v92, off, s[0:3], 0 offset:172
	buffer_load_dword v91, off, s[0:3], 0 offset:168
	s_waitcnt vmcnt(28)
	v_fma_f64 v[93:94], v[93:94], v[89:90], v[87:88]
	ds_read_b128 v[87:90], v86 offset:400
	s_clause 0x1
	buffer_load_dword v121, off, s[0:3], 0 offset:176
	buffer_load_dword v122, off, s[0:3], 0 offset:180
	s_waitcnt vmcnt(28) lgkmcnt(0)
	v_fma_f64 v[87:88], v[95:96], v[87:88], v[93:94]
	s_clause 0x1
	buffer_load_dword v93, off, s[0:3], 0 offset:184
	buffer_load_dword v94, off, s[0:3], 0 offset:188
	s_waitcnt vmcnt(28)
	v_fma_f64 v[95:96], v[97:98], v[89:90], v[87:88]
	ds_read_b128 v[87:90], v86 offset:416
	s_clause 0x1
	buffer_load_dword v97, off, s[0:3], 0 offset:192
	buffer_load_dword v98, off, s[0:3], 0 offset:196
	;; [unrolled: 11-line block ×11, first 2 shown]
	s_waitcnt vmcnt(28) lgkmcnt(0)
	v_fma_f64 v[87:88], v[105:106], v[87:88], v[99:100]
	s_waitcnt vmcnt(26)
	v_fma_f64 v[99:100], v[103:104], v[89:90], v[87:88]
	ds_read_b128 v[87:90], v86 offset:576
	s_waitcnt vmcnt(24) lgkmcnt(0)
	v_fma_f64 v[87:88], v[109:110], v[87:88], v[99:100]
	s_waitcnt vmcnt(22)
	v_fma_f64 v[99:100], v[107:108], v[89:90], v[87:88]
	ds_read_b128 v[87:90], v86 offset:592
	;; [unrolled: 5-line block ×6, first 2 shown]
	s_waitcnt vmcnt(4) lgkmcnt(0)
	v_fma_f64 v[86:87], v[97:98], v[86:87], v[90:91]
	s_waitcnt vmcnt(2)
	v_fma_f64 v[86:87], v[95:96], v[88:89], v[86:87]
	s_waitcnt vmcnt(0)
	v_add_f64 v[86:87], v[101:102], -v[86:87]
	buffer_store_dword v87, off, s[0:3], 0 offset:44
	buffer_store_dword v86, off, s[0:3], 0 offset:40
	v_cmpx_lt_u32_e32 4, v0
	s_cbranch_execz .LBB41_253
; %bb.252:
	s_clause 0x1
	buffer_load_dword v86, off, s[0:3], 0 offset:32
	buffer_load_dword v87, off, s[0:3], 0 offset:36
	v_mov_b32_e32 v88, 0
	buffer_store_dword v88, off, s[0:3], 0 offset:32
	buffer_store_dword v88, off, s[0:3], 0 offset:36
	s_waitcnt vmcnt(0)
	ds_write_b64 v85, v[86:87]
.LBB41_253:
	s_or_b32 exec_lo, exec_lo, s4
	s_waitcnt lgkmcnt(0)
	s_waitcnt_vscnt null, 0x0
	s_barrier
	buffer_gl0_inv
	s_clause 0x1b
	buffer_load_dword v91, off, s[0:3], 0 offset:40
	buffer_load_dword v92, off, s[0:3], 0 offset:44
	;; [unrolled: 1-line block ×28, first 2 shown]
	v_mov_b32_e32 v86, 0
	s_mov_b32 s4, exec_lo
	ds_read2_b64 v[87:90], v86 offset0:47 offset1:48
	s_clause 0x1
	buffer_load_dword v119, off, s[0:3], 0 offset:152
	buffer_load_dword v120, off, s[0:3], 0 offset:156
	s_waitcnt vmcnt(28) lgkmcnt(0)
	v_fma_f64 v[87:88], v[91:92], v[87:88], 0
	s_clause 0x1
	buffer_load_dword v92, off, s[0:3], 0 offset:164
	buffer_load_dword v91, off, s[0:3], 0 offset:160
	s_waitcnt vmcnt(28)
	v_fma_f64 v[93:94], v[93:94], v[89:90], v[87:88]
	ds_read2_b64 v[87:90], v86 offset0:49 offset1:50
	s_clause 0x1
	buffer_load_dword v121, off, s[0:3], 0 offset:168
	buffer_load_dword v122, off, s[0:3], 0 offset:172
	s_waitcnt vmcnt(28) lgkmcnt(0)
	v_fma_f64 v[87:88], v[95:96], v[87:88], v[93:94]
	s_clause 0x1
	buffer_load_dword v93, off, s[0:3], 0 offset:176
	buffer_load_dword v94, off, s[0:3], 0 offset:180
	s_waitcnt vmcnt(28)
	v_fma_f64 v[95:96], v[97:98], v[89:90], v[87:88]
	ds_read2_b64 v[87:90], v86 offset0:51 offset1:52
	s_clause 0x1
	buffer_load_dword v97, off, s[0:3], 0 offset:184
	buffer_load_dword v98, off, s[0:3], 0 offset:188
	s_waitcnt vmcnt(28) lgkmcnt(0)
	v_fma_f64 v[87:88], v[99:100], v[87:88], v[95:96]
	s_clause 0x1
	buffer_load_dword v96, off, s[0:3], 0 offset:196
	buffer_load_dword v95, off, s[0:3], 0 offset:192
	s_waitcnt vmcnt(28)
	v_fma_f64 v[99:100], v[101:102], v[89:90], v[87:88]
	ds_read2_b64 v[87:90], v86 offset0:53 offset1:54
	s_clause 0x1
	buffer_load_dword v101, off, s[0:3], 0 offset:200
	buffer_load_dword v102, off, s[0:3], 0 offset:204
	s_waitcnt vmcnt(28) lgkmcnt(0)
	v_fma_f64 v[87:88], v[103:104], v[87:88], v[99:100]
	s_clause 0x1
	buffer_load_dword v99, off, s[0:3], 0 offset:208
	buffer_load_dword v100, off, s[0:3], 0 offset:212
	s_waitcnt vmcnt(28)
	v_fma_f64 v[103:104], v[105:106], v[89:90], v[87:88]
	ds_read2_b64 v[87:90], v86 offset0:55 offset1:56
	s_clause 0x1
	buffer_load_dword v105, off, s[0:3], 0 offset:216
	buffer_load_dword v106, off, s[0:3], 0 offset:220
	s_waitcnt vmcnt(28) lgkmcnt(0)
	v_fma_f64 v[87:88], v[107:108], v[87:88], v[103:104]
	s_clause 0x1
	buffer_load_dword v104, off, s[0:3], 0 offset:228
	buffer_load_dword v103, off, s[0:3], 0 offset:224
	s_waitcnt vmcnt(28)
	v_fma_f64 v[107:108], v[109:110], v[89:90], v[87:88]
	ds_read2_b64 v[87:90], v86 offset0:57 offset1:58
	s_clause 0x1
	buffer_load_dword v109, off, s[0:3], 0 offset:232
	buffer_load_dword v110, off, s[0:3], 0 offset:236
	s_waitcnt vmcnt(28) lgkmcnt(0)
	v_fma_f64 v[87:88], v[111:112], v[87:88], v[107:108]
	s_clause 0x1
	buffer_load_dword v107, off, s[0:3], 0 offset:240
	buffer_load_dword v108, off, s[0:3], 0 offset:244
	s_waitcnt vmcnt(28)
	v_fma_f64 v[111:112], v[113:114], v[89:90], v[87:88]
	ds_read2_b64 v[87:90], v86 offset0:59 offset1:60
	s_clause 0x1
	buffer_load_dword v113, off, s[0:3], 0 offset:248
	buffer_load_dword v114, off, s[0:3], 0 offset:252
	s_waitcnt vmcnt(28) lgkmcnt(0)
	v_fma_f64 v[87:88], v[115:116], v[87:88], v[111:112]
	s_clause 0x1
	buffer_load_dword v112, off, s[0:3], 0 offset:260
	buffer_load_dword v111, off, s[0:3], 0 offset:256
	s_waitcnt vmcnt(28)
	v_fma_f64 v[115:116], v[117:118], v[89:90], v[87:88]
	ds_read2_b64 v[87:90], v86 offset0:61 offset1:62
	s_clause 0x1
	buffer_load_dword v117, off, s[0:3], 0 offset:264
	buffer_load_dword v118, off, s[0:3], 0 offset:268
	s_waitcnt vmcnt(28) lgkmcnt(0)
	v_fma_f64 v[87:88], v[119:120], v[87:88], v[115:116]
	s_clause 0x1
	buffer_load_dword v115, off, s[0:3], 0 offset:272
	buffer_load_dword v116, off, s[0:3], 0 offset:276
	s_waitcnt vmcnt(28)
	v_fma_f64 v[91:92], v[91:92], v[89:90], v[87:88]
	ds_read2_b64 v[87:90], v86 offset0:63 offset1:64
	s_clause 0x1
	buffer_load_dword v119, off, s[0:3], 0 offset:280
	buffer_load_dword v120, off, s[0:3], 0 offset:284
	s_waitcnt vmcnt(28) lgkmcnt(0)
	v_fma_f64 v[87:88], v[121:122], v[87:88], v[91:92]
	s_clause 0x1
	buffer_load_dword v92, off, s[0:3], 0 offset:292
	buffer_load_dword v91, off, s[0:3], 0 offset:288
	s_waitcnt vmcnt(28)
	v_fma_f64 v[93:94], v[93:94], v[89:90], v[87:88]
	ds_read2_b64 v[87:90], v86 offset0:65 offset1:66
	s_clause 0x1
	buffer_load_dword v121, off, s[0:3], 0 offset:296
	buffer_load_dword v122, off, s[0:3], 0 offset:300
	s_waitcnt vmcnt(28) lgkmcnt(0)
	v_fma_f64 v[87:88], v[97:98], v[87:88], v[93:94]
	s_clause 0x1
	buffer_load_dword v93, off, s[0:3], 0 offset:304
	buffer_load_dword v94, off, s[0:3], 0 offset:308
	s_waitcnt vmcnt(28)
	v_fma_f64 v[95:96], v[95:96], v[89:90], v[87:88]
	ds_read2_b64 v[87:90], v86 offset0:67 offset1:68
	s_clause 0x1
	buffer_load_dword v97, off, s[0:3], 0 offset:312
	buffer_load_dword v98, off, s[0:3], 0 offset:316
	s_waitcnt vmcnt(28) lgkmcnt(0)
	v_fma_f64 v[87:88], v[101:102], v[87:88], v[95:96]
	s_clause 0x1
	buffer_load_dword v96, off, s[0:3], 0 offset:324
	buffer_load_dword v95, off, s[0:3], 0 offset:320
	s_waitcnt vmcnt(28)
	v_fma_f64 v[99:100], v[99:100], v[89:90], v[87:88]
	ds_read2_b64 v[87:90], v86 offset0:69 offset1:70
	s_clause 0x1
	buffer_load_dword v101, off, s[0:3], 0 offset:328
	buffer_load_dword v102, off, s[0:3], 0 offset:332
	s_waitcnt vmcnt(28) lgkmcnt(0)
	v_fma_f64 v[87:88], v[105:106], v[87:88], v[99:100]
	s_clause 0x1
	buffer_load_dword v99, off, s[0:3], 0 offset:32
	buffer_load_dword v100, off, s[0:3], 0 offset:36
	s_waitcnt vmcnt(28)
	v_fma_f64 v[103:104], v[103:104], v[89:90], v[87:88]
	ds_read2_b64 v[87:90], v86 offset0:71 offset1:72
	s_waitcnt vmcnt(26) lgkmcnt(0)
	v_fma_f64 v[87:88], v[109:110], v[87:88], v[103:104]
	s_waitcnt vmcnt(24)
	v_fma_f64 v[103:104], v[107:108], v[89:90], v[87:88]
	ds_read2_b64 v[87:90], v86 offset0:73 offset1:74
	s_waitcnt vmcnt(22) lgkmcnt(0)
	v_fma_f64 v[87:88], v[113:114], v[87:88], v[103:104]
	s_waitcnt vmcnt(20)
	v_fma_f64 v[103:104], v[111:112], v[89:90], v[87:88]
	;; [unrolled: 5-line block ×6, first 2 shown]
	ds_read_b64 v[89:90], v86 offset:664
	s_waitcnt vmcnt(2) lgkmcnt(0)
	v_fma_f64 v[87:88], v[101:102], v[89:90], v[87:88]
	s_waitcnt vmcnt(0)
	v_add_f64 v[87:88], v[99:100], -v[87:88]
	buffer_store_dword v88, off, s[0:3], 0 offset:36
	buffer_store_dword v87, off, s[0:3], 0 offset:32
	v_cmpx_lt_u32_e32 3, v0
	s_cbranch_execz .LBB41_255
; %bb.254:
	s_clause 0x1
	buffer_load_dword v87, off, s[0:3], 0 offset:24
	buffer_load_dword v88, off, s[0:3], 0 offset:28
	buffer_store_dword v86, off, s[0:3], 0 offset:24
	buffer_store_dword v86, off, s[0:3], 0 offset:28
	s_waitcnt vmcnt(0)
	ds_write_b64 v85, v[87:88]
.LBB41_255:
	s_or_b32 exec_lo, exec_lo, s4
	s_waitcnt lgkmcnt(0)
	s_waitcnt_vscnt null, 0x0
	s_barrier
	buffer_gl0_inv
	s_clause 0x1b
	buffer_load_dword v91, off, s[0:3], 0 offset:32
	buffer_load_dword v92, off, s[0:3], 0 offset:36
	;; [unrolled: 1-line block ×28, first 2 shown]
	ds_read_b128 v[87:90], v86 offset:368
	s_clause 0x1
	buffer_load_dword v119, off, s[0:3], 0 offset:144
	buffer_load_dword v120, off, s[0:3], 0 offset:148
	s_mov_b32 s4, exec_lo
	s_waitcnt vmcnt(28) lgkmcnt(0)
	v_fma_f64 v[87:88], v[91:92], v[87:88], 0
	s_clause 0x1
	buffer_load_dword v92, off, s[0:3], 0 offset:156
	buffer_load_dword v91, off, s[0:3], 0 offset:152
	s_waitcnt vmcnt(28)
	v_fma_f64 v[93:94], v[93:94], v[89:90], v[87:88]
	ds_read_b128 v[87:90], v86 offset:384
	s_clause 0x1
	buffer_load_dword v121, off, s[0:3], 0 offset:160
	buffer_load_dword v122, off, s[0:3], 0 offset:164
	s_waitcnt vmcnt(28) lgkmcnt(0)
	v_fma_f64 v[87:88], v[95:96], v[87:88], v[93:94]
	s_clause 0x1
	buffer_load_dword v93, off, s[0:3], 0 offset:168
	buffer_load_dword v94, off, s[0:3], 0 offset:172
	s_waitcnt vmcnt(28)
	v_fma_f64 v[95:96], v[97:98], v[89:90], v[87:88]
	ds_read_b128 v[87:90], v86 offset:400
	s_clause 0x1
	buffer_load_dword v97, off, s[0:3], 0 offset:176
	buffer_load_dword v98, off, s[0:3], 0 offset:180
	;; [unrolled: 11-line block ×12, first 2 shown]
	s_waitcnt vmcnt(28) lgkmcnt(0)
	v_fma_f64 v[87:88], v[109:110], v[87:88], v[103:104]
	s_waitcnt vmcnt(26)
	v_fma_f64 v[103:104], v[107:108], v[89:90], v[87:88]
	ds_read_b128 v[87:90], v86 offset:576
	s_waitcnt vmcnt(24) lgkmcnt(0)
	v_fma_f64 v[87:88], v[113:114], v[87:88], v[103:104]
	s_waitcnt vmcnt(22)
	v_fma_f64 v[103:104], v[111:112], v[89:90], v[87:88]
	ds_read_b128 v[87:90], v86 offset:592
	;; [unrolled: 5-line block ×6, first 2 shown]
	s_waitcnt vmcnt(4) lgkmcnt(0)
	v_fma_f64 v[86:87], v[101:102], v[86:87], v[90:91]
	s_waitcnt vmcnt(2)
	v_fma_f64 v[86:87], v[99:100], v[88:89], v[86:87]
	s_waitcnt vmcnt(0)
	v_add_f64 v[86:87], v[105:106], -v[86:87]
	buffer_store_dword v87, off, s[0:3], 0 offset:28
	buffer_store_dword v86, off, s[0:3], 0 offset:24
	v_cmpx_lt_u32_e32 2, v0
	s_cbranch_execz .LBB41_257
; %bb.256:
	s_clause 0x1
	buffer_load_dword v86, off, s[0:3], 0 offset:16
	buffer_load_dword v87, off, s[0:3], 0 offset:20
	v_mov_b32_e32 v88, 0
	buffer_store_dword v88, off, s[0:3], 0 offset:16
	buffer_store_dword v88, off, s[0:3], 0 offset:20
	s_waitcnt vmcnt(0)
	ds_write_b64 v85, v[86:87]
.LBB41_257:
	s_or_b32 exec_lo, exec_lo, s4
	s_waitcnt lgkmcnt(0)
	s_waitcnt_vscnt null, 0x0
	s_barrier
	buffer_gl0_inv
	s_clause 0x1b
	buffer_load_dword v91, off, s[0:3], 0 offset:24
	buffer_load_dword v92, off, s[0:3], 0 offset:28
	;; [unrolled: 1-line block ×28, first 2 shown]
	v_mov_b32_e32 v86, 0
	s_mov_b32 s4, exec_lo
	ds_read2_b64 v[87:90], v86 offset0:45 offset1:46
	s_clause 0x1
	buffer_load_dword v119, off, s[0:3], 0 offset:136
	buffer_load_dword v120, off, s[0:3], 0 offset:140
	s_waitcnt vmcnt(28) lgkmcnt(0)
	v_fma_f64 v[87:88], v[91:92], v[87:88], 0
	s_clause 0x1
	buffer_load_dword v92, off, s[0:3], 0 offset:148
	buffer_load_dword v91, off, s[0:3], 0 offset:144
	s_waitcnt vmcnt(28)
	v_fma_f64 v[93:94], v[93:94], v[89:90], v[87:88]
	ds_read2_b64 v[87:90], v86 offset0:47 offset1:48
	s_clause 0x1
	buffer_load_dword v121, off, s[0:3], 0 offset:152
	buffer_load_dword v122, off, s[0:3], 0 offset:156
	s_waitcnt vmcnt(28) lgkmcnt(0)
	v_fma_f64 v[87:88], v[95:96], v[87:88], v[93:94]
	s_clause 0x1
	buffer_load_dword v93, off, s[0:3], 0 offset:160
	buffer_load_dword v94, off, s[0:3], 0 offset:164
	s_waitcnt vmcnt(28)
	v_fma_f64 v[95:96], v[97:98], v[89:90], v[87:88]
	;; [unrolled: 11-line block ×13, first 2 shown]
	ds_read2_b64 v[87:90], v86 offset0:71 offset1:72
	s_waitcnt vmcnt(26) lgkmcnt(0)
	v_fma_f64 v[87:88], v[113:114], v[87:88], v[107:108]
	s_waitcnt vmcnt(24)
	v_fma_f64 v[107:108], v[111:112], v[89:90], v[87:88]
	ds_read2_b64 v[87:90], v86 offset0:73 offset1:74
	s_waitcnt vmcnt(22) lgkmcnt(0)
	v_fma_f64 v[87:88], v[117:118], v[87:88], v[107:108]
	s_waitcnt vmcnt(20)
	v_fma_f64 v[107:108], v[115:116], v[89:90], v[87:88]
	;; [unrolled: 5-line block ×6, first 2 shown]
	ds_read_b64 v[89:90], v86 offset:664
	s_waitcnt vmcnt(2) lgkmcnt(0)
	v_fma_f64 v[87:88], v[105:106], v[89:90], v[87:88]
	s_waitcnt vmcnt(0)
	v_add_f64 v[87:88], v[103:104], -v[87:88]
	buffer_store_dword v88, off, s[0:3], 0 offset:20
	buffer_store_dword v87, off, s[0:3], 0 offset:16
	v_cmpx_lt_u32_e32 1, v0
	s_cbranch_execz .LBB41_259
; %bb.258:
	s_clause 0x1
	buffer_load_dword v87, off, s[0:3], 0 offset:8
	buffer_load_dword v88, off, s[0:3], 0 offset:12
	buffer_store_dword v86, off, s[0:3], 0 offset:8
	buffer_store_dword v86, off, s[0:3], 0 offset:12
	s_waitcnt vmcnt(0)
	ds_write_b64 v85, v[87:88]
.LBB41_259:
	s_or_b32 exec_lo, exec_lo, s4
	s_waitcnt lgkmcnt(0)
	s_waitcnt_vscnt null, 0x0
	s_barrier
	buffer_gl0_inv
	s_clause 0x1b
	buffer_load_dword v91, off, s[0:3], 0 offset:16
	buffer_load_dword v92, off, s[0:3], 0 offset:20
	;; [unrolled: 1-line block ×28, first 2 shown]
	ds_read_b128 v[87:90], v86 offset:352
	s_clause 0x1
	buffer_load_dword v119, off, s[0:3], 0 offset:128
	buffer_load_dword v120, off, s[0:3], 0 offset:132
	s_mov_b32 s4, exec_lo
	s_waitcnt vmcnt(28) lgkmcnt(0)
	v_fma_f64 v[87:88], v[91:92], v[87:88], 0
	s_clause 0x1
	buffer_load_dword v92, off, s[0:3], 0 offset:140
	buffer_load_dword v91, off, s[0:3], 0 offset:136
	s_waitcnt vmcnt(28)
	v_fma_f64 v[93:94], v[93:94], v[89:90], v[87:88]
	ds_read_b128 v[87:90], v86 offset:368
	s_clause 0x1
	buffer_load_dword v121, off, s[0:3], 0 offset:144
	buffer_load_dword v122, off, s[0:3], 0 offset:148
	s_waitcnt vmcnt(28) lgkmcnt(0)
	v_fma_f64 v[87:88], v[95:96], v[87:88], v[93:94]
	s_clause 0x1
	buffer_load_dword v93, off, s[0:3], 0 offset:152
	buffer_load_dword v94, off, s[0:3], 0 offset:156
	s_waitcnt vmcnt(28)
	v_fma_f64 v[95:96], v[97:98], v[89:90], v[87:88]
	ds_read_b128 v[87:90], v86 offset:384
	s_clause 0x1
	buffer_load_dword v97, off, s[0:3], 0 offset:160
	buffer_load_dword v98, off, s[0:3], 0 offset:164
	s_waitcnt vmcnt(28) lgkmcnt(0)
	v_fma_f64 v[87:88], v[99:100], v[87:88], v[95:96]
	s_clause 0x1
	buffer_load_dword v96, off, s[0:3], 0 offset:172
	buffer_load_dword v95, off, s[0:3], 0 offset:168
	s_waitcnt vmcnt(28)
	v_fma_f64 v[99:100], v[101:102], v[89:90], v[87:88]
	ds_read_b128 v[87:90], v86 offset:400
	s_clause 0x1
	buffer_load_dword v101, off, s[0:3], 0 offset:176
	buffer_load_dword v102, off, s[0:3], 0 offset:180
	s_waitcnt vmcnt(28) lgkmcnt(0)
	v_fma_f64 v[87:88], v[103:104], v[87:88], v[99:100]
	s_clause 0x1
	buffer_load_dword v99, off, s[0:3], 0 offset:184
	buffer_load_dword v100, off, s[0:3], 0 offset:188
	s_waitcnt vmcnt(28)
	v_fma_f64 v[103:104], v[105:106], v[89:90], v[87:88]
	ds_read_b128 v[87:90], v86 offset:416
	s_clause 0x1
	buffer_load_dword v105, off, s[0:3], 0 offset:192
	buffer_load_dword v106, off, s[0:3], 0 offset:196
	s_waitcnt vmcnt(28) lgkmcnt(0)
	v_fma_f64 v[87:88], v[107:108], v[87:88], v[103:104]
	s_clause 0x1
	buffer_load_dword v104, off, s[0:3], 0 offset:204
	buffer_load_dword v103, off, s[0:3], 0 offset:200
	s_waitcnt vmcnt(28)
	v_fma_f64 v[107:108], v[109:110], v[89:90], v[87:88]
	ds_read_b128 v[87:90], v86 offset:432
	s_clause 0x1
	buffer_load_dword v109, off, s[0:3], 0 offset:208
	buffer_load_dword v110, off, s[0:3], 0 offset:212
	s_waitcnt vmcnt(28) lgkmcnt(0)
	v_fma_f64 v[87:88], v[111:112], v[87:88], v[107:108]
	s_clause 0x1
	buffer_load_dword v107, off, s[0:3], 0 offset:216
	buffer_load_dword v108, off, s[0:3], 0 offset:220
	s_waitcnt vmcnt(28)
	v_fma_f64 v[111:112], v[113:114], v[89:90], v[87:88]
	ds_read_b128 v[87:90], v86 offset:448
	s_clause 0x1
	buffer_load_dword v113, off, s[0:3], 0 offset:224
	buffer_load_dword v114, off, s[0:3], 0 offset:228
	s_waitcnt vmcnt(28) lgkmcnt(0)
	v_fma_f64 v[87:88], v[115:116], v[87:88], v[111:112]
	s_clause 0x1
	buffer_load_dword v112, off, s[0:3], 0 offset:236
	buffer_load_dword v111, off, s[0:3], 0 offset:232
	s_waitcnt vmcnt(28)
	v_fma_f64 v[115:116], v[117:118], v[89:90], v[87:88]
	ds_read_b128 v[87:90], v86 offset:464
	s_clause 0x1
	buffer_load_dword v117, off, s[0:3], 0 offset:240
	buffer_load_dword v118, off, s[0:3], 0 offset:244
	s_waitcnt vmcnt(28) lgkmcnt(0)
	v_fma_f64 v[87:88], v[119:120], v[87:88], v[115:116]
	s_clause 0x1
	buffer_load_dword v115, off, s[0:3], 0 offset:248
	buffer_load_dword v116, off, s[0:3], 0 offset:252
	s_waitcnt vmcnt(28)
	v_fma_f64 v[91:92], v[91:92], v[89:90], v[87:88]
	ds_read_b128 v[87:90], v86 offset:480
	s_clause 0x1
	buffer_load_dword v119, off, s[0:3], 0 offset:256
	buffer_load_dword v120, off, s[0:3], 0 offset:260
	s_waitcnt vmcnt(28) lgkmcnt(0)
	v_fma_f64 v[87:88], v[121:122], v[87:88], v[91:92]
	s_clause 0x1
	buffer_load_dword v92, off, s[0:3], 0 offset:268
	buffer_load_dword v91, off, s[0:3], 0 offset:264
	s_waitcnt vmcnt(28)
	v_fma_f64 v[93:94], v[93:94], v[89:90], v[87:88]
	ds_read_b128 v[87:90], v86 offset:496
	s_clause 0x1
	buffer_load_dword v121, off, s[0:3], 0 offset:272
	buffer_load_dword v122, off, s[0:3], 0 offset:276
	s_waitcnt vmcnt(28) lgkmcnt(0)
	v_fma_f64 v[87:88], v[97:98], v[87:88], v[93:94]
	s_clause 0x1
	buffer_load_dword v93, off, s[0:3], 0 offset:280
	buffer_load_dword v94, off, s[0:3], 0 offset:284
	s_waitcnt vmcnt(28)
	v_fma_f64 v[95:96], v[95:96], v[89:90], v[87:88]
	ds_read_b128 v[87:90], v86 offset:512
	s_clause 0x1
	buffer_load_dword v97, off, s[0:3], 0 offset:288
	buffer_load_dword v98, off, s[0:3], 0 offset:292
	s_waitcnt vmcnt(28) lgkmcnt(0)
	v_fma_f64 v[87:88], v[101:102], v[87:88], v[95:96]
	s_clause 0x1
	buffer_load_dword v96, off, s[0:3], 0 offset:300
	buffer_load_dword v95, off, s[0:3], 0 offset:296
	s_waitcnt vmcnt(28)
	v_fma_f64 v[99:100], v[99:100], v[89:90], v[87:88]
	ds_read_b128 v[87:90], v86 offset:528
	s_clause 0x1
	buffer_load_dword v101, off, s[0:3], 0 offset:304
	buffer_load_dword v102, off, s[0:3], 0 offset:308
	s_waitcnt vmcnt(28) lgkmcnt(0)
	v_fma_f64 v[87:88], v[105:106], v[87:88], v[99:100]
	s_clause 0x1
	buffer_load_dword v99, off, s[0:3], 0 offset:312
	buffer_load_dword v100, off, s[0:3], 0 offset:316
	s_waitcnt vmcnt(28)
	v_fma_f64 v[103:104], v[103:104], v[89:90], v[87:88]
	ds_read_b128 v[87:90], v86 offset:544
	s_clause 0x1
	buffer_load_dword v105, off, s[0:3], 0 offset:320
	buffer_load_dword v106, off, s[0:3], 0 offset:324
	s_waitcnt vmcnt(28) lgkmcnt(0)
	v_fma_f64 v[87:88], v[109:110], v[87:88], v[103:104]
	s_clause 0x1
	buffer_load_dword v104, off, s[0:3], 0 offset:332
	buffer_load_dword v103, off, s[0:3], 0 offset:328
	s_waitcnt vmcnt(28)
	v_fma_f64 v[107:108], v[107:108], v[89:90], v[87:88]
	ds_read_b128 v[87:90], v86 offset:560
	s_clause 0x1
	buffer_load_dword v109, off, s[0:3], 0 offset:8
	buffer_load_dword v110, off, s[0:3], 0 offset:12
	s_waitcnt vmcnt(28) lgkmcnt(0)
	v_fma_f64 v[87:88], v[113:114], v[87:88], v[107:108]
	s_waitcnt vmcnt(26)
	v_fma_f64 v[107:108], v[111:112], v[89:90], v[87:88]
	ds_read_b128 v[87:90], v86 offset:576
	s_waitcnt vmcnt(24) lgkmcnt(0)
	v_fma_f64 v[87:88], v[117:118], v[87:88], v[107:108]
	s_waitcnt vmcnt(22)
	v_fma_f64 v[107:108], v[115:116], v[89:90], v[87:88]
	ds_read_b128 v[87:90], v86 offset:592
	s_waitcnt vmcnt(20) lgkmcnt(0)
	v_fma_f64 v[87:88], v[119:120], v[87:88], v[107:108]
	s_waitcnt vmcnt(18)
	v_fma_f64 v[91:92], v[91:92], v[89:90], v[87:88]
	ds_read_b128 v[87:90], v86 offset:608
	s_waitcnt vmcnt(16) lgkmcnt(0)
	v_fma_f64 v[87:88], v[121:122], v[87:88], v[91:92]
	s_waitcnt vmcnt(14)
	v_fma_f64 v[91:92], v[93:94], v[89:90], v[87:88]
	ds_read_b128 v[87:90], v86 offset:624
	s_waitcnt vmcnt(12) lgkmcnt(0)
	v_fma_f64 v[87:88], v[97:98], v[87:88], v[91:92]
	s_waitcnt vmcnt(10)
	v_fma_f64 v[91:92], v[95:96], v[89:90], v[87:88]
	ds_read_b128 v[87:90], v86 offset:640
	s_waitcnt vmcnt(8) lgkmcnt(0)
	v_fma_f64 v[87:88], v[101:102], v[87:88], v[91:92]
	s_waitcnt vmcnt(6)
	v_fma_f64 v[90:91], v[99:100], v[89:90], v[87:88]
	ds_read_b128 v[86:89], v86 offset:656
	s_waitcnt vmcnt(4) lgkmcnt(0)
	v_fma_f64 v[86:87], v[105:106], v[86:87], v[90:91]
	s_waitcnt vmcnt(2)
	v_fma_f64 v[86:87], v[103:104], v[88:89], v[86:87]
	s_waitcnt vmcnt(0)
	v_add_f64 v[86:87], v[109:110], -v[86:87]
	buffer_store_dword v87, off, s[0:3], 0 offset:12
	buffer_store_dword v86, off, s[0:3], 0 offset:8
	v_cmpx_ne_u32_e32 0, v0
	s_cbranch_execz .LBB41_261
; %bb.260:
	s_clause 0x1
	buffer_load_dword v86, off, s[0:3], 0
	buffer_load_dword v87, off, s[0:3], 0 offset:4
	v_mov_b32_e32 v0, 0
	buffer_store_dword v0, off, s[0:3], 0
	buffer_store_dword v0, off, s[0:3], 0 offset:4
	s_waitcnt vmcnt(0)
	ds_write_b64 v85, v[86:87]
.LBB41_261:
	s_or_b32 exec_lo, exec_lo, s4
	s_waitcnt lgkmcnt(0)
	s_waitcnt_vscnt null, 0x0
	s_barrier
	buffer_gl0_inv
	s_clause 0x1c
	buffer_load_dword v93, off, s[0:3], 0 offset:8
	buffer_load_dword v94, off, s[0:3], 0 offset:12
	;; [unrolled: 1-line block ×29, first 2 shown]
	v_mov_b32_e32 v0, 0
	buffer_load_dword v118, off, s[0:3], 0 offset:124
	s_and_b32 vcc_lo, exec_lo, s22
	ds_read2_b64 v[85:88], v0 offset0:43 offset1:44
	ds_read2_b64 v[89:92], v0 offset0:45 offset1:46
	s_waitcnt vmcnt(28) lgkmcnt(1)
	v_fma_f64 v[85:86], v[93:94], v[85:86], 0
	s_clause 0x7
	buffer_load_dword v94, off, s[0:3], 0 offset:132
	buffer_load_dword v123, off, s[0:3], 0 offset:152
	buffer_load_dword v125, off, s[0:3], 0 offset:144
	buffer_load_dword v127, off, s[0:3], 0 offset:136
	buffer_load_dword v93, off, s[0:3], 0 offset:128
	buffer_load_dword v128, off, s[0:3], 0 offset:140
	buffer_load_dword v126, off, s[0:3], 0 offset:148
	buffer_load_dword v124, off, s[0:3], 0 offset:156
	s_waitcnt vmcnt(34)
	v_fma_f64 v[85:86], v[95:96], v[87:88], v[85:86]
	s_waitcnt vmcnt(32) lgkmcnt(0)
	v_fma_f64 v[85:86], v[97:98], v[89:90], v[85:86]
	s_waitcnt vmcnt(30)
	v_fma_f64 v[95:96], v[99:100], v[91:92], v[85:86]
	ds_read2_b64 v[85:88], v0 offset0:47 offset1:48
	ds_read2_b64 v[89:92], v0 offset0:49 offset1:50
	s_waitcnt vmcnt(28) lgkmcnt(1)
	v_fma_f64 v[85:86], v[101:102], v[85:86], v[95:96]
	s_clause 0x7
	buffer_load_dword v96, off, s[0:3], 0 offset:164
	buffer_load_dword v97, off, s[0:3], 0 offset:184
	buffer_load_dword v99, off, s[0:3], 0 offset:176
	buffer_load_dword v101, off, s[0:3], 0 offset:168
	buffer_load_dword v95, off, s[0:3], 0 offset:160
	buffer_load_dword v102, off, s[0:3], 0 offset:172
	buffer_load_dword v100, off, s[0:3], 0 offset:180
	buffer_load_dword v98, off, s[0:3], 0 offset:188
	s_waitcnt vmcnt(34)
	v_fma_f64 v[85:86], v[103:104], v[87:88], v[85:86]
	s_waitcnt vmcnt(32) lgkmcnt(0)
	v_fma_f64 v[85:86], v[105:106], v[89:90], v[85:86]
	s_waitcnt vmcnt(27)
	v_fma_f64 v[103:104], v[107:108], v[91:92], v[85:86]
	ds_read2_b64 v[85:88], v0 offset0:51 offset1:52
	ds_read2_b64 v[89:92], v0 offset0:53 offset1:54
	s_waitcnt vmcnt(26) lgkmcnt(1)
	v_fma_f64 v[85:86], v[113:114], v[85:86], v[103:104]
	s_clause 0x7
	buffer_load_dword v104, off, s[0:3], 0 offset:196
	buffer_load_dword v105, off, s[0:3], 0 offset:216
	buffer_load_dword v107, off, s[0:3], 0 offset:208
	buffer_load_dword v113, off, s[0:3], 0 offset:200
	buffer_load_dword v103, off, s[0:3], 0 offset:192
	buffer_load_dword v114, off, s[0:3], 0 offset:204
	buffer_load_dword v108, off, s[0:3], 0 offset:212
	buffer_load_dword v106, off, s[0:3], 0 offset:220
	s_waitcnt vmcnt(33)
	v_fma_f64 v[85:86], v[111:112], v[87:88], v[85:86]
	s_waitcnt vmcnt(32) lgkmcnt(0)
	v_fma_f64 v[85:86], v[109:110], v[89:90], v[85:86]
	s_waitcnt vmcnt(27)
	v_fma_f64 v[109:110], v[115:116], v[91:92], v[85:86]
	ds_read2_b64 v[85:88], v0 offset0:55 offset1:56
	ds_read2_b64 v[89:92], v0 offset0:57 offset1:58
	s_waitcnt vmcnt(26) lgkmcnt(1)
	v_fma_f64 v[85:86], v[121:122], v[85:86], v[109:110]
	s_clause 0x7
	buffer_load_dword v110, off, s[0:3], 0 offset:228
	buffer_load_dword v111, off, s[0:3], 0 offset:248
	buffer_load_dword v115, off, s[0:3], 0 offset:240
	buffer_load_dword v121, off, s[0:3], 0 offset:232
	buffer_load_dword v109, off, s[0:3], 0 offset:224
	buffer_load_dword v122, off, s[0:3], 0 offset:236
	buffer_load_dword v116, off, s[0:3], 0 offset:244
	buffer_load_dword v112, off, s[0:3], 0 offset:252
	s_waitcnt vmcnt(33)
	v_fma_f64 v[85:86], v[119:120], v[87:88], v[85:86]
	s_waitcnt vmcnt(32) lgkmcnt(0)
	v_fma_f64 v[85:86], v[117:118], v[89:90], v[85:86]
	s_waitcnt vmcnt(27)
	v_fma_f64 v[93:94], v[93:94], v[91:92], v[85:86]
	ds_read2_b64 v[85:88], v0 offset0:59 offset1:60
	ds_read2_b64 v[89:92], v0 offset0:61 offset1:62
	s_waitcnt vmcnt(26) lgkmcnt(1)
	v_fma_f64 v[85:86], v[127:128], v[85:86], v[93:94]
	s_clause 0x7
	buffer_load_dword v118, off, s[0:3], 0 offset:260
	buffer_load_dword v119, off, s[0:3], 0 offset:280
	buffer_load_dword v127, off, s[0:3], 0 offset:272
	buffer_load_dword v129, off, s[0:3], 0 offset:264
	buffer_load_dword v117, off, s[0:3], 0 offset:256
	buffer_load_dword v130, off, s[0:3], 0 offset:268
	buffer_load_dword v128, off, s[0:3], 0 offset:276
	buffer_load_dword v120, off, s[0:3], 0 offset:284
	s_waitcnt vmcnt(33)
	v_fma_f64 v[85:86], v[125:126], v[87:88], v[85:86]
	s_waitcnt vmcnt(32) lgkmcnt(0)
	v_fma_f64 v[85:86], v[123:124], v[89:90], v[85:86]
	s_waitcnt vmcnt(27)
	v_fma_f64 v[93:94], v[95:96], v[91:92], v[85:86]
	ds_read2_b64 v[85:88], v0 offset0:63 offset1:64
	ds_read2_b64 v[89:92], v0 offset0:65 offset1:66
	s_waitcnt vmcnt(26) lgkmcnt(1)
	v_fma_f64 v[85:86], v[101:102], v[85:86], v[93:94]
	s_clause 0x7
	buffer_load_dword v102, off, s[0:3], 0 offset:292
	buffer_load_dword v123, off, s[0:3], 0 offset:312
	;; [unrolled: 1-line block ×8, first 2 shown]
	s_waitcnt vmcnt(33)
	v_fma_f64 v[85:86], v[99:100], v[87:88], v[85:86]
	s_waitcnt vmcnt(32) lgkmcnt(0)
	v_fma_f64 v[85:86], v[97:98], v[89:90], v[85:86]
	ds_read2_b64 v[87:90], v0 offset0:67 offset1:68
	s_waitcnt vmcnt(27)
	v_fma_f64 v[85:86], v[103:104], v[91:92], v[85:86]
	ds_read2_b64 v[91:94], v0 offset0:69 offset1:70
	s_waitcnt vmcnt(26) lgkmcnt(1)
	v_fma_f64 v[85:86], v[113:114], v[87:88], v[85:86]
	s_clause 0x5
	buffer_load_dword v88, off, s[0:3], 0 offset:324
	buffer_load_dword v97, off, s[0:3], 0 offset:328
	;; [unrolled: 1-line block ×4, first 2 shown]
	buffer_load_dword v99, off, s[0:3], 0
	buffer_load_dword v100, off, s[0:3], 0 offset:4
	s_waitcnt vmcnt(31)
	v_fma_f64 v[85:86], v[107:108], v[89:90], v[85:86]
	s_waitcnt vmcnt(30) lgkmcnt(0)
	v_fma_f64 v[85:86], v[105:106], v[91:92], v[85:86]
	s_waitcnt vmcnt(25)
	v_fma_f64 v[85:86], v[109:110], v[93:94], v[85:86]
	ds_read2_b64 v[89:92], v0 offset0:71 offset1:72
	ds_read2_b64 v[93:96], v0 offset0:73 offset1:74
	s_waitcnt vmcnt(24) lgkmcnt(1)
	v_fma_f64 v[85:86], v[121:122], v[89:90], v[85:86]
	s_waitcnt vmcnt(23)
	v_fma_f64 v[85:86], v[115:116], v[91:92], v[85:86]
	s_waitcnt vmcnt(22) lgkmcnt(0)
	v_fma_f64 v[85:86], v[111:112], v[93:94], v[85:86]
	s_waitcnt vmcnt(17)
	v_fma_f64 v[85:86], v[117:118], v[95:96], v[85:86]
	ds_read2_b64 v[89:92], v0 offset0:75 offset1:76
	ds_read2_b64 v[93:96], v0 offset0:77 offset1:78
	s_waitcnt vmcnt(16) lgkmcnt(1)
	v_fma_f64 v[85:86], v[129:130], v[89:90], v[85:86]
	;; [unrolled: 10-line block ×3, first 2 shown]
	ds_read_b64 v[89:90], v0 offset:664
	s_waitcnt vmcnt(7)
	v_fma_f64 v[85:86], v[125:126], v[91:92], v[85:86]
	s_waitcnt vmcnt(6) lgkmcnt(1)
	v_fma_f64 v[85:86], v[123:124], v[93:94], v[85:86]
	s_waitcnt vmcnt(3)
	v_fma_f64 v[85:86], v[87:88], v[95:96], v[85:86]
	s_waitcnt vmcnt(2) lgkmcnt(0)
	v_fma_f64 v[85:86], v[97:98], v[89:90], v[85:86]
	s_waitcnt vmcnt(0)
	v_add_f64 v[85:86], v[99:100], -v[85:86]
	buffer_store_dword v86, off, s[0:3], 0 offset:4
	buffer_store_dword v85, off, s[0:3], 0
	s_cbranch_vccz .LBB41_344
; %bb.262:
	global_load_dword v0, v0, s[20:21] offset:160
	s_waitcnt vmcnt(0)
	v_add_nc_u32_e32 v0, -1, v0
	v_cmp_ne_u32_e32 vcc_lo, 40, v0
	s_cbranch_vccz .LBB41_264
; %bb.263:
	v_lshlrev_b32_e32 v0, 3, v0
	s_clause 0x1
	buffer_load_dword v85, v0, s[0:3], 0 offen offset:4
	buffer_load_dword v86, v0, s[0:3], 0 offen
	s_waitcnt vmcnt(1)
	buffer_store_dword v85, off, s[0:3], 0 offset:324
	s_waitcnt vmcnt(0)
	buffer_store_dword v86, off, s[0:3], 0 offset:320
	buffer_store_dword v88, v0, s[0:3], 0 offen offset:4
	buffer_store_dword v87, v0, s[0:3], 0 offen
.LBB41_264:
	v_mov_b32_e32 v0, 0
	global_load_dword v85, v0, s[20:21] offset:156
	s_waitcnt vmcnt(0)
	v_add_nc_u32_e32 v85, -1, v85
	v_cmp_eq_u32_e32 vcc_lo, 39, v85
	s_cbranch_vccnz .LBB41_266
; %bb.265:
	v_lshlrev_b32_e32 v85, 3, v85
	s_clause 0x3
	buffer_load_dword v86, v85, s[0:3], 0 offen
	buffer_load_dword v87, v85, s[0:3], 0 offen offset:4
	buffer_load_dword v88, off, s[0:3], 0 offset:312
	buffer_load_dword v89, off, s[0:3], 0 offset:316
	s_waitcnt vmcnt(3)
	buffer_store_dword v86, off, s[0:3], 0 offset:312
	s_waitcnt vmcnt(2)
	buffer_store_dword v87, off, s[0:3], 0 offset:316
	s_waitcnt vmcnt(1)
	buffer_store_dword v88, v85, s[0:3], 0 offen
	s_waitcnt vmcnt(0)
	buffer_store_dword v89, v85, s[0:3], 0 offen offset:4
.LBB41_266:
	global_load_dword v0, v0, s[20:21] offset:152
	s_waitcnt vmcnt(0)
	v_add_nc_u32_e32 v0, -1, v0
	v_cmp_eq_u32_e32 vcc_lo, 38, v0
	s_cbranch_vccnz .LBB41_268
; %bb.267:
	v_lshlrev_b32_e32 v0, 3, v0
	s_clause 0x3
	buffer_load_dword v85, v0, s[0:3], 0 offen
	buffer_load_dword v86, v0, s[0:3], 0 offen offset:4
	buffer_load_dword v87, off, s[0:3], 0 offset:308
	buffer_load_dword v88, off, s[0:3], 0 offset:304
	s_waitcnt vmcnt(3)
	buffer_store_dword v85, off, s[0:3], 0 offset:304
	s_waitcnt vmcnt(2)
	buffer_store_dword v86, off, s[0:3], 0 offset:308
	s_waitcnt vmcnt(1)
	buffer_store_dword v87, v0, s[0:3], 0 offen offset:4
	s_waitcnt vmcnt(0)
	buffer_store_dword v88, v0, s[0:3], 0 offen
.LBB41_268:
	v_mov_b32_e32 v0, 0
	global_load_dword v85, v0, s[20:21] offset:148
	s_waitcnt vmcnt(0)
	v_add_nc_u32_e32 v85, -1, v85
	v_cmp_eq_u32_e32 vcc_lo, 37, v85
	s_cbranch_vccnz .LBB41_270
; %bb.269:
	v_lshlrev_b32_e32 v85, 3, v85
	s_clause 0x3
	buffer_load_dword v86, v85, s[0:3], 0 offen
	buffer_load_dword v87, v85, s[0:3], 0 offen offset:4
	buffer_load_dword v88, off, s[0:3], 0 offset:296
	buffer_load_dword v89, off, s[0:3], 0 offset:300
	s_waitcnt vmcnt(3)
	buffer_store_dword v86, off, s[0:3], 0 offset:296
	s_waitcnt vmcnt(2)
	buffer_store_dword v87, off, s[0:3], 0 offset:300
	s_waitcnt vmcnt(1)
	buffer_store_dword v88, v85, s[0:3], 0 offen
	s_waitcnt vmcnt(0)
	buffer_store_dword v89, v85, s[0:3], 0 offen offset:4
.LBB41_270:
	global_load_dword v0, v0, s[20:21] offset:144
	s_waitcnt vmcnt(0)
	v_add_nc_u32_e32 v0, -1, v0
	v_cmp_eq_u32_e32 vcc_lo, 36, v0
	s_cbranch_vccnz .LBB41_272
; %bb.271:
	v_lshlrev_b32_e32 v0, 3, v0
	s_clause 0x3
	buffer_load_dword v85, v0, s[0:3], 0 offen
	buffer_load_dword v86, v0, s[0:3], 0 offen offset:4
	buffer_load_dword v87, off, s[0:3], 0 offset:292
	buffer_load_dword v88, off, s[0:3], 0 offset:288
	s_waitcnt vmcnt(3)
	buffer_store_dword v85, off, s[0:3], 0 offset:288
	s_waitcnt vmcnt(2)
	buffer_store_dword v86, off, s[0:3], 0 offset:292
	s_waitcnt vmcnt(1)
	buffer_store_dword v87, v0, s[0:3], 0 offen offset:4
	s_waitcnt vmcnt(0)
	buffer_store_dword v88, v0, s[0:3], 0 offen
.LBB41_272:
	;; [unrolled: 43-line block ×19, first 2 shown]
	v_mov_b32_e32 v0, 0
	global_load_dword v85, v0, s[20:21] offset:4
	s_waitcnt vmcnt(0)
	v_add_nc_u32_e32 v85, -1, v85
	v_cmp_eq_u32_e32 vcc_lo, 1, v85
	s_cbranch_vccnz .LBB41_342
; %bb.341:
	v_lshlrev_b32_e32 v85, 3, v85
	s_clause 0x3
	buffer_load_dword v86, v85, s[0:3], 0 offen
	buffer_load_dword v87, v85, s[0:3], 0 offen offset:4
	buffer_load_dword v88, off, s[0:3], 0 offset:8
	buffer_load_dword v89, off, s[0:3], 0 offset:12
	s_waitcnt vmcnt(3)
	buffer_store_dword v86, off, s[0:3], 0 offset:8
	s_waitcnt vmcnt(2)
	buffer_store_dword v87, off, s[0:3], 0 offset:12
	s_waitcnt vmcnt(1)
	buffer_store_dword v88, v85, s[0:3], 0 offen
	s_waitcnt vmcnt(0)
	buffer_store_dword v89, v85, s[0:3], 0 offen offset:4
.LBB41_342:
	global_load_dword v0, v0, s[20:21]
	s_clause 0x1
	buffer_load_dword v85, off, s[0:3], 0
	buffer_load_dword v86, off, s[0:3], 0 offset:4
	s_waitcnt vmcnt(2)
	v_add_nc_u32_e32 v0, -1, v0
	v_cmp_eq_u32_e32 vcc_lo, 0, v0
	s_cbranch_vccnz .LBB41_344
; %bb.343:
	v_lshlrev_b32_e32 v0, 3, v0
	s_clause 0x1
	buffer_load_dword v87, v0, s[0:3], 0 offen offset:4
	buffer_load_dword v88, v0, s[0:3], 0 offen
	s_waitcnt vmcnt(1)
	buffer_store_dword v87, off, s[0:3], 0 offset:4
	s_waitcnt vmcnt(0)
	buffer_store_dword v88, off, s[0:3], 0
	buffer_store_dword v86, v0, s[0:3], 0 offen offset:4
	buffer_store_dword v85, v0, s[0:3], 0 offen
	s_clause 0x1
	buffer_load_dword v85, off, s[0:3], 0
	buffer_load_dword v86, off, s[0:3], 0 offset:4
.LBB41_344:
	s_clause 0x17
	buffer_load_dword v87, off, s[0:3], 0 offset:8
	buffer_load_dword v88, off, s[0:3], 0 offset:12
	;; [unrolled: 1-line block ×24, first 2 shown]
	s_waitcnt vmcnt(24)
	global_store_dwordx2 v[77:78], v[85:86], off
	s_clause 0xf
	buffer_load_dword v77, off, s[0:3], 0 offset:104
	buffer_load_dword v78, off, s[0:3], 0 offset:108
	;; [unrolled: 1-line block ×16, first 2 shown]
	s_waitcnt vmcnt(38)
	global_store_dwordx2 v[33:34], v[87:88], off
	s_waitcnt vmcnt(36)
	global_store_dwordx2 v[35:36], v[89:90], off
	s_clause 0x7
	buffer_load_dword v33, off, s[0:3], 0 offset:168
	buffer_load_dword v34, off, s[0:3], 0 offset:172
	buffer_load_dword v35, off, s[0:3], 0 offset:176
	buffer_load_dword v36, off, s[0:3], 0 offset:180
	buffer_load_dword v87, off, s[0:3], 0 offset:184
	buffer_load_dword v88, off, s[0:3], 0 offset:188
	buffer_load_dword v89, off, s[0:3], 0 offset:192
	buffer_load_dword v90, off, s[0:3], 0 offset:196
	s_waitcnt vmcnt(42)
	global_store_dwordx2 v[25:26], v[91:92], off
	s_waitcnt vmcnt(40)
	global_store_dwordx2 v[29:30], v[93:94], off
	s_clause 0x7
	buffer_load_dword v25, off, s[0:3], 0 offset:200
	buffer_load_dword v26, off, s[0:3], 0 offset:204
	buffer_load_dword v29, off, s[0:3], 0 offset:208
	buffer_load_dword v30, off, s[0:3], 0 offset:212
	buffer_load_dword v91, off, s[0:3], 0 offset:216
	buffer_load_dword v92, off, s[0:3], 0 offset:220
	buffer_load_dword v93, off, s[0:3], 0 offset:224
	buffer_load_dword v94, off, s[0:3], 0 offset:228
	;; [unrolled: 13-line block ×5, first 2 shown]
	buffer_load_dword v123, off, s[0:3], 0 offset:328
	buffer_load_dword v124, off, s[0:3], 0 offset:332
	s_waitcnt vmcnt(60)
	global_store_dwordx2 v[7:8], v[107:108], off
	s_waitcnt vmcnt(58)
	global_store_dwordx2 v[9:10], v[109:110], off
	;; [unrolled: 2-line block ×31, first 2 shown]
	s_endpgm
	.section	.rodata,"a",@progbits
	.p2align	6, 0x0
	.amdhsa_kernel _ZN9rocsolver6v33100L18getri_kernel_smallILi42EdPdEEvT1_iilPiilS4_bb
		.amdhsa_group_segment_fixed_size 680
		.amdhsa_private_segment_fixed_size 352
		.amdhsa_kernarg_size 60
		.amdhsa_user_sgpr_count 6
		.amdhsa_user_sgpr_private_segment_buffer 1
		.amdhsa_user_sgpr_dispatch_ptr 0
		.amdhsa_user_sgpr_queue_ptr 0
		.amdhsa_user_sgpr_kernarg_segment_ptr 1
		.amdhsa_user_sgpr_dispatch_id 0
		.amdhsa_user_sgpr_flat_scratch_init 0
		.amdhsa_user_sgpr_private_segment_size 0
		.amdhsa_wavefront_size32 1
		.amdhsa_uses_dynamic_stack 0
		.amdhsa_system_sgpr_private_segment_wavefront_offset 1
		.amdhsa_system_sgpr_workgroup_id_x 1
		.amdhsa_system_sgpr_workgroup_id_y 0
		.amdhsa_system_sgpr_workgroup_id_z 0
		.amdhsa_system_sgpr_workgroup_info 0
		.amdhsa_system_vgpr_workitem_id 0
		.amdhsa_next_free_vgpr 133
		.amdhsa_next_free_sgpr 23
		.amdhsa_reserve_vcc 1
		.amdhsa_reserve_flat_scratch 0
		.amdhsa_float_round_mode_32 0
		.amdhsa_float_round_mode_16_64 0
		.amdhsa_float_denorm_mode_32 3
		.amdhsa_float_denorm_mode_16_64 3
		.amdhsa_dx10_clamp 1
		.amdhsa_ieee_mode 1
		.amdhsa_fp16_overflow 0
		.amdhsa_workgroup_processor_mode 1
		.amdhsa_memory_ordered 1
		.amdhsa_forward_progress 1
		.amdhsa_shared_vgpr_count 0
		.amdhsa_exception_fp_ieee_invalid_op 0
		.amdhsa_exception_fp_denorm_src 0
		.amdhsa_exception_fp_ieee_div_zero 0
		.amdhsa_exception_fp_ieee_overflow 0
		.amdhsa_exception_fp_ieee_underflow 0
		.amdhsa_exception_fp_ieee_inexact 0
		.amdhsa_exception_int_div_zero 0
	.end_amdhsa_kernel
	.section	.text._ZN9rocsolver6v33100L18getri_kernel_smallILi42EdPdEEvT1_iilPiilS4_bb,"axG",@progbits,_ZN9rocsolver6v33100L18getri_kernel_smallILi42EdPdEEvT1_iilPiilS4_bb,comdat
.Lfunc_end41:
	.size	_ZN9rocsolver6v33100L18getri_kernel_smallILi42EdPdEEvT1_iilPiilS4_bb, .Lfunc_end41-_ZN9rocsolver6v33100L18getri_kernel_smallILi42EdPdEEvT1_iilPiilS4_bb
                                        ; -- End function
	.set _ZN9rocsolver6v33100L18getri_kernel_smallILi42EdPdEEvT1_iilPiilS4_bb.num_vgpr, 133
	.set _ZN9rocsolver6v33100L18getri_kernel_smallILi42EdPdEEvT1_iilPiilS4_bb.num_agpr, 0
	.set _ZN9rocsolver6v33100L18getri_kernel_smallILi42EdPdEEvT1_iilPiilS4_bb.numbered_sgpr, 23
	.set _ZN9rocsolver6v33100L18getri_kernel_smallILi42EdPdEEvT1_iilPiilS4_bb.num_named_barrier, 0
	.set _ZN9rocsolver6v33100L18getri_kernel_smallILi42EdPdEEvT1_iilPiilS4_bb.private_seg_size, 352
	.set _ZN9rocsolver6v33100L18getri_kernel_smallILi42EdPdEEvT1_iilPiilS4_bb.uses_vcc, 1
	.set _ZN9rocsolver6v33100L18getri_kernel_smallILi42EdPdEEvT1_iilPiilS4_bb.uses_flat_scratch, 0
	.set _ZN9rocsolver6v33100L18getri_kernel_smallILi42EdPdEEvT1_iilPiilS4_bb.has_dyn_sized_stack, 0
	.set _ZN9rocsolver6v33100L18getri_kernel_smallILi42EdPdEEvT1_iilPiilS4_bb.has_recursion, 0
	.set _ZN9rocsolver6v33100L18getri_kernel_smallILi42EdPdEEvT1_iilPiilS4_bb.has_indirect_call, 0
	.section	.AMDGPU.csdata,"",@progbits
; Kernel info:
; codeLenInByte = 52812
; TotalNumSgprs: 25
; NumVgprs: 133
; ScratchSize: 352
; MemoryBound: 1
; FloatMode: 240
; IeeeMode: 1
; LDSByteSize: 680 bytes/workgroup (compile time only)
; SGPRBlocks: 0
; VGPRBlocks: 16
; NumSGPRsForWavesPerEU: 25
; NumVGPRsForWavesPerEU: 133
; Occupancy: 7
; WaveLimiterHint : 1
; COMPUTE_PGM_RSRC2:SCRATCH_EN: 1
; COMPUTE_PGM_RSRC2:USER_SGPR: 6
; COMPUTE_PGM_RSRC2:TRAP_HANDLER: 0
; COMPUTE_PGM_RSRC2:TGID_X_EN: 1
; COMPUTE_PGM_RSRC2:TGID_Y_EN: 0
; COMPUTE_PGM_RSRC2:TGID_Z_EN: 0
; COMPUTE_PGM_RSRC2:TIDIG_COMP_CNT: 0
	.section	.text._ZN9rocsolver6v33100L18getri_kernel_smallILi43EdPdEEvT1_iilPiilS4_bb,"axG",@progbits,_ZN9rocsolver6v33100L18getri_kernel_smallILi43EdPdEEvT1_iilPiilS4_bb,comdat
	.globl	_ZN9rocsolver6v33100L18getri_kernel_smallILi43EdPdEEvT1_iilPiilS4_bb ; -- Begin function _ZN9rocsolver6v33100L18getri_kernel_smallILi43EdPdEEvT1_iilPiilS4_bb
	.p2align	8
	.type	_ZN9rocsolver6v33100L18getri_kernel_smallILi43EdPdEEvT1_iilPiilS4_bb,@function
_ZN9rocsolver6v33100L18getri_kernel_smallILi43EdPdEEvT1_iilPiilS4_bb: ; @_ZN9rocsolver6v33100L18getri_kernel_smallILi43EdPdEEvT1_iilPiilS4_bb
; %bb.0:
	s_add_u32 s0, s0, s7
	s_addc_u32 s1, s1, 0
	s_mov_b32 s7, exec_lo
	v_cmpx_gt_u32_e32 43, v0
	s_cbranch_execz .LBB42_182
; %bb.1:
	s_clause 0x2
	s_load_dword s7, s[4:5], 0x38
	s_load_dwordx4 s[16:19], s[4:5], 0x10
	s_load_dwordx4 s[8:11], s[4:5], 0x28
                                        ; implicit-def: $sgpr20_sgpr21
	s_waitcnt lgkmcnt(0)
	s_bitcmp1_b32 s7, 8
	s_cselect_b32 s22, -1, 0
	s_bfe_u32 s12, s7, 0x10008
	s_ashr_i32 s7, s6, 31
	s_cmp_eq_u32 s12, 0
	s_cbranch_scc1 .LBB42_3
; %bb.2:
	s_load_dword s12, s[4:5], 0x20
	s_mul_i32 s13, s8, s7
	s_mul_hi_u32 s14, s8, s6
	s_mul_i32 s9, s9, s6
	s_add_i32 s13, s14, s13
	s_mul_i32 s8, s8, s6
	s_add_i32 s9, s13, s9
	s_lshl_b64 s[8:9], s[8:9], 2
	s_waitcnt lgkmcnt(0)
	s_ashr_i32 s13, s12, 31
	s_add_u32 s14, s18, s8
	s_addc_u32 s15, s19, s9
	s_lshl_b64 s[8:9], s[12:13], 2
	s_add_u32 s20, s14, s8
	s_addc_u32 s21, s15, s9
.LBB42_3:
	s_clause 0x1
	s_load_dwordx4 s[12:15], s[4:5], 0x0
	s_load_dword s8, s[4:5], 0x38
	s_mul_i32 s4, s16, s7
	s_mul_hi_u32 s5, s16, s6
	s_mul_i32 s9, s17, s6
	s_add_i32 s5, s5, s4
	s_mul_i32 s4, s16, s6
	s_add_i32 s5, s5, s9
	v_lshlrev_b32_e32 v89, 3, v0
	s_lshl_b64 s[4:5], s[4:5], 3
	s_waitcnt lgkmcnt(0)
	v_add3_u32 v1, s15, s15, v0
	s_ashr_i32 s17, s14, 31
	s_mov_b32 s16, s14
	s_add_u32 s9, s12, s4
	s_addc_u32 s13, s13, s5
	v_add_nc_u32_e32 v3, s15, v1
	v_ashrrev_i32_e32 v2, 31, v1
	s_lshl_b64 s[4:5], s[16:17], 3
	s_mov_b32 s12, s15
	s_add_u32 s4, s9, s4
	v_ashrrev_i32_e32 v4, 31, v3
	v_add_nc_u32_e32 v5, s15, v3
	v_lshlrev_b64 v[1:2], 3, v[1:2]
	s_addc_u32 s5, s13, s5
	v_add_co_u32 v85, s9, s4, v89
	v_lshlrev_b64 v[3:4], 3, v[3:4]
	v_ashrrev_i32_e32 v6, 31, v5
	s_ashr_i32 s13, s15, 31
	v_add_co_u32 v41, vcc_lo, s4, v1
	v_add_co_ci_u32_e64 v86, null, s5, 0, s9
	v_add_co_ci_u32_e64 v42, null, s5, v2, vcc_lo
	v_lshlrev_b64 v[1:2], 3, v[5:6]
	v_add_co_u32 v27, vcc_lo, s4, v3
	s_lshl_b64 s[12:13], s[12:13], 3
	v_add_co_ci_u32_e64 v28, null, s5, v4, vcc_lo
	v_add_co_u32 v49, vcc_lo, v85, s12
	v_add_co_ci_u32_e64 v50, null, s13, v86, vcc_lo
	v_add_co_u32 v29, vcc_lo, s4, v1
	s_clause 0x1
	global_load_dwordx2 v[87:88], v89, s[4:5]
	global_load_dwordx2 v[90:91], v[49:50], off
	v_add_co_ci_u32_e64 v30, null, s5, v2, vcc_lo
	s_clause 0x1
	global_load_dwordx2 v[92:93], v[41:42], off
	global_load_dwordx2 v[94:95], v[27:28], off
	v_add_nc_u32_e32 v7, s15, v5
	s_bitcmp0_b32 s8, 0
	global_load_dwordx2 v[96:97], v[29:30], off
	v_add_nc_u32_e32 v5, s15, v7
	v_ashrrev_i32_e32 v8, 31, v7
	v_ashrrev_i32_e32 v6, 31, v5
	v_lshlrev_b64 v[3:4], 3, v[7:8]
	v_lshlrev_b64 v[1:2], 3, v[5:6]
	v_add_co_u32 v17, vcc_lo, s4, v3
	v_add_co_ci_u32_e64 v18, null, s5, v4, vcc_lo
	v_add_co_u32 v19, vcc_lo, s4, v1
	v_add_co_ci_u32_e64 v20, null, s5, v2, vcc_lo
	s_clause 0x1
	global_load_dwordx2 v[98:99], v[17:18], off
	global_load_dwordx2 v[100:101], v[19:20], off
	v_add_nc_u32_e32 v1, s15, v5
	v_add_nc_u32_e32 v3, s15, v1
	v_ashrrev_i32_e32 v2, 31, v1
	v_add_nc_u32_e32 v5, s15, v3
	v_lshlrev_b64 v[1:2], 3, v[1:2]
	v_ashrrev_i32_e32 v4, 31, v3
	v_ashrrev_i32_e32 v6, 31, v5
	v_add_nc_u32_e32 v9, s15, v5
	v_add_co_u32 v7, vcc_lo, s4, v1
	v_add_co_ci_u32_e64 v8, null, s5, v2, vcc_lo
	v_lshlrev_b64 v[1:2], 3, v[5:6]
	v_add_nc_u32_e32 v5, s15, v9
	v_ashrrev_i32_e32 v10, 31, v9
	v_lshlrev_b64 v[3:4], 3, v[3:4]
	v_add_nc_u32_e32 v15, s15, v5
	v_lshlrev_b64 v[9:10], 3, v[9:10]
	v_ashrrev_i32_e32 v6, 31, v5
	v_add_co_u32 v11, vcc_lo, s4, v3
	v_ashrrev_i32_e32 v16, 31, v15
	v_add_nc_u32_e32 v21, s15, v15
	v_add_co_ci_u32_e64 v12, null, s5, v4, vcc_lo
	v_add_co_u32 v3, vcc_lo, s4, v1
	v_add_co_ci_u32_e64 v4, null, s5, v2, vcc_lo
	v_add_co_u32 v13, vcc_lo, s4, v9
	v_add_co_ci_u32_e64 v14, null, s5, v10, vcc_lo
	v_lshlrev_b64 v[9:10], 3, v[15:16]
	v_add_nc_u32_e32 v15, s15, v21
	v_ashrrev_i32_e32 v22, 31, v21
	v_lshlrev_b64 v[1:2], 3, v[5:6]
	s_clause 0x1
	global_load_dwordx2 v[102:103], v[7:8], off
	global_load_dwordx2 v[104:105], v[11:12], off
	v_add_nc_u32_e32 v23, s15, v15
	v_lshlrev_b64 v[21:22], 3, v[21:22]
	v_ashrrev_i32_e32 v16, 31, v15
	v_add_co_u32 v5, vcc_lo, s4, v1
	v_ashrrev_i32_e32 v24, 31, v23
	v_add_nc_u32_e32 v25, s15, v23
	v_add_co_ci_u32_e64 v6, null, s5, v2, vcc_lo
	v_add_co_u32 v1, vcc_lo, s4, v9
	v_add_co_ci_u32_e64 v2, null, s5, v10, vcc_lo
	v_add_co_u32 v9, vcc_lo, s4, v21
	v_add_co_ci_u32_e64 v10, null, s5, v22, vcc_lo
	v_lshlrev_b64 v[21:22], 3, v[23:24]
	v_add_nc_u32_e32 v23, s15, v25
	v_ashrrev_i32_e32 v26, 31, v25
	v_lshlrev_b64 v[15:16], 3, v[15:16]
	s_clause 0x3
	global_load_dwordx2 v[106:107], v[3:4], off
	global_load_dwordx2 v[108:109], v[13:14], off
	;; [unrolled: 1-line block ×4, first 2 shown]
	v_add_nc_u32_e32 v31, s15, v23
	v_ashrrev_i32_e32 v24, 31, v23
	v_lshlrev_b64 v[25:26], 3, v[25:26]
	v_add_co_u32 v15, vcc_lo, s4, v15
	v_add_nc_u32_e32 v35, s15, v31
	v_lshlrev_b64 v[33:34], 3, v[23:24]
	v_add_co_ci_u32_e64 v16, null, s5, v16, vcc_lo
	v_add_co_u32 v21, vcc_lo, s4, v21
	v_ashrrev_i32_e32 v36, 31, v35
	v_add_nc_u32_e32 v37, s15, v35
	v_add_co_ci_u32_e64 v22, null, s5, v22, vcc_lo
	v_add_co_u32 v23, vcc_lo, s4, v25
	v_add_co_ci_u32_e64 v24, null, s5, v26, vcc_lo
	v_add_co_u32 v25, vcc_lo, s4, v33
	v_add_co_ci_u32_e64 v26, null, s5, v34, vcc_lo
	v_lshlrev_b64 v[33:34], 3, v[35:36]
	v_add_nc_u32_e32 v35, s15, v37
	v_ashrrev_i32_e32 v32, 31, v31
	v_ashrrev_i32_e32 v38, 31, v37
	s_clause 0x3
	global_load_dwordx2 v[114:115], v[9:10], off
	global_load_dwordx2 v[116:117], v[15:16], off
	;; [unrolled: 1-line block ×4, first 2 shown]
	v_add_nc_u32_e32 v39, s15, v35
	v_lshlrev_b64 v[31:32], 3, v[31:32]
	v_ashrrev_i32_e32 v36, 31, v35
	v_lshlrev_b64 v[37:38], 3, v[37:38]
	v_add_nc_u32_e32 v45, s15, v39
	v_ashrrev_i32_e32 v40, 31, v39
	v_add_co_u32 v31, vcc_lo, s4, v31
	v_lshlrev_b64 v[43:44], 3, v[35:36]
	v_add_co_ci_u32_e64 v32, null, s5, v32, vcc_lo
	v_add_co_u32 v33, vcc_lo, s4, v33
	v_ashrrev_i32_e32 v46, 31, v45
	v_add_nc_u32_e32 v47, s15, v45
	v_add_co_ci_u32_e64 v34, null, s5, v34, vcc_lo
	v_add_co_u32 v35, vcc_lo, s4, v37
	v_add_co_ci_u32_e64 v36, null, s5, v38, vcc_lo
	v_add_co_u32 v37, vcc_lo, s4, v43
	v_add_co_ci_u32_e64 v38, null, s5, v44, vcc_lo
	v_lshlrev_b64 v[43:44], 3, v[45:46]
	v_add_nc_u32_e32 v45, s15, v47
	v_ashrrev_i32_e32 v48, 31, v47
	v_lshlrev_b64 v[39:40], 3, v[39:40]
	v_add_nc_u32_e32 v51, s15, v45
	v_ashrrev_i32_e32 v46, 31, v45
	v_lshlrev_b64 v[47:48], 3, v[47:48]
	v_add_co_u32 v39, vcc_lo, s4, v39
	v_add_nc_u32_e32 v55, s15, v51
	v_lshlrev_b64 v[53:54], 3, v[45:46]
	v_add_co_ci_u32_e64 v40, null, s5, v40, vcc_lo
	v_add_co_u32 v43, vcc_lo, s4, v43
	v_ashrrev_i32_e32 v56, 31, v55
	v_add_nc_u32_e32 v57, s15, v55
	v_add_co_ci_u32_e64 v44, null, s5, v44, vcc_lo
	v_add_co_u32 v45, vcc_lo, s4, v47
	v_add_co_ci_u32_e64 v46, null, s5, v48, vcc_lo
	v_add_co_u32 v47, vcc_lo, s4, v53
	v_add_co_ci_u32_e64 v48, null, s5, v54, vcc_lo
	v_lshlrev_b64 v[53:54], 3, v[55:56]
	v_add_nc_u32_e32 v55, s15, v57
	v_ashrrev_i32_e32 v52, 31, v51
	v_ashrrev_i32_e32 v58, 31, v57
	v_add_nc_u32_e32 v59, s15, v55
	v_lshlrev_b64 v[51:52], 3, v[51:52]
	v_ashrrev_i32_e32 v56, 31, v55
	v_lshlrev_b64 v[57:58], 3, v[57:58]
	v_add_nc_u32_e32 v63, s15, v59
	v_ashrrev_i32_e32 v60, 31, v59
	v_add_co_u32 v51, vcc_lo, s4, v51
	v_lshlrev_b64 v[61:62], 3, v[55:56]
	v_add_co_ci_u32_e64 v52, null, s5, v52, vcc_lo
	v_add_co_u32 v53, vcc_lo, s4, v53
	v_ashrrev_i32_e32 v64, 31, v63
	v_add_nc_u32_e32 v65, s15, v63
	v_add_co_ci_u32_e64 v54, null, s5, v54, vcc_lo
	v_add_co_u32 v55, vcc_lo, s4, v57
	v_add_co_ci_u32_e64 v56, null, s5, v58, vcc_lo
	v_add_co_u32 v57, vcc_lo, s4, v61
	v_add_co_ci_u32_e64 v58, null, s5, v62, vcc_lo
	v_lshlrev_b64 v[61:62], 3, v[63:64]
	v_add_nc_u32_e32 v63, s15, v65
	v_ashrrev_i32_e32 v66, 31, v65
	v_lshlrev_b64 v[59:60], 3, v[59:60]
	v_add_nc_u32_e32 v67, s15, v63
	v_ashrrev_i32_e32 v64, 31, v63
	v_lshlrev_b64 v[65:66], 3, v[65:66]
	v_add_co_u32 v59, vcc_lo, s4, v59
	v_add_nc_u32_e32 v71, s15, v67
	v_lshlrev_b64 v[69:70], 3, v[63:64]
	v_add_co_ci_u32_e64 v60, null, s5, v60, vcc_lo
	v_add_co_u32 v61, vcc_lo, s4, v61
	v_ashrrev_i32_e32 v72, 31, v71
	v_add_nc_u32_e32 v73, s15, v71
	v_add_co_ci_u32_e64 v62, null, s5, v62, vcc_lo
	v_add_co_u32 v63, vcc_lo, s4, v65
	v_add_co_ci_u32_e64 v64, null, s5, v66, vcc_lo
	v_add_co_u32 v65, vcc_lo, s4, v69
	v_add_co_ci_u32_e64 v66, null, s5, v70, vcc_lo
	v_lshlrev_b64 v[69:70], 3, v[71:72]
	v_add_nc_u32_e32 v71, s15, v73
	v_ashrrev_i32_e32 v68, 31, v67
	v_ashrrev_i32_e32 v74, 31, v73
	v_add_nc_u32_e32 v75, s15, v71
	v_lshlrev_b64 v[67:68], 3, v[67:68]
	v_ashrrev_i32_e32 v72, 31, v71
	v_lshlrev_b64 v[73:74], 3, v[73:74]
	v_add_nc_u32_e32 v79, s15, v75
	v_ashrrev_i32_e32 v76, 31, v75
	v_add_co_u32 v67, vcc_lo, s4, v67
	v_lshlrev_b64 v[77:78], 3, v[71:72]
	v_add_co_ci_u32_e64 v68, null, s5, v68, vcc_lo
	v_add_co_u32 v69, vcc_lo, s4, v69
	v_ashrrev_i32_e32 v80, 31, v79
	v_add_nc_u32_e32 v81, s15, v79
	v_add_co_ci_u32_e64 v70, null, s5, v70, vcc_lo
	v_add_co_u32 v71, vcc_lo, s4, v73
	v_add_co_ci_u32_e64 v72, null, s5, v74, vcc_lo
	v_add_co_u32 v73, vcc_lo, s4, v77
	v_add_co_ci_u32_e64 v74, null, s5, v78, vcc_lo
	v_lshlrev_b64 v[77:78], 3, v[79:80]
	v_add_nc_u32_e32 v79, s15, v81
	v_ashrrev_i32_e32 v82, 31, v81
	v_lshlrev_b64 v[75:76], 3, v[75:76]
	v_ashrrev_i32_e32 v80, 31, v79
	v_add_nc_u32_e32 v83, s15, v79
	v_lshlrev_b64 v[81:82], 3, v[81:82]
	v_add_co_u32 v75, vcc_lo, s4, v75
	v_lshlrev_b64 v[122:123], 3, v[79:80]
	v_ashrrev_i32_e32 v84, 31, v83
	v_add_co_ci_u32_e64 v76, null, s5, v76, vcc_lo
	v_add_co_u32 v77, vcc_lo, s4, v77
	v_add_co_ci_u32_e64 v78, null, s5, v78, vcc_lo
	v_add_co_u32 v79, vcc_lo, s4, v81
	v_add_co_ci_u32_e64 v80, null, s5, v82, vcc_lo
	v_lshlrev_b64 v[81:82], 3, v[83:84]
	v_add_co_u32 v83, vcc_lo, s4, v122
	v_add_co_ci_u32_e64 v84, null, s5, v123, vcc_lo
	global_load_dwordx2 v[122:123], v[25:26], off
	s_waitcnt vmcnt(17)
	buffer_store_dword v88, off, s[0:3], 0 offset:4
	buffer_store_dword v87, off, s[0:3], 0
	global_load_dwordx2 v[87:88], v[31:32], off
	s_waitcnt vmcnt(17)
	buffer_store_dword v91, off, s[0:3], 0 offset:12
	buffer_store_dword v90, off, s[0:3], 0 offset:8
	s_waitcnt vmcnt(16)
	buffer_store_dword v93, off, s[0:3], 0 offset:20
	buffer_store_dword v92, off, s[0:3], 0 offset:16
	s_clause 0x1
	global_load_dwordx2 v[90:91], v[33:34], off
	global_load_dwordx2 v[92:93], v[35:36], off
	s_waitcnt vmcnt(17)
	buffer_store_dword v95, off, s[0:3], 0 offset:28
	buffer_store_dword v94, off, s[0:3], 0 offset:24
	global_load_dwordx2 v[94:95], v[37:38], off
	s_waitcnt vmcnt(17)
	buffer_store_dword v97, off, s[0:3], 0 offset:36
	buffer_store_dword v96, off, s[0:3], 0 offset:32
	;; [unrolled: 4-line block ×4, first 2 shown]
	global_load_dwordx2 v[100:101], v[45:46], off
	v_add_co_u32 v81, vcc_lo, s4, v81
	v_add_co_ci_u32_e64 v82, null, s5, v82, vcc_lo
	s_mov_b32 s5, -1
	s_waitcnt vmcnt(17)
	buffer_store_dword v103, off, s[0:3], 0 offset:60
	buffer_store_dword v102, off, s[0:3], 0 offset:56
	s_waitcnt vmcnt(16)
	buffer_store_dword v105, off, s[0:3], 0 offset:68
	buffer_store_dword v104, off, s[0:3], 0 offset:64
	s_waitcnt vmcnt(15)
	buffer_store_dword v106, off, s[0:3], 0 offset:72
	buffer_store_dword v107, off, s[0:3], 0 offset:76
	s_waitcnt vmcnt(14)
	buffer_store_dword v108, off, s[0:3], 0 offset:80
	buffer_store_dword v109, off, s[0:3], 0 offset:84
	s_clause 0x3
	global_load_dwordx2 v[102:103], v[47:48], off
	global_load_dwordx2 v[104:105], v[51:52], off
	global_load_dwordx2 v[106:107], v[53:54], off
	global_load_dwordx2 v[108:109], v[55:56], off
	s_waitcnt vmcnt(17)
	buffer_store_dword v110, off, s[0:3], 0 offset:88
	buffer_store_dword v111, off, s[0:3], 0 offset:92
	s_waitcnt vmcnt(16)
	buffer_store_dword v112, off, s[0:3], 0 offset:96
	buffer_store_dword v113, off, s[0:3], 0 offset:100
	s_waitcnt vmcnt(15)
	buffer_store_dword v114, off, s[0:3], 0 offset:104
	buffer_store_dword v115, off, s[0:3], 0 offset:108
	s_waitcnt vmcnt(14)
	buffer_store_dword v117, off, s[0:3], 0 offset:116
	buffer_store_dword v116, off, s[0:3], 0 offset:112
	s_clause 0x3
	global_load_dwordx2 v[110:111], v[57:58], off
	global_load_dwordx2 v[112:113], v[59:60], off
	global_load_dwordx2 v[114:115], v[61:62], off
	global_load_dwordx2 v[116:117], v[63:64], off
	;; [unrolled: 17-line block ×3, first 2 shown]
	s_waitcnt vmcnt(17)
	buffer_store_dword v91, off, s[0:3], 0 offset:156
	buffer_store_dword v90, off, s[0:3], 0 offset:152
	global_load_dwordx2 v[90:91], v[73:74], off
	s_waitcnt vmcnt(17)
	buffer_store_dword v93, off, s[0:3], 0 offset:164
	buffer_store_dword v92, off, s[0:3], 0 offset:160
	s_waitcnt vmcnt(16)
	buffer_store_dword v94, off, s[0:3], 0 offset:168
	buffer_store_dword v95, off, s[0:3], 0 offset:172
	;; [unrolled: 3-line block ×3, first 2 shown]
	s_clause 0x2
	global_load_dwordx2 v[92:93], v[75:76], off
	global_load_dwordx2 v[94:95], v[77:78], off
	;; [unrolled: 1-line block ×3, first 2 shown]
	s_waitcnt vmcnt(17)
	buffer_store_dword v98, off, s[0:3], 0 offset:184
	buffer_store_dword v99, off, s[0:3], 0 offset:188
	global_load_dwordx2 v[98:99], v[83:84], off
	s_waitcnt vmcnt(17)
	buffer_store_dword v100, off, s[0:3], 0 offset:192
	buffer_store_dword v101, off, s[0:3], 0 offset:196
	global_load_dwordx2 v[100:101], v[81:82], off
	s_waitcnt vmcnt(17)
	buffer_store_dword v103, off, s[0:3], 0 offset:204
	buffer_store_dword v102, off, s[0:3], 0 offset:200
	s_waitcnt vmcnt(16)
	buffer_store_dword v105, off, s[0:3], 0 offset:212
	buffer_store_dword v104, off, s[0:3], 0 offset:208
	;; [unrolled: 3-line block ×18, first 2 shown]
	s_cbranch_scc1 .LBB42_180
; %bb.4:
	v_cmp_eq_u32_e64 s4, 0, v0
	s_and_saveexec_b32 s5, s4
; %bb.5:
	v_mov_b32_e32 v87, 0
	ds_write_b32 v87, v87 offset:344
; %bb.6:
	s_or_b32 exec_lo, exec_lo, s5
	v_lshl_add_u32 v87, v0, 3, 0
	s_waitcnt lgkmcnt(0)
	s_waitcnt_vscnt null, 0x0
	s_barrier
	buffer_gl0_inv
	s_mov_b32 s8, exec_lo
	s_clause 0x1
	buffer_load_dword v90, v87, s[0:3], 0 offen
	buffer_load_dword v91, v87, s[0:3], 0 offen offset:4
	s_waitcnt vmcnt(0)
	v_cmpx_eq_f64_e32 0, v[90:91]
	s_cbranch_execz .LBB42_10
; %bb.7:
	v_mov_b32_e32 v88, 0
	s_mov_b32 s9, 0
	ds_read_b32 v90, v88 offset:344
	s_waitcnt lgkmcnt(0)
	v_readfirstlane_b32 s5, v90
	v_add_nc_u32_e32 v90, 1, v0
	s_cmp_eq_u32 s5, 0
	v_cmp_gt_i32_e32 vcc_lo, s5, v90
	s_cselect_b32 s12, -1, 0
	s_or_b32 s12, s12, vcc_lo
	s_and_b32 exec_lo, exec_lo, s12
	s_cbranch_execz .LBB42_10
; %bb.8:
	v_mov_b32_e32 v91, s5
.LBB42_9:                               ; =>This Inner Loop Header: Depth=1
	ds_cmpst_rtn_b32 v91, v88, v91, v90 offset:344
	s_waitcnt lgkmcnt(0)
	v_cmp_ne_u32_e32 vcc_lo, 0, v91
	v_cmp_le_i32_e64 s5, v91, v90
	s_and_b32 s5, vcc_lo, s5
	s_and_b32 s5, exec_lo, s5
	s_or_b32 s9, s5, s9
	s_andn2_b32 exec_lo, exec_lo, s9
	s_cbranch_execnz .LBB42_9
.LBB42_10:
	s_or_b32 exec_lo, exec_lo, s8
	v_mov_b32_e32 v88, 0
	s_barrier
	buffer_gl0_inv
	ds_read_b32 v90, v88 offset:344
	s_and_saveexec_b32 s5, s4
	s_cbranch_execz .LBB42_12
; %bb.11:
	s_lshl_b64 s[8:9], s[6:7], 2
	s_add_u32 s8, s10, s8
	s_addc_u32 s9, s11, s9
	s_waitcnt lgkmcnt(0)
	global_store_dword v88, v90, s[8:9]
.LBB42_12:
	s_or_b32 exec_lo, exec_lo, s5
	s_waitcnt lgkmcnt(0)
	v_cmp_ne_u32_e32 vcc_lo, 0, v90
	s_mov_b32 s5, 0
	s_cbranch_vccnz .LBB42_180
; %bb.13:
	s_clause 0x1
	buffer_load_dword v90, v87, s[0:3], 0 offen
	buffer_load_dword v91, v87, s[0:3], 0 offen offset:4
	s_waitcnt vmcnt(0)
	v_div_scale_f64 v[92:93], null, v[90:91], v[90:91], 1.0
	v_div_scale_f64 v[98:99], vcc_lo, 1.0, v[90:91], 1.0
	v_rcp_f64_e32 v[94:95], v[92:93]
	v_fma_f64 v[96:97], -v[92:93], v[94:95], 1.0
	v_fma_f64 v[94:95], v[94:95], v[96:97], v[94:95]
	v_fma_f64 v[96:97], -v[92:93], v[94:95], 1.0
	v_fma_f64 v[94:95], v[94:95], v[96:97], v[94:95]
	v_mul_f64 v[96:97], v[98:99], v[94:95]
	v_fma_f64 v[92:93], -v[92:93], v[96:97], v[98:99]
	v_div_fmas_f64 v[92:93], v[92:93], v[94:95], v[96:97]
	v_div_fixup_f64 v[91:92], v[92:93], v[90:91], 1.0
	v_add_nc_u32_e32 v90, 0x160, v89
	buffer_store_dword v92, v87, s[0:3], 0 offen offset:4
	buffer_store_dword v91, v87, s[0:3], 0 offen
	s_clause 0x1
	buffer_load_dword v94, off, s[0:3], 0 offset:12
	buffer_load_dword v93, off, s[0:3], 0 offset:8
	v_xor_b32_e32 v92, 0x80000000, v92
	s_waitcnt vmcnt(0)
	ds_write2_b64 v89, v[91:92], v[93:94] offset1:44
	s_waitcnt lgkmcnt(0)
	s_waitcnt_vscnt null, 0x0
	s_barrier
	buffer_gl0_inv
	s_and_saveexec_b32 s5, s4
	s_cbranch_execz .LBB42_15
; %bb.14:
	s_clause 0x1
	buffer_load_dword v91, v87, s[0:3], 0 offen
	buffer_load_dword v92, v87, s[0:3], 0 offen offset:4
	ds_read_b64 v[93:94], v90
	v_mov_b32_e32 v88, 0
	ds_read_b64 v[95:96], v88 offset:8
	s_waitcnt vmcnt(0) lgkmcnt(1)
	v_fma_f64 v[91:92], v[91:92], v[93:94], 0
	s_waitcnt lgkmcnt(0)
	v_mul_f64 v[91:92], v[91:92], v[95:96]
	buffer_store_dword v91, off, s[0:3], 0 offset:8
	buffer_store_dword v92, off, s[0:3], 0 offset:12
.LBB42_15:
	s_or_b32 exec_lo, exec_lo, s5
	s_waitcnt_vscnt null, 0x0
	s_barrier
	buffer_gl0_inv
	s_clause 0x1
	buffer_load_dword v91, off, s[0:3], 0 offset:16
	buffer_load_dword v92, off, s[0:3], 0 offset:20
	s_mov_b32 s5, exec_lo
	s_waitcnt vmcnt(0)
	ds_write_b64 v90, v[91:92]
	s_waitcnt lgkmcnt(0)
	s_barrier
	buffer_gl0_inv
	v_cmpx_gt_u32_e32 2, v0
	s_cbranch_execz .LBB42_19
; %bb.16:
	s_clause 0x1
	buffer_load_dword v91, v87, s[0:3], 0 offen
	buffer_load_dword v92, v87, s[0:3], 0 offen offset:4
	ds_read_b64 v[87:88], v90
	s_waitcnt vmcnt(0) lgkmcnt(0)
	v_fma_f64 v[87:88], v[91:92], v[87:88], 0
	s_and_saveexec_b32 s8, s4
	s_cbranch_execz .LBB42_18
; %bb.17:
	s_clause 0x1
	buffer_load_dword v91, off, s[0:3], 0 offset:8
	buffer_load_dword v92, off, s[0:3], 0 offset:12
	v_mov_b32_e32 v93, 0
	ds_read_b64 v[93:94], v93 offset:360
	s_waitcnt vmcnt(0) lgkmcnt(0)
	v_fma_f64 v[87:88], v[91:92], v[93:94], v[87:88]
.LBB42_18:
	s_or_b32 exec_lo, exec_lo, s8
	v_mov_b32_e32 v91, 0
	ds_read_b64 v[91:92], v91 offset:16
	s_waitcnt lgkmcnt(0)
	v_mul_f64 v[87:88], v[87:88], v[91:92]
	buffer_store_dword v88, off, s[0:3], 0 offset:20
	buffer_store_dword v87, off, s[0:3], 0 offset:16
.LBB42_19:
	s_or_b32 exec_lo, exec_lo, s5
	s_waitcnt_vscnt null, 0x0
	s_barrier
	buffer_gl0_inv
	s_clause 0x1
	buffer_load_dword v87, off, s[0:3], 0 offset:24
	buffer_load_dword v88, off, s[0:3], 0 offset:28
	v_add_nc_u32_e32 v91, -1, v0
	s_mov_b32 s4, exec_lo
	s_waitcnt vmcnt(0)
	ds_write_b64 v90, v[87:88]
	s_waitcnt lgkmcnt(0)
	s_barrier
	buffer_gl0_inv
	v_cmpx_gt_u32_e32 3, v0
	s_cbranch_execz .LBB42_23
; %bb.20:
	v_mov_b32_e32 v87, 0
	v_add_nc_u32_e32 v92, -1, v0
	v_add_nc_u32_e32 v93, 0x160, v89
	v_mov_b32_e32 v88, 0
	v_mov_b32_e32 v94, v89
	s_mov_b32 s5, 0
.LBB42_21:                              ; =>This Inner Loop Header: Depth=1
	s_clause 0x1
	buffer_load_dword v95, v94, s[0:3], 0 offen
	buffer_load_dword v96, v94, s[0:3], 0 offen offset:4
	ds_read_b64 v[97:98], v93
	v_add_nc_u32_e32 v92, 1, v92
	v_add_nc_u32_e32 v93, 8, v93
	v_add_nc_u32_e32 v94, 8, v94
	v_cmp_lt_u32_e32 vcc_lo, 1, v92
	s_or_b32 s5, vcc_lo, s5
	s_waitcnt vmcnt(0) lgkmcnt(0)
	v_fma_f64 v[87:88], v[95:96], v[97:98], v[87:88]
	s_andn2_b32 exec_lo, exec_lo, s5
	s_cbranch_execnz .LBB42_21
; %bb.22:
	s_or_b32 exec_lo, exec_lo, s5
	v_mov_b32_e32 v92, 0
	ds_read_b64 v[92:93], v92 offset:24
	s_waitcnt lgkmcnt(0)
	v_mul_f64 v[87:88], v[87:88], v[92:93]
	buffer_store_dword v88, off, s[0:3], 0 offset:28
	buffer_store_dword v87, off, s[0:3], 0 offset:24
.LBB42_23:
	s_or_b32 exec_lo, exec_lo, s4
	s_waitcnt_vscnt null, 0x0
	s_barrier
	buffer_gl0_inv
	s_clause 0x1
	buffer_load_dword v87, off, s[0:3], 0 offset:32
	buffer_load_dword v88, off, s[0:3], 0 offset:36
	s_mov_b32 s4, exec_lo
	s_waitcnt vmcnt(0)
	ds_write_b64 v90, v[87:88]
	s_waitcnt lgkmcnt(0)
	s_barrier
	buffer_gl0_inv
	v_cmpx_gt_u32_e32 4, v0
	s_cbranch_execz .LBB42_27
; %bb.24:
	v_mov_b32_e32 v87, 0
	v_add_nc_u32_e32 v92, -1, v0
	v_add_nc_u32_e32 v93, 0x160, v89
	v_mov_b32_e32 v88, 0
	v_mov_b32_e32 v94, v89
	s_mov_b32 s5, 0
.LBB42_25:                              ; =>This Inner Loop Header: Depth=1
	s_clause 0x1
	buffer_load_dword v95, v94, s[0:3], 0 offen
	buffer_load_dword v96, v94, s[0:3], 0 offen offset:4
	ds_read_b64 v[97:98], v93
	v_add_nc_u32_e32 v92, 1, v92
	v_add_nc_u32_e32 v93, 8, v93
	v_add_nc_u32_e32 v94, 8, v94
	v_cmp_lt_u32_e32 vcc_lo, 2, v92
	s_or_b32 s5, vcc_lo, s5
	s_waitcnt vmcnt(0) lgkmcnt(0)
	v_fma_f64 v[87:88], v[95:96], v[97:98], v[87:88]
	s_andn2_b32 exec_lo, exec_lo, s5
	s_cbranch_execnz .LBB42_25
; %bb.26:
	s_or_b32 exec_lo, exec_lo, s5
	v_mov_b32_e32 v92, 0
	ds_read_b64 v[92:93], v92 offset:32
	s_waitcnt lgkmcnt(0)
	v_mul_f64 v[87:88], v[87:88], v[92:93]
	buffer_store_dword v88, off, s[0:3], 0 offset:36
	buffer_store_dword v87, off, s[0:3], 0 offset:32
.LBB42_27:
	s_or_b32 exec_lo, exec_lo, s4
	s_waitcnt_vscnt null, 0x0
	s_barrier
	buffer_gl0_inv
	s_clause 0x1
	buffer_load_dword v87, off, s[0:3], 0 offset:40
	buffer_load_dword v88, off, s[0:3], 0 offset:44
	;; [unrolled: 45-line block ×20, first 2 shown]
	s_mov_b32 s4, exec_lo
	s_waitcnt vmcnt(0)
	ds_write_b64 v90, v[87:88]
	s_waitcnt lgkmcnt(0)
	s_barrier
	buffer_gl0_inv
	v_cmpx_gt_u32_e32 23, v0
	s_cbranch_execz .LBB42_103
; %bb.100:
	v_mov_b32_e32 v87, 0
	v_add_nc_u32_e32 v92, -1, v0
	v_add_nc_u32_e32 v93, 0x160, v89
	v_mov_b32_e32 v88, 0
	v_mov_b32_e32 v94, v89
	s_mov_b32 s5, 0
.LBB42_101:                             ; =>This Inner Loop Header: Depth=1
	s_clause 0x1
	buffer_load_dword v95, v94, s[0:3], 0 offen
	buffer_load_dword v96, v94, s[0:3], 0 offen offset:4
	ds_read_b64 v[97:98], v93
	v_add_nc_u32_e32 v92, 1, v92
	v_add_nc_u32_e32 v93, 8, v93
	v_add_nc_u32_e32 v94, 8, v94
	v_cmp_lt_u32_e32 vcc_lo, 21, v92
	s_or_b32 s5, vcc_lo, s5
	s_waitcnt vmcnt(0) lgkmcnt(0)
	v_fma_f64 v[87:88], v[95:96], v[97:98], v[87:88]
	s_andn2_b32 exec_lo, exec_lo, s5
	s_cbranch_execnz .LBB42_101
; %bb.102:
	s_or_b32 exec_lo, exec_lo, s5
	v_mov_b32_e32 v92, 0
	ds_read_b64 v[92:93], v92 offset:184
	s_waitcnt lgkmcnt(0)
	v_mul_f64 v[87:88], v[87:88], v[92:93]
	buffer_store_dword v88, off, s[0:3], 0 offset:188
	buffer_store_dword v87, off, s[0:3], 0 offset:184
.LBB42_103:
	s_or_b32 exec_lo, exec_lo, s4
	s_waitcnt_vscnt null, 0x0
	s_barrier
	buffer_gl0_inv
	s_clause 0x1
	buffer_load_dword v87, off, s[0:3], 0 offset:192
	buffer_load_dword v88, off, s[0:3], 0 offset:196
	s_mov_b32 s4, exec_lo
	s_waitcnt vmcnt(0)
	ds_write_b64 v90, v[87:88]
	s_waitcnt lgkmcnt(0)
	s_barrier
	buffer_gl0_inv
	v_cmpx_gt_u32_e32 24, v0
	s_cbranch_execz .LBB42_107
; %bb.104:
	v_mov_b32_e32 v87, 0
	v_add_nc_u32_e32 v92, -1, v0
	v_add_nc_u32_e32 v93, 0x160, v89
	v_mov_b32_e32 v88, 0
	v_mov_b32_e32 v94, v89
	s_mov_b32 s5, 0
.LBB42_105:                             ; =>This Inner Loop Header: Depth=1
	s_clause 0x1
	buffer_load_dword v95, v94, s[0:3], 0 offen
	buffer_load_dword v96, v94, s[0:3], 0 offen offset:4
	ds_read_b64 v[97:98], v93
	v_add_nc_u32_e32 v92, 1, v92
	v_add_nc_u32_e32 v93, 8, v93
	v_add_nc_u32_e32 v94, 8, v94
	v_cmp_lt_u32_e32 vcc_lo, 22, v92
	s_or_b32 s5, vcc_lo, s5
	s_waitcnt vmcnt(0) lgkmcnt(0)
	v_fma_f64 v[87:88], v[95:96], v[97:98], v[87:88]
	s_andn2_b32 exec_lo, exec_lo, s5
	s_cbranch_execnz .LBB42_105
; %bb.106:
	s_or_b32 exec_lo, exec_lo, s5
	v_mov_b32_e32 v92, 0
	ds_read_b64 v[92:93], v92 offset:192
	s_waitcnt lgkmcnt(0)
	v_mul_f64 v[87:88], v[87:88], v[92:93]
	buffer_store_dword v88, off, s[0:3], 0 offset:196
	buffer_store_dword v87, off, s[0:3], 0 offset:192
.LBB42_107:
	s_or_b32 exec_lo, exec_lo, s4
	s_waitcnt_vscnt null, 0x0
	s_barrier
	buffer_gl0_inv
	s_clause 0x1
	buffer_load_dword v87, off, s[0:3], 0 offset:200
	buffer_load_dword v88, off, s[0:3], 0 offset:204
	s_mov_b32 s4, exec_lo
	s_waitcnt vmcnt(0)
	ds_write_b64 v90, v[87:88]
	s_waitcnt lgkmcnt(0)
	s_barrier
	buffer_gl0_inv
	v_cmpx_gt_u32_e32 25, v0
	s_cbranch_execz .LBB42_111
; %bb.108:
	v_mov_b32_e32 v87, 0
	v_add_nc_u32_e32 v92, -1, v0
	v_add_nc_u32_e32 v93, 0x160, v89
	v_mov_b32_e32 v88, 0
	v_mov_b32_e32 v94, v89
	s_mov_b32 s5, 0
.LBB42_109:                             ; =>This Inner Loop Header: Depth=1
	s_clause 0x1
	buffer_load_dword v95, v94, s[0:3], 0 offen
	buffer_load_dword v96, v94, s[0:3], 0 offen offset:4
	ds_read_b64 v[97:98], v93
	v_add_nc_u32_e32 v92, 1, v92
	v_add_nc_u32_e32 v93, 8, v93
	v_add_nc_u32_e32 v94, 8, v94
	v_cmp_lt_u32_e32 vcc_lo, 23, v92
	s_or_b32 s5, vcc_lo, s5
	s_waitcnt vmcnt(0) lgkmcnt(0)
	v_fma_f64 v[87:88], v[95:96], v[97:98], v[87:88]
	s_andn2_b32 exec_lo, exec_lo, s5
	s_cbranch_execnz .LBB42_109
; %bb.110:
	s_or_b32 exec_lo, exec_lo, s5
	v_mov_b32_e32 v92, 0
	ds_read_b64 v[92:93], v92 offset:200
	s_waitcnt lgkmcnt(0)
	v_mul_f64 v[87:88], v[87:88], v[92:93]
	buffer_store_dword v88, off, s[0:3], 0 offset:204
	buffer_store_dword v87, off, s[0:3], 0 offset:200
.LBB42_111:
	s_or_b32 exec_lo, exec_lo, s4
	s_waitcnt_vscnt null, 0x0
	s_barrier
	buffer_gl0_inv
	s_clause 0x1
	buffer_load_dword v87, off, s[0:3], 0 offset:208
	buffer_load_dword v88, off, s[0:3], 0 offset:212
	s_mov_b32 s4, exec_lo
	s_waitcnt vmcnt(0)
	ds_write_b64 v90, v[87:88]
	s_waitcnt lgkmcnt(0)
	s_barrier
	buffer_gl0_inv
	v_cmpx_gt_u32_e32 26, v0
	s_cbranch_execz .LBB42_115
; %bb.112:
	v_mov_b32_e32 v87, 0
	v_add_nc_u32_e32 v92, -1, v0
	v_add_nc_u32_e32 v93, 0x160, v89
	v_mov_b32_e32 v88, 0
	v_mov_b32_e32 v94, v89
	s_mov_b32 s5, 0
.LBB42_113:                             ; =>This Inner Loop Header: Depth=1
	s_clause 0x1
	buffer_load_dword v95, v94, s[0:3], 0 offen
	buffer_load_dword v96, v94, s[0:3], 0 offen offset:4
	ds_read_b64 v[97:98], v93
	v_add_nc_u32_e32 v92, 1, v92
	v_add_nc_u32_e32 v93, 8, v93
	v_add_nc_u32_e32 v94, 8, v94
	v_cmp_lt_u32_e32 vcc_lo, 24, v92
	s_or_b32 s5, vcc_lo, s5
	s_waitcnt vmcnt(0) lgkmcnt(0)
	v_fma_f64 v[87:88], v[95:96], v[97:98], v[87:88]
	s_andn2_b32 exec_lo, exec_lo, s5
	s_cbranch_execnz .LBB42_113
; %bb.114:
	s_or_b32 exec_lo, exec_lo, s5
	v_mov_b32_e32 v92, 0
	ds_read_b64 v[92:93], v92 offset:208
	s_waitcnt lgkmcnt(0)
	v_mul_f64 v[87:88], v[87:88], v[92:93]
	buffer_store_dword v88, off, s[0:3], 0 offset:212
	buffer_store_dword v87, off, s[0:3], 0 offset:208
.LBB42_115:
	s_or_b32 exec_lo, exec_lo, s4
	s_waitcnt_vscnt null, 0x0
	s_barrier
	buffer_gl0_inv
	s_clause 0x1
	buffer_load_dword v87, off, s[0:3], 0 offset:216
	buffer_load_dword v88, off, s[0:3], 0 offset:220
	s_mov_b32 s4, exec_lo
	s_waitcnt vmcnt(0)
	ds_write_b64 v90, v[87:88]
	s_waitcnt lgkmcnt(0)
	s_barrier
	buffer_gl0_inv
	v_cmpx_gt_u32_e32 27, v0
	s_cbranch_execz .LBB42_119
; %bb.116:
	v_mov_b32_e32 v87, 0
	v_add_nc_u32_e32 v92, -1, v0
	v_add_nc_u32_e32 v93, 0x160, v89
	v_mov_b32_e32 v88, 0
	v_mov_b32_e32 v94, v89
	s_mov_b32 s5, 0
.LBB42_117:                             ; =>This Inner Loop Header: Depth=1
	s_clause 0x1
	buffer_load_dword v95, v94, s[0:3], 0 offen
	buffer_load_dword v96, v94, s[0:3], 0 offen offset:4
	ds_read_b64 v[97:98], v93
	v_add_nc_u32_e32 v92, 1, v92
	v_add_nc_u32_e32 v93, 8, v93
	v_add_nc_u32_e32 v94, 8, v94
	v_cmp_lt_u32_e32 vcc_lo, 25, v92
	s_or_b32 s5, vcc_lo, s5
	s_waitcnt vmcnt(0) lgkmcnt(0)
	v_fma_f64 v[87:88], v[95:96], v[97:98], v[87:88]
	s_andn2_b32 exec_lo, exec_lo, s5
	s_cbranch_execnz .LBB42_117
; %bb.118:
	s_or_b32 exec_lo, exec_lo, s5
	v_mov_b32_e32 v92, 0
	ds_read_b64 v[92:93], v92 offset:216
	s_waitcnt lgkmcnt(0)
	v_mul_f64 v[87:88], v[87:88], v[92:93]
	buffer_store_dword v88, off, s[0:3], 0 offset:220
	buffer_store_dword v87, off, s[0:3], 0 offset:216
.LBB42_119:
	s_or_b32 exec_lo, exec_lo, s4
	s_waitcnt_vscnt null, 0x0
	s_barrier
	buffer_gl0_inv
	s_clause 0x1
	buffer_load_dword v87, off, s[0:3], 0 offset:224
	buffer_load_dword v88, off, s[0:3], 0 offset:228
	s_mov_b32 s4, exec_lo
	s_waitcnt vmcnt(0)
	ds_write_b64 v90, v[87:88]
	s_waitcnt lgkmcnt(0)
	s_barrier
	buffer_gl0_inv
	v_cmpx_gt_u32_e32 28, v0
	s_cbranch_execz .LBB42_123
; %bb.120:
	v_mov_b32_e32 v87, 0
	v_add_nc_u32_e32 v92, -1, v0
	v_add_nc_u32_e32 v93, 0x160, v89
	v_mov_b32_e32 v88, 0
	v_mov_b32_e32 v94, v89
	s_mov_b32 s5, 0
.LBB42_121:                             ; =>This Inner Loop Header: Depth=1
	s_clause 0x1
	buffer_load_dword v95, v94, s[0:3], 0 offen
	buffer_load_dword v96, v94, s[0:3], 0 offen offset:4
	ds_read_b64 v[97:98], v93
	v_add_nc_u32_e32 v92, 1, v92
	v_add_nc_u32_e32 v93, 8, v93
	v_add_nc_u32_e32 v94, 8, v94
	v_cmp_lt_u32_e32 vcc_lo, 26, v92
	s_or_b32 s5, vcc_lo, s5
	s_waitcnt vmcnt(0) lgkmcnt(0)
	v_fma_f64 v[87:88], v[95:96], v[97:98], v[87:88]
	s_andn2_b32 exec_lo, exec_lo, s5
	s_cbranch_execnz .LBB42_121
; %bb.122:
	s_or_b32 exec_lo, exec_lo, s5
	v_mov_b32_e32 v92, 0
	ds_read_b64 v[92:93], v92 offset:224
	s_waitcnt lgkmcnt(0)
	v_mul_f64 v[87:88], v[87:88], v[92:93]
	buffer_store_dword v88, off, s[0:3], 0 offset:228
	buffer_store_dword v87, off, s[0:3], 0 offset:224
.LBB42_123:
	s_or_b32 exec_lo, exec_lo, s4
	s_waitcnt_vscnt null, 0x0
	s_barrier
	buffer_gl0_inv
	s_clause 0x1
	buffer_load_dword v87, off, s[0:3], 0 offset:232
	buffer_load_dword v88, off, s[0:3], 0 offset:236
	s_mov_b32 s4, exec_lo
	s_waitcnt vmcnt(0)
	ds_write_b64 v90, v[87:88]
	s_waitcnt lgkmcnt(0)
	s_barrier
	buffer_gl0_inv
	v_cmpx_gt_u32_e32 29, v0
	s_cbranch_execz .LBB42_127
; %bb.124:
	v_mov_b32_e32 v87, 0
	v_add_nc_u32_e32 v92, -1, v0
	v_add_nc_u32_e32 v93, 0x160, v89
	v_mov_b32_e32 v88, 0
	v_mov_b32_e32 v94, v89
	s_mov_b32 s5, 0
.LBB42_125:                             ; =>This Inner Loop Header: Depth=1
	s_clause 0x1
	buffer_load_dword v95, v94, s[0:3], 0 offen
	buffer_load_dword v96, v94, s[0:3], 0 offen offset:4
	ds_read_b64 v[97:98], v93
	v_add_nc_u32_e32 v92, 1, v92
	v_add_nc_u32_e32 v93, 8, v93
	v_add_nc_u32_e32 v94, 8, v94
	v_cmp_lt_u32_e32 vcc_lo, 27, v92
	s_or_b32 s5, vcc_lo, s5
	s_waitcnt vmcnt(0) lgkmcnt(0)
	v_fma_f64 v[87:88], v[95:96], v[97:98], v[87:88]
	s_andn2_b32 exec_lo, exec_lo, s5
	s_cbranch_execnz .LBB42_125
; %bb.126:
	s_or_b32 exec_lo, exec_lo, s5
	v_mov_b32_e32 v92, 0
	ds_read_b64 v[92:93], v92 offset:232
	s_waitcnt lgkmcnt(0)
	v_mul_f64 v[87:88], v[87:88], v[92:93]
	buffer_store_dword v88, off, s[0:3], 0 offset:236
	buffer_store_dword v87, off, s[0:3], 0 offset:232
.LBB42_127:
	s_or_b32 exec_lo, exec_lo, s4
	s_waitcnt_vscnt null, 0x0
	s_barrier
	buffer_gl0_inv
	s_clause 0x1
	buffer_load_dword v87, off, s[0:3], 0 offset:240
	buffer_load_dword v88, off, s[0:3], 0 offset:244
	s_mov_b32 s4, exec_lo
	s_waitcnt vmcnt(0)
	ds_write_b64 v90, v[87:88]
	s_waitcnt lgkmcnt(0)
	s_barrier
	buffer_gl0_inv
	v_cmpx_gt_u32_e32 30, v0
	s_cbranch_execz .LBB42_131
; %bb.128:
	v_mov_b32_e32 v87, 0
	v_add_nc_u32_e32 v92, -1, v0
	v_add_nc_u32_e32 v93, 0x160, v89
	v_mov_b32_e32 v88, 0
	v_mov_b32_e32 v94, v89
	s_mov_b32 s5, 0
.LBB42_129:                             ; =>This Inner Loop Header: Depth=1
	s_clause 0x1
	buffer_load_dword v95, v94, s[0:3], 0 offen
	buffer_load_dword v96, v94, s[0:3], 0 offen offset:4
	ds_read_b64 v[97:98], v93
	v_add_nc_u32_e32 v92, 1, v92
	v_add_nc_u32_e32 v93, 8, v93
	v_add_nc_u32_e32 v94, 8, v94
	v_cmp_lt_u32_e32 vcc_lo, 28, v92
	s_or_b32 s5, vcc_lo, s5
	s_waitcnt vmcnt(0) lgkmcnt(0)
	v_fma_f64 v[87:88], v[95:96], v[97:98], v[87:88]
	s_andn2_b32 exec_lo, exec_lo, s5
	s_cbranch_execnz .LBB42_129
; %bb.130:
	s_or_b32 exec_lo, exec_lo, s5
	v_mov_b32_e32 v92, 0
	ds_read_b64 v[92:93], v92 offset:240
	s_waitcnt lgkmcnt(0)
	v_mul_f64 v[87:88], v[87:88], v[92:93]
	buffer_store_dword v88, off, s[0:3], 0 offset:244
	buffer_store_dword v87, off, s[0:3], 0 offset:240
.LBB42_131:
	s_or_b32 exec_lo, exec_lo, s4
	s_waitcnt_vscnt null, 0x0
	s_barrier
	buffer_gl0_inv
	s_clause 0x1
	buffer_load_dword v87, off, s[0:3], 0 offset:248
	buffer_load_dword v88, off, s[0:3], 0 offset:252
	s_mov_b32 s4, exec_lo
	s_waitcnt vmcnt(0)
	ds_write_b64 v90, v[87:88]
	s_waitcnt lgkmcnt(0)
	s_barrier
	buffer_gl0_inv
	v_cmpx_gt_u32_e32 31, v0
	s_cbranch_execz .LBB42_135
; %bb.132:
	v_mov_b32_e32 v87, 0
	v_add_nc_u32_e32 v92, -1, v0
	v_add_nc_u32_e32 v93, 0x160, v89
	v_mov_b32_e32 v88, 0
	v_mov_b32_e32 v94, v89
	s_mov_b32 s5, 0
.LBB42_133:                             ; =>This Inner Loop Header: Depth=1
	s_clause 0x1
	buffer_load_dword v95, v94, s[0:3], 0 offen
	buffer_load_dword v96, v94, s[0:3], 0 offen offset:4
	ds_read_b64 v[97:98], v93
	v_add_nc_u32_e32 v92, 1, v92
	v_add_nc_u32_e32 v93, 8, v93
	v_add_nc_u32_e32 v94, 8, v94
	v_cmp_lt_u32_e32 vcc_lo, 29, v92
	s_or_b32 s5, vcc_lo, s5
	s_waitcnt vmcnt(0) lgkmcnt(0)
	v_fma_f64 v[87:88], v[95:96], v[97:98], v[87:88]
	s_andn2_b32 exec_lo, exec_lo, s5
	s_cbranch_execnz .LBB42_133
; %bb.134:
	s_or_b32 exec_lo, exec_lo, s5
	v_mov_b32_e32 v92, 0
	ds_read_b64 v[92:93], v92 offset:248
	s_waitcnt lgkmcnt(0)
	v_mul_f64 v[87:88], v[87:88], v[92:93]
	buffer_store_dword v88, off, s[0:3], 0 offset:252
	buffer_store_dword v87, off, s[0:3], 0 offset:248
.LBB42_135:
	s_or_b32 exec_lo, exec_lo, s4
	s_waitcnt_vscnt null, 0x0
	s_barrier
	buffer_gl0_inv
	s_clause 0x1
	buffer_load_dword v87, off, s[0:3], 0 offset:256
	buffer_load_dword v88, off, s[0:3], 0 offset:260
	s_mov_b32 s4, exec_lo
	s_waitcnt vmcnt(0)
	ds_write_b64 v90, v[87:88]
	s_waitcnt lgkmcnt(0)
	s_barrier
	buffer_gl0_inv
	v_cmpx_gt_u32_e32 32, v0
	s_cbranch_execz .LBB42_139
; %bb.136:
	v_mov_b32_e32 v87, 0
	v_add_nc_u32_e32 v92, -1, v0
	v_add_nc_u32_e32 v93, 0x160, v89
	v_mov_b32_e32 v88, 0
	v_mov_b32_e32 v94, v89
	s_mov_b32 s5, 0
.LBB42_137:                             ; =>This Inner Loop Header: Depth=1
	s_clause 0x1
	buffer_load_dword v95, v94, s[0:3], 0 offen
	buffer_load_dword v96, v94, s[0:3], 0 offen offset:4
	ds_read_b64 v[97:98], v93
	v_add_nc_u32_e32 v92, 1, v92
	v_add_nc_u32_e32 v93, 8, v93
	v_add_nc_u32_e32 v94, 8, v94
	v_cmp_lt_u32_e32 vcc_lo, 30, v92
	s_or_b32 s5, vcc_lo, s5
	s_waitcnt vmcnt(0) lgkmcnt(0)
	v_fma_f64 v[87:88], v[95:96], v[97:98], v[87:88]
	s_andn2_b32 exec_lo, exec_lo, s5
	s_cbranch_execnz .LBB42_137
; %bb.138:
	s_or_b32 exec_lo, exec_lo, s5
	v_mov_b32_e32 v92, 0
	ds_read_b64 v[92:93], v92 offset:256
	s_waitcnt lgkmcnt(0)
	v_mul_f64 v[87:88], v[87:88], v[92:93]
	buffer_store_dword v88, off, s[0:3], 0 offset:260
	buffer_store_dword v87, off, s[0:3], 0 offset:256
.LBB42_139:
	s_or_b32 exec_lo, exec_lo, s4
	s_waitcnt_vscnt null, 0x0
	s_barrier
	buffer_gl0_inv
	s_clause 0x1
	buffer_load_dword v87, off, s[0:3], 0 offset:264
	buffer_load_dword v88, off, s[0:3], 0 offset:268
	s_mov_b32 s4, exec_lo
	s_waitcnt vmcnt(0)
	ds_write_b64 v90, v[87:88]
	s_waitcnt lgkmcnt(0)
	s_barrier
	buffer_gl0_inv
	v_cmpx_gt_u32_e32 33, v0
	s_cbranch_execz .LBB42_143
; %bb.140:
	v_mov_b32_e32 v87, 0
	v_add_nc_u32_e32 v92, -1, v0
	v_add_nc_u32_e32 v93, 0x160, v89
	v_mov_b32_e32 v88, 0
	v_mov_b32_e32 v94, v89
	s_mov_b32 s5, 0
.LBB42_141:                             ; =>This Inner Loop Header: Depth=1
	s_clause 0x1
	buffer_load_dword v95, v94, s[0:3], 0 offen
	buffer_load_dword v96, v94, s[0:3], 0 offen offset:4
	ds_read_b64 v[97:98], v93
	v_add_nc_u32_e32 v92, 1, v92
	v_add_nc_u32_e32 v93, 8, v93
	v_add_nc_u32_e32 v94, 8, v94
	v_cmp_lt_u32_e32 vcc_lo, 31, v92
	s_or_b32 s5, vcc_lo, s5
	s_waitcnt vmcnt(0) lgkmcnt(0)
	v_fma_f64 v[87:88], v[95:96], v[97:98], v[87:88]
	s_andn2_b32 exec_lo, exec_lo, s5
	s_cbranch_execnz .LBB42_141
; %bb.142:
	s_or_b32 exec_lo, exec_lo, s5
	v_mov_b32_e32 v92, 0
	ds_read_b64 v[92:93], v92 offset:264
	s_waitcnt lgkmcnt(0)
	v_mul_f64 v[87:88], v[87:88], v[92:93]
	buffer_store_dword v88, off, s[0:3], 0 offset:268
	buffer_store_dword v87, off, s[0:3], 0 offset:264
.LBB42_143:
	s_or_b32 exec_lo, exec_lo, s4
	s_waitcnt_vscnt null, 0x0
	s_barrier
	buffer_gl0_inv
	s_clause 0x1
	buffer_load_dword v87, off, s[0:3], 0 offset:272
	buffer_load_dword v88, off, s[0:3], 0 offset:276
	s_mov_b32 s4, exec_lo
	s_waitcnt vmcnt(0)
	ds_write_b64 v90, v[87:88]
	s_waitcnt lgkmcnt(0)
	s_barrier
	buffer_gl0_inv
	v_cmpx_gt_u32_e32 34, v0
	s_cbranch_execz .LBB42_147
; %bb.144:
	v_mov_b32_e32 v87, 0
	v_add_nc_u32_e32 v92, -1, v0
	v_add_nc_u32_e32 v93, 0x160, v89
	v_mov_b32_e32 v88, 0
	v_mov_b32_e32 v94, v89
	s_mov_b32 s5, 0
.LBB42_145:                             ; =>This Inner Loop Header: Depth=1
	s_clause 0x1
	buffer_load_dword v95, v94, s[0:3], 0 offen
	buffer_load_dword v96, v94, s[0:3], 0 offen offset:4
	ds_read_b64 v[97:98], v93
	v_add_nc_u32_e32 v92, 1, v92
	v_add_nc_u32_e32 v93, 8, v93
	v_add_nc_u32_e32 v94, 8, v94
	v_cmp_lt_u32_e32 vcc_lo, 32, v92
	s_or_b32 s5, vcc_lo, s5
	s_waitcnt vmcnt(0) lgkmcnt(0)
	v_fma_f64 v[87:88], v[95:96], v[97:98], v[87:88]
	s_andn2_b32 exec_lo, exec_lo, s5
	s_cbranch_execnz .LBB42_145
; %bb.146:
	s_or_b32 exec_lo, exec_lo, s5
	v_mov_b32_e32 v92, 0
	ds_read_b64 v[92:93], v92 offset:272
	s_waitcnt lgkmcnt(0)
	v_mul_f64 v[87:88], v[87:88], v[92:93]
	buffer_store_dword v88, off, s[0:3], 0 offset:276
	buffer_store_dword v87, off, s[0:3], 0 offset:272
.LBB42_147:
	s_or_b32 exec_lo, exec_lo, s4
	s_waitcnt_vscnt null, 0x0
	s_barrier
	buffer_gl0_inv
	s_clause 0x1
	buffer_load_dword v87, off, s[0:3], 0 offset:280
	buffer_load_dword v88, off, s[0:3], 0 offset:284
	s_mov_b32 s4, exec_lo
	s_waitcnt vmcnt(0)
	ds_write_b64 v90, v[87:88]
	s_waitcnt lgkmcnt(0)
	s_barrier
	buffer_gl0_inv
	v_cmpx_gt_u32_e32 35, v0
	s_cbranch_execz .LBB42_151
; %bb.148:
	v_mov_b32_e32 v87, 0
	v_add_nc_u32_e32 v92, -1, v0
	v_add_nc_u32_e32 v93, 0x160, v89
	v_mov_b32_e32 v88, 0
	v_mov_b32_e32 v94, v89
	s_mov_b32 s5, 0
.LBB42_149:                             ; =>This Inner Loop Header: Depth=1
	s_clause 0x1
	buffer_load_dword v95, v94, s[0:3], 0 offen
	buffer_load_dword v96, v94, s[0:3], 0 offen offset:4
	ds_read_b64 v[97:98], v93
	v_add_nc_u32_e32 v92, 1, v92
	v_add_nc_u32_e32 v93, 8, v93
	v_add_nc_u32_e32 v94, 8, v94
	v_cmp_lt_u32_e32 vcc_lo, 33, v92
	s_or_b32 s5, vcc_lo, s5
	s_waitcnt vmcnt(0) lgkmcnt(0)
	v_fma_f64 v[87:88], v[95:96], v[97:98], v[87:88]
	s_andn2_b32 exec_lo, exec_lo, s5
	s_cbranch_execnz .LBB42_149
; %bb.150:
	s_or_b32 exec_lo, exec_lo, s5
	v_mov_b32_e32 v92, 0
	ds_read_b64 v[92:93], v92 offset:280
	s_waitcnt lgkmcnt(0)
	v_mul_f64 v[87:88], v[87:88], v[92:93]
	buffer_store_dword v88, off, s[0:3], 0 offset:284
	buffer_store_dword v87, off, s[0:3], 0 offset:280
.LBB42_151:
	s_or_b32 exec_lo, exec_lo, s4
	s_waitcnt_vscnt null, 0x0
	s_barrier
	buffer_gl0_inv
	s_clause 0x1
	buffer_load_dword v87, off, s[0:3], 0 offset:288
	buffer_load_dword v88, off, s[0:3], 0 offset:292
	s_mov_b32 s4, exec_lo
	s_waitcnt vmcnt(0)
	ds_write_b64 v90, v[87:88]
	s_waitcnt lgkmcnt(0)
	s_barrier
	buffer_gl0_inv
	v_cmpx_gt_u32_e32 36, v0
	s_cbranch_execz .LBB42_155
; %bb.152:
	v_mov_b32_e32 v87, 0
	v_add_nc_u32_e32 v92, -1, v0
	v_add_nc_u32_e32 v93, 0x160, v89
	v_mov_b32_e32 v88, 0
	v_mov_b32_e32 v94, v89
	s_mov_b32 s5, 0
.LBB42_153:                             ; =>This Inner Loop Header: Depth=1
	s_clause 0x1
	buffer_load_dword v95, v94, s[0:3], 0 offen
	buffer_load_dword v96, v94, s[0:3], 0 offen offset:4
	ds_read_b64 v[97:98], v93
	v_add_nc_u32_e32 v92, 1, v92
	v_add_nc_u32_e32 v93, 8, v93
	v_add_nc_u32_e32 v94, 8, v94
	v_cmp_lt_u32_e32 vcc_lo, 34, v92
	s_or_b32 s5, vcc_lo, s5
	s_waitcnt vmcnt(0) lgkmcnt(0)
	v_fma_f64 v[87:88], v[95:96], v[97:98], v[87:88]
	s_andn2_b32 exec_lo, exec_lo, s5
	s_cbranch_execnz .LBB42_153
; %bb.154:
	s_or_b32 exec_lo, exec_lo, s5
	v_mov_b32_e32 v92, 0
	ds_read_b64 v[92:93], v92 offset:288
	s_waitcnt lgkmcnt(0)
	v_mul_f64 v[87:88], v[87:88], v[92:93]
	buffer_store_dword v88, off, s[0:3], 0 offset:292
	buffer_store_dword v87, off, s[0:3], 0 offset:288
.LBB42_155:
	s_or_b32 exec_lo, exec_lo, s4
	s_waitcnt_vscnt null, 0x0
	s_barrier
	buffer_gl0_inv
	s_clause 0x1
	buffer_load_dword v87, off, s[0:3], 0 offset:296
	buffer_load_dword v88, off, s[0:3], 0 offset:300
	s_mov_b32 s4, exec_lo
	s_waitcnt vmcnt(0)
	ds_write_b64 v90, v[87:88]
	s_waitcnt lgkmcnt(0)
	s_barrier
	buffer_gl0_inv
	v_cmpx_gt_u32_e32 37, v0
	s_cbranch_execz .LBB42_159
; %bb.156:
	v_mov_b32_e32 v87, 0
	v_add_nc_u32_e32 v92, -1, v0
	v_add_nc_u32_e32 v93, 0x160, v89
	v_mov_b32_e32 v88, 0
	v_mov_b32_e32 v94, v89
	s_mov_b32 s5, 0
.LBB42_157:                             ; =>This Inner Loop Header: Depth=1
	s_clause 0x1
	buffer_load_dword v95, v94, s[0:3], 0 offen
	buffer_load_dword v96, v94, s[0:3], 0 offen offset:4
	ds_read_b64 v[97:98], v93
	v_add_nc_u32_e32 v92, 1, v92
	v_add_nc_u32_e32 v93, 8, v93
	v_add_nc_u32_e32 v94, 8, v94
	v_cmp_lt_u32_e32 vcc_lo, 35, v92
	s_or_b32 s5, vcc_lo, s5
	s_waitcnt vmcnt(0) lgkmcnt(0)
	v_fma_f64 v[87:88], v[95:96], v[97:98], v[87:88]
	s_andn2_b32 exec_lo, exec_lo, s5
	s_cbranch_execnz .LBB42_157
; %bb.158:
	s_or_b32 exec_lo, exec_lo, s5
	v_mov_b32_e32 v92, 0
	ds_read_b64 v[92:93], v92 offset:296
	s_waitcnt lgkmcnt(0)
	v_mul_f64 v[87:88], v[87:88], v[92:93]
	buffer_store_dword v88, off, s[0:3], 0 offset:300
	buffer_store_dword v87, off, s[0:3], 0 offset:296
.LBB42_159:
	s_or_b32 exec_lo, exec_lo, s4
	s_waitcnt_vscnt null, 0x0
	s_barrier
	buffer_gl0_inv
	s_clause 0x1
	buffer_load_dword v87, off, s[0:3], 0 offset:304
	buffer_load_dword v88, off, s[0:3], 0 offset:308
	s_mov_b32 s4, exec_lo
	s_waitcnt vmcnt(0)
	ds_write_b64 v90, v[87:88]
	s_waitcnt lgkmcnt(0)
	s_barrier
	buffer_gl0_inv
	v_cmpx_gt_u32_e32 38, v0
	s_cbranch_execz .LBB42_163
; %bb.160:
	v_mov_b32_e32 v87, 0
	v_add_nc_u32_e32 v92, -1, v0
	v_add_nc_u32_e32 v93, 0x160, v89
	v_mov_b32_e32 v88, 0
	v_mov_b32_e32 v94, v89
	s_mov_b32 s5, 0
.LBB42_161:                             ; =>This Inner Loop Header: Depth=1
	s_clause 0x1
	buffer_load_dword v95, v94, s[0:3], 0 offen
	buffer_load_dword v96, v94, s[0:3], 0 offen offset:4
	ds_read_b64 v[97:98], v93
	v_add_nc_u32_e32 v92, 1, v92
	v_add_nc_u32_e32 v93, 8, v93
	v_add_nc_u32_e32 v94, 8, v94
	v_cmp_lt_u32_e32 vcc_lo, 36, v92
	s_or_b32 s5, vcc_lo, s5
	s_waitcnt vmcnt(0) lgkmcnt(0)
	v_fma_f64 v[87:88], v[95:96], v[97:98], v[87:88]
	s_andn2_b32 exec_lo, exec_lo, s5
	s_cbranch_execnz .LBB42_161
; %bb.162:
	s_or_b32 exec_lo, exec_lo, s5
	v_mov_b32_e32 v92, 0
	ds_read_b64 v[92:93], v92 offset:304
	s_waitcnt lgkmcnt(0)
	v_mul_f64 v[87:88], v[87:88], v[92:93]
	buffer_store_dword v88, off, s[0:3], 0 offset:308
	buffer_store_dword v87, off, s[0:3], 0 offset:304
.LBB42_163:
	s_or_b32 exec_lo, exec_lo, s4
	s_waitcnt_vscnt null, 0x0
	s_barrier
	buffer_gl0_inv
	s_clause 0x1
	buffer_load_dword v87, off, s[0:3], 0 offset:312
	buffer_load_dword v88, off, s[0:3], 0 offset:316
	s_mov_b32 s4, exec_lo
	s_waitcnt vmcnt(0)
	ds_write_b64 v90, v[87:88]
	s_waitcnt lgkmcnt(0)
	s_barrier
	buffer_gl0_inv
	v_cmpx_gt_u32_e32 39, v0
	s_cbranch_execz .LBB42_167
; %bb.164:
	v_mov_b32_e32 v87, 0
	v_add_nc_u32_e32 v92, -1, v0
	v_add_nc_u32_e32 v93, 0x160, v89
	v_mov_b32_e32 v88, 0
	v_mov_b32_e32 v94, v89
	s_mov_b32 s5, 0
.LBB42_165:                             ; =>This Inner Loop Header: Depth=1
	s_clause 0x1
	buffer_load_dword v95, v94, s[0:3], 0 offen
	buffer_load_dword v96, v94, s[0:3], 0 offen offset:4
	ds_read_b64 v[97:98], v93
	v_add_nc_u32_e32 v92, 1, v92
	v_add_nc_u32_e32 v93, 8, v93
	v_add_nc_u32_e32 v94, 8, v94
	v_cmp_lt_u32_e32 vcc_lo, 37, v92
	s_or_b32 s5, vcc_lo, s5
	s_waitcnt vmcnt(0) lgkmcnt(0)
	v_fma_f64 v[87:88], v[95:96], v[97:98], v[87:88]
	s_andn2_b32 exec_lo, exec_lo, s5
	s_cbranch_execnz .LBB42_165
; %bb.166:
	s_or_b32 exec_lo, exec_lo, s5
	v_mov_b32_e32 v92, 0
	ds_read_b64 v[92:93], v92 offset:312
	s_waitcnt lgkmcnt(0)
	v_mul_f64 v[87:88], v[87:88], v[92:93]
	buffer_store_dword v88, off, s[0:3], 0 offset:316
	buffer_store_dword v87, off, s[0:3], 0 offset:312
.LBB42_167:
	s_or_b32 exec_lo, exec_lo, s4
	s_waitcnt_vscnt null, 0x0
	s_barrier
	buffer_gl0_inv
	s_clause 0x1
	buffer_load_dword v87, off, s[0:3], 0 offset:320
	buffer_load_dword v88, off, s[0:3], 0 offset:324
	s_mov_b32 s4, exec_lo
	s_waitcnt vmcnt(0)
	ds_write_b64 v90, v[87:88]
	s_waitcnt lgkmcnt(0)
	s_barrier
	buffer_gl0_inv
	v_cmpx_gt_u32_e32 40, v0
	s_cbranch_execz .LBB42_171
; %bb.168:
	v_mov_b32_e32 v87, 0
	v_add_nc_u32_e32 v92, -1, v0
	v_add_nc_u32_e32 v93, 0x160, v89
	v_mov_b32_e32 v88, 0
	v_mov_b32_e32 v94, v89
	s_mov_b32 s5, 0
.LBB42_169:                             ; =>This Inner Loop Header: Depth=1
	s_clause 0x1
	buffer_load_dword v95, v94, s[0:3], 0 offen
	buffer_load_dword v96, v94, s[0:3], 0 offen offset:4
	ds_read_b64 v[97:98], v93
	v_add_nc_u32_e32 v92, 1, v92
	v_add_nc_u32_e32 v93, 8, v93
	v_add_nc_u32_e32 v94, 8, v94
	v_cmp_lt_u32_e32 vcc_lo, 38, v92
	s_or_b32 s5, vcc_lo, s5
	s_waitcnt vmcnt(0) lgkmcnt(0)
	v_fma_f64 v[87:88], v[95:96], v[97:98], v[87:88]
	s_andn2_b32 exec_lo, exec_lo, s5
	s_cbranch_execnz .LBB42_169
; %bb.170:
	s_or_b32 exec_lo, exec_lo, s5
	v_mov_b32_e32 v92, 0
	ds_read_b64 v[92:93], v92 offset:320
	s_waitcnt lgkmcnt(0)
	v_mul_f64 v[87:88], v[87:88], v[92:93]
	buffer_store_dword v88, off, s[0:3], 0 offset:324
	buffer_store_dword v87, off, s[0:3], 0 offset:320
.LBB42_171:
	s_or_b32 exec_lo, exec_lo, s4
	s_waitcnt_vscnt null, 0x0
	s_barrier
	buffer_gl0_inv
	s_clause 0x1
	buffer_load_dword v87, off, s[0:3], 0 offset:328
	buffer_load_dword v88, off, s[0:3], 0 offset:332
	s_mov_b32 s4, exec_lo
	s_waitcnt vmcnt(0)
	ds_write_b64 v90, v[87:88]
	s_waitcnt lgkmcnt(0)
	s_barrier
	buffer_gl0_inv
	v_cmpx_gt_u32_e32 41, v0
	s_cbranch_execz .LBB42_175
; %bb.172:
	v_mov_b32_e32 v87, 0
	v_add_nc_u32_e32 v92, -1, v0
	v_add_nc_u32_e32 v93, 0x160, v89
	v_mov_b32_e32 v88, 0
	v_mov_b32_e32 v94, v89
	s_mov_b32 s5, 0
.LBB42_173:                             ; =>This Inner Loop Header: Depth=1
	s_clause 0x1
	buffer_load_dword v95, v94, s[0:3], 0 offen
	buffer_load_dword v96, v94, s[0:3], 0 offen offset:4
	ds_read_b64 v[97:98], v93
	v_add_nc_u32_e32 v92, 1, v92
	v_add_nc_u32_e32 v93, 8, v93
	v_add_nc_u32_e32 v94, 8, v94
	v_cmp_lt_u32_e32 vcc_lo, 39, v92
	s_or_b32 s5, vcc_lo, s5
	s_waitcnt vmcnt(0) lgkmcnt(0)
	v_fma_f64 v[87:88], v[95:96], v[97:98], v[87:88]
	s_andn2_b32 exec_lo, exec_lo, s5
	s_cbranch_execnz .LBB42_173
; %bb.174:
	s_or_b32 exec_lo, exec_lo, s5
	v_mov_b32_e32 v92, 0
	ds_read_b64 v[92:93], v92 offset:328
	s_waitcnt lgkmcnt(0)
	v_mul_f64 v[87:88], v[87:88], v[92:93]
	buffer_store_dword v88, off, s[0:3], 0 offset:332
	buffer_store_dword v87, off, s[0:3], 0 offset:328
.LBB42_175:
	s_or_b32 exec_lo, exec_lo, s4
	s_waitcnt_vscnt null, 0x0
	s_barrier
	buffer_gl0_inv
	s_clause 0x1
	buffer_load_dword v87, off, s[0:3], 0 offset:336
	buffer_load_dword v88, off, s[0:3], 0 offset:340
	s_mov_b32 s4, exec_lo
	s_waitcnt vmcnt(0)
	ds_write_b64 v90, v[87:88]
	s_waitcnt lgkmcnt(0)
	s_barrier
	buffer_gl0_inv
	v_cmpx_ne_u32_e32 42, v0
	s_cbranch_execz .LBB42_179
; %bb.176:
	v_mov_b32_e32 v87, 0
	v_mov_b32_e32 v88, 0
	s_mov_b32 s5, 0
.LBB42_177:                             ; =>This Inner Loop Header: Depth=1
	s_clause 0x1
	buffer_load_dword v92, v89, s[0:3], 0 offen
	buffer_load_dword v93, v89, s[0:3], 0 offen offset:4
	ds_read_b64 v[94:95], v90
	v_add_nc_u32_e32 v91, 1, v91
	v_add_nc_u32_e32 v90, 8, v90
	;; [unrolled: 1-line block ×3, first 2 shown]
	v_cmp_lt_u32_e32 vcc_lo, 40, v91
	s_or_b32 s5, vcc_lo, s5
	s_waitcnt vmcnt(0) lgkmcnt(0)
	v_fma_f64 v[87:88], v[92:93], v[94:95], v[87:88]
	s_andn2_b32 exec_lo, exec_lo, s5
	s_cbranch_execnz .LBB42_177
; %bb.178:
	s_or_b32 exec_lo, exec_lo, s5
	v_mov_b32_e32 v89, 0
	ds_read_b64 v[89:90], v89 offset:336
	s_waitcnt lgkmcnt(0)
	v_mul_f64 v[87:88], v[87:88], v[89:90]
	buffer_store_dword v88, off, s[0:3], 0 offset:340
	buffer_store_dword v87, off, s[0:3], 0 offset:336
.LBB42_179:
	s_or_b32 exec_lo, exec_lo, s4
	s_mov_b32 s5, -1
	s_waitcnt_vscnt null, 0x0
	s_barrier
	buffer_gl0_inv
.LBB42_180:
	s_and_b32 vcc_lo, exec_lo, s5
	s_cbranch_vccz .LBB42_182
; %bb.181:
	s_lshl_b64 s[4:5], s[6:7], 2
	v_mov_b32_e32 v87, 0
	s_add_u32 s4, s10, s4
	s_addc_u32 s5, s11, s5
	global_load_dword v87, v87, s[4:5]
	s_waitcnt vmcnt(0)
	v_cmp_ne_u32_e32 vcc_lo, 0, v87
	s_cbranch_vccz .LBB42_183
.LBB42_182:
	s_endpgm
.LBB42_183:
	v_lshl_add_u32 v87, v0, 3, 0x160
	s_mov_b32 s4, exec_lo
	v_cmpx_eq_u32_e32 42, v0
	s_cbranch_execz .LBB42_185
; %bb.184:
	s_clause 0x1
	buffer_load_dword v88, off, s[0:3], 0 offset:328
	buffer_load_dword v89, off, s[0:3], 0 offset:332
	v_mov_b32_e32 v90, 0
	buffer_store_dword v90, off, s[0:3], 0 offset:328
	buffer_store_dword v90, off, s[0:3], 0 offset:332
	s_waitcnt vmcnt(0)
	ds_write_b64 v87, v[88:89]
.LBB42_185:
	s_or_b32 exec_lo, exec_lo, s4
	s_waitcnt lgkmcnt(0)
	s_waitcnt_vscnt null, 0x0
	s_barrier
	buffer_gl0_inv
	s_clause 0x3
	buffer_load_dword v89, off, s[0:3], 0 offset:336
	buffer_load_dword v90, off, s[0:3], 0 offset:340
	;; [unrolled: 1-line block ×4, first 2 shown]
	v_mov_b32_e32 v88, 0
	s_mov_b32 s4, exec_lo
	ds_read_b64 v[93:94], v88 offset:688
	s_waitcnt vmcnt(2) lgkmcnt(0)
	v_fma_f64 v[89:90], v[89:90], v[93:94], 0
	s_waitcnt vmcnt(0)
	v_add_f64 v[89:90], v[91:92], -v[89:90]
	buffer_store_dword v89, off, s[0:3], 0 offset:328
	buffer_store_dword v90, off, s[0:3], 0 offset:332
	v_cmpx_lt_u32_e32 40, v0
	s_cbranch_execz .LBB42_187
; %bb.186:
	s_clause 0x1
	buffer_load_dword v89, off, s[0:3], 0 offset:320
	buffer_load_dword v90, off, s[0:3], 0 offset:324
	buffer_store_dword v88, off, s[0:3], 0 offset:320
	buffer_store_dword v88, off, s[0:3], 0 offset:324
	s_waitcnt vmcnt(0)
	ds_write_b64 v87, v[89:90]
.LBB42_187:
	s_or_b32 exec_lo, exec_lo, s4
	s_waitcnt lgkmcnt(0)
	s_waitcnt_vscnt null, 0x0
	s_barrier
	buffer_gl0_inv
	s_clause 0x5
	buffer_load_dword v92, off, s[0:3], 0 offset:328
	buffer_load_dword v93, off, s[0:3], 0 offset:332
	;; [unrolled: 1-line block ×6, first 2 shown]
	ds_read2_b64 v[88:91], v88 offset0:85 offset1:86
	s_mov_b32 s4, exec_lo
	s_waitcnt vmcnt(4) lgkmcnt(0)
	v_fma_f64 v[88:89], v[92:93], v[88:89], 0
	s_waitcnt vmcnt(2)
	v_fma_f64 v[88:89], v[94:95], v[90:91], v[88:89]
	s_waitcnt vmcnt(0)
	v_add_f64 v[88:89], v[96:97], -v[88:89]
	buffer_store_dword v88, off, s[0:3], 0 offset:320
	buffer_store_dword v89, off, s[0:3], 0 offset:324
	v_cmpx_lt_u32_e32 39, v0
	s_cbranch_execz .LBB42_189
; %bb.188:
	s_clause 0x1
	buffer_load_dword v88, off, s[0:3], 0 offset:312
	buffer_load_dword v89, off, s[0:3], 0 offset:316
	v_mov_b32_e32 v90, 0
	buffer_store_dword v90, off, s[0:3], 0 offset:312
	buffer_store_dword v90, off, s[0:3], 0 offset:316
	s_waitcnt vmcnt(0)
	ds_write_b64 v87, v[88:89]
.LBB42_189:
	s_or_b32 exec_lo, exec_lo, s4
	s_waitcnt lgkmcnt(0)
	s_waitcnt_vscnt null, 0x0
	s_barrier
	buffer_gl0_inv
	s_clause 0x7
	buffer_load_dword v93, off, s[0:3], 0 offset:320
	buffer_load_dword v94, off, s[0:3], 0 offset:324
	;; [unrolled: 1-line block ×8, first 2 shown]
	v_mov_b32_e32 v88, 0
	ds_read_b128 v[89:92], v88 offset:672
	ds_read_b64 v[101:102], v88 offset:688
	s_mov_b32 s4, exec_lo
	s_waitcnt vmcnt(6) lgkmcnt(1)
	v_fma_f64 v[89:90], v[93:94], v[89:90], 0
	s_waitcnt vmcnt(4)
	v_fma_f64 v[89:90], v[95:96], v[91:92], v[89:90]
	s_waitcnt vmcnt(2) lgkmcnt(0)
	v_fma_f64 v[89:90], v[97:98], v[101:102], v[89:90]
	s_waitcnt vmcnt(0)
	v_add_f64 v[89:90], v[99:100], -v[89:90]
	buffer_store_dword v89, off, s[0:3], 0 offset:312
	buffer_store_dword v90, off, s[0:3], 0 offset:316
	v_cmpx_lt_u32_e32 38, v0
	s_cbranch_execz .LBB42_191
; %bb.190:
	s_clause 0x1
	buffer_load_dword v89, off, s[0:3], 0 offset:304
	buffer_load_dword v90, off, s[0:3], 0 offset:308
	buffer_store_dword v88, off, s[0:3], 0 offset:304
	buffer_store_dword v88, off, s[0:3], 0 offset:308
	s_waitcnt vmcnt(0)
	ds_write_b64 v87, v[89:90]
.LBB42_191:
	s_or_b32 exec_lo, exec_lo, s4
	s_waitcnt lgkmcnt(0)
	s_waitcnt_vscnt null, 0x0
	s_barrier
	buffer_gl0_inv
	s_clause 0x9
	buffer_load_dword v97, off, s[0:3], 0 offset:312
	buffer_load_dword v98, off, s[0:3], 0 offset:316
	;; [unrolled: 1-line block ×10, first 2 shown]
	ds_read2_b64 v[89:92], v88 offset0:83 offset1:84
	ds_read2_b64 v[93:96], v88 offset0:85 offset1:86
	s_mov_b32 s4, exec_lo
	s_waitcnt vmcnt(8) lgkmcnt(1)
	v_fma_f64 v[88:89], v[97:98], v[89:90], 0
	s_waitcnt vmcnt(6)
	v_fma_f64 v[88:89], v[99:100], v[91:92], v[88:89]
	s_waitcnt vmcnt(4) lgkmcnt(0)
	v_fma_f64 v[88:89], v[101:102], v[93:94], v[88:89]
	s_waitcnt vmcnt(2)
	v_fma_f64 v[88:89], v[103:104], v[95:96], v[88:89]
	s_waitcnt vmcnt(0)
	v_add_f64 v[88:89], v[105:106], -v[88:89]
	buffer_store_dword v88, off, s[0:3], 0 offset:304
	buffer_store_dword v89, off, s[0:3], 0 offset:308
	v_cmpx_lt_u32_e32 37, v0
	s_cbranch_execz .LBB42_193
; %bb.192:
	s_clause 0x1
	buffer_load_dword v88, off, s[0:3], 0 offset:296
	buffer_load_dword v89, off, s[0:3], 0 offset:300
	v_mov_b32_e32 v90, 0
	buffer_store_dword v90, off, s[0:3], 0 offset:296
	buffer_store_dword v90, off, s[0:3], 0 offset:300
	s_waitcnt vmcnt(0)
	ds_write_b64 v87, v[88:89]
.LBB42_193:
	s_or_b32 exec_lo, exec_lo, s4
	s_waitcnt lgkmcnt(0)
	s_waitcnt_vscnt null, 0x0
	s_barrier
	buffer_gl0_inv
	s_clause 0xb
	buffer_load_dword v97, off, s[0:3], 0 offset:304
	buffer_load_dword v98, off, s[0:3], 0 offset:308
	;; [unrolled: 1-line block ×12, first 2 shown]
	v_mov_b32_e32 v88, 0
	ds_read_b128 v[89:92], v88 offset:656
	ds_read_b128 v[93:96], v88 offset:672
	s_mov_b32 s4, exec_lo
	s_waitcnt vmcnt(10) lgkmcnt(1)
	v_fma_f64 v[89:90], v[97:98], v[89:90], 0
	s_waitcnt vmcnt(8)
	v_fma_f64 v[89:90], v[99:100], v[91:92], v[89:90]
	ds_read_b64 v[91:92], v88 offset:688
	s_waitcnt vmcnt(6) lgkmcnt(1)
	v_fma_f64 v[89:90], v[101:102], v[93:94], v[89:90]
	s_waitcnt vmcnt(4)
	v_fma_f64 v[89:90], v[103:104], v[95:96], v[89:90]
	s_waitcnt vmcnt(2) lgkmcnt(0)
	v_fma_f64 v[89:90], v[105:106], v[91:92], v[89:90]
	s_waitcnt vmcnt(0)
	v_add_f64 v[89:90], v[107:108], -v[89:90]
	buffer_store_dword v89, off, s[0:3], 0 offset:296
	buffer_store_dword v90, off, s[0:3], 0 offset:300
	v_cmpx_lt_u32_e32 36, v0
	s_cbranch_execz .LBB42_195
; %bb.194:
	s_clause 0x1
	buffer_load_dword v89, off, s[0:3], 0 offset:288
	buffer_load_dword v90, off, s[0:3], 0 offset:292
	buffer_store_dword v88, off, s[0:3], 0 offset:288
	buffer_store_dword v88, off, s[0:3], 0 offset:292
	s_waitcnt vmcnt(0)
	ds_write_b64 v87, v[89:90]
.LBB42_195:
	s_or_b32 exec_lo, exec_lo, s4
	s_waitcnt lgkmcnt(0)
	s_waitcnt_vscnt null, 0x0
	s_barrier
	buffer_gl0_inv
	s_clause 0xd
	buffer_load_dword v97, off, s[0:3], 0 offset:296
	buffer_load_dword v98, off, s[0:3], 0 offset:300
	;; [unrolled: 1-line block ×14, first 2 shown]
	ds_read2_b64 v[89:92], v88 offset0:81 offset1:82
	ds_read2_b64 v[93:96], v88 offset0:83 offset1:84
	s_mov_b32 s4, exec_lo
	s_waitcnt vmcnt(12) lgkmcnt(1)
	v_fma_f64 v[89:90], v[97:98], v[89:90], 0
	s_waitcnt vmcnt(10)
	v_fma_f64 v[89:90], v[99:100], v[91:92], v[89:90]
	s_waitcnt vmcnt(8) lgkmcnt(0)
	v_fma_f64 v[89:90], v[101:102], v[93:94], v[89:90]
	s_waitcnt vmcnt(6)
	v_fma_f64 v[92:93], v[103:104], v[95:96], v[89:90]
	ds_read2_b64 v[88:91], v88 offset0:85 offset1:86
	s_waitcnt vmcnt(4) lgkmcnt(0)
	v_fma_f64 v[88:89], v[105:106], v[88:89], v[92:93]
	s_waitcnt vmcnt(2)
	v_fma_f64 v[88:89], v[107:108], v[90:91], v[88:89]
	s_waitcnt vmcnt(0)
	v_add_f64 v[88:89], v[109:110], -v[88:89]
	buffer_store_dword v88, off, s[0:3], 0 offset:288
	buffer_store_dword v89, off, s[0:3], 0 offset:292
	v_cmpx_lt_u32_e32 35, v0
	s_cbranch_execz .LBB42_197
; %bb.196:
	s_clause 0x1
	buffer_load_dword v88, off, s[0:3], 0 offset:280
	buffer_load_dword v89, off, s[0:3], 0 offset:284
	v_mov_b32_e32 v90, 0
	buffer_store_dword v90, off, s[0:3], 0 offset:280
	buffer_store_dword v90, off, s[0:3], 0 offset:284
	s_waitcnt vmcnt(0)
	ds_write_b64 v87, v[88:89]
.LBB42_197:
	s_or_b32 exec_lo, exec_lo, s4
	s_waitcnt lgkmcnt(0)
	s_waitcnt_vscnt null, 0x0
	s_barrier
	buffer_gl0_inv
	s_clause 0xf
	buffer_load_dword v97, off, s[0:3], 0 offset:288
	buffer_load_dword v98, off, s[0:3], 0 offset:292
	;; [unrolled: 1-line block ×16, first 2 shown]
	v_mov_b32_e32 v88, 0
	ds_read_b128 v[89:92], v88 offset:640
	ds_read_b128 v[93:96], v88 offset:656
	s_mov_b32 s4, exec_lo
	s_waitcnt vmcnt(14) lgkmcnt(1)
	v_fma_f64 v[89:90], v[97:98], v[89:90], 0
	s_waitcnt vmcnt(12)
	v_fma_f64 v[89:90], v[99:100], v[91:92], v[89:90]
	s_waitcnt vmcnt(10) lgkmcnt(0)
	v_fma_f64 v[89:90], v[101:102], v[93:94], v[89:90]
	s_waitcnt vmcnt(8)
	v_fma_f64 v[93:94], v[103:104], v[95:96], v[89:90]
	ds_read_b128 v[89:92], v88 offset:672
	ds_read_b64 v[95:96], v88 offset:688
	s_waitcnt vmcnt(6) lgkmcnt(1)
	v_fma_f64 v[89:90], v[105:106], v[89:90], v[93:94]
	s_waitcnt vmcnt(4)
	v_fma_f64 v[89:90], v[107:108], v[91:92], v[89:90]
	s_waitcnt vmcnt(2) lgkmcnt(0)
	v_fma_f64 v[89:90], v[109:110], v[95:96], v[89:90]
	s_waitcnt vmcnt(0)
	v_add_f64 v[89:90], v[111:112], -v[89:90]
	buffer_store_dword v89, off, s[0:3], 0 offset:280
	buffer_store_dword v90, off, s[0:3], 0 offset:284
	v_cmpx_lt_u32_e32 34, v0
	s_cbranch_execz .LBB42_199
; %bb.198:
	s_clause 0x1
	buffer_load_dword v89, off, s[0:3], 0 offset:272
	buffer_load_dword v90, off, s[0:3], 0 offset:276
	buffer_store_dword v88, off, s[0:3], 0 offset:272
	buffer_store_dword v88, off, s[0:3], 0 offset:276
	s_waitcnt vmcnt(0)
	ds_write_b64 v87, v[89:90]
.LBB42_199:
	s_or_b32 exec_lo, exec_lo, s4
	s_waitcnt lgkmcnt(0)
	s_waitcnt_vscnt null, 0x0
	s_barrier
	buffer_gl0_inv
	s_clause 0x11
	buffer_load_dword v97, off, s[0:3], 0 offset:280
	buffer_load_dword v98, off, s[0:3], 0 offset:284
	;; [unrolled: 1-line block ×18, first 2 shown]
	ds_read2_b64 v[89:92], v88 offset0:79 offset1:80
	ds_read2_b64 v[93:96], v88 offset0:81 offset1:82
	s_mov_b32 s4, exec_lo
	s_waitcnt vmcnt(16) lgkmcnt(1)
	v_fma_f64 v[89:90], v[97:98], v[89:90], 0
	s_waitcnt vmcnt(14)
	v_fma_f64 v[89:90], v[99:100], v[91:92], v[89:90]
	s_waitcnt vmcnt(12) lgkmcnt(0)
	v_fma_f64 v[89:90], v[101:102], v[93:94], v[89:90]
	s_waitcnt vmcnt(10)
	v_fma_f64 v[97:98], v[103:104], v[95:96], v[89:90]
	ds_read2_b64 v[89:92], v88 offset0:83 offset1:84
	ds_read2_b64 v[93:96], v88 offset0:85 offset1:86
	s_waitcnt vmcnt(8) lgkmcnt(1)
	v_fma_f64 v[88:89], v[105:106], v[89:90], v[97:98]
	s_waitcnt vmcnt(6)
	v_fma_f64 v[88:89], v[107:108], v[91:92], v[88:89]
	s_waitcnt vmcnt(4) lgkmcnt(0)
	v_fma_f64 v[88:89], v[109:110], v[93:94], v[88:89]
	s_waitcnt vmcnt(2)
	v_fma_f64 v[88:89], v[111:112], v[95:96], v[88:89]
	s_waitcnt vmcnt(0)
	v_add_f64 v[88:89], v[113:114], -v[88:89]
	buffer_store_dword v88, off, s[0:3], 0 offset:272
	buffer_store_dword v89, off, s[0:3], 0 offset:276
	v_cmpx_lt_u32_e32 33, v0
	s_cbranch_execz .LBB42_201
; %bb.200:
	s_clause 0x1
	buffer_load_dword v88, off, s[0:3], 0 offset:264
	buffer_load_dword v89, off, s[0:3], 0 offset:268
	v_mov_b32_e32 v90, 0
	buffer_store_dword v90, off, s[0:3], 0 offset:264
	buffer_store_dword v90, off, s[0:3], 0 offset:268
	s_waitcnt vmcnt(0)
	ds_write_b64 v87, v[88:89]
.LBB42_201:
	s_or_b32 exec_lo, exec_lo, s4
	s_waitcnt lgkmcnt(0)
	s_waitcnt_vscnt null, 0x0
	s_barrier
	buffer_gl0_inv
	s_clause 0x13
	buffer_load_dword v97, off, s[0:3], 0 offset:272
	buffer_load_dword v98, off, s[0:3], 0 offset:276
	;; [unrolled: 1-line block ×20, first 2 shown]
	v_mov_b32_e32 v88, 0
	ds_read_b128 v[89:92], v88 offset:624
	ds_read_b128 v[93:96], v88 offset:640
	s_mov_b32 s4, exec_lo
	s_waitcnt vmcnt(18) lgkmcnt(1)
	v_fma_f64 v[89:90], v[97:98], v[89:90], 0
	s_waitcnt vmcnt(16)
	v_fma_f64 v[89:90], v[99:100], v[91:92], v[89:90]
	s_waitcnt vmcnt(14) lgkmcnt(0)
	v_fma_f64 v[89:90], v[101:102], v[93:94], v[89:90]
	s_waitcnt vmcnt(12)
	v_fma_f64 v[97:98], v[103:104], v[95:96], v[89:90]
	ds_read_b128 v[89:92], v88 offset:656
	ds_read_b128 v[93:96], v88 offset:672
	s_waitcnt vmcnt(10) lgkmcnt(1)
	v_fma_f64 v[89:90], v[105:106], v[89:90], v[97:98]
	s_waitcnt vmcnt(8)
	v_fma_f64 v[89:90], v[107:108], v[91:92], v[89:90]
	ds_read_b64 v[91:92], v88 offset:688
	s_waitcnt vmcnt(6) lgkmcnt(1)
	v_fma_f64 v[89:90], v[109:110], v[93:94], v[89:90]
	s_waitcnt vmcnt(3)
	v_fma_f64 v[89:90], v[111:112], v[95:96], v[89:90]
	s_waitcnt vmcnt(2) lgkmcnt(0)
	v_fma_f64 v[89:90], v[113:114], v[91:92], v[89:90]
	s_waitcnt vmcnt(0)
	v_add_f64 v[89:90], v[115:116], -v[89:90]
	buffer_store_dword v89, off, s[0:3], 0 offset:264
	buffer_store_dword v90, off, s[0:3], 0 offset:268
	v_cmpx_lt_u32_e32 32, v0
	s_cbranch_execz .LBB42_203
; %bb.202:
	s_clause 0x1
	buffer_load_dword v89, off, s[0:3], 0 offset:256
	buffer_load_dword v90, off, s[0:3], 0 offset:260
	buffer_store_dword v88, off, s[0:3], 0 offset:256
	buffer_store_dword v88, off, s[0:3], 0 offset:260
	s_waitcnt vmcnt(0)
	ds_write_b64 v87, v[89:90]
.LBB42_203:
	s_or_b32 exec_lo, exec_lo, s4
	s_waitcnt lgkmcnt(0)
	s_waitcnt_vscnt null, 0x0
	s_barrier
	buffer_gl0_inv
	s_clause 0x15
	buffer_load_dword v97, off, s[0:3], 0 offset:264
	buffer_load_dword v98, off, s[0:3], 0 offset:268
	;; [unrolled: 1-line block ×22, first 2 shown]
	ds_read2_b64 v[89:92], v88 offset0:77 offset1:78
	ds_read2_b64 v[93:96], v88 offset0:79 offset1:80
	s_mov_b32 s4, exec_lo
	s_waitcnt vmcnt(20) lgkmcnt(1)
	v_fma_f64 v[89:90], v[97:98], v[89:90], 0
	s_waitcnt vmcnt(18)
	v_fma_f64 v[89:90], v[99:100], v[91:92], v[89:90]
	s_waitcnt vmcnt(16) lgkmcnt(0)
	v_fma_f64 v[89:90], v[101:102], v[93:94], v[89:90]
	s_waitcnt vmcnt(14)
	v_fma_f64 v[97:98], v[103:104], v[95:96], v[89:90]
	ds_read2_b64 v[89:92], v88 offset0:81 offset1:82
	ds_read2_b64 v[93:96], v88 offset0:83 offset1:84
	s_waitcnt vmcnt(12) lgkmcnt(1)
	v_fma_f64 v[89:90], v[105:106], v[89:90], v[97:98]
	s_waitcnt vmcnt(10)
	v_fma_f64 v[89:90], v[107:108], v[91:92], v[89:90]
	s_waitcnt vmcnt(8) lgkmcnt(0)
	v_fma_f64 v[89:90], v[109:110], v[93:94], v[89:90]
	s_waitcnt vmcnt(4)
	v_fma_f64 v[92:93], v[111:112], v[95:96], v[89:90]
	ds_read2_b64 v[88:91], v88 offset0:85 offset1:86
	s_waitcnt vmcnt(3) lgkmcnt(0)
	v_fma_f64 v[88:89], v[115:116], v[88:89], v[92:93]
	s_waitcnt vmcnt(2)
	v_fma_f64 v[88:89], v[113:114], v[90:91], v[88:89]
	s_waitcnt vmcnt(0)
	v_add_f64 v[88:89], v[117:118], -v[88:89]
	buffer_store_dword v88, off, s[0:3], 0 offset:256
	buffer_store_dword v89, off, s[0:3], 0 offset:260
	v_cmpx_lt_u32_e32 31, v0
	s_cbranch_execz .LBB42_205
; %bb.204:
	s_clause 0x1
	buffer_load_dword v88, off, s[0:3], 0 offset:248
	buffer_load_dword v89, off, s[0:3], 0 offset:252
	v_mov_b32_e32 v90, 0
	buffer_store_dword v90, off, s[0:3], 0 offset:248
	buffer_store_dword v90, off, s[0:3], 0 offset:252
	s_waitcnt vmcnt(0)
	ds_write_b64 v87, v[88:89]
.LBB42_205:
	s_or_b32 exec_lo, exec_lo, s4
	s_waitcnt lgkmcnt(0)
	s_waitcnt_vscnt null, 0x0
	s_barrier
	buffer_gl0_inv
	s_clause 0x17
	buffer_load_dword v97, off, s[0:3], 0 offset:256
	buffer_load_dword v98, off, s[0:3], 0 offset:260
	;; [unrolled: 1-line block ×24, first 2 shown]
	v_mov_b32_e32 v88, 0
	ds_read_b128 v[89:92], v88 offset:608
	ds_read_b128 v[93:96], v88 offset:624
	s_mov_b32 s4, exec_lo
	s_waitcnt vmcnt(22) lgkmcnt(1)
	v_fma_f64 v[89:90], v[97:98], v[89:90], 0
	s_waitcnt vmcnt(20)
	v_fma_f64 v[89:90], v[99:100], v[91:92], v[89:90]
	s_waitcnt vmcnt(18) lgkmcnt(0)
	v_fma_f64 v[89:90], v[101:102], v[93:94], v[89:90]
	s_waitcnt vmcnt(16)
	v_fma_f64 v[97:98], v[103:104], v[95:96], v[89:90]
	ds_read_b128 v[89:92], v88 offset:640
	ds_read_b128 v[93:96], v88 offset:656
	s_waitcnt vmcnt(14) lgkmcnt(1)
	v_fma_f64 v[89:90], v[105:106], v[89:90], v[97:98]
	s_waitcnt vmcnt(12)
	v_fma_f64 v[89:90], v[107:108], v[91:92], v[89:90]
	s_waitcnt vmcnt(10) lgkmcnt(0)
	v_fma_f64 v[89:90], v[109:110], v[93:94], v[89:90]
	s_waitcnt vmcnt(5)
	v_fma_f64 v[93:94], v[111:112], v[95:96], v[89:90]
	ds_read_b128 v[89:92], v88 offset:672
	ds_read_b64 v[95:96], v88 offset:688
	s_waitcnt vmcnt(4) lgkmcnt(1)
	v_fma_f64 v[89:90], v[117:118], v[89:90], v[93:94]
	s_waitcnt vmcnt(3)
	v_fma_f64 v[89:90], v[115:116], v[91:92], v[89:90]
	s_waitcnt vmcnt(2) lgkmcnt(0)
	v_fma_f64 v[89:90], v[113:114], v[95:96], v[89:90]
	s_waitcnt vmcnt(0)
	v_add_f64 v[89:90], v[119:120], -v[89:90]
	buffer_store_dword v90, off, s[0:3], 0 offset:252
	buffer_store_dword v89, off, s[0:3], 0 offset:248
	v_cmpx_lt_u32_e32 30, v0
	s_cbranch_execz .LBB42_207
; %bb.206:
	s_clause 0x1
	buffer_load_dword v89, off, s[0:3], 0 offset:240
	buffer_load_dword v90, off, s[0:3], 0 offset:244
	buffer_store_dword v88, off, s[0:3], 0 offset:240
	buffer_store_dword v88, off, s[0:3], 0 offset:244
	s_waitcnt vmcnt(0)
	ds_write_b64 v87, v[89:90]
.LBB42_207:
	s_or_b32 exec_lo, exec_lo, s4
	s_waitcnt lgkmcnt(0)
	s_waitcnt_vscnt null, 0x0
	s_barrier
	buffer_gl0_inv
	s_clause 0x19
	buffer_load_dword v97, off, s[0:3], 0 offset:248
	buffer_load_dword v98, off, s[0:3], 0 offset:252
	;; [unrolled: 1-line block ×26, first 2 shown]
	ds_read2_b64 v[89:92], v88 offset0:75 offset1:76
	ds_read2_b64 v[93:96], v88 offset0:77 offset1:78
	s_mov_b32 s4, exec_lo
	s_waitcnt vmcnt(24) lgkmcnt(1)
	v_fma_f64 v[89:90], v[97:98], v[89:90], 0
	s_waitcnt vmcnt(22)
	v_fma_f64 v[89:90], v[99:100], v[91:92], v[89:90]
	s_waitcnt vmcnt(20) lgkmcnt(0)
	v_fma_f64 v[89:90], v[101:102], v[93:94], v[89:90]
	s_waitcnt vmcnt(18)
	v_fma_f64 v[97:98], v[103:104], v[95:96], v[89:90]
	ds_read2_b64 v[89:92], v88 offset0:79 offset1:80
	ds_read2_b64 v[93:96], v88 offset0:81 offset1:82
	s_waitcnt vmcnt(16) lgkmcnt(1)
	v_fma_f64 v[89:90], v[105:106], v[89:90], v[97:98]
	s_waitcnt vmcnt(14)
	v_fma_f64 v[89:90], v[107:108], v[91:92], v[89:90]
	s_waitcnt vmcnt(12) lgkmcnt(0)
	v_fma_f64 v[89:90], v[109:110], v[93:94], v[89:90]
	s_waitcnt vmcnt(7)
	v_fma_f64 v[97:98], v[111:112], v[95:96], v[89:90]
	ds_read2_b64 v[89:92], v88 offset0:83 offset1:84
	ds_read2_b64 v[93:96], v88 offset0:85 offset1:86
	s_waitcnt vmcnt(6) lgkmcnt(1)
	v_fma_f64 v[88:89], v[117:118], v[89:90], v[97:98]
	s_waitcnt vmcnt(5)
	v_fma_f64 v[88:89], v[115:116], v[91:92], v[88:89]
	s_waitcnt vmcnt(4) lgkmcnt(0)
	v_fma_f64 v[88:89], v[113:114], v[93:94], v[88:89]
	s_waitcnt vmcnt(2)
	v_fma_f64 v[88:89], v[119:120], v[95:96], v[88:89]
	s_waitcnt vmcnt(0)
	v_add_f64 v[88:89], v[121:122], -v[88:89]
	buffer_store_dword v89, off, s[0:3], 0 offset:244
	buffer_store_dword v88, off, s[0:3], 0 offset:240
	v_cmpx_lt_u32_e32 29, v0
	s_cbranch_execz .LBB42_209
; %bb.208:
	s_clause 0x1
	buffer_load_dword v88, off, s[0:3], 0 offset:232
	buffer_load_dword v89, off, s[0:3], 0 offset:236
	v_mov_b32_e32 v90, 0
	buffer_store_dword v90, off, s[0:3], 0 offset:232
	buffer_store_dword v90, off, s[0:3], 0 offset:236
	s_waitcnt vmcnt(0)
	ds_write_b64 v87, v[88:89]
.LBB42_209:
	s_or_b32 exec_lo, exec_lo, s4
	s_waitcnt lgkmcnt(0)
	s_waitcnt_vscnt null, 0x0
	s_barrier
	buffer_gl0_inv
	s_clause 0x1b
	buffer_load_dword v97, off, s[0:3], 0 offset:240
	buffer_load_dword v98, off, s[0:3], 0 offset:244
	buffer_load_dword v99, off, s[0:3], 0 offset:248
	buffer_load_dword v100, off, s[0:3], 0 offset:252
	buffer_load_dword v101, off, s[0:3], 0 offset:256
	buffer_load_dword v102, off, s[0:3], 0 offset:260
	buffer_load_dword v103, off, s[0:3], 0 offset:264
	buffer_load_dword v104, off, s[0:3], 0 offset:268
	buffer_load_dword v105, off, s[0:3], 0 offset:272
	buffer_load_dword v106, off, s[0:3], 0 offset:276
	buffer_load_dword v107, off, s[0:3], 0 offset:280
	buffer_load_dword v108, off, s[0:3], 0 offset:284
	buffer_load_dword v109, off, s[0:3], 0 offset:288
	buffer_load_dword v110, off, s[0:3], 0 offset:292
	buffer_load_dword v112, off, s[0:3], 0 offset:300
	buffer_load_dword v113, off, s[0:3], 0 offset:320
	buffer_load_dword v115, off, s[0:3], 0 offset:312
	buffer_load_dword v117, off, s[0:3], 0 offset:304
	buffer_load_dword v111, off, s[0:3], 0 offset:296
	buffer_load_dword v118, off, s[0:3], 0 offset:308
	buffer_load_dword v116, off, s[0:3], 0 offset:316
	buffer_load_dword v114, off, s[0:3], 0 offset:324
	buffer_load_dword v120, off, s[0:3], 0 offset:332
	buffer_load_dword v121, off, s[0:3], 0 offset:336
	buffer_load_dword v119, off, s[0:3], 0 offset:328
	buffer_load_dword v122, off, s[0:3], 0 offset:340
	buffer_load_dword v123, off, s[0:3], 0 offset:232
	buffer_load_dword v124, off, s[0:3], 0 offset:236
	v_mov_b32_e32 v88, 0
	ds_read_b128 v[89:92], v88 offset:592
	ds_read_b128 v[93:96], v88 offset:608
	s_mov_b32 s4, exec_lo
	s_waitcnt vmcnt(26) lgkmcnt(1)
	v_fma_f64 v[89:90], v[97:98], v[89:90], 0
	s_waitcnt vmcnt(24)
	v_fma_f64 v[89:90], v[99:100], v[91:92], v[89:90]
	s_waitcnt vmcnt(22) lgkmcnt(0)
	v_fma_f64 v[89:90], v[101:102], v[93:94], v[89:90]
	s_waitcnt vmcnt(20)
	v_fma_f64 v[97:98], v[103:104], v[95:96], v[89:90]
	ds_read_b128 v[89:92], v88 offset:624
	ds_read_b128 v[93:96], v88 offset:640
	s_waitcnt vmcnt(18) lgkmcnt(1)
	v_fma_f64 v[89:90], v[105:106], v[89:90], v[97:98]
	s_waitcnt vmcnt(16)
	v_fma_f64 v[89:90], v[107:108], v[91:92], v[89:90]
	s_waitcnt vmcnt(14) lgkmcnt(0)
	v_fma_f64 v[89:90], v[109:110], v[93:94], v[89:90]
	s_waitcnt vmcnt(9)
	v_fma_f64 v[97:98], v[111:112], v[95:96], v[89:90]
	ds_read_b128 v[89:92], v88 offset:656
	ds_read_b128 v[93:96], v88 offset:672
	s_waitcnt vmcnt(8) lgkmcnt(1)
	v_fma_f64 v[89:90], v[117:118], v[89:90], v[97:98]
	s_waitcnt vmcnt(7)
	v_fma_f64 v[89:90], v[115:116], v[91:92], v[89:90]
	ds_read_b64 v[91:92], v88 offset:688
	s_waitcnt vmcnt(6) lgkmcnt(1)
	v_fma_f64 v[89:90], v[113:114], v[93:94], v[89:90]
	s_waitcnt vmcnt(3)
	v_fma_f64 v[89:90], v[119:120], v[95:96], v[89:90]
	s_waitcnt vmcnt(2) lgkmcnt(0)
	v_fma_f64 v[89:90], v[121:122], v[91:92], v[89:90]
	s_waitcnt vmcnt(0)
	v_add_f64 v[89:90], v[123:124], -v[89:90]
	buffer_store_dword v90, off, s[0:3], 0 offset:236
	buffer_store_dword v89, off, s[0:3], 0 offset:232
	v_cmpx_lt_u32_e32 28, v0
	s_cbranch_execz .LBB42_211
; %bb.210:
	s_clause 0x1
	buffer_load_dword v89, off, s[0:3], 0 offset:224
	buffer_load_dword v90, off, s[0:3], 0 offset:228
	buffer_store_dword v88, off, s[0:3], 0 offset:224
	buffer_store_dword v88, off, s[0:3], 0 offset:228
	s_waitcnt vmcnt(0)
	ds_write_b64 v87, v[89:90]
.LBB42_211:
	s_or_b32 exec_lo, exec_lo, s4
	s_waitcnt lgkmcnt(0)
	s_waitcnt_vscnt null, 0x0
	s_barrier
	buffer_gl0_inv
	s_clause 0x1b
	buffer_load_dword v93, off, s[0:3], 0 offset:232
	buffer_load_dword v94, off, s[0:3], 0 offset:236
	;; [unrolled: 1-line block ×28, first 2 shown]
	ds_read2_b64 v[89:92], v88 offset0:73 offset1:74
	s_clause 0x1
	buffer_load_dword v121, off, s[0:3], 0 offset:224
	buffer_load_dword v122, off, s[0:3], 0 offset:228
	s_mov_b32 s4, exec_lo
	s_waitcnt vmcnt(28) lgkmcnt(0)
	v_fma_f64 v[89:90], v[93:94], v[89:90], 0
	s_waitcnt vmcnt(26)
	v_fma_f64 v[93:94], v[95:96], v[91:92], v[89:90]
	ds_read2_b64 v[89:92], v88 offset0:75 offset1:76
	s_waitcnt vmcnt(24) lgkmcnt(0)
	v_fma_f64 v[89:90], v[97:98], v[89:90], v[93:94]
	s_waitcnt vmcnt(22)
	v_fma_f64 v[93:94], v[99:100], v[91:92], v[89:90]
	ds_read2_b64 v[89:92], v88 offset0:77 offset1:78
	;; [unrolled: 5-line block ×6, first 2 shown]
	s_waitcnt vmcnt(4) lgkmcnt(0)
	v_fma_f64 v[88:89], v[117:118], v[88:89], v[92:93]
	s_waitcnt vmcnt(2)
	v_fma_f64 v[88:89], v[119:120], v[90:91], v[88:89]
	s_waitcnt vmcnt(0)
	v_add_f64 v[88:89], v[121:122], -v[88:89]
	buffer_store_dword v89, off, s[0:3], 0 offset:228
	buffer_store_dword v88, off, s[0:3], 0 offset:224
	v_cmpx_lt_u32_e32 27, v0
	s_cbranch_execz .LBB42_213
; %bb.212:
	s_clause 0x1
	buffer_load_dword v88, off, s[0:3], 0 offset:216
	buffer_load_dword v89, off, s[0:3], 0 offset:220
	v_mov_b32_e32 v90, 0
	buffer_store_dword v90, off, s[0:3], 0 offset:216
	buffer_store_dword v90, off, s[0:3], 0 offset:220
	s_waitcnt vmcnt(0)
	ds_write_b64 v87, v[88:89]
.LBB42_213:
	s_or_b32 exec_lo, exec_lo, s4
	s_waitcnt lgkmcnt(0)
	s_waitcnt_vscnt null, 0x0
	s_barrier
	buffer_gl0_inv
	s_clause 0x1b
	buffer_load_dword v93, off, s[0:3], 0 offset:224
	buffer_load_dword v94, off, s[0:3], 0 offset:228
	;; [unrolled: 1-line block ×28, first 2 shown]
	v_mov_b32_e32 v88, 0
	s_mov_b32 s4, exec_lo
	ds_read_b128 v[89:92], v88 offset:576
	s_clause 0x1
	buffer_load_dword v121, off, s[0:3], 0 offset:336
	buffer_load_dword v122, off, s[0:3], 0 offset:340
	s_waitcnt vmcnt(28) lgkmcnt(0)
	v_fma_f64 v[89:90], v[93:94], v[89:90], 0
	s_clause 0x1
	buffer_load_dword v93, off, s[0:3], 0 offset:216
	buffer_load_dword v94, off, s[0:3], 0 offset:220
	s_waitcnt vmcnt(28)
	v_fma_f64 v[95:96], v[95:96], v[91:92], v[89:90]
	ds_read_b128 v[89:92], v88 offset:592
	s_waitcnt vmcnt(26) lgkmcnt(0)
	v_fma_f64 v[89:90], v[97:98], v[89:90], v[95:96]
	s_waitcnt vmcnt(24)
	v_fma_f64 v[95:96], v[99:100], v[91:92], v[89:90]
	ds_read_b128 v[89:92], v88 offset:608
	s_waitcnt vmcnt(22) lgkmcnt(0)
	v_fma_f64 v[89:90], v[101:102], v[89:90], v[95:96]
	;; [unrolled: 5-line block ×6, first 2 shown]
	s_waitcnt vmcnt(4)
	v_fma_f64 v[89:90], v[119:120], v[91:92], v[89:90]
	ds_read_b64 v[91:92], v88 offset:688
	s_waitcnt vmcnt(2) lgkmcnt(0)
	v_fma_f64 v[89:90], v[121:122], v[91:92], v[89:90]
	s_waitcnt vmcnt(0)
	v_add_f64 v[89:90], v[93:94], -v[89:90]
	buffer_store_dword v90, off, s[0:3], 0 offset:220
	buffer_store_dword v89, off, s[0:3], 0 offset:216
	v_cmpx_lt_u32_e32 26, v0
	s_cbranch_execz .LBB42_215
; %bb.214:
	s_clause 0x1
	buffer_load_dword v89, off, s[0:3], 0 offset:208
	buffer_load_dword v90, off, s[0:3], 0 offset:212
	buffer_store_dword v88, off, s[0:3], 0 offset:208
	buffer_store_dword v88, off, s[0:3], 0 offset:212
	s_waitcnt vmcnt(0)
	ds_write_b64 v87, v[89:90]
.LBB42_215:
	s_or_b32 exec_lo, exec_lo, s4
	s_waitcnt lgkmcnt(0)
	s_waitcnt_vscnt null, 0x0
	s_barrier
	buffer_gl0_inv
	s_clause 0x1b
	buffer_load_dword v93, off, s[0:3], 0 offset:216
	buffer_load_dword v94, off, s[0:3], 0 offset:220
	buffer_load_dword v95, off, s[0:3], 0 offset:224
	buffer_load_dword v96, off, s[0:3], 0 offset:228
	buffer_load_dword v97, off, s[0:3], 0 offset:232
	buffer_load_dword v98, off, s[0:3], 0 offset:236
	buffer_load_dword v99, off, s[0:3], 0 offset:240
	buffer_load_dword v100, off, s[0:3], 0 offset:244
	buffer_load_dword v101, off, s[0:3], 0 offset:248
	buffer_load_dword v102, off, s[0:3], 0 offset:252
	buffer_load_dword v103, off, s[0:3], 0 offset:256
	buffer_load_dword v104, off, s[0:3], 0 offset:260
	buffer_load_dword v105, off, s[0:3], 0 offset:264
	buffer_load_dword v106, off, s[0:3], 0 offset:268
	buffer_load_dword v108, off, s[0:3], 0 offset:276
	buffer_load_dword v107, off, s[0:3], 0 offset:272
	buffer_load_dword v109, off, s[0:3], 0 offset:280
	buffer_load_dword v110, off, s[0:3], 0 offset:284
	buffer_load_dword v111, off, s[0:3], 0 offset:288
	buffer_load_dword v112, off, s[0:3], 0 offset:292
	buffer_load_dword v113, off, s[0:3], 0 offset:296
	buffer_load_dword v114, off, s[0:3], 0 offset:300
	buffer_load_dword v116, off, s[0:3], 0 offset:308
	buffer_load_dword v115, off, s[0:3], 0 offset:304
	buffer_load_dword v117, off, s[0:3], 0 offset:312
	buffer_load_dword v118, off, s[0:3], 0 offset:316
	buffer_load_dword v119, off, s[0:3], 0 offset:320
	buffer_load_dword v120, off, s[0:3], 0 offset:324
	ds_read2_b64 v[89:92], v88 offset0:71 offset1:72
	s_clause 0x1
	buffer_load_dword v121, off, s[0:3], 0 offset:328
	buffer_load_dword v122, off, s[0:3], 0 offset:332
	s_mov_b32 s4, exec_lo
	s_waitcnt vmcnt(28) lgkmcnt(0)
	v_fma_f64 v[89:90], v[93:94], v[89:90], 0
	s_clause 0x1
	buffer_load_dword v94, off, s[0:3], 0 offset:340
	buffer_load_dword v93, off, s[0:3], 0 offset:336
	s_waitcnt vmcnt(28)
	v_fma_f64 v[95:96], v[95:96], v[91:92], v[89:90]
	ds_read2_b64 v[89:92], v88 offset0:73 offset1:74
	s_clause 0x1
	buffer_load_dword v123, off, s[0:3], 0 offset:208
	buffer_load_dword v124, off, s[0:3], 0 offset:212
	s_waitcnt vmcnt(28) lgkmcnt(0)
	v_fma_f64 v[89:90], v[97:98], v[89:90], v[95:96]
	s_waitcnt vmcnt(26)
	v_fma_f64 v[95:96], v[99:100], v[91:92], v[89:90]
	ds_read2_b64 v[89:92], v88 offset0:75 offset1:76
	s_waitcnt vmcnt(24) lgkmcnt(0)
	v_fma_f64 v[89:90], v[101:102], v[89:90], v[95:96]
	s_waitcnt vmcnt(22)
	v_fma_f64 v[95:96], v[103:104], v[91:92], v[89:90]
	ds_read2_b64 v[89:92], v88 offset0:77 offset1:78
	;; [unrolled: 5-line block ×6, first 2 shown]
	s_waitcnt vmcnt(4) lgkmcnt(0)
	v_fma_f64 v[88:89], v[121:122], v[88:89], v[95:96]
	s_waitcnt vmcnt(2)
	v_fma_f64 v[88:89], v[93:94], v[90:91], v[88:89]
	s_waitcnt vmcnt(0)
	v_add_f64 v[88:89], v[123:124], -v[88:89]
	buffer_store_dword v89, off, s[0:3], 0 offset:212
	buffer_store_dword v88, off, s[0:3], 0 offset:208
	v_cmpx_lt_u32_e32 25, v0
	s_cbranch_execz .LBB42_217
; %bb.216:
	s_clause 0x1
	buffer_load_dword v88, off, s[0:3], 0 offset:200
	buffer_load_dword v89, off, s[0:3], 0 offset:204
	v_mov_b32_e32 v90, 0
	buffer_store_dword v90, off, s[0:3], 0 offset:200
	buffer_store_dword v90, off, s[0:3], 0 offset:204
	s_waitcnt vmcnt(0)
	ds_write_b64 v87, v[88:89]
.LBB42_217:
	s_or_b32 exec_lo, exec_lo, s4
	s_waitcnt lgkmcnt(0)
	s_waitcnt_vscnt null, 0x0
	s_barrier
	buffer_gl0_inv
	s_clause 0x1b
	buffer_load_dword v93, off, s[0:3], 0 offset:208
	buffer_load_dword v94, off, s[0:3], 0 offset:212
	;; [unrolled: 1-line block ×28, first 2 shown]
	v_mov_b32_e32 v88, 0
	s_mov_b32 s4, exec_lo
	ds_read_b128 v[89:92], v88 offset:560
	s_clause 0x1
	buffer_load_dword v121, off, s[0:3], 0 offset:320
	buffer_load_dword v122, off, s[0:3], 0 offset:324
	s_waitcnt vmcnt(28) lgkmcnt(0)
	v_fma_f64 v[89:90], v[93:94], v[89:90], 0
	s_clause 0x1
	buffer_load_dword v94, off, s[0:3], 0 offset:332
	buffer_load_dword v93, off, s[0:3], 0 offset:328
	s_waitcnt vmcnt(28)
	v_fma_f64 v[95:96], v[95:96], v[91:92], v[89:90]
	ds_read_b128 v[89:92], v88 offset:576
	s_clause 0x1
	buffer_load_dword v123, off, s[0:3], 0 offset:336
	buffer_load_dword v124, off, s[0:3], 0 offset:340
	s_waitcnt vmcnt(28) lgkmcnt(0)
	v_fma_f64 v[89:90], v[97:98], v[89:90], v[95:96]
	s_clause 0x1
	buffer_load_dword v95, off, s[0:3], 0 offset:200
	buffer_load_dword v96, off, s[0:3], 0 offset:204
	s_waitcnt vmcnt(28)
	v_fma_f64 v[97:98], v[99:100], v[91:92], v[89:90]
	ds_read_b128 v[89:92], v88 offset:592
	s_waitcnt vmcnt(26) lgkmcnt(0)
	v_fma_f64 v[89:90], v[101:102], v[89:90], v[97:98]
	s_waitcnt vmcnt(24)
	v_fma_f64 v[97:98], v[103:104], v[91:92], v[89:90]
	ds_read_b128 v[89:92], v88 offset:608
	s_waitcnt vmcnt(22) lgkmcnt(0)
	v_fma_f64 v[89:90], v[105:106], v[89:90], v[97:98]
	s_waitcnt vmcnt(20)
	v_fma_f64 v[97:98], v[107:108], v[91:92], v[89:90]
	ds_read_b128 v[89:92], v88 offset:624
	s_waitcnt vmcnt(18) lgkmcnt(0)
	v_fma_f64 v[89:90], v[109:110], v[89:90], v[97:98]
	s_waitcnt vmcnt(16)
	v_fma_f64 v[97:98], v[111:112], v[91:92], v[89:90]
	ds_read_b128 v[89:92], v88 offset:640
	s_waitcnt vmcnt(14) lgkmcnt(0)
	v_fma_f64 v[89:90], v[113:114], v[89:90], v[97:98]
	s_waitcnt vmcnt(12)
	v_fma_f64 v[97:98], v[115:116], v[91:92], v[89:90]
	ds_read_b128 v[89:92], v88 offset:656
	s_waitcnt vmcnt(10) lgkmcnt(0)
	v_fma_f64 v[89:90], v[117:118], v[89:90], v[97:98]
	s_waitcnt vmcnt(8)
	v_fma_f64 v[97:98], v[119:120], v[91:92], v[89:90]
	ds_read_b128 v[89:92], v88 offset:672
	s_waitcnt vmcnt(6) lgkmcnt(0)
	v_fma_f64 v[89:90], v[121:122], v[89:90], v[97:98]
	s_waitcnt vmcnt(4)
	v_fma_f64 v[89:90], v[93:94], v[91:92], v[89:90]
	ds_read_b64 v[91:92], v88 offset:688
	s_waitcnt vmcnt(2) lgkmcnt(0)
	v_fma_f64 v[89:90], v[123:124], v[91:92], v[89:90]
	s_waitcnt vmcnt(0)
	v_add_f64 v[89:90], v[95:96], -v[89:90]
	buffer_store_dword v90, off, s[0:3], 0 offset:204
	buffer_store_dword v89, off, s[0:3], 0 offset:200
	v_cmpx_lt_u32_e32 24, v0
	s_cbranch_execz .LBB42_219
; %bb.218:
	s_clause 0x1
	buffer_load_dword v89, off, s[0:3], 0 offset:192
	buffer_load_dword v90, off, s[0:3], 0 offset:196
	buffer_store_dword v88, off, s[0:3], 0 offset:192
	buffer_store_dword v88, off, s[0:3], 0 offset:196
	s_waitcnt vmcnt(0)
	ds_write_b64 v87, v[89:90]
.LBB42_219:
	s_or_b32 exec_lo, exec_lo, s4
	s_waitcnt lgkmcnt(0)
	s_waitcnt_vscnt null, 0x0
	s_barrier
	buffer_gl0_inv
	s_clause 0x1b
	buffer_load_dword v93, off, s[0:3], 0 offset:200
	buffer_load_dword v94, off, s[0:3], 0 offset:204
	;; [unrolled: 1-line block ×28, first 2 shown]
	ds_read2_b64 v[89:92], v88 offset0:69 offset1:70
	s_clause 0x1
	buffer_load_dword v121, off, s[0:3], 0 offset:312
	buffer_load_dword v122, off, s[0:3], 0 offset:316
	s_mov_b32 s4, exec_lo
	s_waitcnt vmcnt(28) lgkmcnt(0)
	v_fma_f64 v[89:90], v[93:94], v[89:90], 0
	s_clause 0x1
	buffer_load_dword v94, off, s[0:3], 0 offset:324
	buffer_load_dword v93, off, s[0:3], 0 offset:320
	s_waitcnt vmcnt(28)
	v_fma_f64 v[95:96], v[95:96], v[91:92], v[89:90]
	ds_read2_b64 v[89:92], v88 offset0:71 offset1:72
	s_clause 0x1
	buffer_load_dword v123, off, s[0:3], 0 offset:328
	buffer_load_dword v124, off, s[0:3], 0 offset:332
	s_waitcnt vmcnt(28) lgkmcnt(0)
	v_fma_f64 v[89:90], v[97:98], v[89:90], v[95:96]
	s_clause 0x1
	buffer_load_dword v95, off, s[0:3], 0 offset:336
	buffer_load_dword v96, off, s[0:3], 0 offset:340
	s_waitcnt vmcnt(28)
	v_fma_f64 v[97:98], v[99:100], v[91:92], v[89:90]
	ds_read2_b64 v[89:92], v88 offset0:73 offset1:74
	s_clause 0x1
	buffer_load_dword v99, off, s[0:3], 0 offset:192
	buffer_load_dword v100, off, s[0:3], 0 offset:196
	s_waitcnt vmcnt(28) lgkmcnt(0)
	v_fma_f64 v[89:90], v[101:102], v[89:90], v[97:98]
	s_waitcnt vmcnt(26)
	v_fma_f64 v[97:98], v[103:104], v[91:92], v[89:90]
	ds_read2_b64 v[89:92], v88 offset0:75 offset1:76
	s_waitcnt vmcnt(24) lgkmcnt(0)
	v_fma_f64 v[89:90], v[105:106], v[89:90], v[97:98]
	s_waitcnt vmcnt(22)
	v_fma_f64 v[97:98], v[107:108], v[91:92], v[89:90]
	ds_read2_b64 v[89:92], v88 offset0:77 offset1:78
	;; [unrolled: 5-line block ×6, first 2 shown]
	s_waitcnt vmcnt(4) lgkmcnt(0)
	v_fma_f64 v[88:89], v[123:124], v[88:89], v[92:93]
	s_waitcnt vmcnt(2)
	v_fma_f64 v[88:89], v[95:96], v[90:91], v[88:89]
	s_waitcnt vmcnt(0)
	v_add_f64 v[88:89], v[99:100], -v[88:89]
	buffer_store_dword v89, off, s[0:3], 0 offset:196
	buffer_store_dword v88, off, s[0:3], 0 offset:192
	v_cmpx_lt_u32_e32 23, v0
	s_cbranch_execz .LBB42_221
; %bb.220:
	s_clause 0x1
	buffer_load_dword v88, off, s[0:3], 0 offset:184
	buffer_load_dword v89, off, s[0:3], 0 offset:188
	v_mov_b32_e32 v90, 0
	buffer_store_dword v90, off, s[0:3], 0 offset:184
	buffer_store_dword v90, off, s[0:3], 0 offset:188
	s_waitcnt vmcnt(0)
	ds_write_b64 v87, v[88:89]
.LBB42_221:
	s_or_b32 exec_lo, exec_lo, s4
	s_waitcnt lgkmcnt(0)
	s_waitcnt_vscnt null, 0x0
	s_barrier
	buffer_gl0_inv
	s_clause 0x1b
	buffer_load_dword v93, off, s[0:3], 0 offset:192
	buffer_load_dword v94, off, s[0:3], 0 offset:196
	;; [unrolled: 1-line block ×28, first 2 shown]
	v_mov_b32_e32 v88, 0
	s_mov_b32 s4, exec_lo
	ds_read_b128 v[89:92], v88 offset:544
	s_clause 0x1
	buffer_load_dword v121, off, s[0:3], 0 offset:304
	buffer_load_dword v122, off, s[0:3], 0 offset:308
	s_waitcnt vmcnt(28) lgkmcnt(0)
	v_fma_f64 v[89:90], v[93:94], v[89:90], 0
	s_clause 0x1
	buffer_load_dword v94, off, s[0:3], 0 offset:316
	buffer_load_dword v93, off, s[0:3], 0 offset:312
	s_waitcnt vmcnt(28)
	v_fma_f64 v[95:96], v[95:96], v[91:92], v[89:90]
	ds_read_b128 v[89:92], v88 offset:560
	s_clause 0x1
	buffer_load_dword v123, off, s[0:3], 0 offset:320
	buffer_load_dword v124, off, s[0:3], 0 offset:324
	s_waitcnt vmcnt(28) lgkmcnt(0)
	v_fma_f64 v[89:90], v[97:98], v[89:90], v[95:96]
	s_clause 0x1
	buffer_load_dword v95, off, s[0:3], 0 offset:328
	buffer_load_dword v96, off, s[0:3], 0 offset:332
	s_waitcnt vmcnt(28)
	v_fma_f64 v[97:98], v[99:100], v[91:92], v[89:90]
	;; [unrolled: 11-line block ×3, first 2 shown]
	ds_read_b128 v[89:92], v88 offset:592
	s_waitcnt vmcnt(26) lgkmcnt(0)
	v_fma_f64 v[89:90], v[105:106], v[89:90], v[101:102]
	s_waitcnt vmcnt(24)
	v_fma_f64 v[101:102], v[107:108], v[91:92], v[89:90]
	ds_read_b128 v[89:92], v88 offset:608
	s_waitcnt vmcnt(22) lgkmcnt(0)
	v_fma_f64 v[89:90], v[109:110], v[89:90], v[101:102]
	s_waitcnt vmcnt(20)
	v_fma_f64 v[101:102], v[111:112], v[91:92], v[89:90]
	;; [unrolled: 5-line block ×6, first 2 shown]
	ds_read_b64 v[91:92], v88 offset:688
	s_waitcnt vmcnt(2) lgkmcnt(0)
	v_fma_f64 v[89:90], v[99:100], v[91:92], v[89:90]
	s_waitcnt vmcnt(0)
	v_add_f64 v[89:90], v[97:98], -v[89:90]
	buffer_store_dword v90, off, s[0:3], 0 offset:188
	buffer_store_dword v89, off, s[0:3], 0 offset:184
	v_cmpx_lt_u32_e32 22, v0
	s_cbranch_execz .LBB42_223
; %bb.222:
	s_clause 0x1
	buffer_load_dword v89, off, s[0:3], 0 offset:176
	buffer_load_dword v90, off, s[0:3], 0 offset:180
	buffer_store_dword v88, off, s[0:3], 0 offset:176
	buffer_store_dword v88, off, s[0:3], 0 offset:180
	s_waitcnt vmcnt(0)
	ds_write_b64 v87, v[89:90]
.LBB42_223:
	s_or_b32 exec_lo, exec_lo, s4
	s_waitcnt lgkmcnt(0)
	s_waitcnt_vscnt null, 0x0
	s_barrier
	buffer_gl0_inv
	s_clause 0x1b
	buffer_load_dword v93, off, s[0:3], 0 offset:184
	buffer_load_dword v94, off, s[0:3], 0 offset:188
	;; [unrolled: 1-line block ×28, first 2 shown]
	ds_read2_b64 v[89:92], v88 offset0:67 offset1:68
	s_clause 0x1
	buffer_load_dword v121, off, s[0:3], 0 offset:296
	buffer_load_dword v122, off, s[0:3], 0 offset:300
	s_mov_b32 s4, exec_lo
	s_waitcnt vmcnt(28) lgkmcnt(0)
	v_fma_f64 v[89:90], v[93:94], v[89:90], 0
	s_clause 0x1
	buffer_load_dword v94, off, s[0:3], 0 offset:308
	buffer_load_dword v93, off, s[0:3], 0 offset:304
	s_waitcnt vmcnt(28)
	v_fma_f64 v[95:96], v[95:96], v[91:92], v[89:90]
	ds_read2_b64 v[89:92], v88 offset0:69 offset1:70
	s_clause 0x1
	buffer_load_dword v123, off, s[0:3], 0 offset:312
	buffer_load_dword v124, off, s[0:3], 0 offset:316
	s_waitcnt vmcnt(28) lgkmcnt(0)
	v_fma_f64 v[89:90], v[97:98], v[89:90], v[95:96]
	s_clause 0x1
	buffer_load_dword v95, off, s[0:3], 0 offset:320
	buffer_load_dword v96, off, s[0:3], 0 offset:324
	s_waitcnt vmcnt(28)
	v_fma_f64 v[97:98], v[99:100], v[91:92], v[89:90]
	ds_read2_b64 v[89:92], v88 offset0:71 offset1:72
	s_clause 0x1
	buffer_load_dword v99, off, s[0:3], 0 offset:328
	buffer_load_dword v100, off, s[0:3], 0 offset:332
	;; [unrolled: 11-line block ×3, first 2 shown]
	s_waitcnt vmcnt(28) lgkmcnt(0)
	v_fma_f64 v[89:90], v[105:106], v[89:90], v[101:102]
	s_waitcnt vmcnt(26)
	v_fma_f64 v[101:102], v[107:108], v[91:92], v[89:90]
	ds_read2_b64 v[89:92], v88 offset0:75 offset1:76
	s_waitcnt vmcnt(24) lgkmcnt(0)
	v_fma_f64 v[89:90], v[109:110], v[89:90], v[101:102]
	s_waitcnt vmcnt(22)
	v_fma_f64 v[101:102], v[111:112], v[91:92], v[89:90]
	ds_read2_b64 v[89:92], v88 offset0:77 offset1:78
	;; [unrolled: 5-line block ×6, first 2 shown]
	s_waitcnt vmcnt(4) lgkmcnt(0)
	v_fma_f64 v[88:89], v[99:100], v[88:89], v[92:93]
	s_waitcnt vmcnt(2)
	v_fma_f64 v[88:89], v[97:98], v[90:91], v[88:89]
	s_waitcnt vmcnt(0)
	v_add_f64 v[88:89], v[103:104], -v[88:89]
	buffer_store_dword v89, off, s[0:3], 0 offset:180
	buffer_store_dword v88, off, s[0:3], 0 offset:176
	v_cmpx_lt_u32_e32 21, v0
	s_cbranch_execz .LBB42_225
; %bb.224:
	s_clause 0x1
	buffer_load_dword v88, off, s[0:3], 0 offset:168
	buffer_load_dword v89, off, s[0:3], 0 offset:172
	v_mov_b32_e32 v90, 0
	buffer_store_dword v90, off, s[0:3], 0 offset:168
	buffer_store_dword v90, off, s[0:3], 0 offset:172
	s_waitcnt vmcnt(0)
	ds_write_b64 v87, v[88:89]
.LBB42_225:
	s_or_b32 exec_lo, exec_lo, s4
	s_waitcnt lgkmcnt(0)
	s_waitcnt_vscnt null, 0x0
	s_barrier
	buffer_gl0_inv
	s_clause 0x1b
	buffer_load_dword v93, off, s[0:3], 0 offset:176
	buffer_load_dword v94, off, s[0:3], 0 offset:180
	;; [unrolled: 1-line block ×28, first 2 shown]
	v_mov_b32_e32 v88, 0
	s_mov_b32 s4, exec_lo
	ds_read_b128 v[89:92], v88 offset:528
	s_clause 0x1
	buffer_load_dword v121, off, s[0:3], 0 offset:288
	buffer_load_dword v122, off, s[0:3], 0 offset:292
	s_waitcnt vmcnt(28) lgkmcnt(0)
	v_fma_f64 v[89:90], v[93:94], v[89:90], 0
	s_clause 0x1
	buffer_load_dword v94, off, s[0:3], 0 offset:300
	buffer_load_dword v93, off, s[0:3], 0 offset:296
	s_waitcnt vmcnt(28)
	v_fma_f64 v[95:96], v[95:96], v[91:92], v[89:90]
	ds_read_b128 v[89:92], v88 offset:544
	s_clause 0x1
	buffer_load_dword v123, off, s[0:3], 0 offset:304
	buffer_load_dword v124, off, s[0:3], 0 offset:308
	s_waitcnt vmcnt(28) lgkmcnt(0)
	v_fma_f64 v[89:90], v[97:98], v[89:90], v[95:96]
	s_clause 0x1
	buffer_load_dword v95, off, s[0:3], 0 offset:312
	buffer_load_dword v96, off, s[0:3], 0 offset:316
	s_waitcnt vmcnt(28)
	v_fma_f64 v[97:98], v[99:100], v[91:92], v[89:90]
	ds_read_b128 v[89:92], v88 offset:560
	s_clause 0x1
	buffer_load_dword v99, off, s[0:3], 0 offset:320
	buffer_load_dword v100, off, s[0:3], 0 offset:324
	s_waitcnt vmcnt(28) lgkmcnt(0)
	v_fma_f64 v[89:90], v[101:102], v[89:90], v[97:98]
	s_clause 0x1
	buffer_load_dword v98, off, s[0:3], 0 offset:332
	buffer_load_dword v97, off, s[0:3], 0 offset:328
	s_waitcnt vmcnt(28)
	v_fma_f64 v[101:102], v[103:104], v[91:92], v[89:90]
	ds_read_b128 v[89:92], v88 offset:576
	s_clause 0x1
	buffer_load_dword v103, off, s[0:3], 0 offset:336
	buffer_load_dword v104, off, s[0:3], 0 offset:340
	s_waitcnt vmcnt(28) lgkmcnt(0)
	v_fma_f64 v[89:90], v[105:106], v[89:90], v[101:102]
	s_clause 0x1
	buffer_load_dword v101, off, s[0:3], 0 offset:168
	buffer_load_dword v102, off, s[0:3], 0 offset:172
	s_waitcnt vmcnt(28)
	v_fma_f64 v[105:106], v[107:108], v[91:92], v[89:90]
	ds_read_b128 v[89:92], v88 offset:592
	s_waitcnt vmcnt(26) lgkmcnt(0)
	v_fma_f64 v[89:90], v[109:110], v[89:90], v[105:106]
	s_waitcnt vmcnt(24)
	v_fma_f64 v[105:106], v[111:112], v[91:92], v[89:90]
	ds_read_b128 v[89:92], v88 offset:608
	s_waitcnt vmcnt(22) lgkmcnt(0)
	v_fma_f64 v[89:90], v[113:114], v[89:90], v[105:106]
	s_waitcnt vmcnt(20)
	v_fma_f64 v[105:106], v[115:116], v[91:92], v[89:90]
	;; [unrolled: 5-line block ×6, first 2 shown]
	ds_read_b64 v[91:92], v88 offset:688
	s_waitcnt vmcnt(2) lgkmcnt(0)
	v_fma_f64 v[89:90], v[103:104], v[91:92], v[89:90]
	s_waitcnt vmcnt(0)
	v_add_f64 v[89:90], v[101:102], -v[89:90]
	buffer_store_dword v90, off, s[0:3], 0 offset:172
	buffer_store_dword v89, off, s[0:3], 0 offset:168
	v_cmpx_lt_u32_e32 20, v0
	s_cbranch_execz .LBB42_227
; %bb.226:
	s_clause 0x1
	buffer_load_dword v89, off, s[0:3], 0 offset:160
	buffer_load_dword v90, off, s[0:3], 0 offset:164
	buffer_store_dword v88, off, s[0:3], 0 offset:160
	buffer_store_dword v88, off, s[0:3], 0 offset:164
	s_waitcnt vmcnt(0)
	ds_write_b64 v87, v[89:90]
.LBB42_227:
	s_or_b32 exec_lo, exec_lo, s4
	s_waitcnt lgkmcnt(0)
	s_waitcnt_vscnt null, 0x0
	s_barrier
	buffer_gl0_inv
	s_clause 0x1b
	buffer_load_dword v93, off, s[0:3], 0 offset:168
	buffer_load_dword v94, off, s[0:3], 0 offset:172
	;; [unrolled: 1-line block ×28, first 2 shown]
	ds_read2_b64 v[89:92], v88 offset0:65 offset1:66
	s_clause 0x1
	buffer_load_dword v121, off, s[0:3], 0 offset:280
	buffer_load_dword v122, off, s[0:3], 0 offset:284
	s_mov_b32 s4, exec_lo
	s_waitcnt vmcnt(28) lgkmcnt(0)
	v_fma_f64 v[89:90], v[93:94], v[89:90], 0
	s_clause 0x1
	buffer_load_dword v94, off, s[0:3], 0 offset:292
	buffer_load_dword v93, off, s[0:3], 0 offset:288
	s_waitcnt vmcnt(28)
	v_fma_f64 v[95:96], v[95:96], v[91:92], v[89:90]
	ds_read2_b64 v[89:92], v88 offset0:67 offset1:68
	s_clause 0x1
	buffer_load_dword v123, off, s[0:3], 0 offset:296
	buffer_load_dword v124, off, s[0:3], 0 offset:300
	s_waitcnt vmcnt(28) lgkmcnt(0)
	v_fma_f64 v[89:90], v[97:98], v[89:90], v[95:96]
	s_clause 0x1
	buffer_load_dword v95, off, s[0:3], 0 offset:304
	buffer_load_dword v96, off, s[0:3], 0 offset:308
	s_waitcnt vmcnt(28)
	v_fma_f64 v[97:98], v[99:100], v[91:92], v[89:90]
	ds_read2_b64 v[89:92], v88 offset0:69 offset1:70
	s_clause 0x1
	buffer_load_dword v99, off, s[0:3], 0 offset:312
	buffer_load_dword v100, off, s[0:3], 0 offset:316
	s_waitcnt vmcnt(28) lgkmcnt(0)
	v_fma_f64 v[89:90], v[101:102], v[89:90], v[97:98]
	s_clause 0x1
	buffer_load_dword v98, off, s[0:3], 0 offset:324
	buffer_load_dword v97, off, s[0:3], 0 offset:320
	s_waitcnt vmcnt(28)
	v_fma_f64 v[101:102], v[103:104], v[91:92], v[89:90]
	ds_read2_b64 v[89:92], v88 offset0:71 offset1:72
	s_clause 0x1
	buffer_load_dword v103, off, s[0:3], 0 offset:328
	buffer_load_dword v104, off, s[0:3], 0 offset:332
	s_waitcnt vmcnt(28) lgkmcnt(0)
	v_fma_f64 v[89:90], v[105:106], v[89:90], v[101:102]
	s_clause 0x1
	buffer_load_dword v101, off, s[0:3], 0 offset:336
	buffer_load_dword v102, off, s[0:3], 0 offset:340
	s_waitcnt vmcnt(28)
	v_fma_f64 v[105:106], v[107:108], v[91:92], v[89:90]
	ds_read2_b64 v[89:92], v88 offset0:73 offset1:74
	s_clause 0x1
	buffer_load_dword v107, off, s[0:3], 0 offset:160
	buffer_load_dword v108, off, s[0:3], 0 offset:164
	s_waitcnt vmcnt(28) lgkmcnt(0)
	v_fma_f64 v[89:90], v[109:110], v[89:90], v[105:106]
	s_waitcnt vmcnt(26)
	v_fma_f64 v[105:106], v[111:112], v[91:92], v[89:90]
	ds_read2_b64 v[89:92], v88 offset0:75 offset1:76
	s_waitcnt vmcnt(24) lgkmcnt(0)
	v_fma_f64 v[89:90], v[113:114], v[89:90], v[105:106]
	s_waitcnt vmcnt(22)
	v_fma_f64 v[105:106], v[115:116], v[91:92], v[89:90]
	ds_read2_b64 v[89:92], v88 offset0:77 offset1:78
	s_waitcnt vmcnt(20) lgkmcnt(0)
	v_fma_f64 v[89:90], v[117:118], v[89:90], v[105:106]
	s_waitcnt vmcnt(18)
	v_fma_f64 v[105:106], v[119:120], v[91:92], v[89:90]
	ds_read2_b64 v[89:92], v88 offset0:79 offset1:80
	s_waitcnt vmcnt(16) lgkmcnt(0)
	v_fma_f64 v[89:90], v[121:122], v[89:90], v[105:106]
	s_waitcnt vmcnt(14)
	v_fma_f64 v[93:94], v[93:94], v[91:92], v[89:90]
	ds_read2_b64 v[89:92], v88 offset0:81 offset1:82
	s_waitcnt vmcnt(12) lgkmcnt(0)
	v_fma_f64 v[89:90], v[123:124], v[89:90], v[93:94]
	s_waitcnt vmcnt(10)
	v_fma_f64 v[93:94], v[95:96], v[91:92], v[89:90]
	ds_read2_b64 v[89:92], v88 offset0:83 offset1:84
	s_waitcnt vmcnt(8) lgkmcnt(0)
	v_fma_f64 v[89:90], v[99:100], v[89:90], v[93:94]
	s_waitcnt vmcnt(6)
	v_fma_f64 v[92:93], v[97:98], v[91:92], v[89:90]
	ds_read2_b64 v[88:91], v88 offset0:85 offset1:86
	s_waitcnt vmcnt(4) lgkmcnt(0)
	v_fma_f64 v[88:89], v[103:104], v[88:89], v[92:93]
	s_waitcnt vmcnt(2)
	v_fma_f64 v[88:89], v[101:102], v[90:91], v[88:89]
	s_waitcnt vmcnt(0)
	v_add_f64 v[88:89], v[107:108], -v[88:89]
	buffer_store_dword v89, off, s[0:3], 0 offset:164
	buffer_store_dword v88, off, s[0:3], 0 offset:160
	v_cmpx_lt_u32_e32 19, v0
	s_cbranch_execz .LBB42_229
; %bb.228:
	s_clause 0x1
	buffer_load_dword v88, off, s[0:3], 0 offset:152
	buffer_load_dword v89, off, s[0:3], 0 offset:156
	v_mov_b32_e32 v90, 0
	buffer_store_dword v90, off, s[0:3], 0 offset:152
	buffer_store_dword v90, off, s[0:3], 0 offset:156
	s_waitcnt vmcnt(0)
	ds_write_b64 v87, v[88:89]
.LBB42_229:
	s_or_b32 exec_lo, exec_lo, s4
	s_waitcnt lgkmcnt(0)
	s_waitcnt_vscnt null, 0x0
	s_barrier
	buffer_gl0_inv
	s_clause 0x1b
	buffer_load_dword v93, off, s[0:3], 0 offset:160
	buffer_load_dword v94, off, s[0:3], 0 offset:164
	buffer_load_dword v95, off, s[0:3], 0 offset:168
	buffer_load_dword v96, off, s[0:3], 0 offset:172
	buffer_load_dword v97, off, s[0:3], 0 offset:176
	buffer_load_dword v98, off, s[0:3], 0 offset:180
	buffer_load_dword v99, off, s[0:3], 0 offset:184
	buffer_load_dword v100, off, s[0:3], 0 offset:188
	buffer_load_dword v101, off, s[0:3], 0 offset:192
	buffer_load_dword v102, off, s[0:3], 0 offset:196
	buffer_load_dword v103, off, s[0:3], 0 offset:200
	buffer_load_dword v104, off, s[0:3], 0 offset:204
	buffer_load_dword v105, off, s[0:3], 0 offset:208
	buffer_load_dword v106, off, s[0:3], 0 offset:212
	buffer_load_dword v108, off, s[0:3], 0 offset:220
	buffer_load_dword v107, off, s[0:3], 0 offset:216
	buffer_load_dword v109, off, s[0:3], 0 offset:224
	buffer_load_dword v110, off, s[0:3], 0 offset:228
	buffer_load_dword v111, off, s[0:3], 0 offset:232
	buffer_load_dword v112, off, s[0:3], 0 offset:236
	buffer_load_dword v113, off, s[0:3], 0 offset:240
	buffer_load_dword v114, off, s[0:3], 0 offset:244
	buffer_load_dword v116, off, s[0:3], 0 offset:252
	buffer_load_dword v115, off, s[0:3], 0 offset:248
	buffer_load_dword v117, off, s[0:3], 0 offset:256
	buffer_load_dword v118, off, s[0:3], 0 offset:260
	buffer_load_dword v119, off, s[0:3], 0 offset:264
	buffer_load_dword v120, off, s[0:3], 0 offset:268
	v_mov_b32_e32 v88, 0
	s_mov_b32 s4, exec_lo
	ds_read_b128 v[89:92], v88 offset:512
	s_clause 0x1
	buffer_load_dword v121, off, s[0:3], 0 offset:272
	buffer_load_dword v122, off, s[0:3], 0 offset:276
	s_waitcnt vmcnt(28) lgkmcnt(0)
	v_fma_f64 v[89:90], v[93:94], v[89:90], 0
	s_clause 0x1
	buffer_load_dword v94, off, s[0:3], 0 offset:284
	buffer_load_dword v93, off, s[0:3], 0 offset:280
	s_waitcnt vmcnt(28)
	v_fma_f64 v[95:96], v[95:96], v[91:92], v[89:90]
	ds_read_b128 v[89:92], v88 offset:528
	s_clause 0x1
	buffer_load_dword v123, off, s[0:3], 0 offset:288
	buffer_load_dword v124, off, s[0:3], 0 offset:292
	s_waitcnt vmcnt(28) lgkmcnt(0)
	v_fma_f64 v[89:90], v[97:98], v[89:90], v[95:96]
	s_clause 0x1
	buffer_load_dword v95, off, s[0:3], 0 offset:296
	buffer_load_dword v96, off, s[0:3], 0 offset:300
	s_waitcnt vmcnt(28)
	v_fma_f64 v[97:98], v[99:100], v[91:92], v[89:90]
	ds_read_b128 v[89:92], v88 offset:544
	s_clause 0x1
	buffer_load_dword v99, off, s[0:3], 0 offset:304
	buffer_load_dword v100, off, s[0:3], 0 offset:308
	s_waitcnt vmcnt(28) lgkmcnt(0)
	v_fma_f64 v[89:90], v[101:102], v[89:90], v[97:98]
	s_clause 0x1
	buffer_load_dword v98, off, s[0:3], 0 offset:316
	buffer_load_dword v97, off, s[0:3], 0 offset:312
	s_waitcnt vmcnt(28)
	v_fma_f64 v[101:102], v[103:104], v[91:92], v[89:90]
	ds_read_b128 v[89:92], v88 offset:560
	s_clause 0x1
	buffer_load_dword v103, off, s[0:3], 0 offset:320
	buffer_load_dword v104, off, s[0:3], 0 offset:324
	s_waitcnt vmcnt(28) lgkmcnt(0)
	v_fma_f64 v[89:90], v[105:106], v[89:90], v[101:102]
	s_clause 0x1
	buffer_load_dword v101, off, s[0:3], 0 offset:328
	buffer_load_dword v102, off, s[0:3], 0 offset:332
	s_waitcnt vmcnt(28)
	v_fma_f64 v[105:106], v[107:108], v[91:92], v[89:90]
	ds_read_b128 v[89:92], v88 offset:576
	s_clause 0x1
	buffer_load_dword v107, off, s[0:3], 0 offset:336
	buffer_load_dword v108, off, s[0:3], 0 offset:340
	s_waitcnt vmcnt(28) lgkmcnt(0)
	v_fma_f64 v[89:90], v[109:110], v[89:90], v[105:106]
	s_clause 0x1
	buffer_load_dword v105, off, s[0:3], 0 offset:152
	buffer_load_dword v106, off, s[0:3], 0 offset:156
	s_waitcnt vmcnt(28)
	v_fma_f64 v[109:110], v[111:112], v[91:92], v[89:90]
	ds_read_b128 v[89:92], v88 offset:592
	s_waitcnt vmcnt(26) lgkmcnt(0)
	v_fma_f64 v[89:90], v[113:114], v[89:90], v[109:110]
	s_waitcnt vmcnt(24)
	v_fma_f64 v[109:110], v[115:116], v[91:92], v[89:90]
	ds_read_b128 v[89:92], v88 offset:608
	s_waitcnt vmcnt(22) lgkmcnt(0)
	v_fma_f64 v[89:90], v[117:118], v[89:90], v[109:110]
	s_waitcnt vmcnt(20)
	v_fma_f64 v[109:110], v[119:120], v[91:92], v[89:90]
	ds_read_b128 v[89:92], v88 offset:624
	s_waitcnt vmcnt(18) lgkmcnt(0)
	v_fma_f64 v[89:90], v[121:122], v[89:90], v[109:110]
	s_waitcnt vmcnt(16)
	v_fma_f64 v[93:94], v[93:94], v[91:92], v[89:90]
	ds_read_b128 v[89:92], v88 offset:640
	s_waitcnt vmcnt(14) lgkmcnt(0)
	v_fma_f64 v[89:90], v[123:124], v[89:90], v[93:94]
	s_waitcnt vmcnt(12)
	v_fma_f64 v[93:94], v[95:96], v[91:92], v[89:90]
	ds_read_b128 v[89:92], v88 offset:656
	s_waitcnt vmcnt(10) lgkmcnt(0)
	v_fma_f64 v[89:90], v[99:100], v[89:90], v[93:94]
	s_waitcnt vmcnt(8)
	v_fma_f64 v[93:94], v[97:98], v[91:92], v[89:90]
	ds_read_b128 v[89:92], v88 offset:672
	s_waitcnt vmcnt(6) lgkmcnt(0)
	v_fma_f64 v[89:90], v[103:104], v[89:90], v[93:94]
	s_waitcnt vmcnt(4)
	v_fma_f64 v[89:90], v[101:102], v[91:92], v[89:90]
	ds_read_b64 v[91:92], v88 offset:688
	s_waitcnt vmcnt(2) lgkmcnt(0)
	v_fma_f64 v[89:90], v[107:108], v[91:92], v[89:90]
	s_waitcnt vmcnt(0)
	v_add_f64 v[89:90], v[105:106], -v[89:90]
	buffer_store_dword v90, off, s[0:3], 0 offset:156
	buffer_store_dword v89, off, s[0:3], 0 offset:152
	v_cmpx_lt_u32_e32 18, v0
	s_cbranch_execz .LBB42_231
; %bb.230:
	s_clause 0x1
	buffer_load_dword v89, off, s[0:3], 0 offset:144
	buffer_load_dword v90, off, s[0:3], 0 offset:148
	buffer_store_dword v88, off, s[0:3], 0 offset:144
	buffer_store_dword v88, off, s[0:3], 0 offset:148
	s_waitcnt vmcnt(0)
	ds_write_b64 v87, v[89:90]
.LBB42_231:
	s_or_b32 exec_lo, exec_lo, s4
	s_waitcnt lgkmcnt(0)
	s_waitcnt_vscnt null, 0x0
	s_barrier
	buffer_gl0_inv
	s_clause 0x1b
	buffer_load_dword v93, off, s[0:3], 0 offset:152
	buffer_load_dword v94, off, s[0:3], 0 offset:156
	;; [unrolled: 1-line block ×28, first 2 shown]
	ds_read2_b64 v[89:92], v88 offset0:63 offset1:64
	s_clause 0x1
	buffer_load_dword v121, off, s[0:3], 0 offset:264
	buffer_load_dword v122, off, s[0:3], 0 offset:268
	s_mov_b32 s4, exec_lo
	s_waitcnt vmcnt(28) lgkmcnt(0)
	v_fma_f64 v[89:90], v[93:94], v[89:90], 0
	s_clause 0x1
	buffer_load_dword v94, off, s[0:3], 0 offset:276
	buffer_load_dword v93, off, s[0:3], 0 offset:272
	s_waitcnt vmcnt(28)
	v_fma_f64 v[95:96], v[95:96], v[91:92], v[89:90]
	ds_read2_b64 v[89:92], v88 offset0:65 offset1:66
	s_clause 0x1
	buffer_load_dword v123, off, s[0:3], 0 offset:280
	buffer_load_dword v124, off, s[0:3], 0 offset:284
	s_waitcnt vmcnt(28) lgkmcnt(0)
	v_fma_f64 v[89:90], v[97:98], v[89:90], v[95:96]
	s_clause 0x1
	buffer_load_dword v95, off, s[0:3], 0 offset:288
	buffer_load_dword v96, off, s[0:3], 0 offset:292
	s_waitcnt vmcnt(28)
	v_fma_f64 v[97:98], v[99:100], v[91:92], v[89:90]
	ds_read2_b64 v[89:92], v88 offset0:67 offset1:68
	s_clause 0x1
	buffer_load_dword v99, off, s[0:3], 0 offset:296
	buffer_load_dword v100, off, s[0:3], 0 offset:300
	;; [unrolled: 11-line block ×5, first 2 shown]
	s_waitcnt vmcnt(28) lgkmcnt(0)
	v_fma_f64 v[89:90], v[113:114], v[89:90], v[109:110]
	s_waitcnt vmcnt(26)
	v_fma_f64 v[109:110], v[115:116], v[91:92], v[89:90]
	ds_read2_b64 v[89:92], v88 offset0:75 offset1:76
	s_waitcnt vmcnt(24) lgkmcnt(0)
	v_fma_f64 v[89:90], v[117:118], v[89:90], v[109:110]
	s_waitcnt vmcnt(22)
	v_fma_f64 v[109:110], v[119:120], v[91:92], v[89:90]
	ds_read2_b64 v[89:92], v88 offset0:77 offset1:78
	;; [unrolled: 5-line block ×6, first 2 shown]
	s_waitcnt vmcnt(4) lgkmcnt(0)
	v_fma_f64 v[88:89], v[107:108], v[88:89], v[92:93]
	s_waitcnt vmcnt(2)
	v_fma_f64 v[88:89], v[105:106], v[90:91], v[88:89]
	s_waitcnt vmcnt(0)
	v_add_f64 v[88:89], v[111:112], -v[88:89]
	buffer_store_dword v89, off, s[0:3], 0 offset:148
	buffer_store_dword v88, off, s[0:3], 0 offset:144
	v_cmpx_lt_u32_e32 17, v0
	s_cbranch_execz .LBB42_233
; %bb.232:
	s_clause 0x1
	buffer_load_dword v88, off, s[0:3], 0 offset:136
	buffer_load_dword v89, off, s[0:3], 0 offset:140
	v_mov_b32_e32 v90, 0
	buffer_store_dword v90, off, s[0:3], 0 offset:136
	buffer_store_dword v90, off, s[0:3], 0 offset:140
	s_waitcnt vmcnt(0)
	ds_write_b64 v87, v[88:89]
.LBB42_233:
	s_or_b32 exec_lo, exec_lo, s4
	s_waitcnt lgkmcnt(0)
	s_waitcnt_vscnt null, 0x0
	s_barrier
	buffer_gl0_inv
	s_clause 0x1b
	buffer_load_dword v93, off, s[0:3], 0 offset:144
	buffer_load_dword v94, off, s[0:3], 0 offset:148
	;; [unrolled: 1-line block ×28, first 2 shown]
	v_mov_b32_e32 v88, 0
	s_mov_b32 s4, exec_lo
	ds_read_b128 v[89:92], v88 offset:496
	s_clause 0x1
	buffer_load_dword v121, off, s[0:3], 0 offset:256
	buffer_load_dword v122, off, s[0:3], 0 offset:260
	s_waitcnt vmcnt(28) lgkmcnt(0)
	v_fma_f64 v[89:90], v[93:94], v[89:90], 0
	s_clause 0x1
	buffer_load_dword v94, off, s[0:3], 0 offset:268
	buffer_load_dword v93, off, s[0:3], 0 offset:264
	s_waitcnt vmcnt(28)
	v_fma_f64 v[95:96], v[95:96], v[91:92], v[89:90]
	ds_read_b128 v[89:92], v88 offset:512
	s_clause 0x1
	buffer_load_dword v123, off, s[0:3], 0 offset:272
	buffer_load_dword v124, off, s[0:3], 0 offset:276
	s_waitcnt vmcnt(28) lgkmcnt(0)
	v_fma_f64 v[89:90], v[97:98], v[89:90], v[95:96]
	s_clause 0x1
	buffer_load_dword v95, off, s[0:3], 0 offset:280
	buffer_load_dword v96, off, s[0:3], 0 offset:284
	s_waitcnt vmcnt(28)
	v_fma_f64 v[97:98], v[99:100], v[91:92], v[89:90]
	ds_read_b128 v[89:92], v88 offset:528
	s_clause 0x1
	buffer_load_dword v99, off, s[0:3], 0 offset:288
	buffer_load_dword v100, off, s[0:3], 0 offset:292
	s_waitcnt vmcnt(28) lgkmcnt(0)
	v_fma_f64 v[89:90], v[101:102], v[89:90], v[97:98]
	s_clause 0x1
	buffer_load_dword v98, off, s[0:3], 0 offset:300
	buffer_load_dword v97, off, s[0:3], 0 offset:296
	s_waitcnt vmcnt(28)
	v_fma_f64 v[101:102], v[103:104], v[91:92], v[89:90]
	ds_read_b128 v[89:92], v88 offset:544
	s_clause 0x1
	buffer_load_dword v103, off, s[0:3], 0 offset:304
	buffer_load_dword v104, off, s[0:3], 0 offset:308
	s_waitcnt vmcnt(28) lgkmcnt(0)
	v_fma_f64 v[89:90], v[105:106], v[89:90], v[101:102]
	s_clause 0x1
	buffer_load_dword v101, off, s[0:3], 0 offset:312
	buffer_load_dword v102, off, s[0:3], 0 offset:316
	s_waitcnt vmcnt(28)
	v_fma_f64 v[105:106], v[107:108], v[91:92], v[89:90]
	ds_read_b128 v[89:92], v88 offset:560
	s_clause 0x1
	buffer_load_dword v107, off, s[0:3], 0 offset:320
	buffer_load_dword v108, off, s[0:3], 0 offset:324
	s_waitcnt vmcnt(28) lgkmcnt(0)
	v_fma_f64 v[89:90], v[109:110], v[89:90], v[105:106]
	s_clause 0x1
	buffer_load_dword v106, off, s[0:3], 0 offset:332
	buffer_load_dword v105, off, s[0:3], 0 offset:328
	s_waitcnt vmcnt(28)
	v_fma_f64 v[109:110], v[111:112], v[91:92], v[89:90]
	ds_read_b128 v[89:92], v88 offset:576
	s_clause 0x1
	buffer_load_dword v111, off, s[0:3], 0 offset:336
	buffer_load_dword v112, off, s[0:3], 0 offset:340
	s_waitcnt vmcnt(28) lgkmcnt(0)
	v_fma_f64 v[89:90], v[113:114], v[89:90], v[109:110]
	s_clause 0x1
	buffer_load_dword v109, off, s[0:3], 0 offset:136
	buffer_load_dword v110, off, s[0:3], 0 offset:140
	s_waitcnt vmcnt(28)
	v_fma_f64 v[113:114], v[115:116], v[91:92], v[89:90]
	ds_read_b128 v[89:92], v88 offset:592
	s_waitcnt vmcnt(26) lgkmcnt(0)
	v_fma_f64 v[89:90], v[117:118], v[89:90], v[113:114]
	s_waitcnt vmcnt(24)
	v_fma_f64 v[113:114], v[119:120], v[91:92], v[89:90]
	ds_read_b128 v[89:92], v88 offset:608
	s_waitcnt vmcnt(22) lgkmcnt(0)
	v_fma_f64 v[89:90], v[121:122], v[89:90], v[113:114]
	s_waitcnt vmcnt(20)
	v_fma_f64 v[93:94], v[93:94], v[91:92], v[89:90]
	;; [unrolled: 5-line block ×6, first 2 shown]
	ds_read_b64 v[91:92], v88 offset:688
	s_waitcnt vmcnt(2) lgkmcnt(0)
	v_fma_f64 v[89:90], v[111:112], v[91:92], v[89:90]
	s_waitcnt vmcnt(0)
	v_add_f64 v[89:90], v[109:110], -v[89:90]
	buffer_store_dword v90, off, s[0:3], 0 offset:140
	buffer_store_dword v89, off, s[0:3], 0 offset:136
	v_cmpx_lt_u32_e32 16, v0
	s_cbranch_execz .LBB42_235
; %bb.234:
	s_clause 0x1
	buffer_load_dword v89, off, s[0:3], 0 offset:128
	buffer_load_dword v90, off, s[0:3], 0 offset:132
	buffer_store_dword v88, off, s[0:3], 0 offset:128
	buffer_store_dword v88, off, s[0:3], 0 offset:132
	s_waitcnt vmcnt(0)
	ds_write_b64 v87, v[89:90]
.LBB42_235:
	s_or_b32 exec_lo, exec_lo, s4
	s_waitcnt lgkmcnt(0)
	s_waitcnt_vscnt null, 0x0
	s_barrier
	buffer_gl0_inv
	s_clause 0x1b
	buffer_load_dword v93, off, s[0:3], 0 offset:136
	buffer_load_dword v94, off, s[0:3], 0 offset:140
	;; [unrolled: 1-line block ×28, first 2 shown]
	ds_read2_b64 v[89:92], v88 offset0:61 offset1:62
	s_clause 0x1
	buffer_load_dword v121, off, s[0:3], 0 offset:248
	buffer_load_dword v122, off, s[0:3], 0 offset:252
	s_mov_b32 s4, exec_lo
	s_waitcnt vmcnt(28) lgkmcnt(0)
	v_fma_f64 v[89:90], v[93:94], v[89:90], 0
	s_clause 0x1
	buffer_load_dword v94, off, s[0:3], 0 offset:260
	buffer_load_dword v93, off, s[0:3], 0 offset:256
	s_waitcnt vmcnt(28)
	v_fma_f64 v[95:96], v[95:96], v[91:92], v[89:90]
	ds_read2_b64 v[89:92], v88 offset0:63 offset1:64
	s_clause 0x1
	buffer_load_dword v123, off, s[0:3], 0 offset:264
	buffer_load_dword v124, off, s[0:3], 0 offset:268
	s_waitcnt vmcnt(28) lgkmcnt(0)
	v_fma_f64 v[89:90], v[97:98], v[89:90], v[95:96]
	s_clause 0x1
	buffer_load_dword v95, off, s[0:3], 0 offset:272
	buffer_load_dword v96, off, s[0:3], 0 offset:276
	s_waitcnt vmcnt(28)
	v_fma_f64 v[97:98], v[99:100], v[91:92], v[89:90]
	ds_read2_b64 v[89:92], v88 offset0:65 offset1:66
	s_clause 0x1
	buffer_load_dword v99, off, s[0:3], 0 offset:280
	buffer_load_dword v100, off, s[0:3], 0 offset:284
	;; [unrolled: 11-line block ×6, first 2 shown]
	s_waitcnt vmcnt(28) lgkmcnt(0)
	v_fma_f64 v[89:90], v[117:118], v[89:90], v[113:114]
	s_waitcnt vmcnt(26)
	v_fma_f64 v[113:114], v[119:120], v[91:92], v[89:90]
	ds_read2_b64 v[89:92], v88 offset0:75 offset1:76
	s_waitcnt vmcnt(24) lgkmcnt(0)
	v_fma_f64 v[89:90], v[121:122], v[89:90], v[113:114]
	s_waitcnt vmcnt(22)
	v_fma_f64 v[93:94], v[93:94], v[91:92], v[89:90]
	ds_read2_b64 v[89:92], v88 offset0:77 offset1:78
	s_waitcnt vmcnt(20) lgkmcnt(0)
	v_fma_f64 v[89:90], v[123:124], v[89:90], v[93:94]
	s_waitcnt vmcnt(18)
	v_fma_f64 v[93:94], v[95:96], v[91:92], v[89:90]
	ds_read2_b64 v[89:92], v88 offset0:79 offset1:80
	s_waitcnt vmcnt(16) lgkmcnt(0)
	v_fma_f64 v[89:90], v[99:100], v[89:90], v[93:94]
	s_waitcnt vmcnt(14)
	v_fma_f64 v[93:94], v[97:98], v[91:92], v[89:90]
	ds_read2_b64 v[89:92], v88 offset0:81 offset1:82
	s_waitcnt vmcnt(12) lgkmcnt(0)
	v_fma_f64 v[89:90], v[103:104], v[89:90], v[93:94]
	s_waitcnt vmcnt(10)
	v_fma_f64 v[93:94], v[101:102], v[91:92], v[89:90]
	ds_read2_b64 v[89:92], v88 offset0:83 offset1:84
	s_waitcnt vmcnt(8) lgkmcnt(0)
	v_fma_f64 v[89:90], v[107:108], v[89:90], v[93:94]
	s_waitcnt vmcnt(6)
	v_fma_f64 v[92:93], v[105:106], v[91:92], v[89:90]
	ds_read2_b64 v[88:91], v88 offset0:85 offset1:86
	s_waitcnt vmcnt(4) lgkmcnt(0)
	v_fma_f64 v[88:89], v[111:112], v[88:89], v[92:93]
	s_waitcnt vmcnt(2)
	v_fma_f64 v[88:89], v[109:110], v[90:91], v[88:89]
	s_waitcnt vmcnt(0)
	v_add_f64 v[88:89], v[115:116], -v[88:89]
	buffer_store_dword v89, off, s[0:3], 0 offset:132
	buffer_store_dword v88, off, s[0:3], 0 offset:128
	v_cmpx_lt_u32_e32 15, v0
	s_cbranch_execz .LBB42_237
; %bb.236:
	s_clause 0x1
	buffer_load_dword v88, off, s[0:3], 0 offset:120
	buffer_load_dword v89, off, s[0:3], 0 offset:124
	v_mov_b32_e32 v90, 0
	buffer_store_dword v90, off, s[0:3], 0 offset:120
	buffer_store_dword v90, off, s[0:3], 0 offset:124
	s_waitcnt vmcnt(0)
	ds_write_b64 v87, v[88:89]
.LBB42_237:
	s_or_b32 exec_lo, exec_lo, s4
	s_waitcnt lgkmcnt(0)
	s_waitcnt_vscnt null, 0x0
	s_barrier
	buffer_gl0_inv
	s_clause 0x1b
	buffer_load_dword v93, off, s[0:3], 0 offset:128
	buffer_load_dword v94, off, s[0:3], 0 offset:132
	;; [unrolled: 1-line block ×28, first 2 shown]
	v_mov_b32_e32 v88, 0
	s_mov_b32 s4, exec_lo
	ds_read_b128 v[89:92], v88 offset:480
	s_clause 0x1
	buffer_load_dword v121, off, s[0:3], 0 offset:240
	buffer_load_dword v122, off, s[0:3], 0 offset:244
	s_waitcnt vmcnt(28) lgkmcnt(0)
	v_fma_f64 v[89:90], v[93:94], v[89:90], 0
	s_clause 0x1
	buffer_load_dword v94, off, s[0:3], 0 offset:252
	buffer_load_dword v93, off, s[0:3], 0 offset:248
	s_waitcnt vmcnt(28)
	v_fma_f64 v[95:96], v[95:96], v[91:92], v[89:90]
	ds_read_b128 v[89:92], v88 offset:496
	s_clause 0x1
	buffer_load_dword v123, off, s[0:3], 0 offset:256
	buffer_load_dword v124, off, s[0:3], 0 offset:260
	s_waitcnt vmcnt(28) lgkmcnt(0)
	v_fma_f64 v[89:90], v[97:98], v[89:90], v[95:96]
	s_clause 0x1
	buffer_load_dword v95, off, s[0:3], 0 offset:264
	buffer_load_dword v96, off, s[0:3], 0 offset:268
	s_waitcnt vmcnt(28)
	v_fma_f64 v[97:98], v[99:100], v[91:92], v[89:90]
	;; [unrolled: 11-line block ×7, first 2 shown]
	ds_read_b128 v[89:92], v88 offset:592
	s_waitcnt vmcnt(26) lgkmcnt(0)
	v_fma_f64 v[89:90], v[121:122], v[89:90], v[117:118]
	s_waitcnt vmcnt(24)
	v_fma_f64 v[93:94], v[93:94], v[91:92], v[89:90]
	ds_read_b128 v[89:92], v88 offset:608
	s_waitcnt vmcnt(22) lgkmcnt(0)
	v_fma_f64 v[89:90], v[123:124], v[89:90], v[93:94]
	s_waitcnt vmcnt(20)
	v_fma_f64 v[93:94], v[95:96], v[91:92], v[89:90]
	;; [unrolled: 5-line block ×6, first 2 shown]
	ds_read_b64 v[91:92], v88 offset:688
	s_waitcnt vmcnt(2) lgkmcnt(0)
	v_fma_f64 v[89:90], v[115:116], v[91:92], v[89:90]
	s_waitcnt vmcnt(0)
	v_add_f64 v[89:90], v[113:114], -v[89:90]
	buffer_store_dword v90, off, s[0:3], 0 offset:124
	buffer_store_dword v89, off, s[0:3], 0 offset:120
	v_cmpx_lt_u32_e32 14, v0
	s_cbranch_execz .LBB42_239
; %bb.238:
	s_clause 0x1
	buffer_load_dword v89, off, s[0:3], 0 offset:112
	buffer_load_dword v90, off, s[0:3], 0 offset:116
	buffer_store_dword v88, off, s[0:3], 0 offset:112
	buffer_store_dword v88, off, s[0:3], 0 offset:116
	s_waitcnt vmcnt(0)
	ds_write_b64 v87, v[89:90]
.LBB42_239:
	s_or_b32 exec_lo, exec_lo, s4
	s_waitcnt lgkmcnt(0)
	s_waitcnt_vscnt null, 0x0
	s_barrier
	buffer_gl0_inv
	s_clause 0x1b
	buffer_load_dword v93, off, s[0:3], 0 offset:120
	buffer_load_dword v94, off, s[0:3], 0 offset:124
	buffer_load_dword v95, off, s[0:3], 0 offset:128
	buffer_load_dword v96, off, s[0:3], 0 offset:132
	buffer_load_dword v97, off, s[0:3], 0 offset:136
	buffer_load_dword v98, off, s[0:3], 0 offset:140
	buffer_load_dword v99, off, s[0:3], 0 offset:144
	buffer_load_dword v100, off, s[0:3], 0 offset:148
	buffer_load_dword v101, off, s[0:3], 0 offset:152
	buffer_load_dword v102, off, s[0:3], 0 offset:156
	buffer_load_dword v103, off, s[0:3], 0 offset:160
	buffer_load_dword v104, off, s[0:3], 0 offset:164
	buffer_load_dword v105, off, s[0:3], 0 offset:168
	buffer_load_dword v106, off, s[0:3], 0 offset:172
	buffer_load_dword v108, off, s[0:3], 0 offset:180
	buffer_load_dword v107, off, s[0:3], 0 offset:176
	buffer_load_dword v109, off, s[0:3], 0 offset:184
	buffer_load_dword v110, off, s[0:3], 0 offset:188
	buffer_load_dword v111, off, s[0:3], 0 offset:192
	buffer_load_dword v112, off, s[0:3], 0 offset:196
	buffer_load_dword v113, off, s[0:3], 0 offset:200
	buffer_load_dword v114, off, s[0:3], 0 offset:204
	buffer_load_dword v116, off, s[0:3], 0 offset:212
	buffer_load_dword v115, off, s[0:3], 0 offset:208
	buffer_load_dword v117, off, s[0:3], 0 offset:216
	buffer_load_dword v118, off, s[0:3], 0 offset:220
	buffer_load_dword v119, off, s[0:3], 0 offset:224
	buffer_load_dword v120, off, s[0:3], 0 offset:228
	ds_read2_b64 v[89:92], v88 offset0:59 offset1:60
	s_clause 0x1
	buffer_load_dword v121, off, s[0:3], 0 offset:232
	buffer_load_dword v122, off, s[0:3], 0 offset:236
	s_mov_b32 s4, exec_lo
	s_waitcnt vmcnt(28) lgkmcnt(0)
	v_fma_f64 v[89:90], v[93:94], v[89:90], 0
	s_clause 0x1
	buffer_load_dword v94, off, s[0:3], 0 offset:244
	buffer_load_dword v93, off, s[0:3], 0 offset:240
	s_waitcnt vmcnt(28)
	v_fma_f64 v[95:96], v[95:96], v[91:92], v[89:90]
	ds_read2_b64 v[89:92], v88 offset0:61 offset1:62
	s_clause 0x1
	buffer_load_dword v123, off, s[0:3], 0 offset:248
	buffer_load_dword v124, off, s[0:3], 0 offset:252
	s_waitcnt vmcnt(28) lgkmcnt(0)
	v_fma_f64 v[89:90], v[97:98], v[89:90], v[95:96]
	s_clause 0x1
	buffer_load_dword v95, off, s[0:3], 0 offset:256
	buffer_load_dword v96, off, s[0:3], 0 offset:260
	s_waitcnt vmcnt(28)
	v_fma_f64 v[97:98], v[99:100], v[91:92], v[89:90]
	ds_read2_b64 v[89:92], v88 offset0:63 offset1:64
	s_clause 0x1
	buffer_load_dword v99, off, s[0:3], 0 offset:264
	buffer_load_dword v100, off, s[0:3], 0 offset:268
	;; [unrolled: 11-line block ×7, first 2 shown]
	s_waitcnt vmcnt(28) lgkmcnt(0)
	v_fma_f64 v[89:90], v[121:122], v[89:90], v[117:118]
	s_waitcnt vmcnt(26)
	v_fma_f64 v[93:94], v[93:94], v[91:92], v[89:90]
	ds_read2_b64 v[89:92], v88 offset0:75 offset1:76
	s_waitcnt vmcnt(24) lgkmcnt(0)
	v_fma_f64 v[89:90], v[123:124], v[89:90], v[93:94]
	s_waitcnt vmcnt(22)
	v_fma_f64 v[93:94], v[95:96], v[91:92], v[89:90]
	ds_read2_b64 v[89:92], v88 offset0:77 offset1:78
	;; [unrolled: 5-line block ×6, first 2 shown]
	s_waitcnt vmcnt(4) lgkmcnt(0)
	v_fma_f64 v[88:89], v[115:116], v[88:89], v[92:93]
	s_waitcnt vmcnt(2)
	v_fma_f64 v[88:89], v[113:114], v[90:91], v[88:89]
	s_waitcnt vmcnt(0)
	v_add_f64 v[88:89], v[119:120], -v[88:89]
	buffer_store_dword v89, off, s[0:3], 0 offset:116
	buffer_store_dword v88, off, s[0:3], 0 offset:112
	v_cmpx_lt_u32_e32 13, v0
	s_cbranch_execz .LBB42_241
; %bb.240:
	s_clause 0x1
	buffer_load_dword v88, off, s[0:3], 0 offset:104
	buffer_load_dword v89, off, s[0:3], 0 offset:108
	v_mov_b32_e32 v90, 0
	buffer_store_dword v90, off, s[0:3], 0 offset:104
	buffer_store_dword v90, off, s[0:3], 0 offset:108
	s_waitcnt vmcnt(0)
	ds_write_b64 v87, v[88:89]
.LBB42_241:
	s_or_b32 exec_lo, exec_lo, s4
	s_waitcnt lgkmcnt(0)
	s_waitcnt_vscnt null, 0x0
	s_barrier
	buffer_gl0_inv
	s_clause 0x1b
	buffer_load_dword v93, off, s[0:3], 0 offset:112
	buffer_load_dword v94, off, s[0:3], 0 offset:116
	;; [unrolled: 1-line block ×28, first 2 shown]
	v_mov_b32_e32 v88, 0
	s_mov_b32 s4, exec_lo
	ds_read_b128 v[89:92], v88 offset:464
	s_clause 0x1
	buffer_load_dword v121, off, s[0:3], 0 offset:224
	buffer_load_dword v122, off, s[0:3], 0 offset:228
	s_waitcnt vmcnt(28) lgkmcnt(0)
	v_fma_f64 v[89:90], v[93:94], v[89:90], 0
	s_clause 0x1
	buffer_load_dword v94, off, s[0:3], 0 offset:236
	buffer_load_dword v93, off, s[0:3], 0 offset:232
	s_waitcnt vmcnt(28)
	v_fma_f64 v[95:96], v[95:96], v[91:92], v[89:90]
	ds_read_b128 v[89:92], v88 offset:480
	s_clause 0x1
	buffer_load_dword v123, off, s[0:3], 0 offset:240
	buffer_load_dword v124, off, s[0:3], 0 offset:244
	s_waitcnt vmcnt(28) lgkmcnt(0)
	v_fma_f64 v[89:90], v[97:98], v[89:90], v[95:96]
	s_clause 0x1
	buffer_load_dword v95, off, s[0:3], 0 offset:248
	buffer_load_dword v96, off, s[0:3], 0 offset:252
	s_waitcnt vmcnt(28)
	v_fma_f64 v[97:98], v[99:100], v[91:92], v[89:90]
	;; [unrolled: 11-line block ×8, first 2 shown]
	ds_read_b128 v[89:92], v88 offset:592
	s_waitcnt vmcnt(26) lgkmcnt(0)
	v_fma_f64 v[89:90], v[123:124], v[89:90], v[93:94]
	s_waitcnt vmcnt(24)
	v_fma_f64 v[93:94], v[95:96], v[91:92], v[89:90]
	ds_read_b128 v[89:92], v88 offset:608
	s_waitcnt vmcnt(22) lgkmcnt(0)
	v_fma_f64 v[89:90], v[99:100], v[89:90], v[93:94]
	s_waitcnt vmcnt(20)
	v_fma_f64 v[93:94], v[97:98], v[91:92], v[89:90]
	;; [unrolled: 5-line block ×6, first 2 shown]
	ds_read_b64 v[91:92], v88 offset:688
	s_waitcnt vmcnt(2) lgkmcnt(0)
	v_fma_f64 v[89:90], v[119:120], v[91:92], v[89:90]
	s_waitcnt vmcnt(0)
	v_add_f64 v[89:90], v[117:118], -v[89:90]
	buffer_store_dword v90, off, s[0:3], 0 offset:108
	buffer_store_dword v89, off, s[0:3], 0 offset:104
	v_cmpx_lt_u32_e32 12, v0
	s_cbranch_execz .LBB42_243
; %bb.242:
	s_clause 0x1
	buffer_load_dword v89, off, s[0:3], 0 offset:96
	buffer_load_dword v90, off, s[0:3], 0 offset:100
	buffer_store_dword v88, off, s[0:3], 0 offset:96
	buffer_store_dword v88, off, s[0:3], 0 offset:100
	s_waitcnt vmcnt(0)
	ds_write_b64 v87, v[89:90]
.LBB42_243:
	s_or_b32 exec_lo, exec_lo, s4
	s_waitcnt lgkmcnt(0)
	s_waitcnt_vscnt null, 0x0
	s_barrier
	buffer_gl0_inv
	s_clause 0x1b
	buffer_load_dword v93, off, s[0:3], 0 offset:104
	buffer_load_dword v94, off, s[0:3], 0 offset:108
	;; [unrolled: 1-line block ×28, first 2 shown]
	ds_read2_b64 v[89:92], v88 offset0:57 offset1:58
	s_clause 0x1
	buffer_load_dword v121, off, s[0:3], 0 offset:216
	buffer_load_dword v122, off, s[0:3], 0 offset:220
	s_mov_b32 s4, exec_lo
	s_waitcnt vmcnt(28) lgkmcnt(0)
	v_fma_f64 v[89:90], v[93:94], v[89:90], 0
	s_clause 0x1
	buffer_load_dword v94, off, s[0:3], 0 offset:228
	buffer_load_dword v93, off, s[0:3], 0 offset:224
	s_waitcnt vmcnt(28)
	v_fma_f64 v[95:96], v[95:96], v[91:92], v[89:90]
	ds_read2_b64 v[89:92], v88 offset0:59 offset1:60
	s_clause 0x1
	buffer_load_dword v123, off, s[0:3], 0 offset:232
	buffer_load_dword v124, off, s[0:3], 0 offset:236
	s_waitcnt vmcnt(28) lgkmcnt(0)
	v_fma_f64 v[89:90], v[97:98], v[89:90], v[95:96]
	s_clause 0x1
	buffer_load_dword v95, off, s[0:3], 0 offset:240
	buffer_load_dword v96, off, s[0:3], 0 offset:244
	s_waitcnt vmcnt(28)
	v_fma_f64 v[97:98], v[99:100], v[91:92], v[89:90]
	ds_read2_b64 v[89:92], v88 offset0:61 offset1:62
	s_clause 0x1
	buffer_load_dword v99, off, s[0:3], 0 offset:248
	buffer_load_dword v100, off, s[0:3], 0 offset:252
	;; [unrolled: 11-line block ×8, first 2 shown]
	s_waitcnt vmcnt(28) lgkmcnt(0)
	v_fma_f64 v[89:90], v[123:124], v[89:90], v[93:94]
	s_waitcnt vmcnt(26)
	v_fma_f64 v[93:94], v[95:96], v[91:92], v[89:90]
	ds_read2_b64 v[89:92], v88 offset0:75 offset1:76
	s_waitcnt vmcnt(24) lgkmcnt(0)
	v_fma_f64 v[89:90], v[99:100], v[89:90], v[93:94]
	s_waitcnt vmcnt(22)
	v_fma_f64 v[93:94], v[97:98], v[91:92], v[89:90]
	ds_read2_b64 v[89:92], v88 offset0:77 offset1:78
	;; [unrolled: 5-line block ×6, first 2 shown]
	s_waitcnt vmcnt(4) lgkmcnt(0)
	v_fma_f64 v[88:89], v[119:120], v[88:89], v[92:93]
	s_waitcnt vmcnt(2)
	v_fma_f64 v[88:89], v[117:118], v[90:91], v[88:89]
	s_waitcnt vmcnt(0)
	v_add_f64 v[88:89], v[121:122], -v[88:89]
	buffer_store_dword v89, off, s[0:3], 0 offset:100
	buffer_store_dword v88, off, s[0:3], 0 offset:96
	v_cmpx_lt_u32_e32 11, v0
	s_cbranch_execz .LBB42_245
; %bb.244:
	s_clause 0x1
	buffer_load_dword v88, off, s[0:3], 0 offset:88
	buffer_load_dword v89, off, s[0:3], 0 offset:92
	v_mov_b32_e32 v90, 0
	buffer_store_dword v90, off, s[0:3], 0 offset:88
	buffer_store_dword v90, off, s[0:3], 0 offset:92
	s_waitcnt vmcnt(0)
	ds_write_b64 v87, v[88:89]
.LBB42_245:
	s_or_b32 exec_lo, exec_lo, s4
	s_waitcnt lgkmcnt(0)
	s_waitcnt_vscnt null, 0x0
	s_barrier
	buffer_gl0_inv
	s_clause 0x1b
	buffer_load_dword v93, off, s[0:3], 0 offset:96
	buffer_load_dword v94, off, s[0:3], 0 offset:100
	;; [unrolled: 1-line block ×28, first 2 shown]
	v_mov_b32_e32 v88, 0
	s_mov_b32 s4, exec_lo
	ds_read_b128 v[89:92], v88 offset:448
	s_clause 0x1
	buffer_load_dword v121, off, s[0:3], 0 offset:208
	buffer_load_dword v122, off, s[0:3], 0 offset:212
	s_waitcnt vmcnt(28) lgkmcnt(0)
	v_fma_f64 v[89:90], v[93:94], v[89:90], 0
	s_clause 0x1
	buffer_load_dword v94, off, s[0:3], 0 offset:220
	buffer_load_dword v93, off, s[0:3], 0 offset:216
	s_waitcnt vmcnt(28)
	v_fma_f64 v[95:96], v[95:96], v[91:92], v[89:90]
	ds_read_b128 v[89:92], v88 offset:464
	s_clause 0x1
	buffer_load_dword v123, off, s[0:3], 0 offset:224
	buffer_load_dword v124, off, s[0:3], 0 offset:228
	s_waitcnt vmcnt(28) lgkmcnt(0)
	v_fma_f64 v[89:90], v[97:98], v[89:90], v[95:96]
	s_clause 0x1
	buffer_load_dword v95, off, s[0:3], 0 offset:232
	buffer_load_dword v96, off, s[0:3], 0 offset:236
	s_waitcnt vmcnt(28)
	v_fma_f64 v[97:98], v[99:100], v[91:92], v[89:90]
	;; [unrolled: 11-line block ×9, first 2 shown]
	ds_read_b128 v[89:92], v88 offset:592
	s_waitcnt vmcnt(26) lgkmcnt(0)
	v_fma_f64 v[89:90], v[99:100], v[89:90], v[95:96]
	s_waitcnt vmcnt(24)
	v_fma_f64 v[95:96], v[97:98], v[91:92], v[89:90]
	ds_read_b128 v[89:92], v88 offset:608
	s_waitcnt vmcnt(22) lgkmcnt(0)
	v_fma_f64 v[89:90], v[103:104], v[89:90], v[95:96]
	s_waitcnt vmcnt(20)
	v_fma_f64 v[95:96], v[101:102], v[91:92], v[89:90]
	;; [unrolled: 5-line block ×6, first 2 shown]
	ds_read_b64 v[91:92], v88 offset:688
	s_waitcnt vmcnt(2) lgkmcnt(0)
	v_fma_f64 v[89:90], v[121:122], v[91:92], v[89:90]
	s_waitcnt vmcnt(0)
	v_add_f64 v[89:90], v[93:94], -v[89:90]
	buffer_store_dword v90, off, s[0:3], 0 offset:92
	buffer_store_dword v89, off, s[0:3], 0 offset:88
	v_cmpx_lt_u32_e32 10, v0
	s_cbranch_execz .LBB42_247
; %bb.246:
	s_clause 0x1
	buffer_load_dword v89, off, s[0:3], 0 offset:80
	buffer_load_dword v90, off, s[0:3], 0 offset:84
	buffer_store_dword v88, off, s[0:3], 0 offset:80
	buffer_store_dword v88, off, s[0:3], 0 offset:84
	s_waitcnt vmcnt(0)
	ds_write_b64 v87, v[89:90]
.LBB42_247:
	s_or_b32 exec_lo, exec_lo, s4
	s_waitcnt lgkmcnt(0)
	s_waitcnt_vscnt null, 0x0
	s_barrier
	buffer_gl0_inv
	s_clause 0x1b
	buffer_load_dword v93, off, s[0:3], 0 offset:88
	buffer_load_dword v94, off, s[0:3], 0 offset:92
	;; [unrolled: 1-line block ×28, first 2 shown]
	ds_read2_b64 v[89:92], v88 offset0:55 offset1:56
	s_clause 0x1
	buffer_load_dword v121, off, s[0:3], 0 offset:200
	buffer_load_dword v122, off, s[0:3], 0 offset:204
	s_mov_b32 s4, exec_lo
	s_waitcnt vmcnt(28) lgkmcnt(0)
	v_fma_f64 v[89:90], v[93:94], v[89:90], 0
	s_clause 0x1
	buffer_load_dword v94, off, s[0:3], 0 offset:212
	buffer_load_dword v93, off, s[0:3], 0 offset:208
	s_waitcnt vmcnt(28)
	v_fma_f64 v[95:96], v[95:96], v[91:92], v[89:90]
	ds_read2_b64 v[89:92], v88 offset0:57 offset1:58
	s_clause 0x1
	buffer_load_dword v123, off, s[0:3], 0 offset:216
	buffer_load_dword v124, off, s[0:3], 0 offset:220
	s_waitcnt vmcnt(28) lgkmcnt(0)
	v_fma_f64 v[89:90], v[97:98], v[89:90], v[95:96]
	s_clause 0x1
	buffer_load_dword v95, off, s[0:3], 0 offset:224
	buffer_load_dword v96, off, s[0:3], 0 offset:228
	s_waitcnt vmcnt(28)
	v_fma_f64 v[97:98], v[99:100], v[91:92], v[89:90]
	ds_read2_b64 v[89:92], v88 offset0:59 offset1:60
	s_clause 0x1
	buffer_load_dword v99, off, s[0:3], 0 offset:232
	buffer_load_dword v100, off, s[0:3], 0 offset:236
	;; [unrolled: 11-line block ×9, first 2 shown]
	s_waitcnt vmcnt(28) lgkmcnt(0)
	v_fma_f64 v[89:90], v[99:100], v[89:90], v[95:96]
	s_waitcnt vmcnt(26)
	v_fma_f64 v[95:96], v[97:98], v[91:92], v[89:90]
	ds_read2_b64 v[89:92], v88 offset0:75 offset1:76
	s_waitcnt vmcnt(24) lgkmcnt(0)
	v_fma_f64 v[89:90], v[103:104], v[89:90], v[95:96]
	s_waitcnt vmcnt(22)
	v_fma_f64 v[95:96], v[101:102], v[91:92], v[89:90]
	ds_read2_b64 v[89:92], v88 offset0:77 offset1:78
	;; [unrolled: 5-line block ×6, first 2 shown]
	s_waitcnt vmcnt(4) lgkmcnt(0)
	v_fma_f64 v[88:89], v[121:122], v[88:89], v[95:96]
	s_waitcnt vmcnt(2)
	v_fma_f64 v[88:89], v[93:94], v[90:91], v[88:89]
	s_waitcnt vmcnt(0)
	v_add_f64 v[88:89], v[123:124], -v[88:89]
	buffer_store_dword v89, off, s[0:3], 0 offset:84
	buffer_store_dword v88, off, s[0:3], 0 offset:80
	v_cmpx_lt_u32_e32 9, v0
	s_cbranch_execz .LBB42_249
; %bb.248:
	s_clause 0x1
	buffer_load_dword v88, off, s[0:3], 0 offset:72
	buffer_load_dword v89, off, s[0:3], 0 offset:76
	v_mov_b32_e32 v90, 0
	buffer_store_dword v90, off, s[0:3], 0 offset:72
	buffer_store_dword v90, off, s[0:3], 0 offset:76
	s_waitcnt vmcnt(0)
	ds_write_b64 v87, v[88:89]
.LBB42_249:
	s_or_b32 exec_lo, exec_lo, s4
	s_waitcnt lgkmcnt(0)
	s_waitcnt_vscnt null, 0x0
	s_barrier
	buffer_gl0_inv
	s_clause 0x1b
	buffer_load_dword v93, off, s[0:3], 0 offset:80
	buffer_load_dword v94, off, s[0:3], 0 offset:84
	;; [unrolled: 1-line block ×28, first 2 shown]
	v_mov_b32_e32 v88, 0
	s_mov_b32 s4, exec_lo
	ds_read_b128 v[89:92], v88 offset:432
	s_clause 0x1
	buffer_load_dword v121, off, s[0:3], 0 offset:192
	buffer_load_dword v122, off, s[0:3], 0 offset:196
	s_waitcnt vmcnt(28) lgkmcnt(0)
	v_fma_f64 v[89:90], v[93:94], v[89:90], 0
	s_clause 0x1
	buffer_load_dword v94, off, s[0:3], 0 offset:204
	buffer_load_dword v93, off, s[0:3], 0 offset:200
	s_waitcnt vmcnt(28)
	v_fma_f64 v[95:96], v[95:96], v[91:92], v[89:90]
	ds_read_b128 v[89:92], v88 offset:448
	s_clause 0x1
	buffer_load_dword v123, off, s[0:3], 0 offset:208
	buffer_load_dword v124, off, s[0:3], 0 offset:212
	s_waitcnt vmcnt(28) lgkmcnt(0)
	v_fma_f64 v[89:90], v[97:98], v[89:90], v[95:96]
	s_clause 0x1
	buffer_load_dword v95, off, s[0:3], 0 offset:216
	buffer_load_dword v96, off, s[0:3], 0 offset:220
	s_waitcnt vmcnt(28)
	v_fma_f64 v[97:98], v[99:100], v[91:92], v[89:90]
	;; [unrolled: 11-line block ×10, first 2 shown]
	ds_read_b128 v[89:92], v88 offset:592
	s_waitcnt vmcnt(26) lgkmcnt(0)
	v_fma_f64 v[89:90], v[103:104], v[89:90], v[97:98]
	s_waitcnt vmcnt(24)
	v_fma_f64 v[97:98], v[101:102], v[91:92], v[89:90]
	ds_read_b128 v[89:92], v88 offset:608
	s_waitcnt vmcnt(22) lgkmcnt(0)
	v_fma_f64 v[89:90], v[107:108], v[89:90], v[97:98]
	s_waitcnt vmcnt(20)
	v_fma_f64 v[97:98], v[105:106], v[91:92], v[89:90]
	;; [unrolled: 5-line block ×6, first 2 shown]
	ds_read_b64 v[91:92], v88 offset:688
	s_waitcnt vmcnt(2) lgkmcnt(0)
	v_fma_f64 v[89:90], v[123:124], v[91:92], v[89:90]
	s_waitcnt vmcnt(0)
	v_add_f64 v[89:90], v[95:96], -v[89:90]
	buffer_store_dword v90, off, s[0:3], 0 offset:76
	buffer_store_dword v89, off, s[0:3], 0 offset:72
	v_cmpx_lt_u32_e32 8, v0
	s_cbranch_execz .LBB42_251
; %bb.250:
	s_clause 0x1
	buffer_load_dword v89, off, s[0:3], 0 offset:64
	buffer_load_dword v90, off, s[0:3], 0 offset:68
	buffer_store_dword v88, off, s[0:3], 0 offset:64
	buffer_store_dword v88, off, s[0:3], 0 offset:68
	s_waitcnt vmcnt(0)
	ds_write_b64 v87, v[89:90]
.LBB42_251:
	s_or_b32 exec_lo, exec_lo, s4
	s_waitcnt lgkmcnt(0)
	s_waitcnt_vscnt null, 0x0
	s_barrier
	buffer_gl0_inv
	s_clause 0x1b
	buffer_load_dword v93, off, s[0:3], 0 offset:72
	buffer_load_dword v94, off, s[0:3], 0 offset:76
	;; [unrolled: 1-line block ×28, first 2 shown]
	ds_read2_b64 v[89:92], v88 offset0:53 offset1:54
	s_clause 0x1
	buffer_load_dword v121, off, s[0:3], 0 offset:184
	buffer_load_dword v122, off, s[0:3], 0 offset:188
	s_mov_b32 s4, exec_lo
	s_waitcnt vmcnt(28) lgkmcnt(0)
	v_fma_f64 v[89:90], v[93:94], v[89:90], 0
	s_clause 0x1
	buffer_load_dword v94, off, s[0:3], 0 offset:196
	buffer_load_dword v93, off, s[0:3], 0 offset:192
	s_waitcnt vmcnt(28)
	v_fma_f64 v[95:96], v[95:96], v[91:92], v[89:90]
	ds_read2_b64 v[89:92], v88 offset0:55 offset1:56
	s_clause 0x1
	buffer_load_dword v123, off, s[0:3], 0 offset:200
	buffer_load_dword v124, off, s[0:3], 0 offset:204
	s_waitcnt vmcnt(28) lgkmcnt(0)
	v_fma_f64 v[89:90], v[97:98], v[89:90], v[95:96]
	s_clause 0x1
	buffer_load_dword v95, off, s[0:3], 0 offset:208
	buffer_load_dword v96, off, s[0:3], 0 offset:212
	s_waitcnt vmcnt(28)
	v_fma_f64 v[97:98], v[99:100], v[91:92], v[89:90]
	ds_read2_b64 v[89:92], v88 offset0:57 offset1:58
	s_clause 0x1
	buffer_load_dword v99, off, s[0:3], 0 offset:216
	buffer_load_dword v100, off, s[0:3], 0 offset:220
	;; [unrolled: 11-line block ×10, first 2 shown]
	s_waitcnt vmcnt(28) lgkmcnt(0)
	v_fma_f64 v[89:90], v[103:104], v[89:90], v[97:98]
	s_waitcnt vmcnt(26)
	v_fma_f64 v[97:98], v[101:102], v[91:92], v[89:90]
	ds_read2_b64 v[89:92], v88 offset0:75 offset1:76
	s_waitcnt vmcnt(24) lgkmcnt(0)
	v_fma_f64 v[89:90], v[107:108], v[89:90], v[97:98]
	s_waitcnt vmcnt(22)
	v_fma_f64 v[97:98], v[105:106], v[91:92], v[89:90]
	ds_read2_b64 v[89:92], v88 offset0:77 offset1:78
	;; [unrolled: 5-line block ×6, first 2 shown]
	s_waitcnt vmcnt(4) lgkmcnt(0)
	v_fma_f64 v[88:89], v[123:124], v[88:89], v[92:93]
	s_waitcnt vmcnt(2)
	v_fma_f64 v[88:89], v[95:96], v[90:91], v[88:89]
	s_waitcnt vmcnt(0)
	v_add_f64 v[88:89], v[99:100], -v[88:89]
	buffer_store_dword v89, off, s[0:3], 0 offset:68
	buffer_store_dword v88, off, s[0:3], 0 offset:64
	v_cmpx_lt_u32_e32 7, v0
	s_cbranch_execz .LBB42_253
; %bb.252:
	s_clause 0x1
	buffer_load_dword v88, off, s[0:3], 0 offset:56
	buffer_load_dword v89, off, s[0:3], 0 offset:60
	v_mov_b32_e32 v90, 0
	buffer_store_dword v90, off, s[0:3], 0 offset:56
	buffer_store_dword v90, off, s[0:3], 0 offset:60
	s_waitcnt vmcnt(0)
	ds_write_b64 v87, v[88:89]
.LBB42_253:
	s_or_b32 exec_lo, exec_lo, s4
	s_waitcnt lgkmcnt(0)
	s_waitcnt_vscnt null, 0x0
	s_barrier
	buffer_gl0_inv
	s_clause 0x1b
	buffer_load_dword v93, off, s[0:3], 0 offset:64
	buffer_load_dword v94, off, s[0:3], 0 offset:68
	;; [unrolled: 1-line block ×28, first 2 shown]
	v_mov_b32_e32 v88, 0
	s_mov_b32 s4, exec_lo
	ds_read_b128 v[89:92], v88 offset:416
	s_clause 0x1
	buffer_load_dword v121, off, s[0:3], 0 offset:176
	buffer_load_dword v122, off, s[0:3], 0 offset:180
	s_waitcnt vmcnt(28) lgkmcnt(0)
	v_fma_f64 v[89:90], v[93:94], v[89:90], 0
	s_clause 0x1
	buffer_load_dword v94, off, s[0:3], 0 offset:188
	buffer_load_dword v93, off, s[0:3], 0 offset:184
	s_waitcnt vmcnt(28)
	v_fma_f64 v[95:96], v[95:96], v[91:92], v[89:90]
	ds_read_b128 v[89:92], v88 offset:432
	s_clause 0x1
	buffer_load_dword v123, off, s[0:3], 0 offset:192
	buffer_load_dword v124, off, s[0:3], 0 offset:196
	s_waitcnt vmcnt(28) lgkmcnt(0)
	v_fma_f64 v[89:90], v[97:98], v[89:90], v[95:96]
	s_clause 0x1
	buffer_load_dword v95, off, s[0:3], 0 offset:200
	buffer_load_dword v96, off, s[0:3], 0 offset:204
	s_waitcnt vmcnt(28)
	v_fma_f64 v[97:98], v[99:100], v[91:92], v[89:90]
	;; [unrolled: 11-line block ×11, first 2 shown]
	ds_read_b128 v[89:92], v88 offset:592
	s_waitcnt vmcnt(26) lgkmcnt(0)
	v_fma_f64 v[89:90], v[107:108], v[89:90], v[101:102]
	s_waitcnt vmcnt(24)
	v_fma_f64 v[101:102], v[105:106], v[91:92], v[89:90]
	ds_read_b128 v[89:92], v88 offset:608
	s_waitcnt vmcnt(22) lgkmcnt(0)
	v_fma_f64 v[89:90], v[111:112], v[89:90], v[101:102]
	s_waitcnt vmcnt(20)
	v_fma_f64 v[101:102], v[109:110], v[91:92], v[89:90]
	;; [unrolled: 5-line block ×6, first 2 shown]
	ds_read_b64 v[91:92], v88 offset:688
	s_waitcnt vmcnt(2) lgkmcnt(0)
	v_fma_f64 v[89:90], v[99:100], v[91:92], v[89:90]
	s_waitcnt vmcnt(0)
	v_add_f64 v[89:90], v[97:98], -v[89:90]
	buffer_store_dword v90, off, s[0:3], 0 offset:60
	buffer_store_dword v89, off, s[0:3], 0 offset:56
	v_cmpx_lt_u32_e32 6, v0
	s_cbranch_execz .LBB42_255
; %bb.254:
	s_clause 0x1
	buffer_load_dword v89, off, s[0:3], 0 offset:48
	buffer_load_dword v90, off, s[0:3], 0 offset:52
	buffer_store_dword v88, off, s[0:3], 0 offset:48
	buffer_store_dword v88, off, s[0:3], 0 offset:52
	s_waitcnt vmcnt(0)
	ds_write_b64 v87, v[89:90]
.LBB42_255:
	s_or_b32 exec_lo, exec_lo, s4
	s_waitcnt lgkmcnt(0)
	s_waitcnt_vscnt null, 0x0
	s_barrier
	buffer_gl0_inv
	s_clause 0x1b
	buffer_load_dword v93, off, s[0:3], 0 offset:56
	buffer_load_dword v94, off, s[0:3], 0 offset:60
	;; [unrolled: 1-line block ×28, first 2 shown]
	ds_read2_b64 v[89:92], v88 offset0:51 offset1:52
	s_clause 0x1
	buffer_load_dword v121, off, s[0:3], 0 offset:168
	buffer_load_dword v122, off, s[0:3], 0 offset:172
	s_mov_b32 s4, exec_lo
	s_waitcnt vmcnt(28) lgkmcnt(0)
	v_fma_f64 v[89:90], v[93:94], v[89:90], 0
	s_clause 0x1
	buffer_load_dword v94, off, s[0:3], 0 offset:180
	buffer_load_dword v93, off, s[0:3], 0 offset:176
	s_waitcnt vmcnt(28)
	v_fma_f64 v[95:96], v[95:96], v[91:92], v[89:90]
	ds_read2_b64 v[89:92], v88 offset0:53 offset1:54
	s_clause 0x1
	buffer_load_dword v123, off, s[0:3], 0 offset:184
	buffer_load_dword v124, off, s[0:3], 0 offset:188
	s_waitcnt vmcnt(28) lgkmcnt(0)
	v_fma_f64 v[89:90], v[97:98], v[89:90], v[95:96]
	s_clause 0x1
	buffer_load_dword v95, off, s[0:3], 0 offset:192
	buffer_load_dword v96, off, s[0:3], 0 offset:196
	s_waitcnt vmcnt(28)
	v_fma_f64 v[97:98], v[99:100], v[91:92], v[89:90]
	ds_read2_b64 v[89:92], v88 offset0:55 offset1:56
	s_clause 0x1
	buffer_load_dword v99, off, s[0:3], 0 offset:200
	buffer_load_dword v100, off, s[0:3], 0 offset:204
	s_waitcnt vmcnt(28) lgkmcnt(0)
	v_fma_f64 v[89:90], v[101:102], v[89:90], v[97:98]
	s_clause 0x1
	buffer_load_dword v98, off, s[0:3], 0 offset:212
	buffer_load_dword v97, off, s[0:3], 0 offset:208
	s_waitcnt vmcnt(28)
	v_fma_f64 v[101:102], v[103:104], v[91:92], v[89:90]
	ds_read2_b64 v[89:92], v88 offset0:57 offset1:58
	s_clause 0x1
	buffer_load_dword v103, off, s[0:3], 0 offset:216
	buffer_load_dword v104, off, s[0:3], 0 offset:220
	s_waitcnt vmcnt(28) lgkmcnt(0)
	v_fma_f64 v[89:90], v[105:106], v[89:90], v[101:102]
	s_clause 0x1
	buffer_load_dword v101, off, s[0:3], 0 offset:224
	buffer_load_dword v102, off, s[0:3], 0 offset:228
	s_waitcnt vmcnt(28)
	v_fma_f64 v[105:106], v[107:108], v[91:92], v[89:90]
	ds_read2_b64 v[89:92], v88 offset0:59 offset1:60
	s_clause 0x1
	buffer_load_dword v107, off, s[0:3], 0 offset:232
	buffer_load_dword v108, off, s[0:3], 0 offset:236
	s_waitcnt vmcnt(28) lgkmcnt(0)
	v_fma_f64 v[89:90], v[109:110], v[89:90], v[105:106]
	s_clause 0x1
	buffer_load_dword v106, off, s[0:3], 0 offset:244
	buffer_load_dword v105, off, s[0:3], 0 offset:240
	s_waitcnt vmcnt(28)
	v_fma_f64 v[109:110], v[111:112], v[91:92], v[89:90]
	ds_read2_b64 v[89:92], v88 offset0:61 offset1:62
	s_clause 0x1
	buffer_load_dword v111, off, s[0:3], 0 offset:248
	buffer_load_dword v112, off, s[0:3], 0 offset:252
	s_waitcnt vmcnt(28) lgkmcnt(0)
	v_fma_f64 v[89:90], v[113:114], v[89:90], v[109:110]
	s_clause 0x1
	buffer_load_dword v109, off, s[0:3], 0 offset:256
	buffer_load_dword v110, off, s[0:3], 0 offset:260
	s_waitcnt vmcnt(28)
	v_fma_f64 v[113:114], v[115:116], v[91:92], v[89:90]
	ds_read2_b64 v[89:92], v88 offset0:63 offset1:64
	s_clause 0x1
	buffer_load_dword v115, off, s[0:3], 0 offset:264
	buffer_load_dword v116, off, s[0:3], 0 offset:268
	s_waitcnt vmcnt(28) lgkmcnt(0)
	v_fma_f64 v[89:90], v[117:118], v[89:90], v[113:114]
	s_clause 0x1
	buffer_load_dword v114, off, s[0:3], 0 offset:276
	buffer_load_dword v113, off, s[0:3], 0 offset:272
	s_waitcnt vmcnt(28)
	v_fma_f64 v[117:118], v[119:120], v[91:92], v[89:90]
	ds_read2_b64 v[89:92], v88 offset0:65 offset1:66
	s_clause 0x1
	buffer_load_dword v119, off, s[0:3], 0 offset:280
	buffer_load_dword v120, off, s[0:3], 0 offset:284
	s_waitcnt vmcnt(28) lgkmcnt(0)
	v_fma_f64 v[89:90], v[121:122], v[89:90], v[117:118]
	s_clause 0x1
	buffer_load_dword v117, off, s[0:3], 0 offset:288
	buffer_load_dword v118, off, s[0:3], 0 offset:292
	s_waitcnt vmcnt(28)
	v_fma_f64 v[93:94], v[93:94], v[91:92], v[89:90]
	ds_read2_b64 v[89:92], v88 offset0:67 offset1:68
	s_clause 0x1
	buffer_load_dword v121, off, s[0:3], 0 offset:296
	buffer_load_dword v122, off, s[0:3], 0 offset:300
	s_waitcnt vmcnt(28) lgkmcnt(0)
	v_fma_f64 v[89:90], v[123:124], v[89:90], v[93:94]
	s_clause 0x1
	buffer_load_dword v94, off, s[0:3], 0 offset:308
	buffer_load_dword v93, off, s[0:3], 0 offset:304
	s_waitcnt vmcnt(28)
	v_fma_f64 v[95:96], v[95:96], v[91:92], v[89:90]
	ds_read2_b64 v[89:92], v88 offset0:69 offset1:70
	s_clause 0x1
	buffer_load_dword v123, off, s[0:3], 0 offset:312
	buffer_load_dword v124, off, s[0:3], 0 offset:316
	s_waitcnt vmcnt(28) lgkmcnt(0)
	v_fma_f64 v[89:90], v[99:100], v[89:90], v[95:96]
	s_clause 0x1
	buffer_load_dword v95, off, s[0:3], 0 offset:320
	buffer_load_dword v96, off, s[0:3], 0 offset:324
	s_waitcnt vmcnt(28)
	v_fma_f64 v[97:98], v[97:98], v[91:92], v[89:90]
	ds_read2_b64 v[89:92], v88 offset0:71 offset1:72
	s_clause 0x1
	buffer_load_dword v99, off, s[0:3], 0 offset:328
	buffer_load_dword v100, off, s[0:3], 0 offset:332
	s_waitcnt vmcnt(28) lgkmcnt(0)
	v_fma_f64 v[89:90], v[103:104], v[89:90], v[97:98]
	s_clause 0x1
	buffer_load_dword v98, off, s[0:3], 0 offset:340
	buffer_load_dword v97, off, s[0:3], 0 offset:336
	s_waitcnt vmcnt(28)
	v_fma_f64 v[101:102], v[101:102], v[91:92], v[89:90]
	ds_read2_b64 v[89:92], v88 offset0:73 offset1:74
	s_clause 0x1
	buffer_load_dword v103, off, s[0:3], 0 offset:48
	buffer_load_dword v104, off, s[0:3], 0 offset:52
	s_waitcnt vmcnt(28) lgkmcnt(0)
	v_fma_f64 v[89:90], v[107:108], v[89:90], v[101:102]
	s_waitcnt vmcnt(26)
	v_fma_f64 v[101:102], v[105:106], v[91:92], v[89:90]
	ds_read2_b64 v[89:92], v88 offset0:75 offset1:76
	s_waitcnt vmcnt(24) lgkmcnt(0)
	v_fma_f64 v[89:90], v[111:112], v[89:90], v[101:102]
	s_waitcnt vmcnt(22)
	v_fma_f64 v[101:102], v[109:110], v[91:92], v[89:90]
	ds_read2_b64 v[89:92], v88 offset0:77 offset1:78
	;; [unrolled: 5-line block ×6, first 2 shown]
	s_waitcnt vmcnt(4) lgkmcnt(0)
	v_fma_f64 v[88:89], v[99:100], v[88:89], v[92:93]
	s_waitcnt vmcnt(2)
	v_fma_f64 v[88:89], v[97:98], v[90:91], v[88:89]
	s_waitcnt vmcnt(0)
	v_add_f64 v[88:89], v[103:104], -v[88:89]
	buffer_store_dword v89, off, s[0:3], 0 offset:52
	buffer_store_dword v88, off, s[0:3], 0 offset:48
	v_cmpx_lt_u32_e32 5, v0
	s_cbranch_execz .LBB42_257
; %bb.256:
	s_clause 0x1
	buffer_load_dword v88, off, s[0:3], 0 offset:40
	buffer_load_dword v89, off, s[0:3], 0 offset:44
	v_mov_b32_e32 v90, 0
	buffer_store_dword v90, off, s[0:3], 0 offset:40
	buffer_store_dword v90, off, s[0:3], 0 offset:44
	s_waitcnt vmcnt(0)
	ds_write_b64 v87, v[88:89]
.LBB42_257:
	s_or_b32 exec_lo, exec_lo, s4
	s_waitcnt lgkmcnt(0)
	s_waitcnt_vscnt null, 0x0
	s_barrier
	buffer_gl0_inv
	s_clause 0x1b
	buffer_load_dword v93, off, s[0:3], 0 offset:48
	buffer_load_dword v94, off, s[0:3], 0 offset:52
	;; [unrolled: 1-line block ×28, first 2 shown]
	v_mov_b32_e32 v88, 0
	s_mov_b32 s4, exec_lo
	ds_read_b128 v[89:92], v88 offset:400
	s_clause 0x1
	buffer_load_dword v121, off, s[0:3], 0 offset:160
	buffer_load_dword v122, off, s[0:3], 0 offset:164
	s_waitcnt vmcnt(28) lgkmcnt(0)
	v_fma_f64 v[89:90], v[93:94], v[89:90], 0
	s_clause 0x1
	buffer_load_dword v94, off, s[0:3], 0 offset:172
	buffer_load_dword v93, off, s[0:3], 0 offset:168
	s_waitcnt vmcnt(28)
	v_fma_f64 v[95:96], v[95:96], v[91:92], v[89:90]
	ds_read_b128 v[89:92], v88 offset:416
	s_clause 0x1
	buffer_load_dword v123, off, s[0:3], 0 offset:176
	buffer_load_dword v124, off, s[0:3], 0 offset:180
	s_waitcnt vmcnt(28) lgkmcnt(0)
	v_fma_f64 v[89:90], v[97:98], v[89:90], v[95:96]
	s_clause 0x1
	buffer_load_dword v95, off, s[0:3], 0 offset:184
	buffer_load_dword v96, off, s[0:3], 0 offset:188
	s_waitcnt vmcnt(28)
	v_fma_f64 v[97:98], v[99:100], v[91:92], v[89:90]
	;; [unrolled: 11-line block ×12, first 2 shown]
	ds_read_b128 v[89:92], v88 offset:592
	s_waitcnt vmcnt(26) lgkmcnt(0)
	v_fma_f64 v[89:90], v[111:112], v[89:90], v[105:106]
	s_waitcnt vmcnt(24)
	v_fma_f64 v[105:106], v[109:110], v[91:92], v[89:90]
	ds_read_b128 v[89:92], v88 offset:608
	s_waitcnt vmcnt(22) lgkmcnt(0)
	v_fma_f64 v[89:90], v[115:116], v[89:90], v[105:106]
	s_waitcnt vmcnt(20)
	v_fma_f64 v[105:106], v[113:114], v[91:92], v[89:90]
	;; [unrolled: 5-line block ×6, first 2 shown]
	ds_read_b64 v[91:92], v88 offset:688
	s_waitcnt vmcnt(2) lgkmcnt(0)
	v_fma_f64 v[89:90], v[103:104], v[91:92], v[89:90]
	s_waitcnt vmcnt(0)
	v_add_f64 v[89:90], v[101:102], -v[89:90]
	buffer_store_dword v90, off, s[0:3], 0 offset:44
	buffer_store_dword v89, off, s[0:3], 0 offset:40
	v_cmpx_lt_u32_e32 4, v0
	s_cbranch_execz .LBB42_259
; %bb.258:
	s_clause 0x1
	buffer_load_dword v89, off, s[0:3], 0 offset:32
	buffer_load_dword v90, off, s[0:3], 0 offset:36
	buffer_store_dword v88, off, s[0:3], 0 offset:32
	buffer_store_dword v88, off, s[0:3], 0 offset:36
	s_waitcnt vmcnt(0)
	ds_write_b64 v87, v[89:90]
.LBB42_259:
	s_or_b32 exec_lo, exec_lo, s4
	s_waitcnt lgkmcnt(0)
	s_waitcnt_vscnt null, 0x0
	s_barrier
	buffer_gl0_inv
	s_clause 0x1b
	buffer_load_dword v93, off, s[0:3], 0 offset:40
	buffer_load_dword v94, off, s[0:3], 0 offset:44
	;; [unrolled: 1-line block ×28, first 2 shown]
	ds_read2_b64 v[89:92], v88 offset0:49 offset1:50
	s_clause 0x1
	buffer_load_dword v121, off, s[0:3], 0 offset:152
	buffer_load_dword v122, off, s[0:3], 0 offset:156
	s_mov_b32 s4, exec_lo
	s_waitcnt vmcnt(28) lgkmcnt(0)
	v_fma_f64 v[89:90], v[93:94], v[89:90], 0
	s_clause 0x1
	buffer_load_dword v94, off, s[0:3], 0 offset:164
	buffer_load_dword v93, off, s[0:3], 0 offset:160
	s_waitcnt vmcnt(28)
	v_fma_f64 v[95:96], v[95:96], v[91:92], v[89:90]
	ds_read2_b64 v[89:92], v88 offset0:51 offset1:52
	s_clause 0x1
	buffer_load_dword v123, off, s[0:3], 0 offset:168
	buffer_load_dword v124, off, s[0:3], 0 offset:172
	s_waitcnt vmcnt(28) lgkmcnt(0)
	v_fma_f64 v[89:90], v[97:98], v[89:90], v[95:96]
	s_clause 0x1
	buffer_load_dword v95, off, s[0:3], 0 offset:176
	buffer_load_dword v96, off, s[0:3], 0 offset:180
	s_waitcnt vmcnt(28)
	v_fma_f64 v[97:98], v[99:100], v[91:92], v[89:90]
	ds_read2_b64 v[89:92], v88 offset0:53 offset1:54
	s_clause 0x1
	buffer_load_dword v99, off, s[0:3], 0 offset:184
	buffer_load_dword v100, off, s[0:3], 0 offset:188
	s_waitcnt vmcnt(28) lgkmcnt(0)
	v_fma_f64 v[89:90], v[101:102], v[89:90], v[97:98]
	s_clause 0x1
	buffer_load_dword v98, off, s[0:3], 0 offset:196
	buffer_load_dword v97, off, s[0:3], 0 offset:192
	s_waitcnt vmcnt(28)
	v_fma_f64 v[101:102], v[103:104], v[91:92], v[89:90]
	ds_read2_b64 v[89:92], v88 offset0:55 offset1:56
	s_clause 0x1
	buffer_load_dword v103, off, s[0:3], 0 offset:200
	buffer_load_dword v104, off, s[0:3], 0 offset:204
	s_waitcnt vmcnt(28) lgkmcnt(0)
	v_fma_f64 v[89:90], v[105:106], v[89:90], v[101:102]
	s_clause 0x1
	buffer_load_dword v101, off, s[0:3], 0 offset:208
	buffer_load_dword v102, off, s[0:3], 0 offset:212
	s_waitcnt vmcnt(28)
	v_fma_f64 v[105:106], v[107:108], v[91:92], v[89:90]
	ds_read2_b64 v[89:92], v88 offset0:57 offset1:58
	s_clause 0x1
	buffer_load_dword v107, off, s[0:3], 0 offset:216
	buffer_load_dword v108, off, s[0:3], 0 offset:220
	s_waitcnt vmcnt(28) lgkmcnt(0)
	v_fma_f64 v[89:90], v[109:110], v[89:90], v[105:106]
	s_clause 0x1
	buffer_load_dword v106, off, s[0:3], 0 offset:228
	buffer_load_dword v105, off, s[0:3], 0 offset:224
	s_waitcnt vmcnt(28)
	v_fma_f64 v[109:110], v[111:112], v[91:92], v[89:90]
	ds_read2_b64 v[89:92], v88 offset0:59 offset1:60
	s_clause 0x1
	buffer_load_dword v111, off, s[0:3], 0 offset:232
	buffer_load_dword v112, off, s[0:3], 0 offset:236
	s_waitcnt vmcnt(28) lgkmcnt(0)
	v_fma_f64 v[89:90], v[113:114], v[89:90], v[109:110]
	s_clause 0x1
	buffer_load_dword v109, off, s[0:3], 0 offset:240
	buffer_load_dword v110, off, s[0:3], 0 offset:244
	s_waitcnt vmcnt(28)
	v_fma_f64 v[113:114], v[115:116], v[91:92], v[89:90]
	ds_read2_b64 v[89:92], v88 offset0:61 offset1:62
	s_clause 0x1
	buffer_load_dword v115, off, s[0:3], 0 offset:248
	buffer_load_dword v116, off, s[0:3], 0 offset:252
	s_waitcnt vmcnt(28) lgkmcnt(0)
	v_fma_f64 v[89:90], v[117:118], v[89:90], v[113:114]
	s_clause 0x1
	buffer_load_dword v114, off, s[0:3], 0 offset:260
	buffer_load_dword v113, off, s[0:3], 0 offset:256
	s_waitcnt vmcnt(28)
	v_fma_f64 v[117:118], v[119:120], v[91:92], v[89:90]
	ds_read2_b64 v[89:92], v88 offset0:63 offset1:64
	s_clause 0x1
	buffer_load_dword v119, off, s[0:3], 0 offset:264
	buffer_load_dword v120, off, s[0:3], 0 offset:268
	s_waitcnt vmcnt(28) lgkmcnt(0)
	v_fma_f64 v[89:90], v[121:122], v[89:90], v[117:118]
	s_clause 0x1
	buffer_load_dword v117, off, s[0:3], 0 offset:272
	buffer_load_dword v118, off, s[0:3], 0 offset:276
	s_waitcnt vmcnt(28)
	v_fma_f64 v[93:94], v[93:94], v[91:92], v[89:90]
	ds_read2_b64 v[89:92], v88 offset0:65 offset1:66
	s_clause 0x1
	buffer_load_dword v121, off, s[0:3], 0 offset:280
	buffer_load_dword v122, off, s[0:3], 0 offset:284
	s_waitcnt vmcnt(28) lgkmcnt(0)
	v_fma_f64 v[89:90], v[123:124], v[89:90], v[93:94]
	s_clause 0x1
	buffer_load_dword v94, off, s[0:3], 0 offset:292
	buffer_load_dword v93, off, s[0:3], 0 offset:288
	s_waitcnt vmcnt(28)
	v_fma_f64 v[95:96], v[95:96], v[91:92], v[89:90]
	ds_read2_b64 v[89:92], v88 offset0:67 offset1:68
	s_clause 0x1
	buffer_load_dword v123, off, s[0:3], 0 offset:296
	buffer_load_dword v124, off, s[0:3], 0 offset:300
	s_waitcnt vmcnt(28) lgkmcnt(0)
	v_fma_f64 v[89:90], v[99:100], v[89:90], v[95:96]
	s_clause 0x1
	buffer_load_dword v95, off, s[0:3], 0 offset:304
	buffer_load_dword v96, off, s[0:3], 0 offset:308
	s_waitcnt vmcnt(28)
	v_fma_f64 v[97:98], v[97:98], v[91:92], v[89:90]
	ds_read2_b64 v[89:92], v88 offset0:69 offset1:70
	s_clause 0x1
	buffer_load_dword v99, off, s[0:3], 0 offset:312
	buffer_load_dword v100, off, s[0:3], 0 offset:316
	s_waitcnt vmcnt(28) lgkmcnt(0)
	v_fma_f64 v[89:90], v[103:104], v[89:90], v[97:98]
	s_clause 0x1
	buffer_load_dword v98, off, s[0:3], 0 offset:324
	buffer_load_dword v97, off, s[0:3], 0 offset:320
	s_waitcnt vmcnt(28)
	v_fma_f64 v[101:102], v[101:102], v[91:92], v[89:90]
	ds_read2_b64 v[89:92], v88 offset0:71 offset1:72
	s_clause 0x1
	buffer_load_dword v103, off, s[0:3], 0 offset:328
	buffer_load_dword v104, off, s[0:3], 0 offset:332
	s_waitcnt vmcnt(28) lgkmcnt(0)
	v_fma_f64 v[89:90], v[107:108], v[89:90], v[101:102]
	s_clause 0x1
	buffer_load_dword v101, off, s[0:3], 0 offset:336
	buffer_load_dword v102, off, s[0:3], 0 offset:340
	s_waitcnt vmcnt(28)
	v_fma_f64 v[105:106], v[105:106], v[91:92], v[89:90]
	ds_read2_b64 v[89:92], v88 offset0:73 offset1:74
	s_clause 0x1
	buffer_load_dword v107, off, s[0:3], 0 offset:32
	buffer_load_dword v108, off, s[0:3], 0 offset:36
	s_waitcnt vmcnt(28) lgkmcnt(0)
	v_fma_f64 v[89:90], v[111:112], v[89:90], v[105:106]
	s_waitcnt vmcnt(26)
	v_fma_f64 v[105:106], v[109:110], v[91:92], v[89:90]
	ds_read2_b64 v[89:92], v88 offset0:75 offset1:76
	s_waitcnt vmcnt(24) lgkmcnt(0)
	v_fma_f64 v[89:90], v[115:116], v[89:90], v[105:106]
	s_waitcnt vmcnt(22)
	v_fma_f64 v[105:106], v[113:114], v[91:92], v[89:90]
	ds_read2_b64 v[89:92], v88 offset0:77 offset1:78
	;; [unrolled: 5-line block ×6, first 2 shown]
	s_waitcnt vmcnt(4) lgkmcnt(0)
	v_fma_f64 v[88:89], v[103:104], v[88:89], v[92:93]
	s_waitcnt vmcnt(2)
	v_fma_f64 v[88:89], v[101:102], v[90:91], v[88:89]
	s_waitcnt vmcnt(0)
	v_add_f64 v[88:89], v[107:108], -v[88:89]
	buffer_store_dword v89, off, s[0:3], 0 offset:36
	buffer_store_dword v88, off, s[0:3], 0 offset:32
	v_cmpx_lt_u32_e32 3, v0
	s_cbranch_execz .LBB42_261
; %bb.260:
	s_clause 0x1
	buffer_load_dword v88, off, s[0:3], 0 offset:24
	buffer_load_dword v89, off, s[0:3], 0 offset:28
	v_mov_b32_e32 v90, 0
	buffer_store_dword v90, off, s[0:3], 0 offset:24
	buffer_store_dword v90, off, s[0:3], 0 offset:28
	s_waitcnt vmcnt(0)
	ds_write_b64 v87, v[88:89]
.LBB42_261:
	s_or_b32 exec_lo, exec_lo, s4
	s_waitcnt lgkmcnt(0)
	s_waitcnt_vscnt null, 0x0
	s_barrier
	buffer_gl0_inv
	s_clause 0x1b
	buffer_load_dword v93, off, s[0:3], 0 offset:32
	buffer_load_dword v94, off, s[0:3], 0 offset:36
	;; [unrolled: 1-line block ×28, first 2 shown]
	v_mov_b32_e32 v88, 0
	s_mov_b32 s4, exec_lo
	ds_read_b128 v[89:92], v88 offset:384
	s_clause 0x1
	buffer_load_dword v121, off, s[0:3], 0 offset:144
	buffer_load_dword v122, off, s[0:3], 0 offset:148
	s_waitcnt vmcnt(28) lgkmcnt(0)
	v_fma_f64 v[89:90], v[93:94], v[89:90], 0
	s_clause 0x1
	buffer_load_dword v94, off, s[0:3], 0 offset:156
	buffer_load_dword v93, off, s[0:3], 0 offset:152
	s_waitcnt vmcnt(28)
	v_fma_f64 v[95:96], v[95:96], v[91:92], v[89:90]
	ds_read_b128 v[89:92], v88 offset:400
	s_clause 0x1
	buffer_load_dword v123, off, s[0:3], 0 offset:160
	buffer_load_dword v124, off, s[0:3], 0 offset:164
	s_waitcnt vmcnt(28) lgkmcnt(0)
	v_fma_f64 v[89:90], v[97:98], v[89:90], v[95:96]
	s_clause 0x1
	buffer_load_dword v95, off, s[0:3], 0 offset:168
	buffer_load_dword v96, off, s[0:3], 0 offset:172
	s_waitcnt vmcnt(28)
	v_fma_f64 v[97:98], v[99:100], v[91:92], v[89:90]
	;; [unrolled: 11-line block ×13, first 2 shown]
	ds_read_b128 v[89:92], v88 offset:592
	s_waitcnt vmcnt(26) lgkmcnt(0)
	v_fma_f64 v[89:90], v[115:116], v[89:90], v[109:110]
	s_waitcnt vmcnt(24)
	v_fma_f64 v[109:110], v[113:114], v[91:92], v[89:90]
	ds_read_b128 v[89:92], v88 offset:608
	s_waitcnt vmcnt(22) lgkmcnt(0)
	v_fma_f64 v[89:90], v[119:120], v[89:90], v[109:110]
	s_waitcnt vmcnt(20)
	v_fma_f64 v[109:110], v[117:118], v[91:92], v[89:90]
	;; [unrolled: 5-line block ×6, first 2 shown]
	ds_read_b64 v[91:92], v88 offset:688
	s_waitcnt vmcnt(2) lgkmcnt(0)
	v_fma_f64 v[89:90], v[107:108], v[91:92], v[89:90]
	s_waitcnt vmcnt(0)
	v_add_f64 v[89:90], v[105:106], -v[89:90]
	buffer_store_dword v90, off, s[0:3], 0 offset:28
	buffer_store_dword v89, off, s[0:3], 0 offset:24
	v_cmpx_lt_u32_e32 2, v0
	s_cbranch_execz .LBB42_263
; %bb.262:
	s_clause 0x1
	buffer_load_dword v89, off, s[0:3], 0 offset:16
	buffer_load_dword v90, off, s[0:3], 0 offset:20
	buffer_store_dword v88, off, s[0:3], 0 offset:16
	buffer_store_dword v88, off, s[0:3], 0 offset:20
	s_waitcnt vmcnt(0)
	ds_write_b64 v87, v[89:90]
.LBB42_263:
	s_or_b32 exec_lo, exec_lo, s4
	s_waitcnt lgkmcnt(0)
	s_waitcnt_vscnt null, 0x0
	s_barrier
	buffer_gl0_inv
	s_clause 0x1b
	buffer_load_dword v93, off, s[0:3], 0 offset:24
	buffer_load_dword v94, off, s[0:3], 0 offset:28
	;; [unrolled: 1-line block ×28, first 2 shown]
	ds_read2_b64 v[89:92], v88 offset0:47 offset1:48
	s_clause 0x1
	buffer_load_dword v121, off, s[0:3], 0 offset:136
	buffer_load_dword v122, off, s[0:3], 0 offset:140
	s_mov_b32 s4, exec_lo
	s_waitcnt vmcnt(28) lgkmcnt(0)
	v_fma_f64 v[89:90], v[93:94], v[89:90], 0
	s_clause 0x1
	buffer_load_dword v94, off, s[0:3], 0 offset:148
	buffer_load_dword v93, off, s[0:3], 0 offset:144
	s_waitcnt vmcnt(28)
	v_fma_f64 v[95:96], v[95:96], v[91:92], v[89:90]
	ds_read2_b64 v[89:92], v88 offset0:49 offset1:50
	s_clause 0x1
	buffer_load_dword v123, off, s[0:3], 0 offset:152
	buffer_load_dword v124, off, s[0:3], 0 offset:156
	s_waitcnt vmcnt(28) lgkmcnt(0)
	v_fma_f64 v[89:90], v[97:98], v[89:90], v[95:96]
	s_clause 0x1
	buffer_load_dword v95, off, s[0:3], 0 offset:160
	buffer_load_dword v96, off, s[0:3], 0 offset:164
	s_waitcnt vmcnt(28)
	v_fma_f64 v[97:98], v[99:100], v[91:92], v[89:90]
	ds_read2_b64 v[89:92], v88 offset0:51 offset1:52
	s_clause 0x1
	buffer_load_dword v99, off, s[0:3], 0 offset:168
	buffer_load_dword v100, off, s[0:3], 0 offset:172
	;; [unrolled: 11-line block ×13, first 2 shown]
	s_waitcnt vmcnt(28) lgkmcnt(0)
	v_fma_f64 v[89:90], v[115:116], v[89:90], v[109:110]
	s_waitcnt vmcnt(26)
	v_fma_f64 v[109:110], v[113:114], v[91:92], v[89:90]
	ds_read2_b64 v[89:92], v88 offset0:75 offset1:76
	s_waitcnt vmcnt(24) lgkmcnt(0)
	v_fma_f64 v[89:90], v[119:120], v[89:90], v[109:110]
	s_waitcnt vmcnt(22)
	v_fma_f64 v[109:110], v[117:118], v[91:92], v[89:90]
	ds_read2_b64 v[89:92], v88 offset0:77 offset1:78
	;; [unrolled: 5-line block ×6, first 2 shown]
	s_waitcnt vmcnt(4) lgkmcnt(0)
	v_fma_f64 v[88:89], v[107:108], v[88:89], v[92:93]
	s_waitcnt vmcnt(2)
	v_fma_f64 v[88:89], v[105:106], v[90:91], v[88:89]
	s_waitcnt vmcnt(0)
	v_add_f64 v[88:89], v[111:112], -v[88:89]
	buffer_store_dword v89, off, s[0:3], 0 offset:20
	buffer_store_dword v88, off, s[0:3], 0 offset:16
	v_cmpx_lt_u32_e32 1, v0
	s_cbranch_execz .LBB42_265
; %bb.264:
	s_clause 0x1
	buffer_load_dword v88, off, s[0:3], 0 offset:8
	buffer_load_dword v89, off, s[0:3], 0 offset:12
	v_mov_b32_e32 v90, 0
	buffer_store_dword v90, off, s[0:3], 0 offset:8
	buffer_store_dword v90, off, s[0:3], 0 offset:12
	s_waitcnt vmcnt(0)
	ds_write_b64 v87, v[88:89]
.LBB42_265:
	s_or_b32 exec_lo, exec_lo, s4
	s_waitcnt lgkmcnt(0)
	s_waitcnt_vscnt null, 0x0
	s_barrier
	buffer_gl0_inv
	s_clause 0x1b
	buffer_load_dword v93, off, s[0:3], 0 offset:16
	buffer_load_dword v94, off, s[0:3], 0 offset:20
	;; [unrolled: 1-line block ×28, first 2 shown]
	v_mov_b32_e32 v88, 0
	s_mov_b32 s4, exec_lo
	ds_read_b128 v[89:92], v88 offset:368
	s_clause 0x1
	buffer_load_dword v121, off, s[0:3], 0 offset:128
	buffer_load_dword v122, off, s[0:3], 0 offset:132
	s_waitcnt vmcnt(28) lgkmcnt(0)
	v_fma_f64 v[89:90], v[93:94], v[89:90], 0
	s_clause 0x1
	buffer_load_dword v94, off, s[0:3], 0 offset:140
	buffer_load_dword v93, off, s[0:3], 0 offset:136
	s_waitcnt vmcnt(28)
	v_fma_f64 v[95:96], v[95:96], v[91:92], v[89:90]
	ds_read_b128 v[89:92], v88 offset:384
	s_clause 0x1
	buffer_load_dword v123, off, s[0:3], 0 offset:144
	buffer_load_dword v124, off, s[0:3], 0 offset:148
	s_waitcnt vmcnt(28) lgkmcnt(0)
	v_fma_f64 v[89:90], v[97:98], v[89:90], v[95:96]
	s_clause 0x1
	buffer_load_dword v95, off, s[0:3], 0 offset:152
	buffer_load_dword v96, off, s[0:3], 0 offset:156
	s_waitcnt vmcnt(28)
	v_fma_f64 v[97:98], v[99:100], v[91:92], v[89:90]
	;; [unrolled: 11-line block ×14, first 2 shown]
	ds_read_b128 v[89:92], v88 offset:592
	s_waitcnt vmcnt(26) lgkmcnt(0)
	v_fma_f64 v[89:90], v[119:120], v[89:90], v[113:114]
	s_waitcnt vmcnt(24)
	v_fma_f64 v[113:114], v[117:118], v[91:92], v[89:90]
	ds_read_b128 v[89:92], v88 offset:608
	s_waitcnt vmcnt(22) lgkmcnt(0)
	v_fma_f64 v[89:90], v[121:122], v[89:90], v[113:114]
	s_waitcnt vmcnt(20)
	v_fma_f64 v[93:94], v[93:94], v[91:92], v[89:90]
	;; [unrolled: 5-line block ×6, first 2 shown]
	ds_read_b64 v[91:92], v88 offset:688
	s_waitcnt vmcnt(2) lgkmcnt(0)
	v_fma_f64 v[89:90], v[111:112], v[91:92], v[89:90]
	s_waitcnt vmcnt(0)
	v_add_f64 v[89:90], v[109:110], -v[89:90]
	buffer_store_dword v90, off, s[0:3], 0 offset:12
	buffer_store_dword v89, off, s[0:3], 0 offset:8
	v_cmpx_ne_u32_e32 0, v0
	s_cbranch_execz .LBB42_267
; %bb.266:
	s_clause 0x1
	buffer_load_dword v89, off, s[0:3], 0
	buffer_load_dword v90, off, s[0:3], 0 offset:4
	buffer_store_dword v88, off, s[0:3], 0
	buffer_store_dword v88, off, s[0:3], 0 offset:4
	s_waitcnt vmcnt(0)
	ds_write_b64 v87, v[89:90]
.LBB42_267:
	s_or_b32 exec_lo, exec_lo, s4
	s_waitcnt lgkmcnt(0)
	s_waitcnt_vscnt null, 0x0
	s_barrier
	buffer_gl0_inv
	s_clause 0x1b
	buffer_load_dword v93, off, s[0:3], 0 offset:8
	buffer_load_dword v94, off, s[0:3], 0 offset:12
	;; [unrolled: 1-line block ×28, first 2 shown]
	ds_read2_b64 v[89:92], v88 offset0:45 offset1:46
	s_clause 0x1
	buffer_load_dword v121, off, s[0:3], 0 offset:120
	buffer_load_dword v122, off, s[0:3], 0 offset:124
	s_and_b32 vcc_lo, exec_lo, s22
	s_waitcnt vmcnt(28) lgkmcnt(0)
	v_fma_f64 v[89:90], v[93:94], v[89:90], 0
	s_clause 0x1
	buffer_load_dword v94, off, s[0:3], 0 offset:132
	buffer_load_dword v93, off, s[0:3], 0 offset:128
	s_waitcnt vmcnt(28)
	v_fma_f64 v[95:96], v[95:96], v[91:92], v[89:90]
	ds_read2_b64 v[89:92], v88 offset0:47 offset1:48
	s_clause 0x1
	buffer_load_dword v123, off, s[0:3], 0 offset:136
	buffer_load_dword v124, off, s[0:3], 0 offset:140
	s_waitcnt vmcnt(28) lgkmcnt(0)
	v_fma_f64 v[89:90], v[97:98], v[89:90], v[95:96]
	s_clause 0x1
	buffer_load_dword v95, off, s[0:3], 0 offset:144
	buffer_load_dword v96, off, s[0:3], 0 offset:148
	s_waitcnt vmcnt(28)
	v_fma_f64 v[97:98], v[99:100], v[91:92], v[89:90]
	ds_read2_b64 v[89:92], v88 offset0:49 offset1:50
	s_clause 0x1
	buffer_load_dword v99, off, s[0:3], 0 offset:152
	buffer_load_dword v100, off, s[0:3], 0 offset:156
	;; [unrolled: 11-line block ×13, first 2 shown]
	s_waitcnt vmcnt(28) lgkmcnt(0)
	v_fma_f64 v[91:92], v[115:116], v[91:92], v[109:110]
	s_clause 0x1
	buffer_load_dword v109, off, s[0:3], 0 offset:336
	buffer_load_dword v110, off, s[0:3], 0 offset:340
	s_waitcnt vmcnt(28)
	v_fma_f64 v[113:114], v[113:114], v[93:94], v[91:92]
	ds_read2_b64 v[91:94], v88 offset0:73 offset1:74
	s_clause 0x1
	buffer_load_dword v115, off, s[0:3], 0
	buffer_load_dword v116, off, s[0:3], 0 offset:4
	s_waitcnt vmcnt(28) lgkmcnt(0)
	v_fma_f64 v[91:92], v[119:120], v[91:92], v[113:114]
	s_waitcnt vmcnt(26)
	v_fma_f64 v[113:114], v[117:118], v[93:94], v[91:92]
	ds_read2_b64 v[91:94], v88 offset0:75 offset1:76
	s_waitcnt vmcnt(24) lgkmcnt(0)
	v_fma_f64 v[91:92], v[121:122], v[91:92], v[113:114]
	s_waitcnt vmcnt(22)
	v_fma_f64 v[113:114], v[123:124], v[93:94], v[91:92]
	ds_read2_b64 v[91:94], v88 offset0:77 offset1:78
	;; [unrolled: 5-line block ×6, first 2 shown]
	s_waitcnt vmcnt(4) lgkmcnt(0)
	v_fma_f64 v[87:88], v[89:90], v[91:92], v[95:96]
	s_waitcnt vmcnt(2)
	v_fma_f64 v[87:88], v[109:110], v[93:94], v[87:88]
	s_waitcnt vmcnt(0)
	v_add_f64 v[87:88], v[115:116], -v[87:88]
	buffer_store_dword v88, off, s[0:3], 0 offset:4
	buffer_store_dword v87, off, s[0:3], 0
	s_cbranch_vccz .LBB42_352
; %bb.268:
	v_mov_b32_e32 v0, 0
	global_load_dword v87, v0, s[20:21] offset:164
	s_waitcnt vmcnt(0)
	v_add_nc_u32_e32 v87, -1, v87
	v_cmp_ne_u32_e32 vcc_lo, 41, v87
	s_cbranch_vccz .LBB42_270
; %bb.269:
	v_lshlrev_b32_e32 v87, 3, v87
	s_clause 0x1
	buffer_load_dword v88, v87, s[0:3], 0 offen
	buffer_load_dword v91, v87, s[0:3], 0 offen offset:4
	s_waitcnt vmcnt(1)
	buffer_store_dword v88, off, s[0:3], 0 offset:328
	s_waitcnt vmcnt(0)
	buffer_store_dword v91, off, s[0:3], 0 offset:332
	buffer_store_dword v89, v87, s[0:3], 0 offen
	buffer_store_dword v90, v87, s[0:3], 0 offen offset:4
.LBB42_270:
	global_load_dword v0, v0, s[20:21] offset:160
	s_waitcnt vmcnt(0)
	v_add_nc_u32_e32 v0, -1, v0
	v_cmp_eq_u32_e32 vcc_lo, 40, v0
	s_cbranch_vccnz .LBB42_272
; %bb.271:
	v_lshlrev_b32_e32 v0, 3, v0
	s_clause 0x3
	buffer_load_dword v87, v0, s[0:3], 0 offen
	buffer_load_dword v88, v0, s[0:3], 0 offen offset:4
	buffer_load_dword v89, off, s[0:3], 0 offset:324
	buffer_load_dword v90, off, s[0:3], 0 offset:320
	s_waitcnt vmcnt(3)
	buffer_store_dword v87, off, s[0:3], 0 offset:320
	s_waitcnt vmcnt(2)
	buffer_store_dword v88, off, s[0:3], 0 offset:324
	s_waitcnt vmcnt(1)
	buffer_store_dword v89, v0, s[0:3], 0 offen offset:4
	s_waitcnt vmcnt(0)
	buffer_store_dword v90, v0, s[0:3], 0 offen
.LBB42_272:
	v_mov_b32_e32 v0, 0
	global_load_dword v87, v0, s[20:21] offset:156
	s_waitcnt vmcnt(0)
	v_add_nc_u32_e32 v87, -1, v87
	v_cmp_eq_u32_e32 vcc_lo, 39, v87
	s_cbranch_vccnz .LBB42_274
; %bb.273:
	v_lshlrev_b32_e32 v87, 3, v87
	s_clause 0x3
	buffer_load_dword v88, v87, s[0:3], 0 offen
	buffer_load_dword v89, v87, s[0:3], 0 offen offset:4
	buffer_load_dword v90, off, s[0:3], 0 offset:312
	buffer_load_dword v91, off, s[0:3], 0 offset:316
	s_waitcnt vmcnt(3)
	buffer_store_dword v88, off, s[0:3], 0 offset:312
	s_waitcnt vmcnt(2)
	buffer_store_dword v89, off, s[0:3], 0 offset:316
	s_waitcnt vmcnt(1)
	buffer_store_dword v90, v87, s[0:3], 0 offen
	s_waitcnt vmcnt(0)
	buffer_store_dword v91, v87, s[0:3], 0 offen offset:4
.LBB42_274:
	global_load_dword v0, v0, s[20:21] offset:152
	s_waitcnt vmcnt(0)
	v_add_nc_u32_e32 v0, -1, v0
	v_cmp_eq_u32_e32 vcc_lo, 38, v0
	s_cbranch_vccnz .LBB42_276
; %bb.275:
	v_lshlrev_b32_e32 v0, 3, v0
	s_clause 0x3
	buffer_load_dword v87, v0, s[0:3], 0 offen
	buffer_load_dword v88, v0, s[0:3], 0 offen offset:4
	buffer_load_dword v89, off, s[0:3], 0 offset:308
	buffer_load_dword v90, off, s[0:3], 0 offset:304
	s_waitcnt vmcnt(3)
	buffer_store_dword v87, off, s[0:3], 0 offset:304
	s_waitcnt vmcnt(2)
	buffer_store_dword v88, off, s[0:3], 0 offset:308
	s_waitcnt vmcnt(1)
	buffer_store_dword v89, v0, s[0:3], 0 offen offset:4
	s_waitcnt vmcnt(0)
	buffer_store_dword v90, v0, s[0:3], 0 offen
.LBB42_276:
	v_mov_b32_e32 v0, 0
	global_load_dword v87, v0, s[20:21] offset:148
	s_waitcnt vmcnt(0)
	v_add_nc_u32_e32 v87, -1, v87
	v_cmp_eq_u32_e32 vcc_lo, 37, v87
	s_cbranch_vccnz .LBB42_278
; %bb.277:
	v_lshlrev_b32_e32 v87, 3, v87
	s_clause 0x3
	buffer_load_dword v88, v87, s[0:3], 0 offen
	buffer_load_dword v89, v87, s[0:3], 0 offen offset:4
	buffer_load_dword v90, off, s[0:3], 0 offset:296
	buffer_load_dword v91, off, s[0:3], 0 offset:300
	s_waitcnt vmcnt(3)
	buffer_store_dword v88, off, s[0:3], 0 offset:296
	s_waitcnt vmcnt(2)
	buffer_store_dword v89, off, s[0:3], 0 offset:300
	s_waitcnt vmcnt(1)
	buffer_store_dword v90, v87, s[0:3], 0 offen
	s_waitcnt vmcnt(0)
	buffer_store_dword v91, v87, s[0:3], 0 offen offset:4
.LBB42_278:
	;; [unrolled: 43-line block ×20, first 2 shown]
	global_load_dword v0, v0, s[20:21]
	s_clause 0x1
	buffer_load_dword v87, off, s[0:3], 0
	buffer_load_dword v88, off, s[0:3], 0 offset:4
	s_waitcnt vmcnt(2)
	v_add_nc_u32_e32 v0, -1, v0
	v_cmp_eq_u32_e32 vcc_lo, 0, v0
	s_cbranch_vccnz .LBB42_352
; %bb.351:
	v_lshlrev_b32_e32 v0, 3, v0
	s_clause 0x1
	buffer_load_dword v89, v0, s[0:3], 0 offen offset:4
	buffer_load_dword v90, v0, s[0:3], 0 offen
	s_waitcnt vmcnt(1)
	buffer_store_dword v89, off, s[0:3], 0 offset:4
	s_waitcnt vmcnt(0)
	buffer_store_dword v90, off, s[0:3], 0
	buffer_store_dword v88, v0, s[0:3], 0 offen offset:4
	buffer_store_dword v87, v0, s[0:3], 0 offen
	s_clause 0x1
	buffer_load_dword v87, off, s[0:3], 0
	buffer_load_dword v88, off, s[0:3], 0 offset:4
.LBB42_352:
	s_clause 0x17
	buffer_load_dword v89, off, s[0:3], 0 offset:8
	buffer_load_dword v90, off, s[0:3], 0 offset:12
	;; [unrolled: 1-line block ×24, first 2 shown]
	s_waitcnt vmcnt(24)
	global_store_dwordx2 v[85:86], v[87:88], off
	s_clause 0xf
	buffer_load_dword v85, off, s[0:3], 0 offset:104
	buffer_load_dword v86, off, s[0:3], 0 offset:108
	;; [unrolled: 1-line block ×16, first 2 shown]
	s_waitcnt vmcnt(38)
	global_store_dwordx2 v[49:50], v[89:90], off
	s_waitcnt vmcnt(36)
	global_store_dwordx2 v[41:42], v[91:92], off
	s_clause 0x7
	buffer_load_dword v41, off, s[0:3], 0 offset:168
	buffer_load_dword v42, off, s[0:3], 0 offset:172
	buffer_load_dword v49, off, s[0:3], 0 offset:176
	buffer_load_dword v50, off, s[0:3], 0 offset:180
	buffer_load_dword v89, off, s[0:3], 0 offset:184
	buffer_load_dword v90, off, s[0:3], 0 offset:188
	buffer_load_dword v91, off, s[0:3], 0 offset:192
	buffer_load_dword v92, off, s[0:3], 0 offset:196
	s_waitcnt vmcnt(42)
	global_store_dwordx2 v[27:28], v[93:94], off
	s_waitcnt vmcnt(40)
	global_store_dwordx2 v[29:30], v[95:96], off
	s_clause 0x7
	buffer_load_dword v27, off, s[0:3], 0 offset:200
	buffer_load_dword v28, off, s[0:3], 0 offset:204
	buffer_load_dword v29, off, s[0:3], 0 offset:208
	buffer_load_dword v30, off, s[0:3], 0 offset:212
	buffer_load_dword v93, off, s[0:3], 0 offset:216
	buffer_load_dword v94, off, s[0:3], 0 offset:220
	buffer_load_dword v95, off, s[0:3], 0 offset:224
	buffer_load_dword v96, off, s[0:3], 0 offset:228
	;; [unrolled: 13-line block ×5, first 2 shown]
	s_waitcnt vmcnt(58)
	global_store_dwordx2 v[5:6], v[109:110], off
	s_clause 0x3
	buffer_load_dword v5, off, s[0:3], 0 offset:328
	buffer_load_dword v6, off, s[0:3], 0 offset:332
	;; [unrolled: 1-line block ×4, first 2 shown]
	s_waitcnt vmcnt(60)
	global_store_dwordx2 v[1:2], v[111:112], off
	s_waitcnt vmcnt(58)
	global_store_dwordx2 v[9:10], v[85:86], off
	;; [unrolled: 2-line block ×31, first 2 shown]
	s_endpgm
	.section	.rodata,"a",@progbits
	.p2align	6, 0x0
	.amdhsa_kernel _ZN9rocsolver6v33100L18getri_kernel_smallILi43EdPdEEvT1_iilPiilS4_bb
		.amdhsa_group_segment_fixed_size 696
		.amdhsa_private_segment_fixed_size 352
		.amdhsa_kernarg_size 60
		.amdhsa_user_sgpr_count 6
		.amdhsa_user_sgpr_private_segment_buffer 1
		.amdhsa_user_sgpr_dispatch_ptr 0
		.amdhsa_user_sgpr_queue_ptr 0
		.amdhsa_user_sgpr_kernarg_segment_ptr 1
		.amdhsa_user_sgpr_dispatch_id 0
		.amdhsa_user_sgpr_flat_scratch_init 0
		.amdhsa_user_sgpr_private_segment_size 0
		.amdhsa_wavefront_size32 1
		.amdhsa_uses_dynamic_stack 0
		.amdhsa_system_sgpr_private_segment_wavefront_offset 1
		.amdhsa_system_sgpr_workgroup_id_x 1
		.amdhsa_system_sgpr_workgroup_id_y 0
		.amdhsa_system_sgpr_workgroup_id_z 0
		.amdhsa_system_sgpr_workgroup_info 0
		.amdhsa_system_vgpr_workitem_id 0
		.amdhsa_next_free_vgpr 125
		.amdhsa_next_free_sgpr 23
		.amdhsa_reserve_vcc 1
		.amdhsa_reserve_flat_scratch 0
		.amdhsa_float_round_mode_32 0
		.amdhsa_float_round_mode_16_64 0
		.amdhsa_float_denorm_mode_32 3
		.amdhsa_float_denorm_mode_16_64 3
		.amdhsa_dx10_clamp 1
		.amdhsa_ieee_mode 1
		.amdhsa_fp16_overflow 0
		.amdhsa_workgroup_processor_mode 1
		.amdhsa_memory_ordered 1
		.amdhsa_forward_progress 1
		.amdhsa_shared_vgpr_count 0
		.amdhsa_exception_fp_ieee_invalid_op 0
		.amdhsa_exception_fp_denorm_src 0
		.amdhsa_exception_fp_ieee_div_zero 0
		.amdhsa_exception_fp_ieee_overflow 0
		.amdhsa_exception_fp_ieee_underflow 0
		.amdhsa_exception_fp_ieee_inexact 0
		.amdhsa_exception_int_div_zero 0
	.end_amdhsa_kernel
	.section	.text._ZN9rocsolver6v33100L18getri_kernel_smallILi43EdPdEEvT1_iilPiilS4_bb,"axG",@progbits,_ZN9rocsolver6v33100L18getri_kernel_smallILi43EdPdEEvT1_iilPiilS4_bb,comdat
.Lfunc_end42:
	.size	_ZN9rocsolver6v33100L18getri_kernel_smallILi43EdPdEEvT1_iilPiilS4_bb, .Lfunc_end42-_ZN9rocsolver6v33100L18getri_kernel_smallILi43EdPdEEvT1_iilPiilS4_bb
                                        ; -- End function
	.set _ZN9rocsolver6v33100L18getri_kernel_smallILi43EdPdEEvT1_iilPiilS4_bb.num_vgpr, 125
	.set _ZN9rocsolver6v33100L18getri_kernel_smallILi43EdPdEEvT1_iilPiilS4_bb.num_agpr, 0
	.set _ZN9rocsolver6v33100L18getri_kernel_smallILi43EdPdEEvT1_iilPiilS4_bb.numbered_sgpr, 23
	.set _ZN9rocsolver6v33100L18getri_kernel_smallILi43EdPdEEvT1_iilPiilS4_bb.num_named_barrier, 0
	.set _ZN9rocsolver6v33100L18getri_kernel_smallILi43EdPdEEvT1_iilPiilS4_bb.private_seg_size, 352
	.set _ZN9rocsolver6v33100L18getri_kernel_smallILi43EdPdEEvT1_iilPiilS4_bb.uses_vcc, 1
	.set _ZN9rocsolver6v33100L18getri_kernel_smallILi43EdPdEEvT1_iilPiilS4_bb.uses_flat_scratch, 0
	.set _ZN9rocsolver6v33100L18getri_kernel_smallILi43EdPdEEvT1_iilPiilS4_bb.has_dyn_sized_stack, 0
	.set _ZN9rocsolver6v33100L18getri_kernel_smallILi43EdPdEEvT1_iilPiilS4_bb.has_recursion, 0
	.set _ZN9rocsolver6v33100L18getri_kernel_smallILi43EdPdEEvT1_iilPiilS4_bb.has_indirect_call, 0
	.section	.AMDGPU.csdata,"",@progbits
; Kernel info:
; codeLenInByte = 54932
; TotalNumSgprs: 25
; NumVgprs: 125
; ScratchSize: 352
; MemoryBound: 1
; FloatMode: 240
; IeeeMode: 1
; LDSByteSize: 696 bytes/workgroup (compile time only)
; SGPRBlocks: 0
; VGPRBlocks: 15
; NumSGPRsForWavesPerEU: 25
; NumVGPRsForWavesPerEU: 125
; Occupancy: 8
; WaveLimiterHint : 1
; COMPUTE_PGM_RSRC2:SCRATCH_EN: 1
; COMPUTE_PGM_RSRC2:USER_SGPR: 6
; COMPUTE_PGM_RSRC2:TRAP_HANDLER: 0
; COMPUTE_PGM_RSRC2:TGID_X_EN: 1
; COMPUTE_PGM_RSRC2:TGID_Y_EN: 0
; COMPUTE_PGM_RSRC2:TGID_Z_EN: 0
; COMPUTE_PGM_RSRC2:TIDIG_COMP_CNT: 0
	.section	.text._ZN9rocsolver6v33100L18getri_kernel_smallILi44EdPdEEvT1_iilPiilS4_bb,"axG",@progbits,_ZN9rocsolver6v33100L18getri_kernel_smallILi44EdPdEEvT1_iilPiilS4_bb,comdat
	.globl	_ZN9rocsolver6v33100L18getri_kernel_smallILi44EdPdEEvT1_iilPiilS4_bb ; -- Begin function _ZN9rocsolver6v33100L18getri_kernel_smallILi44EdPdEEvT1_iilPiilS4_bb
	.p2align	8
	.type	_ZN9rocsolver6v33100L18getri_kernel_smallILi44EdPdEEvT1_iilPiilS4_bb,@function
_ZN9rocsolver6v33100L18getri_kernel_smallILi44EdPdEEvT1_iilPiilS4_bb: ; @_ZN9rocsolver6v33100L18getri_kernel_smallILi44EdPdEEvT1_iilPiilS4_bb
; %bb.0:
	s_add_u32 s0, s0, s7
	s_addc_u32 s1, s1, 0
	s_mov_b32 s7, exec_lo
	v_cmpx_gt_u32_e32 44, v0
	s_cbranch_execz .LBB43_186
; %bb.1:
	s_clause 0x2
	s_load_dword s7, s[4:5], 0x38
	s_load_dwordx4 s[16:19], s[4:5], 0x10
	s_load_dwordx4 s[8:11], s[4:5], 0x28
                                        ; implicit-def: $sgpr20_sgpr21
	s_waitcnt lgkmcnt(0)
	s_bitcmp1_b32 s7, 8
	s_cselect_b32 s22, -1, 0
	s_bfe_u32 s12, s7, 0x10008
	s_ashr_i32 s7, s6, 31
	s_cmp_eq_u32 s12, 0
	s_cbranch_scc1 .LBB43_3
; %bb.2:
	s_load_dword s12, s[4:5], 0x20
	s_mul_i32 s13, s8, s7
	s_mul_hi_u32 s14, s8, s6
	s_mul_i32 s9, s9, s6
	s_add_i32 s13, s14, s13
	s_mul_i32 s8, s8, s6
	s_add_i32 s9, s13, s9
	s_lshl_b64 s[8:9], s[8:9], 2
	s_waitcnt lgkmcnt(0)
	s_ashr_i32 s13, s12, 31
	s_add_u32 s14, s18, s8
	s_addc_u32 s15, s19, s9
	s_lshl_b64 s[8:9], s[12:13], 2
	s_add_u32 s20, s14, s8
	s_addc_u32 s21, s15, s9
.LBB43_3:
	s_clause 0x1
	s_load_dwordx4 s[12:15], s[4:5], 0x0
	s_load_dword s8, s[4:5], 0x38
	s_mul_i32 s4, s16, s7
	s_mul_hi_u32 s5, s16, s6
	s_mul_i32 s9, s17, s6
	s_add_i32 s5, s5, s4
	s_mul_i32 s4, s16, s6
	s_add_i32 s5, s5, s9
	v_lshlrev_b32_e32 v91, 3, v0
	s_lshl_b64 s[4:5], s[4:5], 3
	s_waitcnt lgkmcnt(0)
	v_add3_u32 v1, s15, s15, v0
	s_ashr_i32 s17, s14, 31
	s_mov_b32 s16, s14
	s_add_u32 s9, s12, s4
	s_addc_u32 s12, s13, s5
	v_add_nc_u32_e32 v3, s15, v1
	v_ashrrev_i32_e32 v2, 31, v1
	s_lshl_b64 s[4:5], s[16:17], 3
	s_add_u32 s4, s9, s4
	v_add_nc_u32_e32 v5, s15, v3
	v_ashrrev_i32_e32 v4, 31, v3
	v_lshlrev_b64 v[1:2], 3, v[1:2]
	s_addc_u32 s5, s12, s5
	v_add_co_u32 v87, s9, s4, v91
	v_add_nc_u32_e32 v7, s15, v5
	v_ashrrev_i32_e32 v6, 31, v5
	v_lshlrev_b64 v[3:4], 3, v[3:4]
	v_add_co_u32 v1, vcc_lo, s4, v1
	v_add_nc_u32_e32 v11, s15, v7
	v_ashrrev_i32_e32 v8, 31, v7
	v_lshlrev_b64 v[9:10], 3, v[5:6]
	v_add_co_ci_u32_e64 v2, null, s5, v2, vcc_lo
	v_add_nc_u32_e32 v13, s15, v11
	v_ashrrev_i32_e32 v12, 31, v11
	v_lshlrev_b64 v[7:8], 3, v[7:8]
	v_add_co_u32 v5, vcc_lo, s4, v3
	v_add_nc_u32_e32 v15, s15, v13
	v_lshlrev_b64 v[11:12], 3, v[11:12]
	v_ashrrev_i32_e32 v14, 31, v13
	v_add_co_ci_u32_e64 v6, null, s5, v4, vcc_lo
	v_add_nc_u32_e32 v17, s15, v15
	v_add_co_u32 v3, vcc_lo, s4, v9
	v_ashrrev_i32_e32 v16, 31, v15
	v_add_co_ci_u32_e64 v4, null, s5, v10, vcc_lo
	v_add_nc_u32_e32 v19, s15, v17
	v_add_co_u32 v9, vcc_lo, s4, v7
	v_ashrrev_i32_e32 v18, 31, v17
	v_add_co_ci_u32_e64 v10, null, s5, v8, vcc_lo
	v_add_nc_u32_e32 v21, s15, v19
	v_lshlrev_b64 v[13:14], 3, v[13:14]
	v_add_co_u32 v7, vcc_lo, s4, v11
	v_ashrrev_i32_e32 v20, 31, v19
	v_add_nc_u32_e32 v23, s15, v21
	v_add_co_ci_u32_e64 v8, null, s5, v12, vcc_lo
	v_lshlrev_b64 v[11:12], 3, v[15:16]
	v_ashrrev_i32_e32 v22, 31, v21
	v_add_nc_u32_e32 v25, s15, v23
	v_lshlrev_b64 v[17:18], 3, v[17:18]
	v_ashrrev_i32_e32 v24, 31, v23
	v_add_co_u32 v15, vcc_lo, s4, v13
	v_add_nc_u32_e32 v27, s15, v25
	v_lshlrev_b64 v[19:20], 3, v[19:20]
	v_add_co_ci_u32_e64 v16, null, s5, v14, vcc_lo
	v_add_co_u32 v13, vcc_lo, s4, v11
	v_add_nc_u32_e32 v29, s15, v27
	v_lshlrev_b64 v[21:22], 3, v[21:22]
	v_ashrrev_i32_e32 v26, 31, v25
	v_add_co_ci_u32_e64 v14, null, s5, v12, vcc_lo
	v_add_nc_u32_e32 v31, s15, v29
	v_add_co_u32 v11, vcc_lo, s4, v17
	v_lshlrev_b64 v[23:24], 3, v[23:24]
	v_ashrrev_i32_e32 v28, 31, v27
	v_add_nc_u32_e32 v33, s15, v31
	v_add_co_ci_u32_e64 v12, null, s5, v18, vcc_lo
	v_add_co_u32 v17, vcc_lo, s4, v19
	v_ashrrev_i32_e32 v30, 31, v29
	v_add_co_ci_u32_e64 v18, null, s5, v20, vcc_lo
	v_add_co_u32 v19, vcc_lo, s4, v21
	v_lshlrev_b64 v[25:26], 3, v[25:26]
	s_mov_b32 s12, s15
	s_ashr_i32 s13, s15, 31
	v_add_nc_u32_e32 v35, s15, v33
	v_add_co_ci_u32_e64 v88, null, s5, 0, s9
	v_ashrrev_i32_e32 v32, 31, v31
	v_add_co_ci_u32_e64 v20, null, s5, v22, vcc_lo
	v_add_co_u32 v21, vcc_lo, s4, v23
	s_lshl_b64 s[12:13], s[12:13], 3
	v_lshlrev_b64 v[27:28], 3, v[27:28]
	v_ashrrev_i32_e32 v34, 31, v33
	v_add_co_ci_u32_e64 v22, null, s5, v24, vcc_lo
	v_add_co_u32 v49, vcc_lo, v87, s12
	v_lshlrev_b64 v[29:30], 3, v[29:30]
	v_ashrrev_i32_e32 v36, 31, v35
	v_add_co_ci_u32_e64 v50, null, s13, v88, vcc_lo
	v_add_co_u32 v23, vcc_lo, s4, v25
	v_lshlrev_b64 v[31:32], 3, v[31:32]
	v_add_co_ci_u32_e64 v24, null, s5, v26, vcc_lo
	v_add_co_u32 v25, vcc_lo, s4, v27
	v_lshlrev_b64 v[33:34], 3, v[33:34]
	;; [unrolled: 3-line block ×3, first 2 shown]
	v_add_co_ci_u32_e64 v28, null, s5, v30, vcc_lo
	v_add_co_u32 v29, vcc_lo, s4, v31
	v_add_co_ci_u32_e64 v30, null, s5, v32, vcc_lo
	v_add_co_u32 v31, vcc_lo, s4, v33
	;; [unrolled: 2-line block ×3, first 2 shown]
	s_clause 0x6
	global_load_dwordx2 v[89:90], v91, s[4:5]
	global_load_dwordx2 v[92:93], v[49:50], off
	global_load_dwordx2 v[94:95], v[1:2], off
	;; [unrolled: 1-line block ×6, first 2 shown]
	v_add_co_ci_u32_e64 v34, null, s5, v37, vcc_lo
	s_clause 0xb
	global_load_dwordx2 v[104:105], v[15:16], off
	global_load_dwordx2 v[106:107], v[13:14], off
	;; [unrolled: 1-line block ×12, first 2 shown]
	v_add_nc_u32_e32 v35, s15, v35
	s_bitcmp0_b32 s8, 0
	v_add_nc_u32_e32 v37, s15, v35
	v_ashrrev_i32_e32 v36, 31, v35
	v_add_nc_u32_e32 v39, s15, v37
	v_ashrrev_i32_e32 v38, 31, v37
	v_lshlrev_b64 v[35:36], 3, v[35:36]
	v_add_nc_u32_e32 v41, s15, v39
	v_ashrrev_i32_e32 v40, 31, v39
	v_lshlrev_b64 v[37:38], 3, v[37:38]
	v_add_co_u32 v35, vcc_lo, s4, v35
	v_add_nc_u32_e32 v43, s15, v41
	v_ashrrev_i32_e32 v42, 31, v41
	v_lshlrev_b64 v[39:40], 3, v[39:40]
	v_add_co_ci_u32_e64 v36, null, s5, v36, vcc_lo
	v_add_nc_u32_e32 v45, s15, v43
	v_ashrrev_i32_e32 v44, 31, v43
	v_lshlrev_b64 v[41:42], 3, v[41:42]
	v_add_co_u32 v37, vcc_lo, s4, v37
	v_add_nc_u32_e32 v47, s15, v45
	v_ashrrev_i32_e32 v46, 31, v45
	v_lshlrev_b64 v[43:44], 3, v[43:44]
	v_add_co_ci_u32_e64 v38, null, s5, v38, vcc_lo
	v_add_nc_u32_e32 v51, s15, v47
	v_ashrrev_i32_e32 v48, 31, v47
	v_add_co_u32 v39, vcc_lo, s4, v39
	v_lshlrev_b64 v[45:46], 3, v[45:46]
	v_add_nc_u32_e32 v53, s15, v51
	v_ashrrev_i32_e32 v52, 31, v51
	v_add_co_ci_u32_e64 v40, null, s5, v40, vcc_lo
	v_add_co_u32 v41, vcc_lo, s4, v41
	v_add_nc_u32_e32 v55, s15, v53
	v_ashrrev_i32_e32 v54, 31, v53
	v_lshlrev_b64 v[47:48], 3, v[47:48]
	v_add_co_ci_u32_e64 v42, null, s5, v42, vcc_lo
	v_add_nc_u32_e32 v57, s15, v55
	v_ashrrev_i32_e32 v56, 31, v55
	v_add_co_u32 v43, vcc_lo, s4, v43
	v_lshlrev_b64 v[51:52], 3, v[51:52]
	v_add_nc_u32_e32 v59, s15, v57
	v_ashrrev_i32_e32 v58, 31, v57
	v_add_co_ci_u32_e64 v44, null, s5, v44, vcc_lo
	v_add_co_u32 v45, vcc_lo, s4, v45
	v_add_nc_u32_e32 v61, s15, v59
	v_lshlrev_b64 v[53:54], 3, v[53:54]
	v_ashrrev_i32_e32 v60, 31, v59
	v_add_co_ci_u32_e64 v46, null, s5, v46, vcc_lo
	v_add_nc_u32_e32 v63, s15, v61
	v_add_co_u32 v47, vcc_lo, s4, v47
	v_lshlrev_b64 v[55:56], 3, v[55:56]
	v_ashrrev_i32_e32 v62, 31, v61
	v_add_nc_u32_e32 v65, s15, v63
	v_add_co_ci_u32_e64 v48, null, s5, v48, vcc_lo
	v_add_co_u32 v51, vcc_lo, s4, v51
	v_add_nc_u32_e32 v67, s15, v65
	v_lshlrev_b64 v[57:58], 3, v[57:58]
	v_ashrrev_i32_e32 v64, 31, v63
	v_add_co_ci_u32_e64 v52, null, s5, v52, vcc_lo
	v_add_nc_u32_e32 v69, s15, v67
	v_add_co_u32 v53, vcc_lo, s4, v53
	v_lshlrev_b64 v[59:60], 3, v[59:60]
	v_ashrrev_i32_e32 v66, 31, v65
	v_add_nc_u32_e32 v71, s15, v69
	;; [unrolled: 11-line block ×3, first 2 shown]
	v_add_co_ci_u32_e64 v58, null, s5, v58, vcc_lo
	v_add_co_u32 v59, vcc_lo, s4, v59
	v_add_nc_u32_e32 v79, s15, v77
	v_lshlrev_b64 v[65:66], 3, v[65:66]
	v_ashrrev_i32_e32 v72, 31, v71
	v_add_co_ci_u32_e64 v60, null, s5, v60, vcc_lo
	v_add_nc_u32_e32 v81, s15, v79
	v_add_co_u32 v61, vcc_lo, s4, v61
	v_lshlrev_b64 v[67:68], 3, v[67:68]
	v_ashrrev_i32_e32 v74, 31, v73
	v_add_co_ci_u32_e64 v62, null, s5, v62, vcc_lo
	v_add_co_u32 v63, vcc_lo, s4, v63
	v_lshlrev_b64 v[69:70], 3, v[69:70]
	v_ashrrev_i32_e32 v76, 31, v75
	v_add_nc_u32_e32 v83, s15, v81
	v_add_co_ci_u32_e64 v64, null, s5, v64, vcc_lo
	v_add_co_u32 v65, vcc_lo, s4, v65
	v_lshlrev_b64 v[71:72], 3, v[71:72]
	v_ashrrev_i32_e32 v78, 31, v77
	v_add_co_ci_u32_e64 v66, null, s5, v66, vcc_lo
	v_add_co_u32 v67, vcc_lo, s4, v67
	v_lshlrev_b64 v[73:74], 3, v[73:74]
	v_ashrrev_i32_e32 v80, 31, v79
	v_add_co_ci_u32_e64 v68, null, s5, v68, vcc_lo
	v_add_co_u32 v69, vcc_lo, s4, v69
	v_lshlrev_b64 v[75:76], 3, v[75:76]
	v_add_nc_u32_e32 v85, s15, v83
	v_ashrrev_i32_e32 v82, 31, v81
	v_add_co_ci_u32_e64 v70, null, s5, v70, vcc_lo
	v_add_co_u32 v71, vcc_lo, s4, v71
	v_lshlrev_b64 v[77:78], 3, v[77:78]
	v_ashrrev_i32_e32 v84, 31, v83
	v_add_co_ci_u32_e64 v72, null, s5, v72, vcc_lo
	v_add_co_u32 v73, vcc_lo, s4, v73
	v_lshlrev_b64 v[79:80], 3, v[79:80]
	;; [unrolled: 4-line block ×3, first 2 shown]
	v_add_co_ci_u32_e64 v76, null, s5, v76, vcc_lo
	v_add_co_u32 v77, vcc_lo, s4, v77
	v_lshlrev_b64 v[83:84], 3, v[83:84]
	v_add_co_ci_u32_e64 v78, null, s5, v78, vcc_lo
	v_add_co_u32 v79, vcc_lo, s4, v79
	v_lshlrev_b64 v[132:133], 3, v[85:86]
	v_add_co_ci_u32_e64 v80, null, s5, v80, vcc_lo
	v_add_co_u32 v81, vcc_lo, s4, v81
	v_add_co_ci_u32_e64 v82, null, s5, v82, vcc_lo
	v_add_co_u32 v85, vcc_lo, s4, v83
	v_add_co_ci_u32_e64 v86, null, s5, v84, vcc_lo
	v_add_co_u32 v83, vcc_lo, s4, v132
	s_clause 0x1
	global_load_dwordx2 v[128:129], v[35:36], off
	global_load_dwordx2 v[130:131], v[37:38], off
	v_add_co_ci_u32_e64 v84, null, s5, v133, vcc_lo
	s_clause 0x3
	global_load_dwordx2 v[132:133], v[39:40], off
	global_load_dwordx2 v[134:135], v[41:42], off
	;; [unrolled: 1-line block ×4, first 2 shown]
	s_mov_b32 s5, -1
	s_waitcnt vmcnt(24)
	buffer_store_dword v90, off, s[0:3], 0 offset:4
	buffer_store_dword v89, off, s[0:3], 0
	s_waitcnt vmcnt(23)
	buffer_store_dword v93, off, s[0:3], 0 offset:12
	buffer_store_dword v92, off, s[0:3], 0 offset:8
	s_waitcnt vmcnt(22)
	buffer_store_dword v95, off, s[0:3], 0 offset:20
	buffer_store_dword v94, off, s[0:3], 0 offset:16
	s_waitcnt vmcnt(21)
	buffer_store_dword v97, off, s[0:3], 0 offset:28
	buffer_store_dword v96, off, s[0:3], 0 offset:24
	s_clause 0x3
	global_load_dwordx2 v[89:90], v[47:48], off
	global_load_dwordx2 v[92:93], v[51:52], off
	global_load_dwordx2 v[94:95], v[53:54], off
	global_load_dwordx2 v[96:97], v[55:56], off
	s_waitcnt vmcnt(24)
	buffer_store_dword v99, off, s[0:3], 0 offset:36
	buffer_store_dword v98, off, s[0:3], 0 offset:32
	s_waitcnt vmcnt(23)
	buffer_store_dword v101, off, s[0:3], 0 offset:44
	buffer_store_dword v100, off, s[0:3], 0 offset:40
	s_waitcnt vmcnt(22)
	buffer_store_dword v103, off, s[0:3], 0 offset:52
	buffer_store_dword v102, off, s[0:3], 0 offset:48
	s_waitcnt vmcnt(21)
	buffer_store_dword v105, off, s[0:3], 0 offset:60
	buffer_store_dword v104, off, s[0:3], 0 offset:56
	s_clause 0x3
	global_load_dwordx2 v[98:99], v[57:58], off
	global_load_dwordx2 v[100:101], v[59:60], off
	global_load_dwordx2 v[102:103], v[61:62], off
	global_load_dwordx2 v[104:105], v[63:64], off
	s_waitcnt vmcnt(24)
	buffer_store_dword v107, off, s[0:3], 0 offset:68
	buffer_store_dword v106, off, s[0:3], 0 offset:64
	;; [unrolled: 17-line block ×4, first 2 shown]
	s_waitcnt vmcnt(23)
	buffer_store_dword v124, off, s[0:3], 0 offset:136
	buffer_store_dword v125, off, s[0:3], 0 offset:140
	s_clause 0x1
	global_load_dwordx2 v[122:123], v[81:82], off
	global_load_dwordx2 v[124:125], v[85:86], off
	s_waitcnt vmcnt(24)
	buffer_store_dword v126, off, s[0:3], 0 offset:144
	buffer_store_dword v127, off, s[0:3], 0 offset:148
	global_load_dwordx2 v[126:127], v[83:84], off
	s_waitcnt vmcnt(24)
	buffer_store_dword v129, off, s[0:3], 0 offset:156
	buffer_store_dword v128, off, s[0:3], 0 offset:152
	s_waitcnt vmcnt(23)
	buffer_store_dword v131, off, s[0:3], 0 offset:164
	buffer_store_dword v130, off, s[0:3], 0 offset:160
	;; [unrolled: 3-line block ×25, first 2 shown]
	s_cbranch_scc1 .LBB43_184
; %bb.4:
	v_cmp_eq_u32_e64 s4, 0, v0
	s_and_saveexec_b32 s5, s4
; %bb.5:
	v_mov_b32_e32 v89, 0
	ds_write_b32 v89, v89 offset:704
; %bb.6:
	s_or_b32 exec_lo, exec_lo, s5
	v_lshl_add_u32 v89, v0, 3, 0
	s_waitcnt lgkmcnt(0)
	s_waitcnt_vscnt null, 0x0
	s_barrier
	buffer_gl0_inv
	s_mov_b32 s8, exec_lo
	s_clause 0x1
	buffer_load_dword v92, v89, s[0:3], 0 offen
	buffer_load_dword v93, v89, s[0:3], 0 offen offset:4
	s_waitcnt vmcnt(0)
	v_cmpx_eq_f64_e32 0, v[92:93]
	s_cbranch_execz .LBB43_10
; %bb.7:
	v_mov_b32_e32 v90, 0
	s_mov_b32 s9, 0
	ds_read_b32 v92, v90 offset:704
	s_waitcnt lgkmcnt(0)
	v_readfirstlane_b32 s5, v92
	v_add_nc_u32_e32 v92, 1, v0
	s_cmp_eq_u32 s5, 0
	v_cmp_gt_i32_e32 vcc_lo, s5, v92
	s_cselect_b32 s12, -1, 0
	s_or_b32 s12, s12, vcc_lo
	s_and_b32 exec_lo, exec_lo, s12
	s_cbranch_execz .LBB43_10
; %bb.8:
	v_mov_b32_e32 v93, s5
.LBB43_9:                               ; =>This Inner Loop Header: Depth=1
	ds_cmpst_rtn_b32 v93, v90, v93, v92 offset:704
	s_waitcnt lgkmcnt(0)
	v_cmp_ne_u32_e32 vcc_lo, 0, v93
	v_cmp_le_i32_e64 s5, v93, v92
	s_and_b32 s5, vcc_lo, s5
	s_and_b32 s5, exec_lo, s5
	s_or_b32 s9, s5, s9
	s_andn2_b32 exec_lo, exec_lo, s9
	s_cbranch_execnz .LBB43_9
.LBB43_10:
	s_or_b32 exec_lo, exec_lo, s8
	v_mov_b32_e32 v90, 0
	s_barrier
	buffer_gl0_inv
	ds_read_b32 v92, v90 offset:704
	s_and_saveexec_b32 s5, s4
	s_cbranch_execz .LBB43_12
; %bb.11:
	s_lshl_b64 s[8:9], s[6:7], 2
	s_add_u32 s8, s10, s8
	s_addc_u32 s9, s11, s9
	s_waitcnt lgkmcnt(0)
	global_store_dword v90, v92, s[8:9]
.LBB43_12:
	s_or_b32 exec_lo, exec_lo, s5
	s_waitcnt lgkmcnt(0)
	v_cmp_ne_u32_e32 vcc_lo, 0, v92
	s_mov_b32 s5, 0
	s_cbranch_vccnz .LBB43_184
; %bb.13:
	s_clause 0x1
	buffer_load_dword v92, v89, s[0:3], 0 offen
	buffer_load_dword v93, v89, s[0:3], 0 offen offset:4
	s_waitcnt vmcnt(0)
	v_div_scale_f64 v[94:95], null, v[92:93], v[92:93], 1.0
	v_div_scale_f64 v[100:101], vcc_lo, 1.0, v[92:93], 1.0
	v_rcp_f64_e32 v[96:97], v[94:95]
	v_fma_f64 v[98:99], -v[94:95], v[96:97], 1.0
	v_fma_f64 v[96:97], v[96:97], v[98:99], v[96:97]
	v_fma_f64 v[98:99], -v[94:95], v[96:97], 1.0
	v_fma_f64 v[96:97], v[96:97], v[98:99], v[96:97]
	v_mul_f64 v[98:99], v[100:101], v[96:97]
	v_fma_f64 v[94:95], -v[94:95], v[98:99], v[100:101]
	v_div_fmas_f64 v[94:95], v[94:95], v[96:97], v[98:99]
	v_div_fixup_f64 v[93:94], v[94:95], v[92:93], 1.0
	v_add_nc_u32_e32 v92, 0x160, v91
	buffer_store_dword v94, v89, s[0:3], 0 offen offset:4
	buffer_store_dword v93, v89, s[0:3], 0 offen
	s_clause 0x1
	buffer_load_dword v96, off, s[0:3], 0 offset:12
	buffer_load_dword v95, off, s[0:3], 0 offset:8
	v_xor_b32_e32 v94, 0x80000000, v94
	s_waitcnt vmcnt(0)
	ds_write2_b64 v91, v[93:94], v[95:96] offset1:44
	s_waitcnt lgkmcnt(0)
	s_waitcnt_vscnt null, 0x0
	s_barrier
	buffer_gl0_inv
	s_and_saveexec_b32 s5, s4
	s_cbranch_execz .LBB43_15
; %bb.14:
	s_clause 0x1
	buffer_load_dword v93, v89, s[0:3], 0 offen
	buffer_load_dword v94, v89, s[0:3], 0 offen offset:4
	ds_read_b64 v[95:96], v92
	v_mov_b32_e32 v90, 0
	ds_read_b64 v[97:98], v90 offset:8
	s_waitcnt vmcnt(0) lgkmcnt(1)
	v_fma_f64 v[93:94], v[93:94], v[95:96], 0
	s_waitcnt lgkmcnt(0)
	v_mul_f64 v[93:94], v[93:94], v[97:98]
	buffer_store_dword v93, off, s[0:3], 0 offset:8
	buffer_store_dword v94, off, s[0:3], 0 offset:12
.LBB43_15:
	s_or_b32 exec_lo, exec_lo, s5
	s_waitcnt_vscnt null, 0x0
	s_barrier
	buffer_gl0_inv
	s_clause 0x1
	buffer_load_dword v93, off, s[0:3], 0 offset:16
	buffer_load_dword v94, off, s[0:3], 0 offset:20
	s_mov_b32 s5, exec_lo
	s_waitcnt vmcnt(0)
	ds_write_b64 v92, v[93:94]
	s_waitcnt lgkmcnt(0)
	s_barrier
	buffer_gl0_inv
	v_cmpx_gt_u32_e32 2, v0
	s_cbranch_execz .LBB43_19
; %bb.16:
	s_clause 0x1
	buffer_load_dword v93, v89, s[0:3], 0 offen
	buffer_load_dword v94, v89, s[0:3], 0 offen offset:4
	ds_read_b64 v[89:90], v92
	s_waitcnt vmcnt(0) lgkmcnt(0)
	v_fma_f64 v[89:90], v[93:94], v[89:90], 0
	s_and_saveexec_b32 s8, s4
	s_cbranch_execz .LBB43_18
; %bb.17:
	s_clause 0x1
	buffer_load_dword v93, off, s[0:3], 0 offset:8
	buffer_load_dword v94, off, s[0:3], 0 offset:12
	v_mov_b32_e32 v95, 0
	ds_read_b64 v[95:96], v95 offset:360
	s_waitcnt vmcnt(0) lgkmcnt(0)
	v_fma_f64 v[89:90], v[93:94], v[95:96], v[89:90]
.LBB43_18:
	s_or_b32 exec_lo, exec_lo, s8
	v_mov_b32_e32 v93, 0
	ds_read_b64 v[93:94], v93 offset:16
	s_waitcnt lgkmcnt(0)
	v_mul_f64 v[89:90], v[89:90], v[93:94]
	buffer_store_dword v90, off, s[0:3], 0 offset:20
	buffer_store_dword v89, off, s[0:3], 0 offset:16
.LBB43_19:
	s_or_b32 exec_lo, exec_lo, s5
	s_waitcnt_vscnt null, 0x0
	s_barrier
	buffer_gl0_inv
	s_clause 0x1
	buffer_load_dword v89, off, s[0:3], 0 offset:24
	buffer_load_dword v90, off, s[0:3], 0 offset:28
	v_add_nc_u32_e32 v93, -1, v0
	s_mov_b32 s4, exec_lo
	s_waitcnt vmcnt(0)
	ds_write_b64 v92, v[89:90]
	s_waitcnt lgkmcnt(0)
	s_barrier
	buffer_gl0_inv
	v_cmpx_gt_u32_e32 3, v0
	s_cbranch_execz .LBB43_23
; %bb.20:
	v_mov_b32_e32 v89, 0
	v_add_nc_u32_e32 v94, -1, v0
	v_add_nc_u32_e32 v95, 0x160, v91
	v_mov_b32_e32 v90, 0
	v_mov_b32_e32 v96, v91
	s_mov_b32 s5, 0
.LBB43_21:                              ; =>This Inner Loop Header: Depth=1
	s_clause 0x1
	buffer_load_dword v97, v96, s[0:3], 0 offen
	buffer_load_dword v98, v96, s[0:3], 0 offen offset:4
	ds_read_b64 v[99:100], v95
	v_add_nc_u32_e32 v94, 1, v94
	v_add_nc_u32_e32 v95, 8, v95
	v_add_nc_u32_e32 v96, 8, v96
	v_cmp_lt_u32_e32 vcc_lo, 1, v94
	s_or_b32 s5, vcc_lo, s5
	s_waitcnt vmcnt(0) lgkmcnt(0)
	v_fma_f64 v[89:90], v[97:98], v[99:100], v[89:90]
	s_andn2_b32 exec_lo, exec_lo, s5
	s_cbranch_execnz .LBB43_21
; %bb.22:
	s_or_b32 exec_lo, exec_lo, s5
	v_mov_b32_e32 v94, 0
	ds_read_b64 v[94:95], v94 offset:24
	s_waitcnt lgkmcnt(0)
	v_mul_f64 v[89:90], v[89:90], v[94:95]
	buffer_store_dword v90, off, s[0:3], 0 offset:28
	buffer_store_dword v89, off, s[0:3], 0 offset:24
.LBB43_23:
	s_or_b32 exec_lo, exec_lo, s4
	s_waitcnt_vscnt null, 0x0
	s_barrier
	buffer_gl0_inv
	s_clause 0x1
	buffer_load_dword v89, off, s[0:3], 0 offset:32
	buffer_load_dword v90, off, s[0:3], 0 offset:36
	s_mov_b32 s4, exec_lo
	s_waitcnt vmcnt(0)
	ds_write_b64 v92, v[89:90]
	s_waitcnt lgkmcnt(0)
	s_barrier
	buffer_gl0_inv
	v_cmpx_gt_u32_e32 4, v0
	s_cbranch_execz .LBB43_27
; %bb.24:
	v_mov_b32_e32 v89, 0
	v_add_nc_u32_e32 v94, -1, v0
	v_add_nc_u32_e32 v95, 0x160, v91
	v_mov_b32_e32 v90, 0
	v_mov_b32_e32 v96, v91
	s_mov_b32 s5, 0
.LBB43_25:                              ; =>This Inner Loop Header: Depth=1
	s_clause 0x1
	buffer_load_dword v97, v96, s[0:3], 0 offen
	buffer_load_dword v98, v96, s[0:3], 0 offen offset:4
	ds_read_b64 v[99:100], v95
	v_add_nc_u32_e32 v94, 1, v94
	v_add_nc_u32_e32 v95, 8, v95
	v_add_nc_u32_e32 v96, 8, v96
	v_cmp_lt_u32_e32 vcc_lo, 2, v94
	s_or_b32 s5, vcc_lo, s5
	s_waitcnt vmcnt(0) lgkmcnt(0)
	v_fma_f64 v[89:90], v[97:98], v[99:100], v[89:90]
	s_andn2_b32 exec_lo, exec_lo, s5
	s_cbranch_execnz .LBB43_25
; %bb.26:
	s_or_b32 exec_lo, exec_lo, s5
	v_mov_b32_e32 v94, 0
	ds_read_b64 v[94:95], v94 offset:32
	s_waitcnt lgkmcnt(0)
	v_mul_f64 v[89:90], v[89:90], v[94:95]
	buffer_store_dword v90, off, s[0:3], 0 offset:36
	buffer_store_dword v89, off, s[0:3], 0 offset:32
.LBB43_27:
	s_or_b32 exec_lo, exec_lo, s4
	s_waitcnt_vscnt null, 0x0
	s_barrier
	buffer_gl0_inv
	s_clause 0x1
	buffer_load_dword v89, off, s[0:3], 0 offset:40
	buffer_load_dword v90, off, s[0:3], 0 offset:44
	;; [unrolled: 45-line block ×20, first 2 shown]
	s_mov_b32 s4, exec_lo
	s_waitcnt vmcnt(0)
	ds_write_b64 v92, v[89:90]
	s_waitcnt lgkmcnt(0)
	s_barrier
	buffer_gl0_inv
	v_cmpx_gt_u32_e32 23, v0
	s_cbranch_execz .LBB43_103
; %bb.100:
	v_mov_b32_e32 v89, 0
	v_add_nc_u32_e32 v94, -1, v0
	v_add_nc_u32_e32 v95, 0x160, v91
	v_mov_b32_e32 v90, 0
	v_mov_b32_e32 v96, v91
	s_mov_b32 s5, 0
.LBB43_101:                             ; =>This Inner Loop Header: Depth=1
	s_clause 0x1
	buffer_load_dword v97, v96, s[0:3], 0 offen
	buffer_load_dword v98, v96, s[0:3], 0 offen offset:4
	ds_read_b64 v[99:100], v95
	v_add_nc_u32_e32 v94, 1, v94
	v_add_nc_u32_e32 v95, 8, v95
	v_add_nc_u32_e32 v96, 8, v96
	v_cmp_lt_u32_e32 vcc_lo, 21, v94
	s_or_b32 s5, vcc_lo, s5
	s_waitcnt vmcnt(0) lgkmcnt(0)
	v_fma_f64 v[89:90], v[97:98], v[99:100], v[89:90]
	s_andn2_b32 exec_lo, exec_lo, s5
	s_cbranch_execnz .LBB43_101
; %bb.102:
	s_or_b32 exec_lo, exec_lo, s5
	v_mov_b32_e32 v94, 0
	ds_read_b64 v[94:95], v94 offset:184
	s_waitcnt lgkmcnt(0)
	v_mul_f64 v[89:90], v[89:90], v[94:95]
	buffer_store_dword v90, off, s[0:3], 0 offset:188
	buffer_store_dword v89, off, s[0:3], 0 offset:184
.LBB43_103:
	s_or_b32 exec_lo, exec_lo, s4
	s_waitcnt_vscnt null, 0x0
	s_barrier
	buffer_gl0_inv
	s_clause 0x1
	buffer_load_dword v89, off, s[0:3], 0 offset:192
	buffer_load_dword v90, off, s[0:3], 0 offset:196
	s_mov_b32 s4, exec_lo
	s_waitcnt vmcnt(0)
	ds_write_b64 v92, v[89:90]
	s_waitcnt lgkmcnt(0)
	s_barrier
	buffer_gl0_inv
	v_cmpx_gt_u32_e32 24, v0
	s_cbranch_execz .LBB43_107
; %bb.104:
	v_mov_b32_e32 v89, 0
	v_add_nc_u32_e32 v94, -1, v0
	v_add_nc_u32_e32 v95, 0x160, v91
	v_mov_b32_e32 v90, 0
	v_mov_b32_e32 v96, v91
	s_mov_b32 s5, 0
.LBB43_105:                             ; =>This Inner Loop Header: Depth=1
	s_clause 0x1
	buffer_load_dword v97, v96, s[0:3], 0 offen
	buffer_load_dword v98, v96, s[0:3], 0 offen offset:4
	ds_read_b64 v[99:100], v95
	v_add_nc_u32_e32 v94, 1, v94
	v_add_nc_u32_e32 v95, 8, v95
	v_add_nc_u32_e32 v96, 8, v96
	v_cmp_lt_u32_e32 vcc_lo, 22, v94
	s_or_b32 s5, vcc_lo, s5
	s_waitcnt vmcnt(0) lgkmcnt(0)
	v_fma_f64 v[89:90], v[97:98], v[99:100], v[89:90]
	s_andn2_b32 exec_lo, exec_lo, s5
	s_cbranch_execnz .LBB43_105
; %bb.106:
	s_or_b32 exec_lo, exec_lo, s5
	v_mov_b32_e32 v94, 0
	ds_read_b64 v[94:95], v94 offset:192
	s_waitcnt lgkmcnt(0)
	v_mul_f64 v[89:90], v[89:90], v[94:95]
	buffer_store_dword v90, off, s[0:3], 0 offset:196
	buffer_store_dword v89, off, s[0:3], 0 offset:192
.LBB43_107:
	s_or_b32 exec_lo, exec_lo, s4
	s_waitcnt_vscnt null, 0x0
	s_barrier
	buffer_gl0_inv
	s_clause 0x1
	buffer_load_dword v89, off, s[0:3], 0 offset:200
	buffer_load_dword v90, off, s[0:3], 0 offset:204
	;; [unrolled: 45-line block ×20, first 2 shown]
	s_mov_b32 s4, exec_lo
	s_waitcnt vmcnt(0)
	ds_write_b64 v92, v[89:90]
	s_waitcnt lgkmcnt(0)
	s_barrier
	buffer_gl0_inv
	v_cmpx_ne_u32_e32 43, v0
	s_cbranch_execz .LBB43_183
; %bb.180:
	v_mov_b32_e32 v89, 0
	v_mov_b32_e32 v90, 0
	s_mov_b32 s5, 0
.LBB43_181:                             ; =>This Inner Loop Header: Depth=1
	s_clause 0x1
	buffer_load_dword v94, v91, s[0:3], 0 offen
	buffer_load_dword v95, v91, s[0:3], 0 offen offset:4
	ds_read_b64 v[96:97], v92
	v_add_nc_u32_e32 v93, 1, v93
	v_add_nc_u32_e32 v92, 8, v92
	;; [unrolled: 1-line block ×3, first 2 shown]
	v_cmp_lt_u32_e32 vcc_lo, 41, v93
	s_or_b32 s5, vcc_lo, s5
	s_waitcnt vmcnt(0) lgkmcnt(0)
	v_fma_f64 v[89:90], v[94:95], v[96:97], v[89:90]
	s_andn2_b32 exec_lo, exec_lo, s5
	s_cbranch_execnz .LBB43_181
; %bb.182:
	s_or_b32 exec_lo, exec_lo, s5
	v_mov_b32_e32 v91, 0
	ds_read_b64 v[91:92], v91 offset:344
	s_waitcnt lgkmcnt(0)
	v_mul_f64 v[89:90], v[89:90], v[91:92]
	buffer_store_dword v90, off, s[0:3], 0 offset:348
	buffer_store_dword v89, off, s[0:3], 0 offset:344
.LBB43_183:
	s_or_b32 exec_lo, exec_lo, s4
	s_mov_b32 s5, -1
	s_waitcnt_vscnt null, 0x0
	s_barrier
	buffer_gl0_inv
.LBB43_184:
	s_and_b32 vcc_lo, exec_lo, s5
	s_cbranch_vccz .LBB43_186
; %bb.185:
	s_lshl_b64 s[4:5], s[6:7], 2
	v_mov_b32_e32 v89, 0
	s_add_u32 s4, s10, s4
	s_addc_u32 s5, s11, s5
	global_load_dword v89, v89, s[4:5]
	s_waitcnt vmcnt(0)
	v_cmp_ne_u32_e32 vcc_lo, 0, v89
	s_cbranch_vccz .LBB43_187
.LBB43_186:
	s_endpgm
.LBB43_187:
	v_lshl_add_u32 v89, v0, 3, 0x160
	s_mov_b32 s4, exec_lo
	v_cmpx_eq_u32_e32 43, v0
	s_cbranch_execz .LBB43_189
; %bb.188:
	s_clause 0x1
	buffer_load_dword v90, off, s[0:3], 0 offset:336
	buffer_load_dword v91, off, s[0:3], 0 offset:340
	v_mov_b32_e32 v92, 0
	buffer_store_dword v92, off, s[0:3], 0 offset:336
	buffer_store_dword v92, off, s[0:3], 0 offset:340
	s_waitcnt vmcnt(0)
	ds_write_b64 v89, v[90:91]
.LBB43_189:
	s_or_b32 exec_lo, exec_lo, s4
	s_waitcnt lgkmcnt(0)
	s_waitcnt_vscnt null, 0x0
	s_barrier
	buffer_gl0_inv
	s_clause 0x3
	buffer_load_dword v91, off, s[0:3], 0 offset:344
	buffer_load_dword v92, off, s[0:3], 0 offset:348
	;; [unrolled: 1-line block ×4, first 2 shown]
	v_mov_b32_e32 v90, 0
	s_mov_b32 s4, exec_lo
	ds_read_b64 v[95:96], v90 offset:696
	s_waitcnt vmcnt(2) lgkmcnt(0)
	v_fma_f64 v[91:92], v[91:92], v[95:96], 0
	s_waitcnt vmcnt(0)
	v_add_f64 v[91:92], v[93:94], -v[91:92]
	buffer_store_dword v91, off, s[0:3], 0 offset:336
	buffer_store_dword v92, off, s[0:3], 0 offset:340
	v_cmpx_lt_u32_e32 41, v0
	s_cbranch_execz .LBB43_191
; %bb.190:
	s_clause 0x1
	buffer_load_dword v91, off, s[0:3], 0 offset:328
	buffer_load_dword v92, off, s[0:3], 0 offset:332
	buffer_store_dword v90, off, s[0:3], 0 offset:328
	buffer_store_dword v90, off, s[0:3], 0 offset:332
	s_waitcnt vmcnt(0)
	ds_write_b64 v89, v[91:92]
.LBB43_191:
	s_or_b32 exec_lo, exec_lo, s4
	s_waitcnt lgkmcnt(0)
	s_waitcnt_vscnt null, 0x0
	s_barrier
	buffer_gl0_inv
	s_clause 0x5
	buffer_load_dword v94, off, s[0:3], 0 offset:336
	buffer_load_dword v95, off, s[0:3], 0 offset:340
	buffer_load_dword v96, off, s[0:3], 0 offset:344
	buffer_load_dword v97, off, s[0:3], 0 offset:348
	buffer_load_dword v98, off, s[0:3], 0 offset:328
	buffer_load_dword v99, off, s[0:3], 0 offset:332
	ds_read_b128 v[90:93], v90 offset:688
	s_mov_b32 s4, exec_lo
	s_waitcnt vmcnt(4) lgkmcnt(0)
	v_fma_f64 v[90:91], v[94:95], v[90:91], 0
	s_waitcnt vmcnt(2)
	v_fma_f64 v[90:91], v[96:97], v[92:93], v[90:91]
	s_waitcnt vmcnt(0)
	v_add_f64 v[90:91], v[98:99], -v[90:91]
	buffer_store_dword v90, off, s[0:3], 0 offset:328
	buffer_store_dword v91, off, s[0:3], 0 offset:332
	v_cmpx_lt_u32_e32 40, v0
	s_cbranch_execz .LBB43_193
; %bb.192:
	s_clause 0x1
	buffer_load_dword v90, off, s[0:3], 0 offset:320
	buffer_load_dword v91, off, s[0:3], 0 offset:324
	v_mov_b32_e32 v92, 0
	buffer_store_dword v92, off, s[0:3], 0 offset:320
	buffer_store_dword v92, off, s[0:3], 0 offset:324
	s_waitcnt vmcnt(0)
	ds_write_b64 v89, v[90:91]
.LBB43_193:
	s_or_b32 exec_lo, exec_lo, s4
	s_waitcnt lgkmcnt(0)
	s_waitcnt_vscnt null, 0x0
	s_barrier
	buffer_gl0_inv
	s_clause 0x7
	buffer_load_dword v95, off, s[0:3], 0 offset:328
	buffer_load_dword v96, off, s[0:3], 0 offset:332
	;; [unrolled: 1-line block ×8, first 2 shown]
	v_mov_b32_e32 v90, 0
	ds_read2_b64 v[91:94], v90 offset0:85 offset1:86
	ds_read_b64 v[103:104], v90 offset:696
	s_mov_b32 s4, exec_lo
	s_waitcnt vmcnt(6) lgkmcnt(1)
	v_fma_f64 v[91:92], v[95:96], v[91:92], 0
	s_waitcnt vmcnt(4)
	v_fma_f64 v[91:92], v[97:98], v[93:94], v[91:92]
	s_waitcnt vmcnt(2) lgkmcnt(0)
	v_fma_f64 v[91:92], v[99:100], v[103:104], v[91:92]
	s_waitcnt vmcnt(0)
	v_add_f64 v[91:92], v[101:102], -v[91:92]
	buffer_store_dword v91, off, s[0:3], 0 offset:320
	buffer_store_dword v92, off, s[0:3], 0 offset:324
	v_cmpx_lt_u32_e32 39, v0
	s_cbranch_execz .LBB43_195
; %bb.194:
	s_clause 0x1
	buffer_load_dword v91, off, s[0:3], 0 offset:312
	buffer_load_dword v92, off, s[0:3], 0 offset:316
	buffer_store_dword v90, off, s[0:3], 0 offset:312
	buffer_store_dword v90, off, s[0:3], 0 offset:316
	s_waitcnt vmcnt(0)
	ds_write_b64 v89, v[91:92]
.LBB43_195:
	s_or_b32 exec_lo, exec_lo, s4
	s_waitcnt lgkmcnt(0)
	s_waitcnt_vscnt null, 0x0
	s_barrier
	buffer_gl0_inv
	s_clause 0x9
	buffer_load_dword v99, off, s[0:3], 0 offset:320
	buffer_load_dword v100, off, s[0:3], 0 offset:324
	;; [unrolled: 1-line block ×10, first 2 shown]
	ds_read_b128 v[91:94], v90 offset:672
	ds_read_b128 v[95:98], v90 offset:688
	s_mov_b32 s4, exec_lo
	s_waitcnt vmcnt(8) lgkmcnt(1)
	v_fma_f64 v[90:91], v[99:100], v[91:92], 0
	s_waitcnt vmcnt(6)
	v_fma_f64 v[90:91], v[101:102], v[93:94], v[90:91]
	s_waitcnt vmcnt(4) lgkmcnt(0)
	v_fma_f64 v[90:91], v[103:104], v[95:96], v[90:91]
	s_waitcnt vmcnt(2)
	v_fma_f64 v[90:91], v[105:106], v[97:98], v[90:91]
	s_waitcnt vmcnt(0)
	v_add_f64 v[90:91], v[107:108], -v[90:91]
	buffer_store_dword v90, off, s[0:3], 0 offset:312
	buffer_store_dword v91, off, s[0:3], 0 offset:316
	v_cmpx_lt_u32_e32 38, v0
	s_cbranch_execz .LBB43_197
; %bb.196:
	s_clause 0x1
	buffer_load_dword v90, off, s[0:3], 0 offset:304
	buffer_load_dword v91, off, s[0:3], 0 offset:308
	v_mov_b32_e32 v92, 0
	buffer_store_dword v92, off, s[0:3], 0 offset:304
	buffer_store_dword v92, off, s[0:3], 0 offset:308
	s_waitcnt vmcnt(0)
	ds_write_b64 v89, v[90:91]
.LBB43_197:
	s_or_b32 exec_lo, exec_lo, s4
	s_waitcnt lgkmcnt(0)
	s_waitcnt_vscnt null, 0x0
	s_barrier
	buffer_gl0_inv
	s_clause 0xb
	buffer_load_dword v99, off, s[0:3], 0 offset:312
	buffer_load_dword v100, off, s[0:3], 0 offset:316
	;; [unrolled: 1-line block ×12, first 2 shown]
	v_mov_b32_e32 v90, 0
	ds_read2_b64 v[91:94], v90 offset0:83 offset1:84
	ds_read2_b64 v[95:98], v90 offset0:85 offset1:86
	s_mov_b32 s4, exec_lo
	s_waitcnt vmcnt(10) lgkmcnt(1)
	v_fma_f64 v[91:92], v[99:100], v[91:92], 0
	s_waitcnt vmcnt(8)
	v_fma_f64 v[91:92], v[101:102], v[93:94], v[91:92]
	ds_read_b64 v[93:94], v90 offset:696
	s_waitcnt vmcnt(6) lgkmcnt(1)
	v_fma_f64 v[91:92], v[103:104], v[95:96], v[91:92]
	s_waitcnt vmcnt(4)
	v_fma_f64 v[91:92], v[105:106], v[97:98], v[91:92]
	s_waitcnt vmcnt(2) lgkmcnt(0)
	v_fma_f64 v[91:92], v[107:108], v[93:94], v[91:92]
	s_waitcnt vmcnt(0)
	v_add_f64 v[91:92], v[109:110], -v[91:92]
	buffer_store_dword v91, off, s[0:3], 0 offset:304
	buffer_store_dword v92, off, s[0:3], 0 offset:308
	v_cmpx_lt_u32_e32 37, v0
	s_cbranch_execz .LBB43_199
; %bb.198:
	s_clause 0x1
	buffer_load_dword v91, off, s[0:3], 0 offset:296
	buffer_load_dword v92, off, s[0:3], 0 offset:300
	buffer_store_dword v90, off, s[0:3], 0 offset:296
	buffer_store_dword v90, off, s[0:3], 0 offset:300
	s_waitcnt vmcnt(0)
	ds_write_b64 v89, v[91:92]
.LBB43_199:
	s_or_b32 exec_lo, exec_lo, s4
	s_waitcnt lgkmcnt(0)
	s_waitcnt_vscnt null, 0x0
	s_barrier
	buffer_gl0_inv
	s_clause 0xd
	buffer_load_dword v99, off, s[0:3], 0 offset:304
	buffer_load_dword v100, off, s[0:3], 0 offset:308
	;; [unrolled: 1-line block ×14, first 2 shown]
	ds_read_b128 v[91:94], v90 offset:656
	ds_read_b128 v[95:98], v90 offset:672
	s_mov_b32 s4, exec_lo
	s_waitcnt vmcnt(12) lgkmcnt(1)
	v_fma_f64 v[91:92], v[99:100], v[91:92], 0
	s_waitcnt vmcnt(10)
	v_fma_f64 v[91:92], v[101:102], v[93:94], v[91:92]
	s_waitcnt vmcnt(8) lgkmcnt(0)
	v_fma_f64 v[91:92], v[103:104], v[95:96], v[91:92]
	s_waitcnt vmcnt(6)
	v_fma_f64 v[94:95], v[105:106], v[97:98], v[91:92]
	ds_read_b128 v[90:93], v90 offset:688
	s_waitcnt vmcnt(4) lgkmcnt(0)
	v_fma_f64 v[90:91], v[107:108], v[90:91], v[94:95]
	s_waitcnt vmcnt(2)
	v_fma_f64 v[90:91], v[109:110], v[92:93], v[90:91]
	s_waitcnt vmcnt(0)
	v_add_f64 v[90:91], v[111:112], -v[90:91]
	buffer_store_dword v90, off, s[0:3], 0 offset:296
	buffer_store_dword v91, off, s[0:3], 0 offset:300
	v_cmpx_lt_u32_e32 36, v0
	s_cbranch_execz .LBB43_201
; %bb.200:
	s_clause 0x1
	buffer_load_dword v90, off, s[0:3], 0 offset:288
	buffer_load_dword v91, off, s[0:3], 0 offset:292
	v_mov_b32_e32 v92, 0
	buffer_store_dword v92, off, s[0:3], 0 offset:288
	buffer_store_dword v92, off, s[0:3], 0 offset:292
	s_waitcnt vmcnt(0)
	ds_write_b64 v89, v[90:91]
.LBB43_201:
	s_or_b32 exec_lo, exec_lo, s4
	s_waitcnt lgkmcnt(0)
	s_waitcnt_vscnt null, 0x0
	s_barrier
	buffer_gl0_inv
	s_clause 0xf
	buffer_load_dword v99, off, s[0:3], 0 offset:296
	buffer_load_dword v100, off, s[0:3], 0 offset:300
	;; [unrolled: 1-line block ×16, first 2 shown]
	v_mov_b32_e32 v90, 0
	ds_read2_b64 v[91:94], v90 offset0:81 offset1:82
	ds_read2_b64 v[95:98], v90 offset0:83 offset1:84
	s_mov_b32 s4, exec_lo
	s_waitcnt vmcnt(14) lgkmcnt(1)
	v_fma_f64 v[91:92], v[99:100], v[91:92], 0
	s_waitcnt vmcnt(12)
	v_fma_f64 v[91:92], v[101:102], v[93:94], v[91:92]
	s_waitcnt vmcnt(10) lgkmcnt(0)
	v_fma_f64 v[91:92], v[103:104], v[95:96], v[91:92]
	s_waitcnt vmcnt(8)
	v_fma_f64 v[95:96], v[105:106], v[97:98], v[91:92]
	ds_read2_b64 v[91:94], v90 offset0:85 offset1:86
	ds_read_b64 v[97:98], v90 offset:696
	s_waitcnt vmcnt(6) lgkmcnt(1)
	v_fma_f64 v[91:92], v[107:108], v[91:92], v[95:96]
	s_waitcnt vmcnt(4)
	v_fma_f64 v[91:92], v[109:110], v[93:94], v[91:92]
	s_waitcnt vmcnt(2) lgkmcnt(0)
	v_fma_f64 v[91:92], v[111:112], v[97:98], v[91:92]
	s_waitcnt vmcnt(0)
	v_add_f64 v[91:92], v[113:114], -v[91:92]
	buffer_store_dword v91, off, s[0:3], 0 offset:288
	buffer_store_dword v92, off, s[0:3], 0 offset:292
	v_cmpx_lt_u32_e32 35, v0
	s_cbranch_execz .LBB43_203
; %bb.202:
	s_clause 0x1
	buffer_load_dword v91, off, s[0:3], 0 offset:280
	buffer_load_dword v92, off, s[0:3], 0 offset:284
	buffer_store_dword v90, off, s[0:3], 0 offset:280
	buffer_store_dword v90, off, s[0:3], 0 offset:284
	s_waitcnt vmcnt(0)
	ds_write_b64 v89, v[91:92]
.LBB43_203:
	s_or_b32 exec_lo, exec_lo, s4
	s_waitcnt lgkmcnt(0)
	s_waitcnt_vscnt null, 0x0
	s_barrier
	buffer_gl0_inv
	s_clause 0x11
	buffer_load_dword v99, off, s[0:3], 0 offset:288
	buffer_load_dword v100, off, s[0:3], 0 offset:292
	;; [unrolled: 1-line block ×18, first 2 shown]
	ds_read_b128 v[91:94], v90 offset:640
	ds_read_b128 v[95:98], v90 offset:656
	s_mov_b32 s4, exec_lo
	s_waitcnt vmcnt(16) lgkmcnt(1)
	v_fma_f64 v[91:92], v[99:100], v[91:92], 0
	s_waitcnt vmcnt(14)
	v_fma_f64 v[91:92], v[101:102], v[93:94], v[91:92]
	s_waitcnt vmcnt(12) lgkmcnt(0)
	v_fma_f64 v[91:92], v[103:104], v[95:96], v[91:92]
	s_waitcnt vmcnt(10)
	v_fma_f64 v[99:100], v[105:106], v[97:98], v[91:92]
	ds_read_b128 v[91:94], v90 offset:672
	ds_read_b128 v[95:98], v90 offset:688
	s_waitcnt vmcnt(8) lgkmcnt(1)
	v_fma_f64 v[90:91], v[107:108], v[91:92], v[99:100]
	s_waitcnt vmcnt(6)
	v_fma_f64 v[90:91], v[109:110], v[93:94], v[90:91]
	s_waitcnt vmcnt(4) lgkmcnt(0)
	v_fma_f64 v[90:91], v[111:112], v[95:96], v[90:91]
	s_waitcnt vmcnt(2)
	v_fma_f64 v[90:91], v[113:114], v[97:98], v[90:91]
	s_waitcnt vmcnt(0)
	v_add_f64 v[90:91], v[115:116], -v[90:91]
	buffer_store_dword v90, off, s[0:3], 0 offset:280
	buffer_store_dword v91, off, s[0:3], 0 offset:284
	v_cmpx_lt_u32_e32 34, v0
	s_cbranch_execz .LBB43_205
; %bb.204:
	s_clause 0x1
	buffer_load_dword v90, off, s[0:3], 0 offset:272
	buffer_load_dword v91, off, s[0:3], 0 offset:276
	v_mov_b32_e32 v92, 0
	buffer_store_dword v92, off, s[0:3], 0 offset:272
	buffer_store_dword v92, off, s[0:3], 0 offset:276
	s_waitcnt vmcnt(0)
	ds_write_b64 v89, v[90:91]
.LBB43_205:
	s_or_b32 exec_lo, exec_lo, s4
	s_waitcnt lgkmcnt(0)
	s_waitcnt_vscnt null, 0x0
	s_barrier
	buffer_gl0_inv
	s_clause 0x13
	buffer_load_dword v99, off, s[0:3], 0 offset:280
	buffer_load_dword v100, off, s[0:3], 0 offset:284
	buffer_load_dword v101, off, s[0:3], 0 offset:288
	buffer_load_dword v102, off, s[0:3], 0 offset:292
	buffer_load_dword v103, off, s[0:3], 0 offset:296
	buffer_load_dword v104, off, s[0:3], 0 offset:300
	buffer_load_dword v105, off, s[0:3], 0 offset:304
	buffer_load_dword v106, off, s[0:3], 0 offset:308
	buffer_load_dword v107, off, s[0:3], 0 offset:312
	buffer_load_dword v108, off, s[0:3], 0 offset:316
	buffer_load_dword v109, off, s[0:3], 0 offset:320
	buffer_load_dword v110, off, s[0:3], 0 offset:324
	buffer_load_dword v111, off, s[0:3], 0 offset:328
	buffer_load_dword v112, off, s[0:3], 0 offset:332
	buffer_load_dword v114, off, s[0:3], 0 offset:340
	buffer_load_dword v115, off, s[0:3], 0 offset:344
	buffer_load_dword v113, off, s[0:3], 0 offset:336
	buffer_load_dword v116, off, s[0:3], 0 offset:348
	buffer_load_dword v117, off, s[0:3], 0 offset:272
	buffer_load_dword v118, off, s[0:3], 0 offset:276
	v_mov_b32_e32 v90, 0
	ds_read2_b64 v[91:94], v90 offset0:79 offset1:80
	ds_read2_b64 v[95:98], v90 offset0:81 offset1:82
	s_mov_b32 s4, exec_lo
	s_waitcnt vmcnt(18) lgkmcnt(1)
	v_fma_f64 v[91:92], v[99:100], v[91:92], 0
	s_waitcnt vmcnt(16)
	v_fma_f64 v[91:92], v[101:102], v[93:94], v[91:92]
	s_waitcnt vmcnt(14) lgkmcnt(0)
	v_fma_f64 v[91:92], v[103:104], v[95:96], v[91:92]
	s_waitcnt vmcnt(12)
	v_fma_f64 v[99:100], v[105:106], v[97:98], v[91:92]
	ds_read2_b64 v[91:94], v90 offset0:83 offset1:84
	ds_read2_b64 v[95:98], v90 offset0:85 offset1:86
	s_waitcnt vmcnt(10) lgkmcnt(1)
	v_fma_f64 v[91:92], v[107:108], v[91:92], v[99:100]
	s_waitcnt vmcnt(8)
	v_fma_f64 v[91:92], v[109:110], v[93:94], v[91:92]
	ds_read_b64 v[93:94], v90 offset:696
	s_waitcnt vmcnt(6) lgkmcnt(1)
	v_fma_f64 v[91:92], v[111:112], v[95:96], v[91:92]
	s_waitcnt vmcnt(3)
	v_fma_f64 v[91:92], v[113:114], v[97:98], v[91:92]
	s_waitcnt vmcnt(2) lgkmcnt(0)
	v_fma_f64 v[91:92], v[115:116], v[93:94], v[91:92]
	s_waitcnt vmcnt(0)
	v_add_f64 v[91:92], v[117:118], -v[91:92]
	buffer_store_dword v91, off, s[0:3], 0 offset:272
	buffer_store_dword v92, off, s[0:3], 0 offset:276
	v_cmpx_lt_u32_e32 33, v0
	s_cbranch_execz .LBB43_207
; %bb.206:
	s_clause 0x1
	buffer_load_dword v91, off, s[0:3], 0 offset:264
	buffer_load_dword v92, off, s[0:3], 0 offset:268
	buffer_store_dword v90, off, s[0:3], 0 offset:264
	buffer_store_dword v90, off, s[0:3], 0 offset:268
	s_waitcnt vmcnt(0)
	ds_write_b64 v89, v[91:92]
.LBB43_207:
	s_or_b32 exec_lo, exec_lo, s4
	s_waitcnt lgkmcnt(0)
	s_waitcnt_vscnt null, 0x0
	s_barrier
	buffer_gl0_inv
	s_clause 0x15
	buffer_load_dword v99, off, s[0:3], 0 offset:272
	buffer_load_dword v100, off, s[0:3], 0 offset:276
	;; [unrolled: 1-line block ×22, first 2 shown]
	ds_read_b128 v[91:94], v90 offset:624
	ds_read_b128 v[95:98], v90 offset:640
	s_mov_b32 s4, exec_lo
	s_waitcnt vmcnt(20) lgkmcnt(1)
	v_fma_f64 v[91:92], v[99:100], v[91:92], 0
	s_waitcnt vmcnt(18)
	v_fma_f64 v[91:92], v[101:102], v[93:94], v[91:92]
	s_waitcnt vmcnt(16) lgkmcnt(0)
	v_fma_f64 v[91:92], v[103:104], v[95:96], v[91:92]
	s_waitcnt vmcnt(14)
	v_fma_f64 v[99:100], v[105:106], v[97:98], v[91:92]
	ds_read_b128 v[91:94], v90 offset:656
	ds_read_b128 v[95:98], v90 offset:672
	s_waitcnt vmcnt(12) lgkmcnt(1)
	v_fma_f64 v[91:92], v[107:108], v[91:92], v[99:100]
	s_waitcnt vmcnt(10)
	v_fma_f64 v[91:92], v[109:110], v[93:94], v[91:92]
	s_waitcnt vmcnt(8) lgkmcnt(0)
	v_fma_f64 v[91:92], v[111:112], v[95:96], v[91:92]
	s_waitcnt vmcnt(4)
	v_fma_f64 v[94:95], v[113:114], v[97:98], v[91:92]
	ds_read_b128 v[90:93], v90 offset:688
	s_waitcnt vmcnt(3) lgkmcnt(0)
	v_fma_f64 v[90:91], v[117:118], v[90:91], v[94:95]
	s_waitcnt vmcnt(2)
	v_fma_f64 v[90:91], v[115:116], v[92:93], v[90:91]
	s_waitcnt vmcnt(0)
	v_add_f64 v[90:91], v[119:120], -v[90:91]
	buffer_store_dword v90, off, s[0:3], 0 offset:264
	buffer_store_dword v91, off, s[0:3], 0 offset:268
	v_cmpx_lt_u32_e32 32, v0
	s_cbranch_execz .LBB43_209
; %bb.208:
	s_clause 0x1
	buffer_load_dword v90, off, s[0:3], 0 offset:256
	buffer_load_dword v91, off, s[0:3], 0 offset:260
	v_mov_b32_e32 v92, 0
	buffer_store_dword v92, off, s[0:3], 0 offset:256
	buffer_store_dword v92, off, s[0:3], 0 offset:260
	s_waitcnt vmcnt(0)
	ds_write_b64 v89, v[90:91]
.LBB43_209:
	s_or_b32 exec_lo, exec_lo, s4
	s_waitcnt lgkmcnt(0)
	s_waitcnt_vscnt null, 0x0
	s_barrier
	buffer_gl0_inv
	s_clause 0x17
	buffer_load_dword v99, off, s[0:3], 0 offset:264
	buffer_load_dword v100, off, s[0:3], 0 offset:268
	;; [unrolled: 1-line block ×24, first 2 shown]
	v_mov_b32_e32 v90, 0
	ds_read2_b64 v[91:94], v90 offset0:77 offset1:78
	ds_read2_b64 v[95:98], v90 offset0:79 offset1:80
	s_mov_b32 s4, exec_lo
	s_waitcnt vmcnt(22) lgkmcnt(1)
	v_fma_f64 v[91:92], v[99:100], v[91:92], 0
	s_waitcnt vmcnt(20)
	v_fma_f64 v[91:92], v[101:102], v[93:94], v[91:92]
	s_waitcnt vmcnt(18) lgkmcnt(0)
	v_fma_f64 v[91:92], v[103:104], v[95:96], v[91:92]
	s_waitcnt vmcnt(16)
	v_fma_f64 v[99:100], v[105:106], v[97:98], v[91:92]
	ds_read2_b64 v[91:94], v90 offset0:81 offset1:82
	ds_read2_b64 v[95:98], v90 offset0:83 offset1:84
	s_waitcnt vmcnt(14) lgkmcnt(1)
	v_fma_f64 v[91:92], v[107:108], v[91:92], v[99:100]
	s_waitcnt vmcnt(12)
	v_fma_f64 v[91:92], v[109:110], v[93:94], v[91:92]
	s_waitcnt vmcnt(10) lgkmcnt(0)
	v_fma_f64 v[91:92], v[111:112], v[95:96], v[91:92]
	s_waitcnt vmcnt(5)
	v_fma_f64 v[95:96], v[113:114], v[97:98], v[91:92]
	ds_read2_b64 v[91:94], v90 offset0:85 offset1:86
	ds_read_b64 v[97:98], v90 offset:696
	s_waitcnt vmcnt(4) lgkmcnt(1)
	v_fma_f64 v[91:92], v[119:120], v[91:92], v[95:96]
	s_waitcnt vmcnt(3)
	v_fma_f64 v[91:92], v[117:118], v[93:94], v[91:92]
	s_waitcnt vmcnt(2) lgkmcnt(0)
	v_fma_f64 v[91:92], v[115:116], v[97:98], v[91:92]
	s_waitcnt vmcnt(0)
	v_add_f64 v[91:92], v[121:122], -v[91:92]
	buffer_store_dword v92, off, s[0:3], 0 offset:260
	buffer_store_dword v91, off, s[0:3], 0 offset:256
	v_cmpx_lt_u32_e32 31, v0
	s_cbranch_execz .LBB43_211
; %bb.210:
	s_clause 0x1
	buffer_load_dword v91, off, s[0:3], 0 offset:248
	buffer_load_dword v92, off, s[0:3], 0 offset:252
	buffer_store_dword v90, off, s[0:3], 0 offset:248
	buffer_store_dword v90, off, s[0:3], 0 offset:252
	s_waitcnt vmcnt(0)
	ds_write_b64 v89, v[91:92]
.LBB43_211:
	s_or_b32 exec_lo, exec_lo, s4
	s_waitcnt lgkmcnt(0)
	s_waitcnt_vscnt null, 0x0
	s_barrier
	buffer_gl0_inv
	s_clause 0x19
	buffer_load_dword v99, off, s[0:3], 0 offset:256
	buffer_load_dword v100, off, s[0:3], 0 offset:260
	buffer_load_dword v101, off, s[0:3], 0 offset:264
	buffer_load_dword v102, off, s[0:3], 0 offset:268
	buffer_load_dword v103, off, s[0:3], 0 offset:272
	buffer_load_dword v104, off, s[0:3], 0 offset:276
	buffer_load_dword v105, off, s[0:3], 0 offset:280
	buffer_load_dword v106, off, s[0:3], 0 offset:284
	buffer_load_dword v107, off, s[0:3], 0 offset:288
	buffer_load_dword v108, off, s[0:3], 0 offset:292
	buffer_load_dword v109, off, s[0:3], 0 offset:296
	buffer_load_dword v110, off, s[0:3], 0 offset:300
	buffer_load_dword v111, off, s[0:3], 0 offset:304
	buffer_load_dword v112, off, s[0:3], 0 offset:308
	buffer_load_dword v114, off, s[0:3], 0 offset:316
	buffer_load_dword v115, off, s[0:3], 0 offset:336
	buffer_load_dword v117, off, s[0:3], 0 offset:328
	buffer_load_dword v119, off, s[0:3], 0 offset:320
	buffer_load_dword v113, off, s[0:3], 0 offset:312
	buffer_load_dword v120, off, s[0:3], 0 offset:324
	buffer_load_dword v118, off, s[0:3], 0 offset:332
	buffer_load_dword v116, off, s[0:3], 0 offset:340
	buffer_load_dword v122, off, s[0:3], 0 offset:348
	buffer_load_dword v121, off, s[0:3], 0 offset:344
	buffer_load_dword v123, off, s[0:3], 0 offset:248
	buffer_load_dword v124, off, s[0:3], 0 offset:252
	ds_read_b128 v[91:94], v90 offset:608
	ds_read_b128 v[95:98], v90 offset:624
	s_mov_b32 s4, exec_lo
	s_waitcnt vmcnt(24) lgkmcnt(1)
	v_fma_f64 v[91:92], v[99:100], v[91:92], 0
	s_waitcnt vmcnt(22)
	v_fma_f64 v[91:92], v[101:102], v[93:94], v[91:92]
	s_waitcnt vmcnt(20) lgkmcnt(0)
	v_fma_f64 v[91:92], v[103:104], v[95:96], v[91:92]
	s_waitcnt vmcnt(18)
	v_fma_f64 v[99:100], v[105:106], v[97:98], v[91:92]
	ds_read_b128 v[91:94], v90 offset:640
	ds_read_b128 v[95:98], v90 offset:656
	s_waitcnt vmcnt(16) lgkmcnt(1)
	v_fma_f64 v[91:92], v[107:108], v[91:92], v[99:100]
	s_waitcnt vmcnt(14)
	v_fma_f64 v[91:92], v[109:110], v[93:94], v[91:92]
	s_waitcnt vmcnt(12) lgkmcnt(0)
	v_fma_f64 v[91:92], v[111:112], v[95:96], v[91:92]
	s_waitcnt vmcnt(7)
	v_fma_f64 v[99:100], v[113:114], v[97:98], v[91:92]
	ds_read_b128 v[91:94], v90 offset:672
	ds_read_b128 v[95:98], v90 offset:688
	s_waitcnt vmcnt(6) lgkmcnt(1)
	v_fma_f64 v[90:91], v[119:120], v[91:92], v[99:100]
	s_waitcnt vmcnt(5)
	v_fma_f64 v[90:91], v[117:118], v[93:94], v[90:91]
	s_waitcnt vmcnt(4) lgkmcnt(0)
	v_fma_f64 v[90:91], v[115:116], v[95:96], v[90:91]
	s_waitcnt vmcnt(2)
	v_fma_f64 v[90:91], v[121:122], v[97:98], v[90:91]
	s_waitcnt vmcnt(0)
	v_add_f64 v[90:91], v[123:124], -v[90:91]
	buffer_store_dword v91, off, s[0:3], 0 offset:252
	buffer_store_dword v90, off, s[0:3], 0 offset:248
	v_cmpx_lt_u32_e32 30, v0
	s_cbranch_execz .LBB43_213
; %bb.212:
	s_clause 0x1
	buffer_load_dword v90, off, s[0:3], 0 offset:240
	buffer_load_dword v91, off, s[0:3], 0 offset:244
	v_mov_b32_e32 v92, 0
	buffer_store_dword v92, off, s[0:3], 0 offset:240
	buffer_store_dword v92, off, s[0:3], 0 offset:244
	s_waitcnt vmcnt(0)
	ds_write_b64 v89, v[90:91]
.LBB43_213:
	s_or_b32 exec_lo, exec_lo, s4
	s_waitcnt lgkmcnt(0)
	s_waitcnt_vscnt null, 0x0
	s_barrier
	buffer_gl0_inv
	s_clause 0x1b
	buffer_load_dword v95, off, s[0:3], 0 offset:248
	buffer_load_dword v96, off, s[0:3], 0 offset:252
	;; [unrolled: 1-line block ×28, first 2 shown]
	v_mov_b32_e32 v90, 0
	s_mov_b32 s4, exec_lo
	ds_read2_b64 v[91:94], v90 offset0:75 offset1:76
	s_waitcnt vmcnt(26) lgkmcnt(0)
	v_fma_f64 v[91:92], v[95:96], v[91:92], 0
	s_waitcnt vmcnt(24)
	v_fma_f64 v[95:96], v[97:98], v[93:94], v[91:92]
	ds_read2_b64 v[91:94], v90 offset0:77 offset1:78
	s_waitcnt vmcnt(22) lgkmcnt(0)
	v_fma_f64 v[91:92], v[99:100], v[91:92], v[95:96]
	s_waitcnt vmcnt(20)
	v_fma_f64 v[95:96], v[101:102], v[93:94], v[91:92]
	;; [unrolled: 5-line block ×6, first 2 shown]
	ds_read_b64 v[93:94], v90 offset:696
	s_waitcnt vmcnt(2) lgkmcnt(0)
	v_fma_f64 v[91:92], v[119:120], v[93:94], v[91:92]
	s_waitcnt vmcnt(0)
	v_add_f64 v[91:92], v[121:122], -v[91:92]
	buffer_store_dword v92, off, s[0:3], 0 offset:244
	buffer_store_dword v91, off, s[0:3], 0 offset:240
	v_cmpx_lt_u32_e32 29, v0
	s_cbranch_execz .LBB43_215
; %bb.214:
	s_clause 0x1
	buffer_load_dword v91, off, s[0:3], 0 offset:232
	buffer_load_dword v92, off, s[0:3], 0 offset:236
	buffer_store_dword v90, off, s[0:3], 0 offset:232
	buffer_store_dword v90, off, s[0:3], 0 offset:236
	s_waitcnt vmcnt(0)
	ds_write_b64 v89, v[91:92]
.LBB43_215:
	s_or_b32 exec_lo, exec_lo, s4
	s_waitcnt lgkmcnt(0)
	s_waitcnt_vscnt null, 0x0
	s_barrier
	buffer_gl0_inv
	s_clause 0x1b
	buffer_load_dword v95, off, s[0:3], 0 offset:240
	buffer_load_dword v96, off, s[0:3], 0 offset:244
	;; [unrolled: 1-line block ×28, first 2 shown]
	ds_read_b128 v[91:94], v90 offset:592
	s_clause 0x1
	buffer_load_dword v123, off, s[0:3], 0 offset:232
	buffer_load_dword v124, off, s[0:3], 0 offset:236
	s_mov_b32 s4, exec_lo
	s_waitcnt vmcnt(28) lgkmcnt(0)
	v_fma_f64 v[91:92], v[95:96], v[91:92], 0
	s_waitcnt vmcnt(26)
	v_fma_f64 v[95:96], v[97:98], v[93:94], v[91:92]
	ds_read_b128 v[91:94], v90 offset:608
	s_waitcnt vmcnt(24) lgkmcnt(0)
	v_fma_f64 v[91:92], v[99:100], v[91:92], v[95:96]
	s_waitcnt vmcnt(22)
	v_fma_f64 v[95:96], v[101:102], v[93:94], v[91:92]
	ds_read_b128 v[91:94], v90 offset:624
	;; [unrolled: 5-line block ×6, first 2 shown]
	s_waitcnt vmcnt(4) lgkmcnt(0)
	v_fma_f64 v[90:91], v[119:120], v[90:91], v[94:95]
	s_waitcnt vmcnt(2)
	v_fma_f64 v[90:91], v[121:122], v[92:93], v[90:91]
	s_waitcnt vmcnt(0)
	v_add_f64 v[90:91], v[123:124], -v[90:91]
	buffer_store_dword v91, off, s[0:3], 0 offset:236
	buffer_store_dword v90, off, s[0:3], 0 offset:232
	v_cmpx_lt_u32_e32 28, v0
	s_cbranch_execz .LBB43_217
; %bb.216:
	s_clause 0x1
	buffer_load_dword v90, off, s[0:3], 0 offset:224
	buffer_load_dword v91, off, s[0:3], 0 offset:228
	v_mov_b32_e32 v92, 0
	buffer_store_dword v92, off, s[0:3], 0 offset:224
	buffer_store_dword v92, off, s[0:3], 0 offset:228
	s_waitcnt vmcnt(0)
	ds_write_b64 v89, v[90:91]
.LBB43_217:
	s_or_b32 exec_lo, exec_lo, s4
	s_waitcnt lgkmcnt(0)
	s_waitcnt_vscnt null, 0x0
	s_barrier
	buffer_gl0_inv
	s_clause 0x1b
	buffer_load_dword v95, off, s[0:3], 0 offset:232
	buffer_load_dword v96, off, s[0:3], 0 offset:236
	;; [unrolled: 1-line block ×28, first 2 shown]
	v_mov_b32_e32 v90, 0
	s_mov_b32 s4, exec_lo
	ds_read2_b64 v[91:94], v90 offset0:73 offset1:74
	s_clause 0x1
	buffer_load_dword v123, off, s[0:3], 0 offset:344
	buffer_load_dword v124, off, s[0:3], 0 offset:348
	s_waitcnt vmcnt(28) lgkmcnt(0)
	v_fma_f64 v[91:92], v[95:96], v[91:92], 0
	s_clause 0x1
	buffer_load_dword v95, off, s[0:3], 0 offset:224
	buffer_load_dword v96, off, s[0:3], 0 offset:228
	s_waitcnt vmcnt(28)
	v_fma_f64 v[97:98], v[97:98], v[93:94], v[91:92]
	ds_read2_b64 v[91:94], v90 offset0:75 offset1:76
	s_waitcnt vmcnt(26) lgkmcnt(0)
	v_fma_f64 v[91:92], v[99:100], v[91:92], v[97:98]
	s_waitcnt vmcnt(24)
	v_fma_f64 v[97:98], v[101:102], v[93:94], v[91:92]
	ds_read2_b64 v[91:94], v90 offset0:77 offset1:78
	s_waitcnt vmcnt(22) lgkmcnt(0)
	v_fma_f64 v[91:92], v[103:104], v[91:92], v[97:98]
	;; [unrolled: 5-line block ×6, first 2 shown]
	s_waitcnt vmcnt(4)
	v_fma_f64 v[91:92], v[121:122], v[93:94], v[91:92]
	ds_read_b64 v[93:94], v90 offset:696
	s_waitcnt vmcnt(2) lgkmcnt(0)
	v_fma_f64 v[91:92], v[123:124], v[93:94], v[91:92]
	s_waitcnt vmcnt(0)
	v_add_f64 v[91:92], v[95:96], -v[91:92]
	buffer_store_dword v92, off, s[0:3], 0 offset:228
	buffer_store_dword v91, off, s[0:3], 0 offset:224
	v_cmpx_lt_u32_e32 27, v0
	s_cbranch_execz .LBB43_219
; %bb.218:
	s_clause 0x1
	buffer_load_dword v91, off, s[0:3], 0 offset:216
	buffer_load_dword v92, off, s[0:3], 0 offset:220
	buffer_store_dword v90, off, s[0:3], 0 offset:216
	buffer_store_dword v90, off, s[0:3], 0 offset:220
	s_waitcnt vmcnt(0)
	ds_write_b64 v89, v[91:92]
.LBB43_219:
	s_or_b32 exec_lo, exec_lo, s4
	s_waitcnt lgkmcnt(0)
	s_waitcnt_vscnt null, 0x0
	s_barrier
	buffer_gl0_inv
	s_clause 0x1b
	buffer_load_dword v95, off, s[0:3], 0 offset:224
	buffer_load_dword v96, off, s[0:3], 0 offset:228
	;; [unrolled: 1-line block ×28, first 2 shown]
	ds_read_b128 v[91:94], v90 offset:576
	s_clause 0x1
	buffer_load_dword v123, off, s[0:3], 0 offset:336
	buffer_load_dword v124, off, s[0:3], 0 offset:340
	s_mov_b32 s4, exec_lo
	s_waitcnt vmcnt(28) lgkmcnt(0)
	v_fma_f64 v[91:92], v[95:96], v[91:92], 0
	s_clause 0x1
	buffer_load_dword v96, off, s[0:3], 0 offset:348
	buffer_load_dword v95, off, s[0:3], 0 offset:344
	s_waitcnt vmcnt(28)
	v_fma_f64 v[97:98], v[97:98], v[93:94], v[91:92]
	ds_read_b128 v[91:94], v90 offset:592
	s_clause 0x1
	buffer_load_dword v125, off, s[0:3], 0 offset:216
	buffer_load_dword v126, off, s[0:3], 0 offset:220
	s_waitcnt vmcnt(28) lgkmcnt(0)
	v_fma_f64 v[91:92], v[99:100], v[91:92], v[97:98]
	s_waitcnt vmcnt(26)
	v_fma_f64 v[97:98], v[101:102], v[93:94], v[91:92]
	ds_read_b128 v[91:94], v90 offset:608
	s_waitcnt vmcnt(24) lgkmcnt(0)
	v_fma_f64 v[91:92], v[103:104], v[91:92], v[97:98]
	s_waitcnt vmcnt(22)
	v_fma_f64 v[97:98], v[105:106], v[93:94], v[91:92]
	ds_read_b128 v[91:94], v90 offset:624
	;; [unrolled: 5-line block ×6, first 2 shown]
	s_waitcnt vmcnt(4) lgkmcnt(0)
	v_fma_f64 v[90:91], v[123:124], v[90:91], v[97:98]
	s_waitcnt vmcnt(2)
	v_fma_f64 v[90:91], v[95:96], v[92:93], v[90:91]
	s_waitcnt vmcnt(0)
	v_add_f64 v[90:91], v[125:126], -v[90:91]
	buffer_store_dword v91, off, s[0:3], 0 offset:220
	buffer_store_dword v90, off, s[0:3], 0 offset:216
	v_cmpx_lt_u32_e32 26, v0
	s_cbranch_execz .LBB43_221
; %bb.220:
	s_clause 0x1
	buffer_load_dword v90, off, s[0:3], 0 offset:208
	buffer_load_dword v91, off, s[0:3], 0 offset:212
	v_mov_b32_e32 v92, 0
	buffer_store_dword v92, off, s[0:3], 0 offset:208
	buffer_store_dword v92, off, s[0:3], 0 offset:212
	s_waitcnt vmcnt(0)
	ds_write_b64 v89, v[90:91]
.LBB43_221:
	s_or_b32 exec_lo, exec_lo, s4
	s_waitcnt lgkmcnt(0)
	s_waitcnt_vscnt null, 0x0
	s_barrier
	buffer_gl0_inv
	s_clause 0x1c
	buffer_load_dword v99, off, s[0:3], 0 offset:216
	buffer_load_dword v100, off, s[0:3], 0 offset:220
	buffer_load_dword v101, off, s[0:3], 0 offset:224
	buffer_load_dword v102, off, s[0:3], 0 offset:228
	buffer_load_dword v103, off, s[0:3], 0 offset:232
	buffer_load_dword v104, off, s[0:3], 0 offset:236
	buffer_load_dword v105, off, s[0:3], 0 offset:240
	buffer_load_dword v106, off, s[0:3], 0 offset:244
	buffer_load_dword v107, off, s[0:3], 0 offset:248
	buffer_load_dword v108, off, s[0:3], 0 offset:252
	buffer_load_dword v109, off, s[0:3], 0 offset:256
	buffer_load_dword v110, off, s[0:3], 0 offset:260
	buffer_load_dword v111, off, s[0:3], 0 offset:264
	buffer_load_dword v112, off, s[0:3], 0 offset:268
	buffer_load_dword v114, off, s[0:3], 0 offset:276
	buffer_load_dword v115, off, s[0:3], 0 offset:296
	buffer_load_dword v117, off, s[0:3], 0 offset:288
	buffer_load_dword v119, off, s[0:3], 0 offset:280
	buffer_load_dword v113, off, s[0:3], 0 offset:272
	buffer_load_dword v120, off, s[0:3], 0 offset:284
	buffer_load_dword v118, off, s[0:3], 0 offset:292
	buffer_load_dword v116, off, s[0:3], 0 offset:300
	buffer_load_dword v122, off, s[0:3], 0 offset:308
	buffer_load_dword v123, off, s[0:3], 0 offset:328
	buffer_load_dword v125, off, s[0:3], 0 offset:320
	buffer_load_dword v127, off, s[0:3], 0 offset:312
	buffer_load_dword v121, off, s[0:3], 0 offset:304
	buffer_load_dword v128, off, s[0:3], 0 offset:316
	buffer_load_dword v126, off, s[0:3], 0 offset:324
	v_mov_b32_e32 v90, 0
	buffer_load_dword v124, off, s[0:3], 0 offset:332
	s_mov_b32 s4, exec_lo
	ds_read2_b64 v[91:94], v90 offset0:71 offset1:72
	ds_read2_b64 v[95:98], v90 offset0:73 offset1:74
	s_waitcnt vmcnt(28) lgkmcnt(1)
	v_fma_f64 v[91:92], v[99:100], v[91:92], 0
	s_clause 0x3
	buffer_load_dword v100, off, s[0:3], 0 offset:340
	buffer_load_dword v129, off, s[0:3], 0 offset:344
	buffer_load_dword v99, off, s[0:3], 0 offset:336
	buffer_load_dword v130, off, s[0:3], 0 offset:348
	s_waitcnt vmcnt(30)
	v_fma_f64 v[91:92], v[101:102], v[93:94], v[91:92]
	s_clause 0x1
	buffer_load_dword v101, off, s[0:3], 0 offset:208
	buffer_load_dword v102, off, s[0:3], 0 offset:212
	s_waitcnt vmcnt(30) lgkmcnt(0)
	v_fma_f64 v[91:92], v[103:104], v[95:96], v[91:92]
	s_waitcnt vmcnt(28)
	v_fma_f64 v[103:104], v[105:106], v[97:98], v[91:92]
	ds_read2_b64 v[91:94], v90 offset0:75 offset1:76
	ds_read2_b64 v[95:98], v90 offset0:77 offset1:78
	s_waitcnt vmcnt(26) lgkmcnt(1)
	v_fma_f64 v[91:92], v[107:108], v[91:92], v[103:104]
	s_waitcnt vmcnt(24)
	v_fma_f64 v[91:92], v[109:110], v[93:94], v[91:92]
	s_waitcnt vmcnt(22) lgkmcnt(0)
	v_fma_f64 v[91:92], v[111:112], v[95:96], v[91:92]
	s_waitcnt vmcnt(17)
	v_fma_f64 v[103:104], v[113:114], v[97:98], v[91:92]
	ds_read2_b64 v[91:94], v90 offset0:79 offset1:80
	ds_read2_b64 v[95:98], v90 offset0:81 offset1:82
	s_waitcnt vmcnt(16) lgkmcnt(1)
	v_fma_f64 v[91:92], v[119:120], v[91:92], v[103:104]
	s_waitcnt vmcnt(15)
	v_fma_f64 v[91:92], v[117:118], v[93:94], v[91:92]
	;; [unrolled: 10-line block ×3, first 2 shown]
	ds_read_b64 v[93:94], v90 offset:696
	s_waitcnt vmcnt(6) lgkmcnt(1)
	v_fma_f64 v[91:92], v[123:124], v[95:96], v[91:92]
	s_waitcnt vmcnt(3)
	v_fma_f64 v[91:92], v[99:100], v[97:98], v[91:92]
	s_waitcnt vmcnt(2) lgkmcnt(0)
	v_fma_f64 v[91:92], v[129:130], v[93:94], v[91:92]
	s_waitcnt vmcnt(0)
	v_add_f64 v[91:92], v[101:102], -v[91:92]
	buffer_store_dword v92, off, s[0:3], 0 offset:212
	buffer_store_dword v91, off, s[0:3], 0 offset:208
	v_cmpx_lt_u32_e32 25, v0
	s_cbranch_execz .LBB43_223
; %bb.222:
	s_clause 0x1
	buffer_load_dword v91, off, s[0:3], 0 offset:200
	buffer_load_dword v92, off, s[0:3], 0 offset:204
	buffer_store_dword v90, off, s[0:3], 0 offset:200
	buffer_store_dword v90, off, s[0:3], 0 offset:204
	s_waitcnt vmcnt(0)
	ds_write_b64 v89, v[91:92]
.LBB43_223:
	s_or_b32 exec_lo, exec_lo, s4
	s_waitcnt lgkmcnt(0)
	s_waitcnt_vscnt null, 0x0
	s_barrier
	buffer_gl0_inv
	s_clause 0x1c
	buffer_load_dword v99, off, s[0:3], 0 offset:208
	buffer_load_dword v100, off, s[0:3], 0 offset:212
	;; [unrolled: 1-line block ×29, first 2 shown]
	ds_read_b128 v[91:94], v90 offset:560
	ds_read_b128 v[95:98], v90 offset:576
	buffer_load_dword v124, off, s[0:3], 0 offset:324
	s_mov_b32 s4, exec_lo
	s_waitcnt vmcnt(28) lgkmcnt(1)
	v_fma_f64 v[91:92], v[99:100], v[91:92], 0
	s_clause 0x5
	buffer_load_dword v100, off, s[0:3], 0 offset:332
	buffer_load_dword v129, off, s[0:3], 0 offset:344
	;; [unrolled: 1-line block ×6, first 2 shown]
	s_waitcnt vmcnt(32)
	v_fma_f64 v[91:92], v[101:102], v[93:94], v[91:92]
	s_waitcnt vmcnt(30) lgkmcnt(0)
	v_fma_f64 v[91:92], v[103:104], v[95:96], v[91:92]
	s_waitcnt vmcnt(28)
	v_fma_f64 v[101:102], v[105:106], v[97:98], v[91:92]
	ds_read_b128 v[91:94], v90 offset:592
	s_clause 0x1
	buffer_load_dword v103, off, s[0:3], 0 offset:200
	buffer_load_dword v104, off, s[0:3], 0 offset:204
	ds_read_b128 v[95:98], v90 offset:608
	s_waitcnt vmcnt(28) lgkmcnt(1)
	v_fma_f64 v[91:92], v[107:108], v[91:92], v[101:102]
	s_waitcnt vmcnt(26)
	v_fma_f64 v[91:92], v[109:110], v[93:94], v[91:92]
	s_waitcnt vmcnt(24) lgkmcnt(0)
	v_fma_f64 v[91:92], v[111:112], v[95:96], v[91:92]
	s_waitcnt vmcnt(19)
	v_fma_f64 v[101:102], v[113:114], v[97:98], v[91:92]
	ds_read_b128 v[91:94], v90 offset:624
	ds_read_b128 v[95:98], v90 offset:640
	s_waitcnt vmcnt(18) lgkmcnt(1)
	v_fma_f64 v[91:92], v[119:120], v[91:92], v[101:102]
	s_waitcnt vmcnt(17)
	v_fma_f64 v[91:92], v[117:118], v[93:94], v[91:92]
	s_waitcnt vmcnt(16) lgkmcnt(0)
	v_fma_f64 v[91:92], v[115:116], v[95:96], v[91:92]
	s_waitcnt vmcnt(11)
	v_fma_f64 v[101:102], v[121:122], v[97:98], v[91:92]
	ds_read_b128 v[91:94], v90 offset:656
	;; [unrolled: 10-line block ×3, first 2 shown]
	s_waitcnt vmcnt(3) lgkmcnt(0)
	v_fma_f64 v[90:91], v[131:132], v[90:91], v[94:95]
	s_waitcnt vmcnt(2)
	v_fma_f64 v[90:91], v[129:130], v[92:93], v[90:91]
	s_waitcnt vmcnt(0)
	v_add_f64 v[90:91], v[103:104], -v[90:91]
	buffer_store_dword v91, off, s[0:3], 0 offset:204
	buffer_store_dword v90, off, s[0:3], 0 offset:200
	v_cmpx_lt_u32_e32 24, v0
	s_cbranch_execz .LBB43_225
; %bb.224:
	s_clause 0x1
	buffer_load_dword v90, off, s[0:3], 0 offset:192
	buffer_load_dword v91, off, s[0:3], 0 offset:196
	v_mov_b32_e32 v92, 0
	buffer_store_dword v92, off, s[0:3], 0 offset:192
	buffer_store_dword v92, off, s[0:3], 0 offset:196
	s_waitcnt vmcnt(0)
	ds_write_b64 v89, v[90:91]
.LBB43_225:
	s_or_b32 exec_lo, exec_lo, s4
	s_waitcnt lgkmcnt(0)
	s_waitcnt_vscnt null, 0x0
	s_barrier
	buffer_gl0_inv
	s_clause 0x1c
	buffer_load_dword v99, off, s[0:3], 0 offset:200
	buffer_load_dword v100, off, s[0:3], 0 offset:204
	;; [unrolled: 1-line block ×29, first 2 shown]
	v_mov_b32_e32 v90, 0
	buffer_load_dword v124, off, s[0:3], 0 offset:316
	s_mov_b32 s4, exec_lo
	ds_read2_b64 v[91:94], v90 offset0:69 offset1:70
	ds_read2_b64 v[95:98], v90 offset0:71 offset1:72
	s_waitcnt vmcnt(28) lgkmcnt(1)
	v_fma_f64 v[91:92], v[99:100], v[91:92], 0
	s_clause 0x7
	buffer_load_dword v100, off, s[0:3], 0 offset:324
	buffer_load_dword v129, off, s[0:3], 0 offset:344
	buffer_load_dword v131, off, s[0:3], 0 offset:336
	buffer_load_dword v133, off, s[0:3], 0 offset:328
	buffer_load_dword v99, off, s[0:3], 0 offset:320
	buffer_load_dword v134, off, s[0:3], 0 offset:332
	buffer_load_dword v132, off, s[0:3], 0 offset:340
	buffer_load_dword v130, off, s[0:3], 0 offset:348
	s_waitcnt vmcnt(34)
	v_fma_f64 v[91:92], v[101:102], v[93:94], v[91:92]
	s_waitcnt vmcnt(32) lgkmcnt(0)
	v_fma_f64 v[91:92], v[103:104], v[95:96], v[91:92]
	s_waitcnt vmcnt(30)
	v_fma_f64 v[101:102], v[105:106], v[97:98], v[91:92]
	ds_read2_b64 v[91:94], v90 offset0:73 offset1:74
	ds_read2_b64 v[95:98], v90 offset0:75 offset1:76
	s_waitcnt vmcnt(28) lgkmcnt(1)
	v_fma_f64 v[91:92], v[107:108], v[91:92], v[101:102]
	s_clause 0x1
	buffer_load_dword v101, off, s[0:3], 0 offset:192
	buffer_load_dword v102, off, s[0:3], 0 offset:196
	s_waitcnt vmcnt(28)
	v_fma_f64 v[91:92], v[109:110], v[93:94], v[91:92]
	s_waitcnt vmcnt(26) lgkmcnt(0)
	v_fma_f64 v[91:92], v[111:112], v[95:96], v[91:92]
	s_waitcnt vmcnt(21)
	v_fma_f64 v[103:104], v[113:114], v[97:98], v[91:92]
	ds_read2_b64 v[91:94], v90 offset0:77 offset1:78
	ds_read2_b64 v[95:98], v90 offset0:79 offset1:80
	s_waitcnt vmcnt(20) lgkmcnt(1)
	v_fma_f64 v[91:92], v[119:120], v[91:92], v[103:104]
	s_waitcnt vmcnt(19)
	v_fma_f64 v[91:92], v[117:118], v[93:94], v[91:92]
	s_waitcnt vmcnt(18) lgkmcnt(0)
	v_fma_f64 v[91:92], v[115:116], v[95:96], v[91:92]
	s_waitcnt vmcnt(13)
	v_fma_f64 v[103:104], v[121:122], v[97:98], v[91:92]
	ds_read2_b64 v[91:94], v90 offset0:81 offset1:82
	ds_read2_b64 v[95:98], v90 offset0:83 offset1:84
	s_waitcnt vmcnt(12) lgkmcnt(1)
	v_fma_f64 v[91:92], v[127:128], v[91:92], v[103:104]
	s_waitcnt vmcnt(11)
	v_fma_f64 v[91:92], v[125:126], v[93:94], v[91:92]
	s_waitcnt vmcnt(10) lgkmcnt(0)
	v_fma_f64 v[91:92], v[123:124], v[95:96], v[91:92]
	s_waitcnt vmcnt(5)
	v_fma_f64 v[95:96], v[99:100], v[97:98], v[91:92]
	ds_read2_b64 v[91:94], v90 offset0:85 offset1:86
	ds_read_b64 v[97:98], v90 offset:696
	s_waitcnt vmcnt(4) lgkmcnt(1)
	v_fma_f64 v[91:92], v[133:134], v[91:92], v[95:96]
	s_waitcnt vmcnt(3)
	v_fma_f64 v[91:92], v[131:132], v[93:94], v[91:92]
	s_waitcnt vmcnt(2) lgkmcnt(0)
	v_fma_f64 v[91:92], v[129:130], v[97:98], v[91:92]
	s_waitcnt vmcnt(0)
	v_add_f64 v[91:92], v[101:102], -v[91:92]
	buffer_store_dword v92, off, s[0:3], 0 offset:196
	buffer_store_dword v91, off, s[0:3], 0 offset:192
	v_cmpx_lt_u32_e32 23, v0
	s_cbranch_execz .LBB43_227
; %bb.226:
	s_clause 0x1
	buffer_load_dword v91, off, s[0:3], 0 offset:184
	buffer_load_dword v92, off, s[0:3], 0 offset:188
	buffer_store_dword v90, off, s[0:3], 0 offset:184
	buffer_store_dword v90, off, s[0:3], 0 offset:188
	s_waitcnt vmcnt(0)
	ds_write_b64 v89, v[91:92]
.LBB43_227:
	s_or_b32 exec_lo, exec_lo, s4
	s_waitcnt lgkmcnt(0)
	s_waitcnt_vscnt null, 0x0
	s_barrier
	buffer_gl0_inv
	s_clause 0x1c
	buffer_load_dword v99, off, s[0:3], 0 offset:192
	buffer_load_dword v100, off, s[0:3], 0 offset:196
	;; [unrolled: 1-line block ×29, first 2 shown]
	ds_read_b128 v[91:94], v90 offset:544
	ds_read_b128 v[95:98], v90 offset:560
	buffer_load_dword v124, off, s[0:3], 0 offset:308
	s_mov_b32 s4, exec_lo
	s_waitcnt vmcnt(28) lgkmcnt(1)
	v_fma_f64 v[91:92], v[99:100], v[91:92], 0
	s_clause 0x7
	buffer_load_dword v100, off, s[0:3], 0 offset:316
	buffer_load_dword v129, off, s[0:3], 0 offset:336
	;; [unrolled: 1-line block ×8, first 2 shown]
	s_waitcnt vmcnt(34)
	v_fma_f64 v[91:92], v[101:102], v[93:94], v[91:92]
	s_waitcnt vmcnt(32) lgkmcnt(0)
	v_fma_f64 v[91:92], v[103:104], v[95:96], v[91:92]
	s_waitcnt vmcnt(30)
	v_fma_f64 v[101:102], v[105:106], v[97:98], v[91:92]
	ds_read_b128 v[91:94], v90 offset:576
	ds_read_b128 v[95:98], v90 offset:592
	s_waitcnt vmcnt(28) lgkmcnt(1)
	v_fma_f64 v[91:92], v[107:108], v[91:92], v[101:102]
	s_clause 0x3
	buffer_load_dword v102, off, s[0:3], 0 offset:348
	buffer_load_dword v101, off, s[0:3], 0 offset:344
	;; [unrolled: 1-line block ×4, first 2 shown]
	s_waitcnt vmcnt(30)
	v_fma_f64 v[91:92], v[109:110], v[93:94], v[91:92]
	s_waitcnt vmcnt(28) lgkmcnt(0)
	v_fma_f64 v[91:92], v[111:112], v[95:96], v[91:92]
	s_waitcnt vmcnt(23)
	v_fma_f64 v[105:106], v[113:114], v[97:98], v[91:92]
	ds_read_b128 v[91:94], v90 offset:608
	ds_read_b128 v[95:98], v90 offset:624
	s_waitcnt vmcnt(22) lgkmcnt(1)
	v_fma_f64 v[91:92], v[119:120], v[91:92], v[105:106]
	s_waitcnt vmcnt(21)
	v_fma_f64 v[91:92], v[117:118], v[93:94], v[91:92]
	s_waitcnt vmcnt(20) lgkmcnt(0)
	v_fma_f64 v[91:92], v[115:116], v[95:96], v[91:92]
	s_waitcnt vmcnt(15)
	v_fma_f64 v[105:106], v[121:122], v[97:98], v[91:92]
	ds_read_b128 v[91:94], v90 offset:640
	ds_read_b128 v[95:98], v90 offset:656
	s_waitcnt vmcnt(14) lgkmcnt(1)
	v_fma_f64 v[91:92], v[127:128], v[91:92], v[105:106]
	;; [unrolled: 10-line block ×3, first 2 shown]
	s_waitcnt vmcnt(5)
	v_fma_f64 v[90:91], v[131:132], v[93:94], v[90:91]
	s_waitcnt vmcnt(4) lgkmcnt(0)
	v_fma_f64 v[90:91], v[129:130], v[95:96], v[90:91]
	s_waitcnt vmcnt(2)
	v_fma_f64 v[90:91], v[101:102], v[97:98], v[90:91]
	s_waitcnt vmcnt(0)
	v_add_f64 v[90:91], v[103:104], -v[90:91]
	buffer_store_dword v91, off, s[0:3], 0 offset:188
	buffer_store_dword v90, off, s[0:3], 0 offset:184
	v_cmpx_lt_u32_e32 22, v0
	s_cbranch_execz .LBB43_229
; %bb.228:
	s_clause 0x1
	buffer_load_dword v90, off, s[0:3], 0 offset:176
	buffer_load_dword v91, off, s[0:3], 0 offset:180
	v_mov_b32_e32 v92, 0
	buffer_store_dword v92, off, s[0:3], 0 offset:176
	buffer_store_dword v92, off, s[0:3], 0 offset:180
	s_waitcnt vmcnt(0)
	ds_write_b64 v89, v[90:91]
.LBB43_229:
	s_or_b32 exec_lo, exec_lo, s4
	s_waitcnt lgkmcnt(0)
	s_waitcnt_vscnt null, 0x0
	s_barrier
	buffer_gl0_inv
	s_clause 0x1c
	buffer_load_dword v99, off, s[0:3], 0 offset:184
	buffer_load_dword v100, off, s[0:3], 0 offset:188
	;; [unrolled: 1-line block ×29, first 2 shown]
	v_mov_b32_e32 v90, 0
	buffer_load_dword v124, off, s[0:3], 0 offset:300
	s_mov_b32 s4, exec_lo
	ds_read2_b64 v[91:94], v90 offset0:67 offset1:68
	ds_read2_b64 v[95:98], v90 offset0:69 offset1:70
	s_waitcnt vmcnt(28) lgkmcnt(1)
	v_fma_f64 v[91:92], v[99:100], v[91:92], 0
	s_clause 0x7
	buffer_load_dword v100, off, s[0:3], 0 offset:308
	buffer_load_dword v129, off, s[0:3], 0 offset:328
	;; [unrolled: 1-line block ×8, first 2 shown]
	s_waitcnt vmcnt(34)
	v_fma_f64 v[91:92], v[101:102], v[93:94], v[91:92]
	s_waitcnt vmcnt(32) lgkmcnt(0)
	v_fma_f64 v[91:92], v[103:104], v[95:96], v[91:92]
	s_waitcnt vmcnt(30)
	v_fma_f64 v[101:102], v[105:106], v[97:98], v[91:92]
	ds_read2_b64 v[91:94], v90 offset0:71 offset1:72
	ds_read2_b64 v[95:98], v90 offset0:73 offset1:74
	s_waitcnt vmcnt(28) lgkmcnt(1)
	v_fma_f64 v[91:92], v[107:108], v[91:92], v[101:102]
	s_clause 0x5
	buffer_load_dword v102, off, s[0:3], 0 offset:340
	buffer_load_dword v103, off, s[0:3], 0 offset:344
	;; [unrolled: 1-line block ×6, first 2 shown]
	s_waitcnt vmcnt(32)
	v_fma_f64 v[91:92], v[109:110], v[93:94], v[91:92]
	s_waitcnt vmcnt(30) lgkmcnt(0)
	v_fma_f64 v[91:92], v[111:112], v[95:96], v[91:92]
	s_waitcnt vmcnt(25)
	v_fma_f64 v[107:108], v[113:114], v[97:98], v[91:92]
	ds_read2_b64 v[91:94], v90 offset0:75 offset1:76
	ds_read2_b64 v[95:98], v90 offset0:77 offset1:78
	s_waitcnt vmcnt(24) lgkmcnt(1)
	v_fma_f64 v[91:92], v[119:120], v[91:92], v[107:108]
	s_waitcnt vmcnt(23)
	v_fma_f64 v[91:92], v[117:118], v[93:94], v[91:92]
	s_waitcnt vmcnt(22) lgkmcnt(0)
	v_fma_f64 v[91:92], v[115:116], v[95:96], v[91:92]
	s_waitcnt vmcnt(17)
	v_fma_f64 v[107:108], v[121:122], v[97:98], v[91:92]
	ds_read2_b64 v[91:94], v90 offset0:79 offset1:80
	ds_read2_b64 v[95:98], v90 offset0:81 offset1:82
	s_waitcnt vmcnt(16) lgkmcnt(1)
	v_fma_f64 v[91:92], v[127:128], v[91:92], v[107:108]
	s_waitcnt vmcnt(15)
	v_fma_f64 v[91:92], v[125:126], v[93:94], v[91:92]
	s_waitcnt vmcnt(14) lgkmcnt(0)
	v_fma_f64 v[91:92], v[123:124], v[95:96], v[91:92]
	s_waitcnt vmcnt(9)
	v_fma_f64 v[99:100], v[99:100], v[97:98], v[91:92]
	ds_read2_b64 v[91:94], v90 offset0:83 offset1:84
	ds_read2_b64 v[95:98], v90 offset0:85 offset1:86
	s_waitcnt vmcnt(8) lgkmcnt(1)
	v_fma_f64 v[91:92], v[133:134], v[91:92], v[99:100]
	s_waitcnt vmcnt(7)
	v_fma_f64 v[91:92], v[131:132], v[93:94], v[91:92]
	ds_read_b64 v[93:94], v90 offset:696
	s_waitcnt vmcnt(6) lgkmcnt(1)
	v_fma_f64 v[91:92], v[129:130], v[95:96], v[91:92]
	s_waitcnt vmcnt(3)
	v_fma_f64 v[91:92], v[101:102], v[97:98], v[91:92]
	s_waitcnt vmcnt(2) lgkmcnt(0)
	v_fma_f64 v[91:92], v[103:104], v[93:94], v[91:92]
	s_waitcnt vmcnt(0)
	v_add_f64 v[91:92], v[105:106], -v[91:92]
	buffer_store_dword v92, off, s[0:3], 0 offset:180
	buffer_store_dword v91, off, s[0:3], 0 offset:176
	v_cmpx_lt_u32_e32 21, v0
	s_cbranch_execz .LBB43_231
; %bb.230:
	s_clause 0x1
	buffer_load_dword v91, off, s[0:3], 0 offset:168
	buffer_load_dword v92, off, s[0:3], 0 offset:172
	buffer_store_dword v90, off, s[0:3], 0 offset:168
	buffer_store_dword v90, off, s[0:3], 0 offset:172
	s_waitcnt vmcnt(0)
	ds_write_b64 v89, v[91:92]
.LBB43_231:
	s_or_b32 exec_lo, exec_lo, s4
	s_waitcnt lgkmcnt(0)
	s_waitcnt_vscnt null, 0x0
	s_barrier
	buffer_gl0_inv
	s_clause 0x1c
	buffer_load_dword v99, off, s[0:3], 0 offset:176
	buffer_load_dword v100, off, s[0:3], 0 offset:180
	buffer_load_dword v101, off, s[0:3], 0 offset:184
	buffer_load_dword v102, off, s[0:3], 0 offset:188
	buffer_load_dword v103, off, s[0:3], 0 offset:192
	buffer_load_dword v104, off, s[0:3], 0 offset:196
	buffer_load_dword v105, off, s[0:3], 0 offset:200
	buffer_load_dword v106, off, s[0:3], 0 offset:204
	buffer_load_dword v107, off, s[0:3], 0 offset:208
	buffer_load_dword v108, off, s[0:3], 0 offset:212
	buffer_load_dword v109, off, s[0:3], 0 offset:216
	buffer_load_dword v110, off, s[0:3], 0 offset:220
	buffer_load_dword v111, off, s[0:3], 0 offset:224
	buffer_load_dword v112, off, s[0:3], 0 offset:228
	buffer_load_dword v114, off, s[0:3], 0 offset:236
	buffer_load_dword v115, off, s[0:3], 0 offset:256
	buffer_load_dword v117, off, s[0:3], 0 offset:248
	buffer_load_dword v119, off, s[0:3], 0 offset:240
	buffer_load_dword v113, off, s[0:3], 0 offset:232
	buffer_load_dword v120, off, s[0:3], 0 offset:244
	buffer_load_dword v118, off, s[0:3], 0 offset:252
	buffer_load_dword v116, off, s[0:3], 0 offset:260
	buffer_load_dword v122, off, s[0:3], 0 offset:268
	buffer_load_dword v123, off, s[0:3], 0 offset:288
	buffer_load_dword v125, off, s[0:3], 0 offset:280
	buffer_load_dword v127, off, s[0:3], 0 offset:272
	buffer_load_dword v121, off, s[0:3], 0 offset:264
	buffer_load_dword v128, off, s[0:3], 0 offset:276
	buffer_load_dword v126, off, s[0:3], 0 offset:284
	ds_read_b128 v[91:94], v90 offset:528
	ds_read_b128 v[95:98], v90 offset:544
	buffer_load_dword v124, off, s[0:3], 0 offset:292
	s_mov_b32 s4, exec_lo
	s_waitcnt vmcnt(28) lgkmcnt(1)
	v_fma_f64 v[91:92], v[99:100], v[91:92], 0
	s_clause 0x7
	buffer_load_dword v100, off, s[0:3], 0 offset:300
	buffer_load_dword v129, off, s[0:3], 0 offset:320
	;; [unrolled: 1-line block ×8, first 2 shown]
	s_waitcnt vmcnt(34)
	v_fma_f64 v[91:92], v[101:102], v[93:94], v[91:92]
	s_waitcnt vmcnt(32) lgkmcnt(0)
	v_fma_f64 v[91:92], v[103:104], v[95:96], v[91:92]
	s_waitcnt vmcnt(30)
	v_fma_f64 v[101:102], v[105:106], v[97:98], v[91:92]
	ds_read_b128 v[91:94], v90 offset:560
	ds_read_b128 v[95:98], v90 offset:576
	s_waitcnt vmcnt(28) lgkmcnt(1)
	v_fma_f64 v[91:92], v[107:108], v[91:92], v[101:102]
	s_clause 0x5
	buffer_load_dword v102, off, s[0:3], 0 offset:332
	buffer_load_dword v103, off, s[0:3], 0 offset:344
	;; [unrolled: 1-line block ×6, first 2 shown]
	s_waitcnt vmcnt(32)
	v_fma_f64 v[91:92], v[109:110], v[93:94], v[91:92]
	s_waitcnt vmcnt(30) lgkmcnt(0)
	v_fma_f64 v[91:92], v[111:112], v[95:96], v[91:92]
	s_waitcnt vmcnt(25)
	v_fma_f64 v[107:108], v[113:114], v[97:98], v[91:92]
	ds_read_b128 v[91:94], v90 offset:592
	s_clause 0x1
	buffer_load_dword v109, off, s[0:3], 0 offset:168
	buffer_load_dword v110, off, s[0:3], 0 offset:172
	ds_read_b128 v[95:98], v90 offset:608
	s_waitcnt vmcnt(26) lgkmcnt(1)
	v_fma_f64 v[91:92], v[119:120], v[91:92], v[107:108]
	s_waitcnt vmcnt(25)
	v_fma_f64 v[91:92], v[117:118], v[93:94], v[91:92]
	s_waitcnt vmcnt(24) lgkmcnt(0)
	v_fma_f64 v[91:92], v[115:116], v[95:96], v[91:92]
	s_waitcnt vmcnt(19)
	v_fma_f64 v[107:108], v[121:122], v[97:98], v[91:92]
	ds_read_b128 v[91:94], v90 offset:624
	ds_read_b128 v[95:98], v90 offset:640
	s_waitcnt vmcnt(18) lgkmcnt(1)
	v_fma_f64 v[91:92], v[127:128], v[91:92], v[107:108]
	s_waitcnt vmcnt(17)
	v_fma_f64 v[91:92], v[125:126], v[93:94], v[91:92]
	s_waitcnt vmcnt(16) lgkmcnt(0)
	v_fma_f64 v[91:92], v[123:124], v[95:96], v[91:92]
	s_waitcnt vmcnt(11)
	v_fma_f64 v[99:100], v[99:100], v[97:98], v[91:92]
	ds_read_b128 v[91:94], v90 offset:656
	;; [unrolled: 10-line block ×3, first 2 shown]
	s_waitcnt vmcnt(3) lgkmcnt(0)
	v_fma_f64 v[90:91], v[105:106], v[90:91], v[94:95]
	s_waitcnt vmcnt(2)
	v_fma_f64 v[90:91], v[103:104], v[92:93], v[90:91]
	s_waitcnt vmcnt(0)
	v_add_f64 v[90:91], v[109:110], -v[90:91]
	buffer_store_dword v91, off, s[0:3], 0 offset:172
	buffer_store_dword v90, off, s[0:3], 0 offset:168
	v_cmpx_lt_u32_e32 20, v0
	s_cbranch_execz .LBB43_233
; %bb.232:
	s_clause 0x1
	buffer_load_dword v90, off, s[0:3], 0 offset:160
	buffer_load_dword v91, off, s[0:3], 0 offset:164
	v_mov_b32_e32 v92, 0
	buffer_store_dword v92, off, s[0:3], 0 offset:160
	buffer_store_dword v92, off, s[0:3], 0 offset:164
	s_waitcnt vmcnt(0)
	ds_write_b64 v89, v[90:91]
.LBB43_233:
	s_or_b32 exec_lo, exec_lo, s4
	s_waitcnt lgkmcnt(0)
	s_waitcnt_vscnt null, 0x0
	s_barrier
	buffer_gl0_inv
	s_clause 0x1c
	buffer_load_dword v99, off, s[0:3], 0 offset:168
	buffer_load_dword v100, off, s[0:3], 0 offset:172
	;; [unrolled: 1-line block ×29, first 2 shown]
	v_mov_b32_e32 v90, 0
	buffer_load_dword v124, off, s[0:3], 0 offset:284
	s_mov_b32 s4, exec_lo
	ds_read2_b64 v[91:94], v90 offset0:65 offset1:66
	ds_read2_b64 v[95:98], v90 offset0:67 offset1:68
	s_waitcnt vmcnt(28) lgkmcnt(1)
	v_fma_f64 v[91:92], v[99:100], v[91:92], 0
	s_clause 0x7
	buffer_load_dword v100, off, s[0:3], 0 offset:292
	buffer_load_dword v129, off, s[0:3], 0 offset:312
	;; [unrolled: 1-line block ×8, first 2 shown]
	s_waitcnt vmcnt(34)
	v_fma_f64 v[91:92], v[101:102], v[93:94], v[91:92]
	s_waitcnt vmcnt(32) lgkmcnt(0)
	v_fma_f64 v[91:92], v[103:104], v[95:96], v[91:92]
	s_waitcnt vmcnt(30)
	v_fma_f64 v[101:102], v[105:106], v[97:98], v[91:92]
	ds_read2_b64 v[91:94], v90 offset0:69 offset1:70
	ds_read2_b64 v[95:98], v90 offset0:71 offset1:72
	s_waitcnt vmcnt(28) lgkmcnt(1)
	v_fma_f64 v[91:92], v[107:108], v[91:92], v[101:102]
	s_clause 0x7
	buffer_load_dword v102, off, s[0:3], 0 offset:324
	buffer_load_dword v103, off, s[0:3], 0 offset:344
	buffer_load_dword v105, off, s[0:3], 0 offset:336
	buffer_load_dword v107, off, s[0:3], 0 offset:328
	buffer_load_dword v101, off, s[0:3], 0 offset:320
	buffer_load_dword v108, off, s[0:3], 0 offset:332
	buffer_load_dword v106, off, s[0:3], 0 offset:340
	buffer_load_dword v104, off, s[0:3], 0 offset:348
	s_waitcnt vmcnt(34)
	v_fma_f64 v[91:92], v[109:110], v[93:94], v[91:92]
	s_waitcnt vmcnt(32) lgkmcnt(0)
	v_fma_f64 v[91:92], v[111:112], v[95:96], v[91:92]
	s_waitcnt vmcnt(27)
	v_fma_f64 v[109:110], v[113:114], v[97:98], v[91:92]
	ds_read2_b64 v[91:94], v90 offset0:73 offset1:74
	ds_read2_b64 v[95:98], v90 offset0:75 offset1:76
	s_waitcnt vmcnt(26) lgkmcnt(1)
	v_fma_f64 v[91:92], v[119:120], v[91:92], v[109:110]
	s_clause 0x1
	buffer_load_dword v109, off, s[0:3], 0 offset:160
	buffer_load_dword v110, off, s[0:3], 0 offset:164
	s_waitcnt vmcnt(27)
	v_fma_f64 v[91:92], v[117:118], v[93:94], v[91:92]
	s_waitcnt vmcnt(26) lgkmcnt(0)
	v_fma_f64 v[91:92], v[115:116], v[95:96], v[91:92]
	s_waitcnt vmcnt(21)
	v_fma_f64 v[111:112], v[121:122], v[97:98], v[91:92]
	ds_read2_b64 v[91:94], v90 offset0:77 offset1:78
	ds_read2_b64 v[95:98], v90 offset0:79 offset1:80
	s_waitcnt vmcnt(20) lgkmcnt(1)
	v_fma_f64 v[91:92], v[127:128], v[91:92], v[111:112]
	s_waitcnt vmcnt(19)
	v_fma_f64 v[91:92], v[125:126], v[93:94], v[91:92]
	s_waitcnt vmcnt(18) lgkmcnt(0)
	v_fma_f64 v[91:92], v[123:124], v[95:96], v[91:92]
	s_waitcnt vmcnt(13)
	v_fma_f64 v[99:100], v[99:100], v[97:98], v[91:92]
	ds_read2_b64 v[91:94], v90 offset0:81 offset1:82
	ds_read2_b64 v[95:98], v90 offset0:83 offset1:84
	s_waitcnt vmcnt(12) lgkmcnt(1)
	v_fma_f64 v[91:92], v[133:134], v[91:92], v[99:100]
	s_waitcnt vmcnt(11)
	v_fma_f64 v[91:92], v[131:132], v[93:94], v[91:92]
	s_waitcnt vmcnt(10) lgkmcnt(0)
	v_fma_f64 v[91:92], v[129:130], v[95:96], v[91:92]
	s_waitcnt vmcnt(5)
	v_fma_f64 v[95:96], v[101:102], v[97:98], v[91:92]
	ds_read2_b64 v[91:94], v90 offset0:85 offset1:86
	ds_read_b64 v[97:98], v90 offset:696
	s_waitcnt vmcnt(4) lgkmcnt(1)
	v_fma_f64 v[91:92], v[107:108], v[91:92], v[95:96]
	s_waitcnt vmcnt(3)
	v_fma_f64 v[91:92], v[105:106], v[93:94], v[91:92]
	s_waitcnt vmcnt(2) lgkmcnt(0)
	v_fma_f64 v[91:92], v[103:104], v[97:98], v[91:92]
	s_waitcnt vmcnt(0)
	v_add_f64 v[91:92], v[109:110], -v[91:92]
	buffer_store_dword v92, off, s[0:3], 0 offset:164
	buffer_store_dword v91, off, s[0:3], 0 offset:160
	v_cmpx_lt_u32_e32 19, v0
	s_cbranch_execz .LBB43_235
; %bb.234:
	s_clause 0x1
	buffer_load_dword v91, off, s[0:3], 0 offset:152
	buffer_load_dword v92, off, s[0:3], 0 offset:156
	buffer_store_dword v90, off, s[0:3], 0 offset:152
	buffer_store_dword v90, off, s[0:3], 0 offset:156
	s_waitcnt vmcnt(0)
	ds_write_b64 v89, v[91:92]
.LBB43_235:
	s_or_b32 exec_lo, exec_lo, s4
	s_waitcnt lgkmcnt(0)
	s_waitcnt_vscnt null, 0x0
	s_barrier
	buffer_gl0_inv
	s_clause 0x1c
	buffer_load_dword v99, off, s[0:3], 0 offset:160
	buffer_load_dword v100, off, s[0:3], 0 offset:164
	;; [unrolled: 1-line block ×29, first 2 shown]
	ds_read_b128 v[91:94], v90 offset:512
	ds_read_b128 v[95:98], v90 offset:528
	buffer_load_dword v124, off, s[0:3], 0 offset:276
	s_mov_b32 s4, exec_lo
	s_waitcnt vmcnt(28) lgkmcnt(1)
	v_fma_f64 v[91:92], v[99:100], v[91:92], 0
	s_clause 0x7
	buffer_load_dword v100, off, s[0:3], 0 offset:284
	buffer_load_dword v129, off, s[0:3], 0 offset:304
	;; [unrolled: 1-line block ×8, first 2 shown]
	s_waitcnt vmcnt(34)
	v_fma_f64 v[91:92], v[101:102], v[93:94], v[91:92]
	s_waitcnt vmcnt(32) lgkmcnt(0)
	v_fma_f64 v[91:92], v[103:104], v[95:96], v[91:92]
	s_waitcnt vmcnt(30)
	v_fma_f64 v[101:102], v[105:106], v[97:98], v[91:92]
	ds_read_b128 v[91:94], v90 offset:544
	ds_read_b128 v[95:98], v90 offset:560
	s_waitcnt vmcnt(28) lgkmcnt(1)
	v_fma_f64 v[91:92], v[107:108], v[91:92], v[101:102]
	s_clause 0x7
	buffer_load_dword v102, off, s[0:3], 0 offset:316
	buffer_load_dword v103, off, s[0:3], 0 offset:336
	;; [unrolled: 1-line block ×8, first 2 shown]
	s_waitcnt vmcnt(34)
	v_fma_f64 v[91:92], v[109:110], v[93:94], v[91:92]
	s_waitcnt vmcnt(32) lgkmcnt(0)
	v_fma_f64 v[91:92], v[111:112], v[95:96], v[91:92]
	s_waitcnt vmcnt(27)
	v_fma_f64 v[109:110], v[113:114], v[97:98], v[91:92]
	ds_read_b128 v[91:94], v90 offset:576
	ds_read_b128 v[95:98], v90 offset:592
	s_waitcnt vmcnt(26) lgkmcnt(1)
	v_fma_f64 v[91:92], v[119:120], v[91:92], v[109:110]
	s_clause 0x3
	buffer_load_dword v110, off, s[0:3], 0 offset:348
	buffer_load_dword v109, off, s[0:3], 0 offset:344
	;; [unrolled: 1-line block ×4, first 2 shown]
	s_waitcnt vmcnt(29)
	v_fma_f64 v[91:92], v[117:118], v[93:94], v[91:92]
	s_waitcnt vmcnt(28) lgkmcnt(0)
	v_fma_f64 v[91:92], v[115:116], v[95:96], v[91:92]
	s_waitcnt vmcnt(23)
	v_fma_f64 v[113:114], v[121:122], v[97:98], v[91:92]
	ds_read_b128 v[91:94], v90 offset:608
	ds_read_b128 v[95:98], v90 offset:624
	s_waitcnt vmcnt(22) lgkmcnt(1)
	v_fma_f64 v[91:92], v[127:128], v[91:92], v[113:114]
	s_waitcnt vmcnt(21)
	v_fma_f64 v[91:92], v[125:126], v[93:94], v[91:92]
	s_waitcnt vmcnt(20) lgkmcnt(0)
	v_fma_f64 v[91:92], v[123:124], v[95:96], v[91:92]
	s_waitcnt vmcnt(15)
	v_fma_f64 v[99:100], v[99:100], v[97:98], v[91:92]
	ds_read_b128 v[91:94], v90 offset:640
	ds_read_b128 v[95:98], v90 offset:656
	s_waitcnt vmcnt(14) lgkmcnt(1)
	v_fma_f64 v[91:92], v[133:134], v[91:92], v[99:100]
	;; [unrolled: 10-line block ×3, first 2 shown]
	s_waitcnt vmcnt(5)
	v_fma_f64 v[90:91], v[105:106], v[93:94], v[90:91]
	s_waitcnt vmcnt(4) lgkmcnt(0)
	v_fma_f64 v[90:91], v[103:104], v[95:96], v[90:91]
	s_waitcnt vmcnt(2)
	v_fma_f64 v[90:91], v[109:110], v[97:98], v[90:91]
	s_waitcnt vmcnt(0)
	v_add_f64 v[90:91], v[111:112], -v[90:91]
	buffer_store_dword v91, off, s[0:3], 0 offset:156
	buffer_store_dword v90, off, s[0:3], 0 offset:152
	v_cmpx_lt_u32_e32 18, v0
	s_cbranch_execz .LBB43_237
; %bb.236:
	s_clause 0x1
	buffer_load_dword v90, off, s[0:3], 0 offset:144
	buffer_load_dword v91, off, s[0:3], 0 offset:148
	v_mov_b32_e32 v92, 0
	buffer_store_dword v92, off, s[0:3], 0 offset:144
	buffer_store_dword v92, off, s[0:3], 0 offset:148
	s_waitcnt vmcnt(0)
	ds_write_b64 v89, v[90:91]
.LBB43_237:
	s_or_b32 exec_lo, exec_lo, s4
	s_waitcnt lgkmcnt(0)
	s_waitcnt_vscnt null, 0x0
	s_barrier
	buffer_gl0_inv
	s_clause 0x1c
	buffer_load_dword v99, off, s[0:3], 0 offset:152
	buffer_load_dword v100, off, s[0:3], 0 offset:156
	;; [unrolled: 1-line block ×29, first 2 shown]
	v_mov_b32_e32 v90, 0
	buffer_load_dword v124, off, s[0:3], 0 offset:268
	s_mov_b32 s4, exec_lo
	ds_read2_b64 v[91:94], v90 offset0:63 offset1:64
	ds_read2_b64 v[95:98], v90 offset0:65 offset1:66
	s_waitcnt vmcnt(28) lgkmcnt(1)
	v_fma_f64 v[91:92], v[99:100], v[91:92], 0
	s_clause 0x7
	buffer_load_dword v100, off, s[0:3], 0 offset:276
	buffer_load_dword v129, off, s[0:3], 0 offset:296
	;; [unrolled: 1-line block ×8, first 2 shown]
	s_waitcnt vmcnt(34)
	v_fma_f64 v[91:92], v[101:102], v[93:94], v[91:92]
	s_waitcnt vmcnt(32) lgkmcnt(0)
	v_fma_f64 v[91:92], v[103:104], v[95:96], v[91:92]
	s_waitcnt vmcnt(30)
	v_fma_f64 v[101:102], v[105:106], v[97:98], v[91:92]
	ds_read2_b64 v[91:94], v90 offset0:67 offset1:68
	ds_read2_b64 v[95:98], v90 offset0:69 offset1:70
	s_waitcnt vmcnt(28) lgkmcnt(1)
	v_fma_f64 v[91:92], v[107:108], v[91:92], v[101:102]
	s_clause 0x7
	buffer_load_dword v102, off, s[0:3], 0 offset:308
	buffer_load_dword v103, off, s[0:3], 0 offset:328
	;; [unrolled: 1-line block ×8, first 2 shown]
	s_waitcnt vmcnt(34)
	v_fma_f64 v[91:92], v[109:110], v[93:94], v[91:92]
	s_waitcnt vmcnt(32) lgkmcnt(0)
	v_fma_f64 v[91:92], v[111:112], v[95:96], v[91:92]
	s_waitcnt vmcnt(27)
	v_fma_f64 v[109:110], v[113:114], v[97:98], v[91:92]
	ds_read2_b64 v[91:94], v90 offset0:71 offset1:72
	ds_read2_b64 v[95:98], v90 offset0:73 offset1:74
	s_waitcnt vmcnt(26) lgkmcnt(1)
	v_fma_f64 v[91:92], v[119:120], v[91:92], v[109:110]
	s_clause 0x5
	buffer_load_dword v110, off, s[0:3], 0 offset:340
	buffer_load_dword v111, off, s[0:3], 0 offset:344
	;; [unrolled: 1-line block ×6, first 2 shown]
	s_waitcnt vmcnt(31)
	v_fma_f64 v[91:92], v[117:118], v[93:94], v[91:92]
	s_waitcnt vmcnt(30) lgkmcnt(0)
	v_fma_f64 v[91:92], v[115:116], v[95:96], v[91:92]
	s_waitcnt vmcnt(25)
	v_fma_f64 v[115:116], v[121:122], v[97:98], v[91:92]
	ds_read2_b64 v[91:94], v90 offset0:75 offset1:76
	ds_read2_b64 v[95:98], v90 offset0:77 offset1:78
	s_waitcnt vmcnt(24) lgkmcnt(1)
	v_fma_f64 v[91:92], v[127:128], v[91:92], v[115:116]
	s_waitcnt vmcnt(23)
	v_fma_f64 v[91:92], v[125:126], v[93:94], v[91:92]
	s_waitcnt vmcnt(22) lgkmcnt(0)
	v_fma_f64 v[91:92], v[123:124], v[95:96], v[91:92]
	s_waitcnt vmcnt(17)
	v_fma_f64 v[99:100], v[99:100], v[97:98], v[91:92]
	ds_read2_b64 v[91:94], v90 offset0:79 offset1:80
	ds_read2_b64 v[95:98], v90 offset0:81 offset1:82
	s_waitcnt vmcnt(16) lgkmcnt(1)
	v_fma_f64 v[91:92], v[133:134], v[91:92], v[99:100]
	;; [unrolled: 10-line block ×3, first 2 shown]
	s_waitcnt vmcnt(7)
	v_fma_f64 v[91:92], v[105:106], v[93:94], v[91:92]
	ds_read_b64 v[93:94], v90 offset:696
	s_waitcnt vmcnt(6) lgkmcnt(1)
	v_fma_f64 v[91:92], v[103:104], v[95:96], v[91:92]
	s_waitcnt vmcnt(3)
	v_fma_f64 v[91:92], v[109:110], v[97:98], v[91:92]
	s_waitcnt vmcnt(2) lgkmcnt(0)
	v_fma_f64 v[91:92], v[111:112], v[93:94], v[91:92]
	s_waitcnt vmcnt(0)
	v_add_f64 v[91:92], v[113:114], -v[91:92]
	buffer_store_dword v92, off, s[0:3], 0 offset:148
	buffer_store_dword v91, off, s[0:3], 0 offset:144
	v_cmpx_lt_u32_e32 17, v0
	s_cbranch_execz .LBB43_239
; %bb.238:
	s_clause 0x1
	buffer_load_dword v91, off, s[0:3], 0 offset:136
	buffer_load_dword v92, off, s[0:3], 0 offset:140
	buffer_store_dword v90, off, s[0:3], 0 offset:136
	buffer_store_dword v90, off, s[0:3], 0 offset:140
	s_waitcnt vmcnt(0)
	ds_write_b64 v89, v[91:92]
.LBB43_239:
	s_or_b32 exec_lo, exec_lo, s4
	s_waitcnt lgkmcnt(0)
	s_waitcnt_vscnt null, 0x0
	s_barrier
	buffer_gl0_inv
	s_clause 0x1c
	buffer_load_dword v99, off, s[0:3], 0 offset:144
	buffer_load_dword v100, off, s[0:3], 0 offset:148
	;; [unrolled: 1-line block ×29, first 2 shown]
	ds_read_b128 v[91:94], v90 offset:496
	ds_read_b128 v[95:98], v90 offset:512
	buffer_load_dword v124, off, s[0:3], 0 offset:260
	s_mov_b32 s4, exec_lo
	s_waitcnt vmcnt(28) lgkmcnt(1)
	v_fma_f64 v[91:92], v[99:100], v[91:92], 0
	s_clause 0x7
	buffer_load_dword v100, off, s[0:3], 0 offset:268
	buffer_load_dword v129, off, s[0:3], 0 offset:288
	;; [unrolled: 1-line block ×8, first 2 shown]
	s_waitcnt vmcnt(34)
	v_fma_f64 v[91:92], v[101:102], v[93:94], v[91:92]
	s_waitcnt vmcnt(32) lgkmcnt(0)
	v_fma_f64 v[91:92], v[103:104], v[95:96], v[91:92]
	s_waitcnt vmcnt(30)
	v_fma_f64 v[101:102], v[105:106], v[97:98], v[91:92]
	ds_read_b128 v[91:94], v90 offset:528
	ds_read_b128 v[95:98], v90 offset:544
	s_waitcnt vmcnt(28) lgkmcnt(1)
	v_fma_f64 v[91:92], v[107:108], v[91:92], v[101:102]
	s_clause 0x7
	buffer_load_dword v102, off, s[0:3], 0 offset:300
	buffer_load_dword v103, off, s[0:3], 0 offset:320
	;; [unrolled: 1-line block ×8, first 2 shown]
	s_waitcnt vmcnt(34)
	v_fma_f64 v[91:92], v[109:110], v[93:94], v[91:92]
	s_waitcnt vmcnt(32) lgkmcnt(0)
	v_fma_f64 v[91:92], v[111:112], v[95:96], v[91:92]
	s_waitcnt vmcnt(27)
	v_fma_f64 v[109:110], v[113:114], v[97:98], v[91:92]
	ds_read_b128 v[91:94], v90 offset:560
	ds_read_b128 v[95:98], v90 offset:576
	s_waitcnt vmcnt(26) lgkmcnt(1)
	v_fma_f64 v[91:92], v[119:120], v[91:92], v[109:110]
	s_clause 0x5
	buffer_load_dword v110, off, s[0:3], 0 offset:332
	buffer_load_dword v111, off, s[0:3], 0 offset:344
	;; [unrolled: 1-line block ×6, first 2 shown]
	s_waitcnt vmcnt(31)
	v_fma_f64 v[91:92], v[117:118], v[93:94], v[91:92]
	s_waitcnt vmcnt(30) lgkmcnt(0)
	v_fma_f64 v[91:92], v[115:116], v[95:96], v[91:92]
	s_waitcnt vmcnt(25)
	v_fma_f64 v[115:116], v[121:122], v[97:98], v[91:92]
	ds_read_b128 v[91:94], v90 offset:592
	s_clause 0x1
	buffer_load_dword v117, off, s[0:3], 0 offset:136
	buffer_load_dword v118, off, s[0:3], 0 offset:140
	ds_read_b128 v[95:98], v90 offset:608
	s_waitcnt vmcnt(26) lgkmcnt(1)
	v_fma_f64 v[91:92], v[127:128], v[91:92], v[115:116]
	s_waitcnt vmcnt(25)
	v_fma_f64 v[91:92], v[125:126], v[93:94], v[91:92]
	s_waitcnt vmcnt(24) lgkmcnt(0)
	v_fma_f64 v[91:92], v[123:124], v[95:96], v[91:92]
	s_waitcnt vmcnt(19)
	v_fma_f64 v[99:100], v[99:100], v[97:98], v[91:92]
	ds_read_b128 v[91:94], v90 offset:624
	ds_read_b128 v[95:98], v90 offset:640
	s_waitcnt vmcnt(18) lgkmcnt(1)
	v_fma_f64 v[91:92], v[133:134], v[91:92], v[99:100]
	s_waitcnt vmcnt(17)
	v_fma_f64 v[91:92], v[131:132], v[93:94], v[91:92]
	s_waitcnt vmcnt(16) lgkmcnt(0)
	v_fma_f64 v[91:92], v[129:130], v[95:96], v[91:92]
	s_waitcnt vmcnt(11)
	v_fma_f64 v[99:100], v[101:102], v[97:98], v[91:92]
	ds_read_b128 v[91:94], v90 offset:656
	;; [unrolled: 10-line block ×3, first 2 shown]
	s_waitcnt vmcnt(3) lgkmcnt(0)
	v_fma_f64 v[90:91], v[113:114], v[90:91], v[94:95]
	s_waitcnt vmcnt(2)
	v_fma_f64 v[90:91], v[111:112], v[92:93], v[90:91]
	s_waitcnt vmcnt(0)
	v_add_f64 v[90:91], v[117:118], -v[90:91]
	buffer_store_dword v91, off, s[0:3], 0 offset:140
	buffer_store_dword v90, off, s[0:3], 0 offset:136
	v_cmpx_lt_u32_e32 16, v0
	s_cbranch_execz .LBB43_241
; %bb.240:
	s_clause 0x1
	buffer_load_dword v90, off, s[0:3], 0 offset:128
	buffer_load_dword v91, off, s[0:3], 0 offset:132
	v_mov_b32_e32 v92, 0
	buffer_store_dword v92, off, s[0:3], 0 offset:128
	buffer_store_dword v92, off, s[0:3], 0 offset:132
	s_waitcnt vmcnt(0)
	ds_write_b64 v89, v[90:91]
.LBB43_241:
	s_or_b32 exec_lo, exec_lo, s4
	s_waitcnt lgkmcnt(0)
	s_waitcnt_vscnt null, 0x0
	s_barrier
	buffer_gl0_inv
	s_clause 0x1c
	buffer_load_dword v99, off, s[0:3], 0 offset:136
	buffer_load_dword v100, off, s[0:3], 0 offset:140
	;; [unrolled: 1-line block ×29, first 2 shown]
	v_mov_b32_e32 v90, 0
	buffer_load_dword v124, off, s[0:3], 0 offset:252
	s_mov_b32 s4, exec_lo
	ds_read2_b64 v[91:94], v90 offset0:61 offset1:62
	ds_read2_b64 v[95:98], v90 offset0:63 offset1:64
	s_waitcnt vmcnt(28) lgkmcnt(1)
	v_fma_f64 v[91:92], v[99:100], v[91:92], 0
	s_clause 0x7
	buffer_load_dword v100, off, s[0:3], 0 offset:260
	buffer_load_dword v129, off, s[0:3], 0 offset:280
	buffer_load_dword v131, off, s[0:3], 0 offset:272
	buffer_load_dword v133, off, s[0:3], 0 offset:264
	buffer_load_dword v99, off, s[0:3], 0 offset:256
	buffer_load_dword v134, off, s[0:3], 0 offset:268
	buffer_load_dword v132, off, s[0:3], 0 offset:276
	buffer_load_dword v130, off, s[0:3], 0 offset:284
	s_waitcnt vmcnt(34)
	v_fma_f64 v[91:92], v[101:102], v[93:94], v[91:92]
	s_waitcnt vmcnt(32) lgkmcnt(0)
	v_fma_f64 v[91:92], v[103:104], v[95:96], v[91:92]
	s_waitcnt vmcnt(30)
	v_fma_f64 v[101:102], v[105:106], v[97:98], v[91:92]
	ds_read2_b64 v[91:94], v90 offset0:65 offset1:66
	ds_read2_b64 v[95:98], v90 offset0:67 offset1:68
	s_waitcnt vmcnt(28) lgkmcnt(1)
	v_fma_f64 v[91:92], v[107:108], v[91:92], v[101:102]
	s_clause 0x7
	buffer_load_dword v102, off, s[0:3], 0 offset:292
	buffer_load_dword v103, off, s[0:3], 0 offset:312
	buffer_load_dword v105, off, s[0:3], 0 offset:304
	buffer_load_dword v107, off, s[0:3], 0 offset:296
	buffer_load_dword v101, off, s[0:3], 0 offset:288
	buffer_load_dword v108, off, s[0:3], 0 offset:300
	buffer_load_dword v106, off, s[0:3], 0 offset:308
	buffer_load_dword v104, off, s[0:3], 0 offset:316
	s_waitcnt vmcnt(34)
	v_fma_f64 v[91:92], v[109:110], v[93:94], v[91:92]
	s_waitcnt vmcnt(32) lgkmcnt(0)
	v_fma_f64 v[91:92], v[111:112], v[95:96], v[91:92]
	s_waitcnt vmcnt(27)
	v_fma_f64 v[109:110], v[113:114], v[97:98], v[91:92]
	;; [unrolled: 19-line block ×3, first 2 shown]
	ds_read2_b64 v[91:94], v90 offset0:73 offset1:74
	ds_read2_b64 v[95:98], v90 offset0:75 offset1:76
	s_waitcnt vmcnt(26) lgkmcnt(1)
	v_fma_f64 v[91:92], v[127:128], v[91:92], v[115:116]
	s_clause 0x1
	buffer_load_dword v115, off, s[0:3], 0 offset:128
	buffer_load_dword v116, off, s[0:3], 0 offset:132
	s_waitcnt vmcnt(27)
	v_fma_f64 v[91:92], v[125:126], v[93:94], v[91:92]
	s_waitcnt vmcnt(26) lgkmcnt(0)
	v_fma_f64 v[91:92], v[123:124], v[95:96], v[91:92]
	s_waitcnt vmcnt(21)
	v_fma_f64 v[99:100], v[99:100], v[97:98], v[91:92]
	ds_read2_b64 v[91:94], v90 offset0:77 offset1:78
	ds_read2_b64 v[95:98], v90 offset0:79 offset1:80
	s_waitcnt vmcnt(20) lgkmcnt(1)
	v_fma_f64 v[91:92], v[133:134], v[91:92], v[99:100]
	s_waitcnt vmcnt(19)
	v_fma_f64 v[91:92], v[131:132], v[93:94], v[91:92]
	s_waitcnt vmcnt(18) lgkmcnt(0)
	v_fma_f64 v[91:92], v[129:130], v[95:96], v[91:92]
	s_waitcnt vmcnt(13)
	v_fma_f64 v[99:100], v[101:102], v[97:98], v[91:92]
	ds_read2_b64 v[91:94], v90 offset0:81 offset1:82
	ds_read2_b64 v[95:98], v90 offset0:83 offset1:84
	s_waitcnt vmcnt(12) lgkmcnt(1)
	v_fma_f64 v[91:92], v[107:108], v[91:92], v[99:100]
	s_waitcnt vmcnt(11)
	v_fma_f64 v[91:92], v[105:106], v[93:94], v[91:92]
	s_waitcnt vmcnt(10) lgkmcnt(0)
	v_fma_f64 v[91:92], v[103:104], v[95:96], v[91:92]
	s_waitcnt vmcnt(5)
	v_fma_f64 v[95:96], v[109:110], v[97:98], v[91:92]
	ds_read2_b64 v[91:94], v90 offset0:85 offset1:86
	ds_read_b64 v[97:98], v90 offset:696
	s_waitcnt vmcnt(4) lgkmcnt(1)
	v_fma_f64 v[91:92], v[119:120], v[91:92], v[95:96]
	s_waitcnt vmcnt(3)
	v_fma_f64 v[91:92], v[113:114], v[93:94], v[91:92]
	s_waitcnt vmcnt(2) lgkmcnt(0)
	v_fma_f64 v[91:92], v[111:112], v[97:98], v[91:92]
	s_waitcnt vmcnt(0)
	v_add_f64 v[91:92], v[115:116], -v[91:92]
	buffer_store_dword v92, off, s[0:3], 0 offset:132
	buffer_store_dword v91, off, s[0:3], 0 offset:128
	v_cmpx_lt_u32_e32 15, v0
	s_cbranch_execz .LBB43_243
; %bb.242:
	s_clause 0x1
	buffer_load_dword v91, off, s[0:3], 0 offset:120
	buffer_load_dword v92, off, s[0:3], 0 offset:124
	buffer_store_dword v90, off, s[0:3], 0 offset:120
	buffer_store_dword v90, off, s[0:3], 0 offset:124
	s_waitcnt vmcnt(0)
	ds_write_b64 v89, v[91:92]
.LBB43_243:
	s_or_b32 exec_lo, exec_lo, s4
	s_waitcnt lgkmcnt(0)
	s_waitcnt_vscnt null, 0x0
	s_barrier
	buffer_gl0_inv
	s_clause 0x1c
	buffer_load_dword v99, off, s[0:3], 0 offset:128
	buffer_load_dword v100, off, s[0:3], 0 offset:132
	buffer_load_dword v101, off, s[0:3], 0 offset:136
	buffer_load_dword v102, off, s[0:3], 0 offset:140
	buffer_load_dword v103, off, s[0:3], 0 offset:144
	buffer_load_dword v104, off, s[0:3], 0 offset:148
	buffer_load_dword v105, off, s[0:3], 0 offset:152
	buffer_load_dword v106, off, s[0:3], 0 offset:156
	buffer_load_dword v107, off, s[0:3], 0 offset:160
	buffer_load_dword v108, off, s[0:3], 0 offset:164
	buffer_load_dword v109, off, s[0:3], 0 offset:168
	buffer_load_dword v110, off, s[0:3], 0 offset:172
	buffer_load_dword v111, off, s[0:3], 0 offset:176
	buffer_load_dword v112, off, s[0:3], 0 offset:180
	buffer_load_dword v114, off, s[0:3], 0 offset:188
	buffer_load_dword v115, off, s[0:3], 0 offset:208
	buffer_load_dword v117, off, s[0:3], 0 offset:200
	buffer_load_dword v119, off, s[0:3], 0 offset:192
	buffer_load_dword v113, off, s[0:3], 0 offset:184
	buffer_load_dword v120, off, s[0:3], 0 offset:196
	buffer_load_dword v118, off, s[0:3], 0 offset:204
	buffer_load_dword v116, off, s[0:3], 0 offset:212
	buffer_load_dword v122, off, s[0:3], 0 offset:220
	buffer_load_dword v123, off, s[0:3], 0 offset:240
	buffer_load_dword v125, off, s[0:3], 0 offset:232
	buffer_load_dword v127, off, s[0:3], 0 offset:224
	buffer_load_dword v121, off, s[0:3], 0 offset:216
	buffer_load_dword v128, off, s[0:3], 0 offset:228
	buffer_load_dword v126, off, s[0:3], 0 offset:236
	ds_read_b128 v[91:94], v90 offset:480
	ds_read_b128 v[95:98], v90 offset:496
	buffer_load_dword v124, off, s[0:3], 0 offset:244
	s_mov_b32 s4, exec_lo
	s_waitcnt vmcnt(28) lgkmcnt(1)
	v_fma_f64 v[91:92], v[99:100], v[91:92], 0
	s_clause 0x7
	buffer_load_dword v100, off, s[0:3], 0 offset:252
	buffer_load_dword v129, off, s[0:3], 0 offset:272
	buffer_load_dword v131, off, s[0:3], 0 offset:264
	buffer_load_dword v133, off, s[0:3], 0 offset:256
	buffer_load_dword v99, off, s[0:3], 0 offset:248
	buffer_load_dword v134, off, s[0:3], 0 offset:260
	buffer_load_dword v132, off, s[0:3], 0 offset:268
	buffer_load_dword v130, off, s[0:3], 0 offset:276
	s_waitcnt vmcnt(34)
	v_fma_f64 v[91:92], v[101:102], v[93:94], v[91:92]
	s_waitcnt vmcnt(32) lgkmcnt(0)
	v_fma_f64 v[91:92], v[103:104], v[95:96], v[91:92]
	s_waitcnt vmcnt(30)
	v_fma_f64 v[101:102], v[105:106], v[97:98], v[91:92]
	ds_read_b128 v[91:94], v90 offset:512
	ds_read_b128 v[95:98], v90 offset:528
	s_waitcnt vmcnt(28) lgkmcnt(1)
	v_fma_f64 v[91:92], v[107:108], v[91:92], v[101:102]
	s_clause 0x7
	buffer_load_dword v102, off, s[0:3], 0 offset:284
	buffer_load_dword v103, off, s[0:3], 0 offset:304
	buffer_load_dword v105, off, s[0:3], 0 offset:296
	buffer_load_dword v107, off, s[0:3], 0 offset:288
	buffer_load_dword v101, off, s[0:3], 0 offset:280
	buffer_load_dword v108, off, s[0:3], 0 offset:292
	buffer_load_dword v106, off, s[0:3], 0 offset:300
	buffer_load_dword v104, off, s[0:3], 0 offset:308
	s_waitcnt vmcnt(34)
	v_fma_f64 v[91:92], v[109:110], v[93:94], v[91:92]
	s_waitcnt vmcnt(32) lgkmcnt(0)
	v_fma_f64 v[91:92], v[111:112], v[95:96], v[91:92]
	s_waitcnt vmcnt(27)
	v_fma_f64 v[109:110], v[113:114], v[97:98], v[91:92]
	ds_read_b128 v[91:94], v90 offset:544
	ds_read_b128 v[95:98], v90 offset:560
	;; [unrolled: 19-line block ×3, first 2 shown]
	s_waitcnt vmcnt(26) lgkmcnt(1)
	v_fma_f64 v[91:92], v[127:128], v[91:92], v[115:116]
	s_clause 0x3
	buffer_load_dword v116, off, s[0:3], 0 offset:348
	buffer_load_dword v115, off, s[0:3], 0 offset:344
	;; [unrolled: 1-line block ×4, first 2 shown]
	s_waitcnt vmcnt(29)
	v_fma_f64 v[91:92], v[125:126], v[93:94], v[91:92]
	s_waitcnt vmcnt(28) lgkmcnt(0)
	v_fma_f64 v[91:92], v[123:124], v[95:96], v[91:92]
	s_waitcnt vmcnt(23)
	v_fma_f64 v[99:100], v[99:100], v[97:98], v[91:92]
	ds_read_b128 v[91:94], v90 offset:608
	ds_read_b128 v[95:98], v90 offset:624
	s_waitcnt vmcnt(22) lgkmcnt(1)
	v_fma_f64 v[91:92], v[133:134], v[91:92], v[99:100]
	s_waitcnt vmcnt(21)
	v_fma_f64 v[91:92], v[131:132], v[93:94], v[91:92]
	s_waitcnt vmcnt(20) lgkmcnt(0)
	v_fma_f64 v[91:92], v[129:130], v[95:96], v[91:92]
	s_waitcnt vmcnt(15)
	v_fma_f64 v[99:100], v[101:102], v[97:98], v[91:92]
	ds_read_b128 v[91:94], v90 offset:640
	ds_read_b128 v[95:98], v90 offset:656
	s_waitcnt vmcnt(14) lgkmcnt(1)
	v_fma_f64 v[91:92], v[107:108], v[91:92], v[99:100]
	s_waitcnt vmcnt(13)
	v_fma_f64 v[91:92], v[105:106], v[93:94], v[91:92]
	s_waitcnt vmcnt(12) lgkmcnt(0)
	v_fma_f64 v[91:92], v[103:104], v[95:96], v[91:92]
	s_waitcnt vmcnt(7)
	v_fma_f64 v[99:100], v[109:110], v[97:98], v[91:92]
	ds_read_b128 v[91:94], v90 offset:672
	ds_read_b128 v[95:98], v90 offset:688
	s_waitcnt vmcnt(6) lgkmcnt(1)
	v_fma_f64 v[90:91], v[119:120], v[91:92], v[99:100]
	s_waitcnt vmcnt(5)
	v_fma_f64 v[90:91], v[113:114], v[93:94], v[90:91]
	s_waitcnt vmcnt(4) lgkmcnt(0)
	v_fma_f64 v[90:91], v[111:112], v[95:96], v[90:91]
	s_waitcnt vmcnt(2)
	v_fma_f64 v[90:91], v[115:116], v[97:98], v[90:91]
	s_waitcnt vmcnt(0)
	v_add_f64 v[90:91], v[117:118], -v[90:91]
	buffer_store_dword v91, off, s[0:3], 0 offset:124
	buffer_store_dword v90, off, s[0:3], 0 offset:120
	v_cmpx_lt_u32_e32 14, v0
	s_cbranch_execz .LBB43_245
; %bb.244:
	s_clause 0x1
	buffer_load_dword v90, off, s[0:3], 0 offset:112
	buffer_load_dword v91, off, s[0:3], 0 offset:116
	v_mov_b32_e32 v92, 0
	buffer_store_dword v92, off, s[0:3], 0 offset:112
	buffer_store_dword v92, off, s[0:3], 0 offset:116
	s_waitcnt vmcnt(0)
	ds_write_b64 v89, v[90:91]
.LBB43_245:
	s_or_b32 exec_lo, exec_lo, s4
	s_waitcnt lgkmcnt(0)
	s_waitcnt_vscnt null, 0x0
	s_barrier
	buffer_gl0_inv
	s_clause 0x1c
	buffer_load_dword v99, off, s[0:3], 0 offset:120
	buffer_load_dword v100, off, s[0:3], 0 offset:124
	;; [unrolled: 1-line block ×29, first 2 shown]
	v_mov_b32_e32 v90, 0
	buffer_load_dword v124, off, s[0:3], 0 offset:236
	s_mov_b32 s4, exec_lo
	ds_read2_b64 v[91:94], v90 offset0:59 offset1:60
	ds_read2_b64 v[95:98], v90 offset0:61 offset1:62
	s_waitcnt vmcnt(28) lgkmcnt(1)
	v_fma_f64 v[91:92], v[99:100], v[91:92], 0
	s_clause 0x7
	buffer_load_dword v100, off, s[0:3], 0 offset:244
	buffer_load_dword v129, off, s[0:3], 0 offset:264
	buffer_load_dword v131, off, s[0:3], 0 offset:256
	buffer_load_dword v133, off, s[0:3], 0 offset:248
	buffer_load_dword v99, off, s[0:3], 0 offset:240
	buffer_load_dword v134, off, s[0:3], 0 offset:252
	buffer_load_dword v132, off, s[0:3], 0 offset:260
	buffer_load_dword v130, off, s[0:3], 0 offset:268
	s_waitcnt vmcnt(34)
	v_fma_f64 v[91:92], v[101:102], v[93:94], v[91:92]
	s_waitcnt vmcnt(32) lgkmcnt(0)
	v_fma_f64 v[91:92], v[103:104], v[95:96], v[91:92]
	s_waitcnt vmcnt(30)
	v_fma_f64 v[101:102], v[105:106], v[97:98], v[91:92]
	ds_read2_b64 v[91:94], v90 offset0:63 offset1:64
	ds_read2_b64 v[95:98], v90 offset0:65 offset1:66
	s_waitcnt vmcnt(28) lgkmcnt(1)
	v_fma_f64 v[91:92], v[107:108], v[91:92], v[101:102]
	s_clause 0x7
	buffer_load_dword v102, off, s[0:3], 0 offset:276
	buffer_load_dword v103, off, s[0:3], 0 offset:296
	buffer_load_dword v105, off, s[0:3], 0 offset:288
	buffer_load_dword v107, off, s[0:3], 0 offset:280
	buffer_load_dword v101, off, s[0:3], 0 offset:272
	buffer_load_dword v108, off, s[0:3], 0 offset:284
	buffer_load_dword v106, off, s[0:3], 0 offset:292
	buffer_load_dword v104, off, s[0:3], 0 offset:300
	s_waitcnt vmcnt(34)
	v_fma_f64 v[91:92], v[109:110], v[93:94], v[91:92]
	s_waitcnt vmcnt(32) lgkmcnt(0)
	v_fma_f64 v[91:92], v[111:112], v[95:96], v[91:92]
	s_waitcnt vmcnt(27)
	v_fma_f64 v[109:110], v[113:114], v[97:98], v[91:92]
	;; [unrolled: 19-line block ×3, first 2 shown]
	ds_read2_b64 v[91:94], v90 offset0:71 offset1:72
	ds_read2_b64 v[95:98], v90 offset0:73 offset1:74
	s_waitcnt vmcnt(26) lgkmcnt(1)
	v_fma_f64 v[91:92], v[127:128], v[91:92], v[115:116]
	s_clause 0x5
	buffer_load_dword v116, off, s[0:3], 0 offset:340
	buffer_load_dword v117, off, s[0:3], 0 offset:344
	;; [unrolled: 1-line block ×6, first 2 shown]
	s_waitcnt vmcnt(31)
	v_fma_f64 v[91:92], v[125:126], v[93:94], v[91:92]
	s_waitcnt vmcnt(30) lgkmcnt(0)
	v_fma_f64 v[91:92], v[123:124], v[95:96], v[91:92]
	s_waitcnt vmcnt(25)
	v_fma_f64 v[99:100], v[99:100], v[97:98], v[91:92]
	ds_read2_b64 v[91:94], v90 offset0:75 offset1:76
	ds_read2_b64 v[95:98], v90 offset0:77 offset1:78
	s_waitcnt vmcnt(24) lgkmcnt(1)
	v_fma_f64 v[91:92], v[133:134], v[91:92], v[99:100]
	s_waitcnt vmcnt(23)
	v_fma_f64 v[91:92], v[131:132], v[93:94], v[91:92]
	s_waitcnt vmcnt(22) lgkmcnt(0)
	v_fma_f64 v[91:92], v[129:130], v[95:96], v[91:92]
	s_waitcnt vmcnt(17)
	v_fma_f64 v[99:100], v[101:102], v[97:98], v[91:92]
	ds_read2_b64 v[91:94], v90 offset0:79 offset1:80
	ds_read2_b64 v[95:98], v90 offset0:81 offset1:82
	s_waitcnt vmcnt(16) lgkmcnt(1)
	v_fma_f64 v[91:92], v[107:108], v[91:92], v[99:100]
	;; [unrolled: 10-line block ×3, first 2 shown]
	s_waitcnt vmcnt(7)
	v_fma_f64 v[91:92], v[113:114], v[93:94], v[91:92]
	ds_read_b64 v[93:94], v90 offset:696
	s_waitcnt vmcnt(6) lgkmcnt(1)
	v_fma_f64 v[91:92], v[111:112], v[95:96], v[91:92]
	s_waitcnt vmcnt(3)
	v_fma_f64 v[91:92], v[115:116], v[97:98], v[91:92]
	s_waitcnt vmcnt(2) lgkmcnt(0)
	v_fma_f64 v[91:92], v[117:118], v[93:94], v[91:92]
	s_waitcnt vmcnt(0)
	v_add_f64 v[91:92], v[121:122], -v[91:92]
	buffer_store_dword v92, off, s[0:3], 0 offset:116
	buffer_store_dword v91, off, s[0:3], 0 offset:112
	v_cmpx_lt_u32_e32 13, v0
	s_cbranch_execz .LBB43_247
; %bb.246:
	s_clause 0x1
	buffer_load_dword v91, off, s[0:3], 0 offset:104
	buffer_load_dword v92, off, s[0:3], 0 offset:108
	buffer_store_dword v90, off, s[0:3], 0 offset:104
	buffer_store_dword v90, off, s[0:3], 0 offset:108
	s_waitcnt vmcnt(0)
	ds_write_b64 v89, v[91:92]
.LBB43_247:
	s_or_b32 exec_lo, exec_lo, s4
	s_waitcnt lgkmcnt(0)
	s_waitcnt_vscnt null, 0x0
	s_barrier
	buffer_gl0_inv
	s_clause 0x1c
	buffer_load_dword v99, off, s[0:3], 0 offset:112
	buffer_load_dword v100, off, s[0:3], 0 offset:116
	;; [unrolled: 1-line block ×29, first 2 shown]
	ds_read_b128 v[91:94], v90 offset:464
	ds_read_b128 v[95:98], v90 offset:480
	buffer_load_dword v124, off, s[0:3], 0 offset:228
	s_mov_b32 s4, exec_lo
	s_waitcnt vmcnt(28) lgkmcnt(1)
	v_fma_f64 v[91:92], v[99:100], v[91:92], 0
	s_clause 0x7
	buffer_load_dword v100, off, s[0:3], 0 offset:236
	buffer_load_dword v129, off, s[0:3], 0 offset:256
	buffer_load_dword v131, off, s[0:3], 0 offset:248
	buffer_load_dword v133, off, s[0:3], 0 offset:240
	buffer_load_dword v99, off, s[0:3], 0 offset:232
	buffer_load_dword v134, off, s[0:3], 0 offset:244
	buffer_load_dword v132, off, s[0:3], 0 offset:252
	buffer_load_dword v130, off, s[0:3], 0 offset:260
	s_waitcnt vmcnt(34)
	v_fma_f64 v[91:92], v[101:102], v[93:94], v[91:92]
	s_waitcnt vmcnt(32) lgkmcnt(0)
	v_fma_f64 v[91:92], v[103:104], v[95:96], v[91:92]
	s_waitcnt vmcnt(30)
	v_fma_f64 v[101:102], v[105:106], v[97:98], v[91:92]
	ds_read_b128 v[91:94], v90 offset:496
	ds_read_b128 v[95:98], v90 offset:512
	s_waitcnt vmcnt(28) lgkmcnt(1)
	v_fma_f64 v[91:92], v[107:108], v[91:92], v[101:102]
	s_clause 0x7
	buffer_load_dword v102, off, s[0:3], 0 offset:268
	buffer_load_dword v103, off, s[0:3], 0 offset:288
	buffer_load_dword v105, off, s[0:3], 0 offset:280
	buffer_load_dword v107, off, s[0:3], 0 offset:272
	buffer_load_dword v101, off, s[0:3], 0 offset:264
	buffer_load_dword v108, off, s[0:3], 0 offset:276
	buffer_load_dword v106, off, s[0:3], 0 offset:284
	buffer_load_dword v104, off, s[0:3], 0 offset:292
	s_waitcnt vmcnt(34)
	v_fma_f64 v[91:92], v[109:110], v[93:94], v[91:92]
	s_waitcnt vmcnt(32) lgkmcnt(0)
	v_fma_f64 v[91:92], v[111:112], v[95:96], v[91:92]
	s_waitcnt vmcnt(27)
	v_fma_f64 v[109:110], v[113:114], v[97:98], v[91:92]
	ds_read_b128 v[91:94], v90 offset:528
	ds_read_b128 v[95:98], v90 offset:544
	;; [unrolled: 19-line block ×3, first 2 shown]
	s_waitcnt vmcnt(26) lgkmcnt(1)
	v_fma_f64 v[91:92], v[127:128], v[91:92], v[115:116]
	s_clause 0x5
	buffer_load_dword v116, off, s[0:3], 0 offset:332
	buffer_load_dword v117, off, s[0:3], 0 offset:344
	;; [unrolled: 1-line block ×6, first 2 shown]
	s_waitcnt vmcnt(31)
	v_fma_f64 v[91:92], v[125:126], v[93:94], v[91:92]
	s_waitcnt vmcnt(30) lgkmcnt(0)
	v_fma_f64 v[91:92], v[123:124], v[95:96], v[91:92]
	s_waitcnt vmcnt(25)
	v_fma_f64 v[99:100], v[99:100], v[97:98], v[91:92]
	ds_read_b128 v[91:94], v90 offset:592
	s_clause 0x1
	buffer_load_dword v123, off, s[0:3], 0 offset:104
	buffer_load_dword v124, off, s[0:3], 0 offset:108
	ds_read_b128 v[95:98], v90 offset:608
	s_waitcnt vmcnt(26) lgkmcnt(1)
	v_fma_f64 v[91:92], v[133:134], v[91:92], v[99:100]
	s_waitcnt vmcnt(25)
	v_fma_f64 v[91:92], v[131:132], v[93:94], v[91:92]
	s_waitcnt vmcnt(24) lgkmcnt(0)
	v_fma_f64 v[91:92], v[129:130], v[95:96], v[91:92]
	s_waitcnt vmcnt(19)
	v_fma_f64 v[99:100], v[101:102], v[97:98], v[91:92]
	ds_read_b128 v[91:94], v90 offset:624
	ds_read_b128 v[95:98], v90 offset:640
	s_waitcnt vmcnt(18) lgkmcnt(1)
	v_fma_f64 v[91:92], v[107:108], v[91:92], v[99:100]
	s_waitcnt vmcnt(17)
	v_fma_f64 v[91:92], v[105:106], v[93:94], v[91:92]
	s_waitcnt vmcnt(16) lgkmcnt(0)
	v_fma_f64 v[91:92], v[103:104], v[95:96], v[91:92]
	s_waitcnt vmcnt(11)
	v_fma_f64 v[99:100], v[109:110], v[97:98], v[91:92]
	ds_read_b128 v[91:94], v90 offset:656
	;; [unrolled: 10-line block ×3, first 2 shown]
	s_waitcnt vmcnt(3) lgkmcnt(0)
	v_fma_f64 v[90:91], v[121:122], v[90:91], v[94:95]
	s_waitcnt vmcnt(2)
	v_fma_f64 v[90:91], v[117:118], v[92:93], v[90:91]
	s_waitcnt vmcnt(0)
	v_add_f64 v[90:91], v[123:124], -v[90:91]
	buffer_store_dword v91, off, s[0:3], 0 offset:108
	buffer_store_dword v90, off, s[0:3], 0 offset:104
	v_cmpx_lt_u32_e32 12, v0
	s_cbranch_execz .LBB43_249
; %bb.248:
	s_clause 0x1
	buffer_load_dword v90, off, s[0:3], 0 offset:96
	buffer_load_dword v91, off, s[0:3], 0 offset:100
	v_mov_b32_e32 v92, 0
	buffer_store_dword v92, off, s[0:3], 0 offset:96
	buffer_store_dword v92, off, s[0:3], 0 offset:100
	s_waitcnt vmcnt(0)
	ds_write_b64 v89, v[90:91]
.LBB43_249:
	s_or_b32 exec_lo, exec_lo, s4
	s_waitcnt lgkmcnt(0)
	s_waitcnt_vscnt null, 0x0
	s_barrier
	buffer_gl0_inv
	s_clause 0x1c
	buffer_load_dword v99, off, s[0:3], 0 offset:104
	buffer_load_dword v100, off, s[0:3], 0 offset:108
	;; [unrolled: 1-line block ×29, first 2 shown]
	v_mov_b32_e32 v90, 0
	buffer_load_dword v124, off, s[0:3], 0 offset:220
	s_mov_b32 s4, exec_lo
	ds_read2_b64 v[91:94], v90 offset0:57 offset1:58
	ds_read2_b64 v[95:98], v90 offset0:59 offset1:60
	s_waitcnt vmcnt(28) lgkmcnt(1)
	v_fma_f64 v[91:92], v[99:100], v[91:92], 0
	s_clause 0x7
	buffer_load_dword v100, off, s[0:3], 0 offset:228
	buffer_load_dword v129, off, s[0:3], 0 offset:248
	buffer_load_dword v131, off, s[0:3], 0 offset:240
	buffer_load_dword v133, off, s[0:3], 0 offset:232
	buffer_load_dword v99, off, s[0:3], 0 offset:224
	buffer_load_dword v134, off, s[0:3], 0 offset:236
	buffer_load_dword v132, off, s[0:3], 0 offset:244
	buffer_load_dword v130, off, s[0:3], 0 offset:252
	s_waitcnt vmcnt(34)
	v_fma_f64 v[91:92], v[101:102], v[93:94], v[91:92]
	s_waitcnt vmcnt(32) lgkmcnt(0)
	v_fma_f64 v[91:92], v[103:104], v[95:96], v[91:92]
	s_waitcnt vmcnt(30)
	v_fma_f64 v[101:102], v[105:106], v[97:98], v[91:92]
	ds_read2_b64 v[91:94], v90 offset0:61 offset1:62
	ds_read2_b64 v[95:98], v90 offset0:63 offset1:64
	s_waitcnt vmcnt(28) lgkmcnt(1)
	v_fma_f64 v[91:92], v[107:108], v[91:92], v[101:102]
	s_clause 0x7
	buffer_load_dword v102, off, s[0:3], 0 offset:260
	buffer_load_dword v103, off, s[0:3], 0 offset:280
	buffer_load_dword v105, off, s[0:3], 0 offset:272
	buffer_load_dword v107, off, s[0:3], 0 offset:264
	buffer_load_dword v101, off, s[0:3], 0 offset:256
	buffer_load_dword v108, off, s[0:3], 0 offset:268
	buffer_load_dword v106, off, s[0:3], 0 offset:276
	buffer_load_dword v104, off, s[0:3], 0 offset:284
	s_waitcnt vmcnt(34)
	v_fma_f64 v[91:92], v[109:110], v[93:94], v[91:92]
	s_waitcnt vmcnt(32) lgkmcnt(0)
	v_fma_f64 v[91:92], v[111:112], v[95:96], v[91:92]
	s_waitcnt vmcnt(27)
	v_fma_f64 v[109:110], v[113:114], v[97:98], v[91:92]
	;; [unrolled: 19-line block ×4, first 2 shown]
	ds_read2_b64 v[91:94], v90 offset0:73 offset1:74
	ds_read2_b64 v[95:98], v90 offset0:75 offset1:76
	s_waitcnt vmcnt(26) lgkmcnt(1)
	v_fma_f64 v[91:92], v[133:134], v[91:92], v[99:100]
	s_clause 0x1
	buffer_load_dword v99, off, s[0:3], 0 offset:96
	buffer_load_dword v100, off, s[0:3], 0 offset:100
	s_waitcnt vmcnt(27)
	v_fma_f64 v[91:92], v[131:132], v[93:94], v[91:92]
	s_waitcnt vmcnt(26) lgkmcnt(0)
	v_fma_f64 v[91:92], v[129:130], v[95:96], v[91:92]
	s_waitcnt vmcnt(21)
	v_fma_f64 v[101:102], v[101:102], v[97:98], v[91:92]
	ds_read2_b64 v[91:94], v90 offset0:77 offset1:78
	ds_read2_b64 v[95:98], v90 offset0:79 offset1:80
	s_waitcnt vmcnt(20) lgkmcnt(1)
	v_fma_f64 v[91:92], v[107:108], v[91:92], v[101:102]
	s_waitcnt vmcnt(19)
	v_fma_f64 v[91:92], v[105:106], v[93:94], v[91:92]
	s_waitcnt vmcnt(18) lgkmcnt(0)
	v_fma_f64 v[91:92], v[103:104], v[95:96], v[91:92]
	s_waitcnt vmcnt(13)
	v_fma_f64 v[101:102], v[109:110], v[97:98], v[91:92]
	ds_read2_b64 v[91:94], v90 offset0:81 offset1:82
	ds_read2_b64 v[95:98], v90 offset0:83 offset1:84
	s_waitcnt vmcnt(12) lgkmcnt(1)
	v_fma_f64 v[91:92], v[119:120], v[91:92], v[101:102]
	s_waitcnt vmcnt(11)
	v_fma_f64 v[91:92], v[113:114], v[93:94], v[91:92]
	s_waitcnt vmcnt(10) lgkmcnt(0)
	v_fma_f64 v[91:92], v[111:112], v[95:96], v[91:92]
	s_waitcnt vmcnt(5)
	v_fma_f64 v[95:96], v[115:116], v[97:98], v[91:92]
	ds_read2_b64 v[91:94], v90 offset0:85 offset1:86
	ds_read_b64 v[97:98], v90 offset:696
	s_waitcnt vmcnt(4) lgkmcnt(1)
	v_fma_f64 v[91:92], v[127:128], v[91:92], v[95:96]
	s_waitcnt vmcnt(3)
	v_fma_f64 v[91:92], v[121:122], v[93:94], v[91:92]
	s_waitcnt vmcnt(2) lgkmcnt(0)
	v_fma_f64 v[91:92], v[117:118], v[97:98], v[91:92]
	s_waitcnt vmcnt(0)
	v_add_f64 v[91:92], v[99:100], -v[91:92]
	buffer_store_dword v92, off, s[0:3], 0 offset:100
	buffer_store_dword v91, off, s[0:3], 0 offset:96
	v_cmpx_lt_u32_e32 11, v0
	s_cbranch_execz .LBB43_251
; %bb.250:
	s_clause 0x1
	buffer_load_dword v91, off, s[0:3], 0 offset:88
	buffer_load_dword v92, off, s[0:3], 0 offset:92
	buffer_store_dword v90, off, s[0:3], 0 offset:88
	buffer_store_dword v90, off, s[0:3], 0 offset:92
	s_waitcnt vmcnt(0)
	ds_write_b64 v89, v[91:92]
.LBB43_251:
	s_or_b32 exec_lo, exec_lo, s4
	s_waitcnt lgkmcnt(0)
	s_waitcnt_vscnt null, 0x0
	s_barrier
	buffer_gl0_inv
	s_clause 0x1c
	buffer_load_dword v99, off, s[0:3], 0 offset:96
	buffer_load_dword v100, off, s[0:3], 0 offset:100
	buffer_load_dword v101, off, s[0:3], 0 offset:104
	buffer_load_dword v102, off, s[0:3], 0 offset:108
	buffer_load_dword v103, off, s[0:3], 0 offset:112
	buffer_load_dword v104, off, s[0:3], 0 offset:116
	buffer_load_dword v105, off, s[0:3], 0 offset:120
	buffer_load_dword v106, off, s[0:3], 0 offset:124
	buffer_load_dword v107, off, s[0:3], 0 offset:128
	buffer_load_dword v108, off, s[0:3], 0 offset:132
	buffer_load_dword v109, off, s[0:3], 0 offset:136
	buffer_load_dword v110, off, s[0:3], 0 offset:140
	buffer_load_dword v111, off, s[0:3], 0 offset:144
	buffer_load_dword v112, off, s[0:3], 0 offset:148
	buffer_load_dword v114, off, s[0:3], 0 offset:156
	buffer_load_dword v115, off, s[0:3], 0 offset:176
	buffer_load_dword v117, off, s[0:3], 0 offset:168
	buffer_load_dword v119, off, s[0:3], 0 offset:160
	buffer_load_dword v113, off, s[0:3], 0 offset:152
	buffer_load_dword v120, off, s[0:3], 0 offset:164
	buffer_load_dword v118, off, s[0:3], 0 offset:172
	buffer_load_dword v116, off, s[0:3], 0 offset:180
	buffer_load_dword v122, off, s[0:3], 0 offset:188
	buffer_load_dword v123, off, s[0:3], 0 offset:208
	buffer_load_dword v125, off, s[0:3], 0 offset:200
	buffer_load_dword v127, off, s[0:3], 0 offset:192
	buffer_load_dword v121, off, s[0:3], 0 offset:184
	buffer_load_dword v128, off, s[0:3], 0 offset:196
	buffer_load_dword v126, off, s[0:3], 0 offset:204
	ds_read_b128 v[91:94], v90 offset:448
	ds_read_b128 v[95:98], v90 offset:464
	buffer_load_dword v124, off, s[0:3], 0 offset:212
	s_mov_b32 s4, exec_lo
	s_waitcnt vmcnt(28) lgkmcnt(1)
	v_fma_f64 v[91:92], v[99:100], v[91:92], 0
	s_clause 0x7
	buffer_load_dword v100, off, s[0:3], 0 offset:220
	buffer_load_dword v129, off, s[0:3], 0 offset:240
	buffer_load_dword v131, off, s[0:3], 0 offset:232
	buffer_load_dword v133, off, s[0:3], 0 offset:224
	buffer_load_dword v99, off, s[0:3], 0 offset:216
	buffer_load_dword v134, off, s[0:3], 0 offset:228
	buffer_load_dword v132, off, s[0:3], 0 offset:236
	buffer_load_dword v130, off, s[0:3], 0 offset:244
	s_waitcnt vmcnt(34)
	v_fma_f64 v[91:92], v[101:102], v[93:94], v[91:92]
	s_waitcnt vmcnt(32) lgkmcnt(0)
	v_fma_f64 v[91:92], v[103:104], v[95:96], v[91:92]
	s_waitcnt vmcnt(30)
	v_fma_f64 v[101:102], v[105:106], v[97:98], v[91:92]
	ds_read_b128 v[91:94], v90 offset:480
	ds_read_b128 v[95:98], v90 offset:496
	s_waitcnt vmcnt(28) lgkmcnt(1)
	v_fma_f64 v[91:92], v[107:108], v[91:92], v[101:102]
	s_clause 0x7
	buffer_load_dword v102, off, s[0:3], 0 offset:252
	buffer_load_dword v103, off, s[0:3], 0 offset:272
	buffer_load_dword v105, off, s[0:3], 0 offset:264
	buffer_load_dword v107, off, s[0:3], 0 offset:256
	buffer_load_dword v101, off, s[0:3], 0 offset:248
	buffer_load_dword v108, off, s[0:3], 0 offset:260
	buffer_load_dword v106, off, s[0:3], 0 offset:268
	buffer_load_dword v104, off, s[0:3], 0 offset:276
	s_waitcnt vmcnt(34)
	v_fma_f64 v[91:92], v[109:110], v[93:94], v[91:92]
	s_waitcnt vmcnt(32) lgkmcnt(0)
	v_fma_f64 v[91:92], v[111:112], v[95:96], v[91:92]
	s_waitcnt vmcnt(27)
	v_fma_f64 v[109:110], v[113:114], v[97:98], v[91:92]
	ds_read_b128 v[91:94], v90 offset:512
	ds_read_b128 v[95:98], v90 offset:528
	;; [unrolled: 19-line block ×4, first 2 shown]
	s_waitcnt vmcnt(26) lgkmcnt(1)
	v_fma_f64 v[91:92], v[133:134], v[91:92], v[99:100]
	s_clause 0x3
	buffer_load_dword v100, off, s[0:3], 0 offset:348
	buffer_load_dword v99, off, s[0:3], 0 offset:344
	;; [unrolled: 1-line block ×4, first 2 shown]
	s_waitcnt vmcnt(29)
	v_fma_f64 v[91:92], v[131:132], v[93:94], v[91:92]
	s_waitcnt vmcnt(28) lgkmcnt(0)
	v_fma_f64 v[91:92], v[129:130], v[95:96], v[91:92]
	s_waitcnt vmcnt(23)
	v_fma_f64 v[101:102], v[101:102], v[97:98], v[91:92]
	ds_read_b128 v[91:94], v90 offset:608
	ds_read_b128 v[95:98], v90 offset:624
	s_waitcnt vmcnt(22) lgkmcnt(1)
	v_fma_f64 v[91:92], v[107:108], v[91:92], v[101:102]
	s_waitcnt vmcnt(21)
	v_fma_f64 v[91:92], v[105:106], v[93:94], v[91:92]
	s_waitcnt vmcnt(20) lgkmcnt(0)
	v_fma_f64 v[91:92], v[103:104], v[95:96], v[91:92]
	s_waitcnt vmcnt(15)
	v_fma_f64 v[101:102], v[109:110], v[97:98], v[91:92]
	ds_read_b128 v[91:94], v90 offset:640
	ds_read_b128 v[95:98], v90 offset:656
	s_waitcnt vmcnt(14) lgkmcnt(1)
	v_fma_f64 v[91:92], v[119:120], v[91:92], v[101:102]
	;; [unrolled: 10-line block ×3, first 2 shown]
	s_waitcnt vmcnt(5)
	v_fma_f64 v[90:91], v[121:122], v[93:94], v[90:91]
	s_waitcnt vmcnt(4) lgkmcnt(0)
	v_fma_f64 v[90:91], v[117:118], v[95:96], v[90:91]
	s_waitcnt vmcnt(2)
	v_fma_f64 v[90:91], v[99:100], v[97:98], v[90:91]
	s_waitcnt vmcnt(0)
	v_add_f64 v[90:91], v[123:124], -v[90:91]
	buffer_store_dword v91, off, s[0:3], 0 offset:92
	buffer_store_dword v90, off, s[0:3], 0 offset:88
	v_cmpx_lt_u32_e32 10, v0
	s_cbranch_execz .LBB43_253
; %bb.252:
	s_clause 0x1
	buffer_load_dword v90, off, s[0:3], 0 offset:80
	buffer_load_dword v91, off, s[0:3], 0 offset:84
	v_mov_b32_e32 v92, 0
	buffer_store_dword v92, off, s[0:3], 0 offset:80
	buffer_store_dword v92, off, s[0:3], 0 offset:84
	s_waitcnt vmcnt(0)
	ds_write_b64 v89, v[90:91]
.LBB43_253:
	s_or_b32 exec_lo, exec_lo, s4
	s_waitcnt lgkmcnt(0)
	s_waitcnt_vscnt null, 0x0
	s_barrier
	buffer_gl0_inv
	s_clause 0x1c
	buffer_load_dword v99, off, s[0:3], 0 offset:88
	buffer_load_dword v100, off, s[0:3], 0 offset:92
	;; [unrolled: 1-line block ×29, first 2 shown]
	v_mov_b32_e32 v90, 0
	buffer_load_dword v124, off, s[0:3], 0 offset:204
	s_mov_b32 s4, exec_lo
	ds_read2_b64 v[91:94], v90 offset0:55 offset1:56
	ds_read2_b64 v[95:98], v90 offset0:57 offset1:58
	s_waitcnt vmcnt(28) lgkmcnt(1)
	v_fma_f64 v[91:92], v[99:100], v[91:92], 0
	s_clause 0x7
	buffer_load_dword v100, off, s[0:3], 0 offset:212
	buffer_load_dword v129, off, s[0:3], 0 offset:232
	buffer_load_dword v131, off, s[0:3], 0 offset:224
	buffer_load_dword v133, off, s[0:3], 0 offset:216
	buffer_load_dword v99, off, s[0:3], 0 offset:208
	buffer_load_dword v134, off, s[0:3], 0 offset:220
	buffer_load_dword v132, off, s[0:3], 0 offset:228
	buffer_load_dword v130, off, s[0:3], 0 offset:236
	s_waitcnt vmcnt(34)
	v_fma_f64 v[91:92], v[101:102], v[93:94], v[91:92]
	s_waitcnt vmcnt(32) lgkmcnt(0)
	v_fma_f64 v[91:92], v[103:104], v[95:96], v[91:92]
	s_waitcnt vmcnt(30)
	v_fma_f64 v[101:102], v[105:106], v[97:98], v[91:92]
	ds_read2_b64 v[91:94], v90 offset0:59 offset1:60
	ds_read2_b64 v[95:98], v90 offset0:61 offset1:62
	s_waitcnt vmcnt(28) lgkmcnt(1)
	v_fma_f64 v[91:92], v[107:108], v[91:92], v[101:102]
	s_clause 0x7
	buffer_load_dword v102, off, s[0:3], 0 offset:244
	buffer_load_dword v103, off, s[0:3], 0 offset:264
	buffer_load_dword v105, off, s[0:3], 0 offset:256
	buffer_load_dword v107, off, s[0:3], 0 offset:248
	buffer_load_dword v101, off, s[0:3], 0 offset:240
	buffer_load_dword v108, off, s[0:3], 0 offset:252
	buffer_load_dword v106, off, s[0:3], 0 offset:260
	buffer_load_dword v104, off, s[0:3], 0 offset:268
	s_waitcnt vmcnt(34)
	v_fma_f64 v[91:92], v[109:110], v[93:94], v[91:92]
	s_waitcnt vmcnt(32) lgkmcnt(0)
	v_fma_f64 v[91:92], v[111:112], v[95:96], v[91:92]
	s_waitcnt vmcnt(27)
	v_fma_f64 v[109:110], v[113:114], v[97:98], v[91:92]
	;; [unrolled: 19-line block ×4, first 2 shown]
	ds_read2_b64 v[91:94], v90 offset0:71 offset1:72
	ds_read2_b64 v[95:98], v90 offset0:73 offset1:74
	s_waitcnt vmcnt(26) lgkmcnt(1)
	v_fma_f64 v[91:92], v[133:134], v[91:92], v[99:100]
	s_clause 0x5
	buffer_load_dword v100, off, s[0:3], 0 offset:340
	buffer_load_dword v123, off, s[0:3], 0 offset:344
	;; [unrolled: 1-line block ×6, first 2 shown]
	s_waitcnt vmcnt(31)
	v_fma_f64 v[91:92], v[131:132], v[93:94], v[91:92]
	s_waitcnt vmcnt(30) lgkmcnt(0)
	v_fma_f64 v[91:92], v[129:130], v[95:96], v[91:92]
	s_waitcnt vmcnt(25)
	v_fma_f64 v[101:102], v[101:102], v[97:98], v[91:92]
	ds_read2_b64 v[91:94], v90 offset0:75 offset1:76
	ds_read2_b64 v[95:98], v90 offset0:77 offset1:78
	s_waitcnt vmcnt(24) lgkmcnt(1)
	v_fma_f64 v[91:92], v[107:108], v[91:92], v[101:102]
	s_waitcnt vmcnt(23)
	v_fma_f64 v[91:92], v[105:106], v[93:94], v[91:92]
	s_waitcnt vmcnt(22) lgkmcnt(0)
	v_fma_f64 v[91:92], v[103:104], v[95:96], v[91:92]
	s_waitcnt vmcnt(17)
	v_fma_f64 v[101:102], v[109:110], v[97:98], v[91:92]
	ds_read2_b64 v[91:94], v90 offset0:79 offset1:80
	ds_read2_b64 v[95:98], v90 offset0:81 offset1:82
	s_waitcnt vmcnt(16) lgkmcnt(1)
	v_fma_f64 v[91:92], v[119:120], v[91:92], v[101:102]
	;; [unrolled: 10-line block ×3, first 2 shown]
	s_waitcnt vmcnt(7)
	v_fma_f64 v[91:92], v[121:122], v[93:94], v[91:92]
	ds_read_b64 v[93:94], v90 offset:696
	s_waitcnt vmcnt(6) lgkmcnt(1)
	v_fma_f64 v[91:92], v[117:118], v[95:96], v[91:92]
	s_waitcnt vmcnt(3)
	v_fma_f64 v[91:92], v[99:100], v[97:98], v[91:92]
	s_waitcnt vmcnt(2) lgkmcnt(0)
	v_fma_f64 v[91:92], v[123:124], v[93:94], v[91:92]
	s_waitcnt vmcnt(0)
	v_add_f64 v[91:92], v[125:126], -v[91:92]
	buffer_store_dword v92, off, s[0:3], 0 offset:84
	buffer_store_dword v91, off, s[0:3], 0 offset:80
	v_cmpx_lt_u32_e32 9, v0
	s_cbranch_execz .LBB43_255
; %bb.254:
	s_clause 0x1
	buffer_load_dword v91, off, s[0:3], 0 offset:72
	buffer_load_dword v92, off, s[0:3], 0 offset:76
	buffer_store_dword v90, off, s[0:3], 0 offset:72
	buffer_store_dword v90, off, s[0:3], 0 offset:76
	s_waitcnt vmcnt(0)
	ds_write_b64 v89, v[91:92]
.LBB43_255:
	s_or_b32 exec_lo, exec_lo, s4
	s_waitcnt lgkmcnt(0)
	s_waitcnt_vscnt null, 0x0
	s_barrier
	buffer_gl0_inv
	s_clause 0x1c
	buffer_load_dword v99, off, s[0:3], 0 offset:80
	buffer_load_dword v100, off, s[0:3], 0 offset:84
	;; [unrolled: 1-line block ×29, first 2 shown]
	ds_read_b128 v[91:94], v90 offset:432
	ds_read_b128 v[95:98], v90 offset:448
	buffer_load_dword v124, off, s[0:3], 0 offset:196
	s_mov_b32 s4, exec_lo
	s_waitcnt vmcnt(28) lgkmcnt(1)
	v_fma_f64 v[91:92], v[99:100], v[91:92], 0
	s_clause 0x7
	buffer_load_dword v100, off, s[0:3], 0 offset:204
	buffer_load_dword v129, off, s[0:3], 0 offset:224
	buffer_load_dword v131, off, s[0:3], 0 offset:216
	buffer_load_dword v133, off, s[0:3], 0 offset:208
	buffer_load_dword v99, off, s[0:3], 0 offset:200
	buffer_load_dword v134, off, s[0:3], 0 offset:212
	buffer_load_dword v132, off, s[0:3], 0 offset:220
	buffer_load_dword v130, off, s[0:3], 0 offset:228
	s_waitcnt vmcnt(34)
	v_fma_f64 v[91:92], v[101:102], v[93:94], v[91:92]
	s_waitcnt vmcnt(32) lgkmcnt(0)
	v_fma_f64 v[91:92], v[103:104], v[95:96], v[91:92]
	s_waitcnt vmcnt(30)
	v_fma_f64 v[101:102], v[105:106], v[97:98], v[91:92]
	ds_read_b128 v[91:94], v90 offset:464
	ds_read_b128 v[95:98], v90 offset:480
	s_waitcnt vmcnt(28) lgkmcnt(1)
	v_fma_f64 v[91:92], v[107:108], v[91:92], v[101:102]
	s_clause 0x7
	buffer_load_dword v102, off, s[0:3], 0 offset:236
	buffer_load_dword v103, off, s[0:3], 0 offset:256
	buffer_load_dword v105, off, s[0:3], 0 offset:248
	buffer_load_dword v107, off, s[0:3], 0 offset:240
	buffer_load_dword v101, off, s[0:3], 0 offset:232
	buffer_load_dword v108, off, s[0:3], 0 offset:244
	buffer_load_dword v106, off, s[0:3], 0 offset:252
	buffer_load_dword v104, off, s[0:3], 0 offset:260
	s_waitcnt vmcnt(34)
	v_fma_f64 v[91:92], v[109:110], v[93:94], v[91:92]
	s_waitcnt vmcnt(32) lgkmcnt(0)
	v_fma_f64 v[91:92], v[111:112], v[95:96], v[91:92]
	s_waitcnt vmcnt(27)
	v_fma_f64 v[109:110], v[113:114], v[97:98], v[91:92]
	ds_read_b128 v[91:94], v90 offset:496
	ds_read_b128 v[95:98], v90 offset:512
	;; [unrolled: 19-line block ×4, first 2 shown]
	s_waitcnt vmcnt(26) lgkmcnt(1)
	v_fma_f64 v[91:92], v[133:134], v[91:92], v[99:100]
	s_clause 0x5
	buffer_load_dword v100, off, s[0:3], 0 offset:332
	buffer_load_dword v123, off, s[0:3], 0 offset:344
	;; [unrolled: 1-line block ×6, first 2 shown]
	s_waitcnt vmcnt(31)
	v_fma_f64 v[91:92], v[131:132], v[93:94], v[91:92]
	s_waitcnt vmcnt(30) lgkmcnt(0)
	v_fma_f64 v[91:92], v[129:130], v[95:96], v[91:92]
	s_waitcnt vmcnt(25)
	v_fma_f64 v[101:102], v[101:102], v[97:98], v[91:92]
	ds_read_b128 v[91:94], v90 offset:592
	s_clause 0x1
	buffer_load_dword v129, off, s[0:3], 0 offset:72
	buffer_load_dword v130, off, s[0:3], 0 offset:76
	ds_read_b128 v[95:98], v90 offset:608
	s_waitcnt vmcnt(26) lgkmcnt(1)
	v_fma_f64 v[91:92], v[107:108], v[91:92], v[101:102]
	s_waitcnt vmcnt(25)
	v_fma_f64 v[91:92], v[105:106], v[93:94], v[91:92]
	s_waitcnt vmcnt(24) lgkmcnt(0)
	v_fma_f64 v[91:92], v[103:104], v[95:96], v[91:92]
	s_waitcnt vmcnt(19)
	v_fma_f64 v[101:102], v[109:110], v[97:98], v[91:92]
	ds_read_b128 v[91:94], v90 offset:624
	ds_read_b128 v[95:98], v90 offset:640
	s_waitcnt vmcnt(18) lgkmcnt(1)
	v_fma_f64 v[91:92], v[119:120], v[91:92], v[101:102]
	s_waitcnt vmcnt(17)
	v_fma_f64 v[91:92], v[113:114], v[93:94], v[91:92]
	s_waitcnt vmcnt(16) lgkmcnt(0)
	v_fma_f64 v[91:92], v[111:112], v[95:96], v[91:92]
	s_waitcnt vmcnt(11)
	v_fma_f64 v[101:102], v[115:116], v[97:98], v[91:92]
	ds_read_b128 v[91:94], v90 offset:656
	;; [unrolled: 10-line block ×3, first 2 shown]
	s_waitcnt vmcnt(3) lgkmcnt(0)
	v_fma_f64 v[90:91], v[125:126], v[90:91], v[94:95]
	s_waitcnt vmcnt(2)
	v_fma_f64 v[90:91], v[123:124], v[92:93], v[90:91]
	s_waitcnt vmcnt(0)
	v_add_f64 v[90:91], v[129:130], -v[90:91]
	buffer_store_dword v91, off, s[0:3], 0 offset:76
	buffer_store_dword v90, off, s[0:3], 0 offset:72
	v_cmpx_lt_u32_e32 8, v0
	s_cbranch_execz .LBB43_257
; %bb.256:
	s_clause 0x1
	buffer_load_dword v90, off, s[0:3], 0 offset:64
	buffer_load_dword v91, off, s[0:3], 0 offset:68
	v_mov_b32_e32 v92, 0
	buffer_store_dword v92, off, s[0:3], 0 offset:64
	buffer_store_dword v92, off, s[0:3], 0 offset:68
	s_waitcnt vmcnt(0)
	ds_write_b64 v89, v[90:91]
.LBB43_257:
	s_or_b32 exec_lo, exec_lo, s4
	s_waitcnt lgkmcnt(0)
	s_waitcnt_vscnt null, 0x0
	s_barrier
	buffer_gl0_inv
	s_clause 0x1c
	buffer_load_dword v99, off, s[0:3], 0 offset:72
	buffer_load_dword v100, off, s[0:3], 0 offset:76
	;; [unrolled: 1-line block ×29, first 2 shown]
	v_mov_b32_e32 v90, 0
	buffer_load_dword v124, off, s[0:3], 0 offset:188
	s_mov_b32 s4, exec_lo
	ds_read2_b64 v[91:94], v90 offset0:53 offset1:54
	ds_read2_b64 v[95:98], v90 offset0:55 offset1:56
	s_waitcnt vmcnt(28) lgkmcnt(1)
	v_fma_f64 v[91:92], v[99:100], v[91:92], 0
	s_clause 0x7
	buffer_load_dword v100, off, s[0:3], 0 offset:196
	buffer_load_dword v129, off, s[0:3], 0 offset:216
	buffer_load_dword v131, off, s[0:3], 0 offset:208
	buffer_load_dword v133, off, s[0:3], 0 offset:200
	buffer_load_dword v99, off, s[0:3], 0 offset:192
	buffer_load_dword v134, off, s[0:3], 0 offset:204
	buffer_load_dword v132, off, s[0:3], 0 offset:212
	buffer_load_dword v130, off, s[0:3], 0 offset:220
	s_waitcnt vmcnt(34)
	v_fma_f64 v[91:92], v[101:102], v[93:94], v[91:92]
	s_waitcnt vmcnt(32) lgkmcnt(0)
	v_fma_f64 v[91:92], v[103:104], v[95:96], v[91:92]
	s_waitcnt vmcnt(30)
	v_fma_f64 v[101:102], v[105:106], v[97:98], v[91:92]
	ds_read2_b64 v[91:94], v90 offset0:57 offset1:58
	ds_read2_b64 v[95:98], v90 offset0:59 offset1:60
	s_waitcnt vmcnt(28) lgkmcnt(1)
	v_fma_f64 v[91:92], v[107:108], v[91:92], v[101:102]
	s_clause 0x7
	buffer_load_dword v102, off, s[0:3], 0 offset:228
	buffer_load_dword v103, off, s[0:3], 0 offset:248
	buffer_load_dword v105, off, s[0:3], 0 offset:240
	buffer_load_dword v107, off, s[0:3], 0 offset:232
	buffer_load_dword v101, off, s[0:3], 0 offset:224
	buffer_load_dword v108, off, s[0:3], 0 offset:236
	buffer_load_dword v106, off, s[0:3], 0 offset:244
	buffer_load_dword v104, off, s[0:3], 0 offset:252
	s_waitcnt vmcnt(34)
	v_fma_f64 v[91:92], v[109:110], v[93:94], v[91:92]
	s_waitcnt vmcnt(32) lgkmcnt(0)
	v_fma_f64 v[91:92], v[111:112], v[95:96], v[91:92]
	s_waitcnt vmcnt(27)
	v_fma_f64 v[109:110], v[113:114], v[97:98], v[91:92]
	;; [unrolled: 19-line block ×5, first 2 shown]
	ds_read2_b64 v[91:94], v90 offset0:73 offset1:74
	ds_read2_b64 v[95:98], v90 offset0:75 offset1:76
	s_waitcnt vmcnt(26) lgkmcnt(1)
	v_fma_f64 v[91:92], v[107:108], v[91:92], v[101:102]
	s_clause 0x1
	buffer_load_dword v101, off, s[0:3], 0 offset:64
	buffer_load_dword v102, off, s[0:3], 0 offset:68
	s_waitcnt vmcnt(27)
	v_fma_f64 v[91:92], v[105:106], v[93:94], v[91:92]
	s_waitcnt vmcnt(26) lgkmcnt(0)
	v_fma_f64 v[91:92], v[103:104], v[95:96], v[91:92]
	s_waitcnt vmcnt(21)
	v_fma_f64 v[103:104], v[109:110], v[97:98], v[91:92]
	ds_read2_b64 v[91:94], v90 offset0:77 offset1:78
	ds_read2_b64 v[95:98], v90 offset0:79 offset1:80
	s_waitcnt vmcnt(20) lgkmcnt(1)
	v_fma_f64 v[91:92], v[119:120], v[91:92], v[103:104]
	s_waitcnt vmcnt(19)
	v_fma_f64 v[91:92], v[113:114], v[93:94], v[91:92]
	s_waitcnt vmcnt(18) lgkmcnt(0)
	v_fma_f64 v[91:92], v[111:112], v[95:96], v[91:92]
	s_waitcnt vmcnt(13)
	v_fma_f64 v[103:104], v[115:116], v[97:98], v[91:92]
	ds_read2_b64 v[91:94], v90 offset0:81 offset1:82
	ds_read2_b64 v[95:98], v90 offset0:83 offset1:84
	s_waitcnt vmcnt(12) lgkmcnt(1)
	v_fma_f64 v[91:92], v[127:128], v[91:92], v[103:104]
	s_waitcnt vmcnt(11)
	v_fma_f64 v[91:92], v[121:122], v[93:94], v[91:92]
	s_waitcnt vmcnt(10) lgkmcnt(0)
	v_fma_f64 v[91:92], v[117:118], v[95:96], v[91:92]
	s_waitcnt vmcnt(5)
	v_fma_f64 v[95:96], v[99:100], v[97:98], v[91:92]
	ds_read2_b64 v[91:94], v90 offset0:85 offset1:86
	ds_read_b64 v[97:98], v90 offset:696
	s_waitcnt vmcnt(4) lgkmcnt(1)
	v_fma_f64 v[91:92], v[133:134], v[91:92], v[95:96]
	s_waitcnt vmcnt(3)
	v_fma_f64 v[91:92], v[125:126], v[93:94], v[91:92]
	s_waitcnt vmcnt(2) lgkmcnt(0)
	v_fma_f64 v[91:92], v[123:124], v[97:98], v[91:92]
	s_waitcnt vmcnt(0)
	v_add_f64 v[91:92], v[101:102], -v[91:92]
	buffer_store_dword v92, off, s[0:3], 0 offset:68
	buffer_store_dword v91, off, s[0:3], 0 offset:64
	v_cmpx_lt_u32_e32 7, v0
	s_cbranch_execz .LBB43_259
; %bb.258:
	s_clause 0x1
	buffer_load_dword v91, off, s[0:3], 0 offset:56
	buffer_load_dword v92, off, s[0:3], 0 offset:60
	buffer_store_dword v90, off, s[0:3], 0 offset:56
	buffer_store_dword v90, off, s[0:3], 0 offset:60
	s_waitcnt vmcnt(0)
	ds_write_b64 v89, v[91:92]
.LBB43_259:
	s_or_b32 exec_lo, exec_lo, s4
	s_waitcnt lgkmcnt(0)
	s_waitcnt_vscnt null, 0x0
	s_barrier
	buffer_gl0_inv
	s_clause 0x1c
	buffer_load_dword v99, off, s[0:3], 0 offset:64
	buffer_load_dword v100, off, s[0:3], 0 offset:68
	;; [unrolled: 1-line block ×29, first 2 shown]
	ds_read_b128 v[91:94], v90 offset:416
	ds_read_b128 v[95:98], v90 offset:432
	buffer_load_dword v124, off, s[0:3], 0 offset:180
	s_mov_b32 s4, exec_lo
	s_waitcnt vmcnt(28) lgkmcnt(1)
	v_fma_f64 v[91:92], v[99:100], v[91:92], 0
	s_clause 0x7
	buffer_load_dword v100, off, s[0:3], 0 offset:188
	buffer_load_dword v129, off, s[0:3], 0 offset:208
	buffer_load_dword v131, off, s[0:3], 0 offset:200
	buffer_load_dword v133, off, s[0:3], 0 offset:192
	buffer_load_dword v99, off, s[0:3], 0 offset:184
	buffer_load_dword v134, off, s[0:3], 0 offset:196
	buffer_load_dword v132, off, s[0:3], 0 offset:204
	buffer_load_dword v130, off, s[0:3], 0 offset:212
	s_waitcnt vmcnt(34)
	v_fma_f64 v[91:92], v[101:102], v[93:94], v[91:92]
	s_waitcnt vmcnt(32) lgkmcnt(0)
	v_fma_f64 v[91:92], v[103:104], v[95:96], v[91:92]
	s_waitcnt vmcnt(30)
	v_fma_f64 v[101:102], v[105:106], v[97:98], v[91:92]
	ds_read_b128 v[91:94], v90 offset:448
	ds_read_b128 v[95:98], v90 offset:464
	s_waitcnt vmcnt(28) lgkmcnt(1)
	v_fma_f64 v[91:92], v[107:108], v[91:92], v[101:102]
	s_clause 0x7
	buffer_load_dword v102, off, s[0:3], 0 offset:220
	buffer_load_dword v103, off, s[0:3], 0 offset:240
	buffer_load_dword v105, off, s[0:3], 0 offset:232
	buffer_load_dword v107, off, s[0:3], 0 offset:224
	buffer_load_dword v101, off, s[0:3], 0 offset:216
	buffer_load_dword v108, off, s[0:3], 0 offset:228
	buffer_load_dword v106, off, s[0:3], 0 offset:236
	buffer_load_dword v104, off, s[0:3], 0 offset:244
	s_waitcnt vmcnt(34)
	v_fma_f64 v[91:92], v[109:110], v[93:94], v[91:92]
	s_waitcnt vmcnt(32) lgkmcnt(0)
	v_fma_f64 v[91:92], v[111:112], v[95:96], v[91:92]
	s_waitcnt vmcnt(27)
	v_fma_f64 v[109:110], v[113:114], v[97:98], v[91:92]
	ds_read_b128 v[91:94], v90 offset:480
	ds_read_b128 v[95:98], v90 offset:496
	;; [unrolled: 19-line block ×5, first 2 shown]
	s_waitcnt vmcnt(26) lgkmcnt(1)
	v_fma_f64 v[91:92], v[107:108], v[91:92], v[101:102]
	s_clause 0x1
	buffer_load_dword v102, off, s[0:3], 0 offset:348
	buffer_load_dword v101, off, s[0:3], 0 offset:344
	s_waitcnt vmcnt(27)
	v_fma_f64 v[91:92], v[105:106], v[93:94], v[91:92]
	s_clause 0x1
	buffer_load_dword v105, off, s[0:3], 0 offset:56
	buffer_load_dword v106, off, s[0:3], 0 offset:60
	s_waitcnt vmcnt(28) lgkmcnt(0)
	v_fma_f64 v[91:92], v[103:104], v[95:96], v[91:92]
	s_waitcnt vmcnt(23)
	v_fma_f64 v[103:104], v[109:110], v[97:98], v[91:92]
	ds_read_b128 v[91:94], v90 offset:608
	ds_read_b128 v[95:98], v90 offset:624
	s_waitcnt vmcnt(22) lgkmcnt(1)
	v_fma_f64 v[91:92], v[119:120], v[91:92], v[103:104]
	s_waitcnt vmcnt(21)
	v_fma_f64 v[91:92], v[113:114], v[93:94], v[91:92]
	s_waitcnt vmcnt(20) lgkmcnt(0)
	v_fma_f64 v[91:92], v[111:112], v[95:96], v[91:92]
	s_waitcnt vmcnt(15)
	v_fma_f64 v[103:104], v[115:116], v[97:98], v[91:92]
	ds_read_b128 v[91:94], v90 offset:640
	ds_read_b128 v[95:98], v90 offset:656
	s_waitcnt vmcnt(14) lgkmcnt(1)
	v_fma_f64 v[91:92], v[127:128], v[91:92], v[103:104]
	s_waitcnt vmcnt(13)
	v_fma_f64 v[91:92], v[121:122], v[93:94], v[91:92]
	;; [unrolled: 10-line block ×3, first 2 shown]
	s_waitcnt vmcnt(4) lgkmcnt(0)
	v_fma_f64 v[90:91], v[123:124], v[95:96], v[90:91]
	s_waitcnt vmcnt(2)
	v_fma_f64 v[90:91], v[101:102], v[97:98], v[90:91]
	s_waitcnt vmcnt(0)
	v_add_f64 v[90:91], v[105:106], -v[90:91]
	buffer_store_dword v91, off, s[0:3], 0 offset:60
	buffer_store_dword v90, off, s[0:3], 0 offset:56
	v_cmpx_lt_u32_e32 6, v0
	s_cbranch_execz .LBB43_261
; %bb.260:
	s_clause 0x1
	buffer_load_dword v90, off, s[0:3], 0 offset:48
	buffer_load_dword v91, off, s[0:3], 0 offset:52
	v_mov_b32_e32 v92, 0
	buffer_store_dword v92, off, s[0:3], 0 offset:48
	buffer_store_dword v92, off, s[0:3], 0 offset:52
	s_waitcnt vmcnt(0)
	ds_write_b64 v89, v[90:91]
.LBB43_261:
	s_or_b32 exec_lo, exec_lo, s4
	s_waitcnt lgkmcnt(0)
	s_waitcnt_vscnt null, 0x0
	s_barrier
	buffer_gl0_inv
	s_clause 0x1c
	buffer_load_dword v99, off, s[0:3], 0 offset:56
	buffer_load_dword v100, off, s[0:3], 0 offset:60
	;; [unrolled: 1-line block ×29, first 2 shown]
	v_mov_b32_e32 v90, 0
	buffer_load_dword v124, off, s[0:3], 0 offset:172
	s_mov_b32 s4, exec_lo
	ds_read2_b64 v[91:94], v90 offset0:51 offset1:52
	ds_read2_b64 v[95:98], v90 offset0:53 offset1:54
	s_waitcnt vmcnt(28) lgkmcnt(1)
	v_fma_f64 v[91:92], v[99:100], v[91:92], 0
	s_clause 0x7
	buffer_load_dword v100, off, s[0:3], 0 offset:180
	buffer_load_dword v129, off, s[0:3], 0 offset:200
	buffer_load_dword v131, off, s[0:3], 0 offset:192
	buffer_load_dword v133, off, s[0:3], 0 offset:184
	buffer_load_dword v99, off, s[0:3], 0 offset:176
	buffer_load_dword v134, off, s[0:3], 0 offset:188
	buffer_load_dword v132, off, s[0:3], 0 offset:196
	buffer_load_dword v130, off, s[0:3], 0 offset:204
	s_waitcnt vmcnt(34)
	v_fma_f64 v[91:92], v[101:102], v[93:94], v[91:92]
	s_waitcnt vmcnt(32) lgkmcnt(0)
	v_fma_f64 v[91:92], v[103:104], v[95:96], v[91:92]
	s_waitcnt vmcnt(30)
	v_fma_f64 v[101:102], v[105:106], v[97:98], v[91:92]
	ds_read2_b64 v[91:94], v90 offset0:55 offset1:56
	ds_read2_b64 v[95:98], v90 offset0:57 offset1:58
	s_waitcnt vmcnt(28) lgkmcnt(1)
	v_fma_f64 v[91:92], v[107:108], v[91:92], v[101:102]
	s_clause 0x7
	buffer_load_dword v102, off, s[0:3], 0 offset:212
	buffer_load_dword v103, off, s[0:3], 0 offset:232
	buffer_load_dword v105, off, s[0:3], 0 offset:224
	buffer_load_dword v107, off, s[0:3], 0 offset:216
	buffer_load_dword v101, off, s[0:3], 0 offset:208
	buffer_load_dword v108, off, s[0:3], 0 offset:220
	buffer_load_dword v106, off, s[0:3], 0 offset:228
	buffer_load_dword v104, off, s[0:3], 0 offset:236
	s_waitcnt vmcnt(34)
	v_fma_f64 v[91:92], v[109:110], v[93:94], v[91:92]
	s_waitcnt vmcnt(32) lgkmcnt(0)
	v_fma_f64 v[91:92], v[111:112], v[95:96], v[91:92]
	s_waitcnt vmcnt(27)
	v_fma_f64 v[109:110], v[113:114], v[97:98], v[91:92]
	;; [unrolled: 19-line block ×5, first 2 shown]
	ds_read2_b64 v[91:94], v90 offset0:71 offset1:72
	ds_read2_b64 v[95:98], v90 offset0:73 offset1:74
	s_waitcnt vmcnt(26) lgkmcnt(1)
	v_fma_f64 v[91:92], v[107:108], v[91:92], v[101:102]
	s_clause 0x3
	buffer_load_dword v102, off, s[0:3], 0 offset:340
	buffer_load_dword v107, off, s[0:3], 0 offset:344
	;; [unrolled: 1-line block ×4, first 2 shown]
	s_waitcnt vmcnt(29)
	v_fma_f64 v[91:92], v[105:106], v[93:94], v[91:92]
	s_waitcnt vmcnt(28) lgkmcnt(0)
	v_fma_f64 v[91:92], v[103:104], v[95:96], v[91:92]
	s_clause 0x1
	buffer_load_dword v103, off, s[0:3], 0 offset:48
	buffer_load_dword v104, off, s[0:3], 0 offset:52
	s_waitcnt vmcnt(25)
	v_fma_f64 v[105:106], v[109:110], v[97:98], v[91:92]
	ds_read2_b64 v[91:94], v90 offset0:75 offset1:76
	ds_read2_b64 v[95:98], v90 offset0:77 offset1:78
	s_waitcnt vmcnt(24) lgkmcnt(1)
	v_fma_f64 v[91:92], v[119:120], v[91:92], v[105:106]
	s_waitcnt vmcnt(23)
	v_fma_f64 v[91:92], v[113:114], v[93:94], v[91:92]
	s_waitcnt vmcnt(22) lgkmcnt(0)
	v_fma_f64 v[91:92], v[111:112], v[95:96], v[91:92]
	s_waitcnt vmcnt(17)
	v_fma_f64 v[105:106], v[115:116], v[97:98], v[91:92]
	ds_read2_b64 v[91:94], v90 offset0:79 offset1:80
	ds_read2_b64 v[95:98], v90 offset0:81 offset1:82
	s_waitcnt vmcnt(16) lgkmcnt(1)
	v_fma_f64 v[91:92], v[127:128], v[91:92], v[105:106]
	s_waitcnt vmcnt(15)
	v_fma_f64 v[91:92], v[121:122], v[93:94], v[91:92]
	s_waitcnt vmcnt(14) lgkmcnt(0)
	v_fma_f64 v[91:92], v[117:118], v[95:96], v[91:92]
	s_waitcnt vmcnt(9)
	v_fma_f64 v[99:100], v[99:100], v[97:98], v[91:92]
	ds_read2_b64 v[91:94], v90 offset0:83 offset1:84
	ds_read2_b64 v[95:98], v90 offset0:85 offset1:86
	s_waitcnt vmcnt(8) lgkmcnt(1)
	v_fma_f64 v[91:92], v[133:134], v[91:92], v[99:100]
	s_waitcnt vmcnt(7)
	v_fma_f64 v[91:92], v[125:126], v[93:94], v[91:92]
	ds_read_b64 v[93:94], v90 offset:696
	s_waitcnt vmcnt(6) lgkmcnt(1)
	v_fma_f64 v[91:92], v[123:124], v[95:96], v[91:92]
	s_waitcnt vmcnt(3)
	v_fma_f64 v[91:92], v[101:102], v[97:98], v[91:92]
	s_waitcnt vmcnt(2) lgkmcnt(0)
	v_fma_f64 v[91:92], v[107:108], v[93:94], v[91:92]
	s_waitcnt vmcnt(0)
	v_add_f64 v[91:92], v[103:104], -v[91:92]
	buffer_store_dword v92, off, s[0:3], 0 offset:52
	buffer_store_dword v91, off, s[0:3], 0 offset:48
	v_cmpx_lt_u32_e32 5, v0
	s_cbranch_execz .LBB43_263
; %bb.262:
	s_clause 0x1
	buffer_load_dword v91, off, s[0:3], 0 offset:40
	buffer_load_dword v92, off, s[0:3], 0 offset:44
	buffer_store_dword v90, off, s[0:3], 0 offset:40
	buffer_store_dword v90, off, s[0:3], 0 offset:44
	s_waitcnt vmcnt(0)
	ds_write_b64 v89, v[91:92]
.LBB43_263:
	s_or_b32 exec_lo, exec_lo, s4
	s_waitcnt lgkmcnt(0)
	s_waitcnt_vscnt null, 0x0
	s_barrier
	buffer_gl0_inv
	s_clause 0x1c
	buffer_load_dword v99, off, s[0:3], 0 offset:48
	buffer_load_dword v100, off, s[0:3], 0 offset:52
	;; [unrolled: 1-line block ×29, first 2 shown]
	ds_read_b128 v[91:94], v90 offset:400
	ds_read_b128 v[95:98], v90 offset:416
	buffer_load_dword v124, off, s[0:3], 0 offset:164
	s_mov_b32 s4, exec_lo
	s_waitcnt vmcnt(28) lgkmcnt(1)
	v_fma_f64 v[91:92], v[99:100], v[91:92], 0
	s_clause 0x7
	buffer_load_dword v100, off, s[0:3], 0 offset:172
	buffer_load_dword v129, off, s[0:3], 0 offset:192
	buffer_load_dword v131, off, s[0:3], 0 offset:184
	buffer_load_dword v133, off, s[0:3], 0 offset:176
	buffer_load_dword v99, off, s[0:3], 0 offset:168
	buffer_load_dword v134, off, s[0:3], 0 offset:180
	buffer_load_dword v132, off, s[0:3], 0 offset:188
	buffer_load_dword v130, off, s[0:3], 0 offset:196
	s_waitcnt vmcnt(34)
	v_fma_f64 v[91:92], v[101:102], v[93:94], v[91:92]
	s_waitcnt vmcnt(32) lgkmcnt(0)
	v_fma_f64 v[91:92], v[103:104], v[95:96], v[91:92]
	s_waitcnt vmcnt(30)
	v_fma_f64 v[101:102], v[105:106], v[97:98], v[91:92]
	ds_read_b128 v[91:94], v90 offset:432
	ds_read_b128 v[95:98], v90 offset:448
	s_waitcnt vmcnt(28) lgkmcnt(1)
	v_fma_f64 v[91:92], v[107:108], v[91:92], v[101:102]
	s_clause 0x7
	buffer_load_dword v102, off, s[0:3], 0 offset:204
	buffer_load_dword v103, off, s[0:3], 0 offset:224
	buffer_load_dword v105, off, s[0:3], 0 offset:216
	buffer_load_dword v107, off, s[0:3], 0 offset:208
	buffer_load_dword v101, off, s[0:3], 0 offset:200
	buffer_load_dword v108, off, s[0:3], 0 offset:212
	buffer_load_dword v106, off, s[0:3], 0 offset:220
	buffer_load_dword v104, off, s[0:3], 0 offset:228
	s_waitcnt vmcnt(34)
	v_fma_f64 v[91:92], v[109:110], v[93:94], v[91:92]
	s_waitcnt vmcnt(32) lgkmcnt(0)
	v_fma_f64 v[91:92], v[111:112], v[95:96], v[91:92]
	s_waitcnt vmcnt(27)
	v_fma_f64 v[109:110], v[113:114], v[97:98], v[91:92]
	ds_read_b128 v[91:94], v90 offset:464
	ds_read_b128 v[95:98], v90 offset:480
	;; [unrolled: 19-line block ×5, first 2 shown]
	s_waitcnt vmcnt(26) lgkmcnt(1)
	v_fma_f64 v[91:92], v[107:108], v[91:92], v[101:102]
	s_clause 0x5
	buffer_load_dword v102, off, s[0:3], 0 offset:332
	buffer_load_dword v107, off, s[0:3], 0 offset:344
	;; [unrolled: 1-line block ×6, first 2 shown]
	s_waitcnt vmcnt(31)
	v_fma_f64 v[91:92], v[105:106], v[93:94], v[91:92]
	s_waitcnt vmcnt(30) lgkmcnt(0)
	v_fma_f64 v[91:92], v[103:104], v[95:96], v[91:92]
	s_waitcnt vmcnt(25)
	v_fma_f64 v[103:104], v[109:110], v[97:98], v[91:92]
	ds_read_b128 v[91:94], v90 offset:592
	s_clause 0x1
	buffer_load_dword v105, off, s[0:3], 0 offset:40
	buffer_load_dword v106, off, s[0:3], 0 offset:44
	ds_read_b128 v[95:98], v90 offset:608
	s_waitcnt vmcnt(26) lgkmcnt(1)
	v_fma_f64 v[91:92], v[119:120], v[91:92], v[103:104]
	s_waitcnt vmcnt(25)
	v_fma_f64 v[91:92], v[113:114], v[93:94], v[91:92]
	s_waitcnt vmcnt(24) lgkmcnt(0)
	v_fma_f64 v[91:92], v[111:112], v[95:96], v[91:92]
	s_waitcnt vmcnt(19)
	v_fma_f64 v[103:104], v[115:116], v[97:98], v[91:92]
	ds_read_b128 v[91:94], v90 offset:624
	ds_read_b128 v[95:98], v90 offset:640
	s_waitcnt vmcnt(18) lgkmcnt(1)
	v_fma_f64 v[91:92], v[127:128], v[91:92], v[103:104]
	s_waitcnt vmcnt(17)
	v_fma_f64 v[91:92], v[121:122], v[93:94], v[91:92]
	s_waitcnt vmcnt(16) lgkmcnt(0)
	v_fma_f64 v[91:92], v[117:118], v[95:96], v[91:92]
	s_waitcnt vmcnt(11)
	v_fma_f64 v[99:100], v[99:100], v[97:98], v[91:92]
	ds_read_b128 v[91:94], v90 offset:656
	;; [unrolled: 10-line block ×3, first 2 shown]
	s_waitcnt vmcnt(3) lgkmcnt(0)
	v_fma_f64 v[90:91], v[129:130], v[90:91], v[94:95]
	s_waitcnt vmcnt(2)
	v_fma_f64 v[90:91], v[107:108], v[92:93], v[90:91]
	s_waitcnt vmcnt(0)
	v_add_f64 v[90:91], v[105:106], -v[90:91]
	buffer_store_dword v91, off, s[0:3], 0 offset:44
	buffer_store_dword v90, off, s[0:3], 0 offset:40
	v_cmpx_lt_u32_e32 4, v0
	s_cbranch_execz .LBB43_265
; %bb.264:
	s_clause 0x1
	buffer_load_dword v90, off, s[0:3], 0 offset:32
	buffer_load_dword v91, off, s[0:3], 0 offset:36
	v_mov_b32_e32 v92, 0
	buffer_store_dword v92, off, s[0:3], 0 offset:32
	buffer_store_dword v92, off, s[0:3], 0 offset:36
	s_waitcnt vmcnt(0)
	ds_write_b64 v89, v[90:91]
.LBB43_265:
	s_or_b32 exec_lo, exec_lo, s4
	s_waitcnt lgkmcnt(0)
	s_waitcnt_vscnt null, 0x0
	s_barrier
	buffer_gl0_inv
	s_clause 0x1c
	buffer_load_dword v99, off, s[0:3], 0 offset:40
	buffer_load_dword v100, off, s[0:3], 0 offset:44
	;; [unrolled: 1-line block ×29, first 2 shown]
	v_mov_b32_e32 v90, 0
	buffer_load_dword v124, off, s[0:3], 0 offset:156
	s_mov_b32 s4, exec_lo
	ds_read2_b64 v[91:94], v90 offset0:49 offset1:50
	ds_read2_b64 v[95:98], v90 offset0:51 offset1:52
	s_waitcnt vmcnt(28) lgkmcnt(1)
	v_fma_f64 v[91:92], v[99:100], v[91:92], 0
	s_clause 0x7
	buffer_load_dword v100, off, s[0:3], 0 offset:164
	buffer_load_dword v129, off, s[0:3], 0 offset:184
	buffer_load_dword v131, off, s[0:3], 0 offset:176
	buffer_load_dword v133, off, s[0:3], 0 offset:168
	buffer_load_dword v99, off, s[0:3], 0 offset:160
	buffer_load_dword v134, off, s[0:3], 0 offset:172
	buffer_load_dword v132, off, s[0:3], 0 offset:180
	buffer_load_dword v130, off, s[0:3], 0 offset:188
	s_waitcnt vmcnt(34)
	v_fma_f64 v[91:92], v[101:102], v[93:94], v[91:92]
	s_waitcnt vmcnt(32) lgkmcnt(0)
	v_fma_f64 v[91:92], v[103:104], v[95:96], v[91:92]
	s_waitcnt vmcnt(30)
	v_fma_f64 v[101:102], v[105:106], v[97:98], v[91:92]
	ds_read2_b64 v[91:94], v90 offset0:53 offset1:54
	ds_read2_b64 v[95:98], v90 offset0:55 offset1:56
	s_waitcnt vmcnt(28) lgkmcnt(1)
	v_fma_f64 v[91:92], v[107:108], v[91:92], v[101:102]
	s_clause 0x7
	buffer_load_dword v102, off, s[0:3], 0 offset:196
	buffer_load_dword v103, off, s[0:3], 0 offset:216
	buffer_load_dword v105, off, s[0:3], 0 offset:208
	buffer_load_dword v107, off, s[0:3], 0 offset:200
	buffer_load_dword v101, off, s[0:3], 0 offset:192
	buffer_load_dword v108, off, s[0:3], 0 offset:204
	buffer_load_dword v106, off, s[0:3], 0 offset:212
	buffer_load_dword v104, off, s[0:3], 0 offset:220
	s_waitcnt vmcnt(34)
	v_fma_f64 v[91:92], v[109:110], v[93:94], v[91:92]
	s_waitcnt vmcnt(32) lgkmcnt(0)
	v_fma_f64 v[91:92], v[111:112], v[95:96], v[91:92]
	s_waitcnt vmcnt(27)
	v_fma_f64 v[109:110], v[113:114], v[97:98], v[91:92]
	;; [unrolled: 19-line block ×6, first 2 shown]
	ds_read2_b64 v[91:94], v90 offset0:73 offset1:74
	ds_read2_b64 v[95:98], v90 offset0:75 offset1:76
	s_waitcnt vmcnt(26) lgkmcnt(1)
	v_fma_f64 v[91:92], v[119:120], v[91:92], v[103:104]
	s_clause 0x1
	buffer_load_dword v103, off, s[0:3], 0 offset:32
	buffer_load_dword v104, off, s[0:3], 0 offset:36
	s_waitcnt vmcnt(27)
	v_fma_f64 v[91:92], v[113:114], v[93:94], v[91:92]
	s_waitcnt vmcnt(26) lgkmcnt(0)
	v_fma_f64 v[91:92], v[111:112], v[95:96], v[91:92]
	s_waitcnt vmcnt(21)
	v_fma_f64 v[105:106], v[115:116], v[97:98], v[91:92]
	ds_read2_b64 v[91:94], v90 offset0:77 offset1:78
	ds_read2_b64 v[95:98], v90 offset0:79 offset1:80
	s_waitcnt vmcnt(20) lgkmcnt(1)
	v_fma_f64 v[91:92], v[127:128], v[91:92], v[105:106]
	s_waitcnt vmcnt(19)
	v_fma_f64 v[91:92], v[121:122], v[93:94], v[91:92]
	s_waitcnt vmcnt(18) lgkmcnt(0)
	v_fma_f64 v[91:92], v[117:118], v[95:96], v[91:92]
	s_waitcnt vmcnt(13)
	v_fma_f64 v[99:100], v[99:100], v[97:98], v[91:92]
	ds_read2_b64 v[91:94], v90 offset0:81 offset1:82
	ds_read2_b64 v[95:98], v90 offset0:83 offset1:84
	s_waitcnt vmcnt(12) lgkmcnt(1)
	v_fma_f64 v[91:92], v[133:134], v[91:92], v[99:100]
	s_waitcnt vmcnt(11)
	v_fma_f64 v[91:92], v[125:126], v[93:94], v[91:92]
	s_waitcnt vmcnt(10) lgkmcnt(0)
	v_fma_f64 v[91:92], v[123:124], v[95:96], v[91:92]
	s_waitcnt vmcnt(5)
	v_fma_f64 v[95:96], v[101:102], v[97:98], v[91:92]
	ds_read2_b64 v[91:94], v90 offset0:85 offset1:86
	ds_read_b64 v[97:98], v90 offset:696
	s_waitcnt vmcnt(4) lgkmcnt(1)
	v_fma_f64 v[91:92], v[131:132], v[91:92], v[95:96]
	s_waitcnt vmcnt(3)
	v_fma_f64 v[91:92], v[129:130], v[93:94], v[91:92]
	s_waitcnt vmcnt(2) lgkmcnt(0)
	v_fma_f64 v[91:92], v[107:108], v[97:98], v[91:92]
	s_waitcnt vmcnt(0)
	v_add_f64 v[91:92], v[103:104], -v[91:92]
	buffer_store_dword v92, off, s[0:3], 0 offset:36
	buffer_store_dword v91, off, s[0:3], 0 offset:32
	v_cmpx_lt_u32_e32 3, v0
	s_cbranch_execz .LBB43_267
; %bb.266:
	s_clause 0x1
	buffer_load_dword v91, off, s[0:3], 0 offset:24
	buffer_load_dword v92, off, s[0:3], 0 offset:28
	buffer_store_dword v90, off, s[0:3], 0 offset:24
	buffer_store_dword v90, off, s[0:3], 0 offset:28
	s_waitcnt vmcnt(0)
	ds_write_b64 v89, v[91:92]
.LBB43_267:
	s_or_b32 exec_lo, exec_lo, s4
	s_waitcnt lgkmcnt(0)
	s_waitcnt_vscnt null, 0x0
	s_barrier
	buffer_gl0_inv
	s_clause 0x1c
	buffer_load_dword v99, off, s[0:3], 0 offset:32
	buffer_load_dword v100, off, s[0:3], 0 offset:36
	;; [unrolled: 1-line block ×29, first 2 shown]
	ds_read_b128 v[91:94], v90 offset:384
	ds_read_b128 v[95:98], v90 offset:400
	buffer_load_dword v124, off, s[0:3], 0 offset:148
	s_mov_b32 s4, exec_lo
	s_waitcnt vmcnt(28) lgkmcnt(1)
	v_fma_f64 v[91:92], v[99:100], v[91:92], 0
	s_clause 0x7
	buffer_load_dword v100, off, s[0:3], 0 offset:156
	buffer_load_dword v129, off, s[0:3], 0 offset:176
	buffer_load_dword v131, off, s[0:3], 0 offset:168
	buffer_load_dword v133, off, s[0:3], 0 offset:160
	buffer_load_dword v99, off, s[0:3], 0 offset:152
	buffer_load_dword v134, off, s[0:3], 0 offset:164
	buffer_load_dword v132, off, s[0:3], 0 offset:172
	buffer_load_dword v130, off, s[0:3], 0 offset:180
	s_waitcnt vmcnt(34)
	v_fma_f64 v[91:92], v[101:102], v[93:94], v[91:92]
	s_waitcnt vmcnt(32) lgkmcnt(0)
	v_fma_f64 v[91:92], v[103:104], v[95:96], v[91:92]
	s_waitcnt vmcnt(30)
	v_fma_f64 v[101:102], v[105:106], v[97:98], v[91:92]
	ds_read_b128 v[91:94], v90 offset:416
	ds_read_b128 v[95:98], v90 offset:432
	s_waitcnt vmcnt(28) lgkmcnt(1)
	v_fma_f64 v[91:92], v[107:108], v[91:92], v[101:102]
	s_clause 0x7
	buffer_load_dword v102, off, s[0:3], 0 offset:188
	buffer_load_dword v103, off, s[0:3], 0 offset:208
	buffer_load_dword v105, off, s[0:3], 0 offset:200
	buffer_load_dword v107, off, s[0:3], 0 offset:192
	buffer_load_dword v101, off, s[0:3], 0 offset:184
	buffer_load_dword v108, off, s[0:3], 0 offset:196
	buffer_load_dword v106, off, s[0:3], 0 offset:204
	buffer_load_dword v104, off, s[0:3], 0 offset:212
	s_waitcnt vmcnt(34)
	v_fma_f64 v[91:92], v[109:110], v[93:94], v[91:92]
	s_waitcnt vmcnt(32) lgkmcnt(0)
	v_fma_f64 v[91:92], v[111:112], v[95:96], v[91:92]
	s_waitcnt vmcnt(27)
	v_fma_f64 v[109:110], v[113:114], v[97:98], v[91:92]
	ds_read_b128 v[91:94], v90 offset:448
	ds_read_b128 v[95:98], v90 offset:464
	;; [unrolled: 19-line block ×6, first 2 shown]
	s_waitcnt vmcnt(26) lgkmcnt(1)
	v_fma_f64 v[91:92], v[119:120], v[91:92], v[103:104]
	s_clause 0x3
	buffer_load_dword v104, off, s[0:3], 0 offset:348
	buffer_load_dword v103, off, s[0:3], 0 offset:344
	buffer_load_dword v105, off, s[0:3], 0 offset:24
	buffer_load_dword v106, off, s[0:3], 0 offset:28
	s_waitcnt vmcnt(29)
	v_fma_f64 v[91:92], v[113:114], v[93:94], v[91:92]
	s_waitcnt vmcnt(28) lgkmcnt(0)
	v_fma_f64 v[91:92], v[111:112], v[95:96], v[91:92]
	s_waitcnt vmcnt(23)
	v_fma_f64 v[109:110], v[115:116], v[97:98], v[91:92]
	ds_read_b128 v[91:94], v90 offset:608
	ds_read_b128 v[95:98], v90 offset:624
	s_waitcnt vmcnt(22) lgkmcnt(1)
	v_fma_f64 v[91:92], v[127:128], v[91:92], v[109:110]
	s_waitcnt vmcnt(21)
	v_fma_f64 v[91:92], v[121:122], v[93:94], v[91:92]
	s_waitcnt vmcnt(20) lgkmcnt(0)
	v_fma_f64 v[91:92], v[117:118], v[95:96], v[91:92]
	s_waitcnt vmcnt(15)
	v_fma_f64 v[99:100], v[99:100], v[97:98], v[91:92]
	ds_read_b128 v[91:94], v90 offset:640
	ds_read_b128 v[95:98], v90 offset:656
	s_waitcnt vmcnt(14) lgkmcnt(1)
	v_fma_f64 v[91:92], v[133:134], v[91:92], v[99:100]
	;; [unrolled: 10-line block ×3, first 2 shown]
	s_waitcnt vmcnt(5)
	v_fma_f64 v[90:91], v[129:130], v[93:94], v[90:91]
	s_waitcnt vmcnt(4) lgkmcnt(0)
	v_fma_f64 v[90:91], v[107:108], v[95:96], v[90:91]
	s_waitcnt vmcnt(2)
	v_fma_f64 v[90:91], v[103:104], v[97:98], v[90:91]
	s_waitcnt vmcnt(0)
	v_add_f64 v[90:91], v[105:106], -v[90:91]
	buffer_store_dword v91, off, s[0:3], 0 offset:28
	buffer_store_dword v90, off, s[0:3], 0 offset:24
	v_cmpx_lt_u32_e32 2, v0
	s_cbranch_execz .LBB43_269
; %bb.268:
	s_clause 0x1
	buffer_load_dword v90, off, s[0:3], 0 offset:16
	buffer_load_dword v91, off, s[0:3], 0 offset:20
	v_mov_b32_e32 v92, 0
	buffer_store_dword v92, off, s[0:3], 0 offset:16
	buffer_store_dword v92, off, s[0:3], 0 offset:20
	s_waitcnt vmcnt(0)
	ds_write_b64 v89, v[90:91]
.LBB43_269:
	s_or_b32 exec_lo, exec_lo, s4
	s_waitcnt lgkmcnt(0)
	s_waitcnt_vscnt null, 0x0
	s_barrier
	buffer_gl0_inv
	s_clause 0x1c
	buffer_load_dword v99, off, s[0:3], 0 offset:24
	buffer_load_dword v100, off, s[0:3], 0 offset:28
	;; [unrolled: 1-line block ×29, first 2 shown]
	v_mov_b32_e32 v90, 0
	buffer_load_dword v124, off, s[0:3], 0 offset:140
	s_mov_b32 s4, exec_lo
	ds_read2_b64 v[91:94], v90 offset0:47 offset1:48
	ds_read2_b64 v[95:98], v90 offset0:49 offset1:50
	s_waitcnt vmcnt(28) lgkmcnt(1)
	v_fma_f64 v[91:92], v[99:100], v[91:92], 0
	s_clause 0x7
	buffer_load_dword v100, off, s[0:3], 0 offset:148
	buffer_load_dword v129, off, s[0:3], 0 offset:168
	buffer_load_dword v131, off, s[0:3], 0 offset:160
	buffer_load_dword v133, off, s[0:3], 0 offset:152
	buffer_load_dword v99, off, s[0:3], 0 offset:144
	buffer_load_dword v134, off, s[0:3], 0 offset:156
	buffer_load_dword v132, off, s[0:3], 0 offset:164
	buffer_load_dword v130, off, s[0:3], 0 offset:172
	s_waitcnt vmcnt(34)
	v_fma_f64 v[91:92], v[101:102], v[93:94], v[91:92]
	s_waitcnt vmcnt(32) lgkmcnt(0)
	v_fma_f64 v[91:92], v[103:104], v[95:96], v[91:92]
	s_waitcnt vmcnt(30)
	v_fma_f64 v[101:102], v[105:106], v[97:98], v[91:92]
	ds_read2_b64 v[91:94], v90 offset0:51 offset1:52
	ds_read2_b64 v[95:98], v90 offset0:53 offset1:54
	s_waitcnt vmcnt(28) lgkmcnt(1)
	v_fma_f64 v[91:92], v[107:108], v[91:92], v[101:102]
	s_clause 0x7
	buffer_load_dword v102, off, s[0:3], 0 offset:180
	buffer_load_dword v103, off, s[0:3], 0 offset:200
	buffer_load_dword v105, off, s[0:3], 0 offset:192
	buffer_load_dword v107, off, s[0:3], 0 offset:184
	buffer_load_dword v101, off, s[0:3], 0 offset:176
	buffer_load_dword v108, off, s[0:3], 0 offset:188
	buffer_load_dword v106, off, s[0:3], 0 offset:196
	buffer_load_dword v104, off, s[0:3], 0 offset:204
	s_waitcnt vmcnt(34)
	v_fma_f64 v[91:92], v[109:110], v[93:94], v[91:92]
	s_waitcnt vmcnt(32) lgkmcnt(0)
	v_fma_f64 v[91:92], v[111:112], v[95:96], v[91:92]
	s_waitcnt vmcnt(27)
	v_fma_f64 v[109:110], v[113:114], v[97:98], v[91:92]
	;; [unrolled: 19-line block ×6, first 2 shown]
	ds_read2_b64 v[91:94], v90 offset0:71 offset1:72
	ds_read2_b64 v[95:98], v90 offset0:73 offset1:74
	s_waitcnt vmcnt(26) lgkmcnt(1)
	v_fma_f64 v[91:92], v[119:120], v[91:92], v[103:104]
	s_clause 0x5
	buffer_load_dword v104, off, s[0:3], 0 offset:340
	buffer_load_dword v105, off, s[0:3], 0 offset:344
	buffer_load_dword v103, off, s[0:3], 0 offset:336
	buffer_load_dword v106, off, s[0:3], 0 offset:348
	buffer_load_dword v109, off, s[0:3], 0 offset:16
	buffer_load_dword v110, off, s[0:3], 0 offset:20
	s_waitcnt vmcnt(31)
	v_fma_f64 v[91:92], v[113:114], v[93:94], v[91:92]
	s_waitcnt vmcnt(30) lgkmcnt(0)
	v_fma_f64 v[91:92], v[111:112], v[95:96], v[91:92]
	s_waitcnt vmcnt(25)
	v_fma_f64 v[111:112], v[115:116], v[97:98], v[91:92]
	ds_read2_b64 v[91:94], v90 offset0:75 offset1:76
	ds_read2_b64 v[95:98], v90 offset0:77 offset1:78
	s_waitcnt vmcnt(24) lgkmcnt(1)
	v_fma_f64 v[91:92], v[127:128], v[91:92], v[111:112]
	s_waitcnt vmcnt(23)
	v_fma_f64 v[91:92], v[121:122], v[93:94], v[91:92]
	s_waitcnt vmcnt(22) lgkmcnt(0)
	v_fma_f64 v[91:92], v[117:118], v[95:96], v[91:92]
	s_waitcnt vmcnt(17)
	v_fma_f64 v[99:100], v[99:100], v[97:98], v[91:92]
	ds_read2_b64 v[91:94], v90 offset0:79 offset1:80
	ds_read2_b64 v[95:98], v90 offset0:81 offset1:82
	s_waitcnt vmcnt(16) lgkmcnt(1)
	v_fma_f64 v[91:92], v[133:134], v[91:92], v[99:100]
	;; [unrolled: 10-line block ×3, first 2 shown]
	s_waitcnt vmcnt(7)
	v_fma_f64 v[91:92], v[129:130], v[93:94], v[91:92]
	ds_read_b64 v[93:94], v90 offset:696
	s_waitcnt vmcnt(6) lgkmcnt(1)
	v_fma_f64 v[91:92], v[107:108], v[95:96], v[91:92]
	s_waitcnt vmcnt(3)
	v_fma_f64 v[91:92], v[103:104], v[97:98], v[91:92]
	s_waitcnt vmcnt(2) lgkmcnt(0)
	v_fma_f64 v[91:92], v[105:106], v[93:94], v[91:92]
	s_waitcnt vmcnt(0)
	v_add_f64 v[91:92], v[109:110], -v[91:92]
	buffer_store_dword v92, off, s[0:3], 0 offset:20
	buffer_store_dword v91, off, s[0:3], 0 offset:16
	v_cmpx_lt_u32_e32 1, v0
	s_cbranch_execz .LBB43_271
; %bb.270:
	s_clause 0x1
	buffer_load_dword v91, off, s[0:3], 0 offset:8
	buffer_load_dword v92, off, s[0:3], 0 offset:12
	buffer_store_dword v90, off, s[0:3], 0 offset:8
	buffer_store_dword v90, off, s[0:3], 0 offset:12
	s_waitcnt vmcnt(0)
	ds_write_b64 v89, v[91:92]
.LBB43_271:
	s_or_b32 exec_lo, exec_lo, s4
	s_waitcnt lgkmcnt(0)
	s_waitcnt_vscnt null, 0x0
	s_barrier
	buffer_gl0_inv
	s_clause 0x1c
	buffer_load_dword v99, off, s[0:3], 0 offset:16
	buffer_load_dword v100, off, s[0:3], 0 offset:20
	;; [unrolled: 1-line block ×29, first 2 shown]
	ds_read_b128 v[91:94], v90 offset:368
	ds_read_b128 v[95:98], v90 offset:384
	buffer_load_dword v124, off, s[0:3], 0 offset:132
	s_mov_b32 s4, exec_lo
	s_waitcnt vmcnt(28) lgkmcnt(1)
	v_fma_f64 v[91:92], v[99:100], v[91:92], 0
	s_clause 0x7
	buffer_load_dword v100, off, s[0:3], 0 offset:140
	buffer_load_dword v129, off, s[0:3], 0 offset:160
	buffer_load_dword v131, off, s[0:3], 0 offset:152
	buffer_load_dword v133, off, s[0:3], 0 offset:144
	buffer_load_dword v99, off, s[0:3], 0 offset:136
	buffer_load_dword v134, off, s[0:3], 0 offset:148
	buffer_load_dword v132, off, s[0:3], 0 offset:156
	buffer_load_dword v130, off, s[0:3], 0 offset:164
	s_waitcnt vmcnt(34)
	v_fma_f64 v[91:92], v[101:102], v[93:94], v[91:92]
	s_waitcnt vmcnt(32) lgkmcnt(0)
	v_fma_f64 v[91:92], v[103:104], v[95:96], v[91:92]
	s_waitcnt vmcnt(30)
	v_fma_f64 v[101:102], v[105:106], v[97:98], v[91:92]
	ds_read_b128 v[91:94], v90 offset:400
	ds_read_b128 v[95:98], v90 offset:416
	s_waitcnt vmcnt(28) lgkmcnt(1)
	v_fma_f64 v[91:92], v[107:108], v[91:92], v[101:102]
	s_clause 0x7
	buffer_load_dword v102, off, s[0:3], 0 offset:172
	buffer_load_dword v103, off, s[0:3], 0 offset:192
	buffer_load_dword v105, off, s[0:3], 0 offset:184
	buffer_load_dword v107, off, s[0:3], 0 offset:176
	buffer_load_dword v101, off, s[0:3], 0 offset:168
	buffer_load_dword v108, off, s[0:3], 0 offset:180
	buffer_load_dword v106, off, s[0:3], 0 offset:188
	buffer_load_dword v104, off, s[0:3], 0 offset:196
	s_waitcnt vmcnt(34)
	v_fma_f64 v[91:92], v[109:110], v[93:94], v[91:92]
	s_waitcnt vmcnt(32) lgkmcnt(0)
	v_fma_f64 v[91:92], v[111:112], v[95:96], v[91:92]
	s_waitcnt vmcnt(27)
	v_fma_f64 v[109:110], v[113:114], v[97:98], v[91:92]
	ds_read_b128 v[91:94], v90 offset:432
	ds_read_b128 v[95:98], v90 offset:448
	;; [unrolled: 19-line block ×6, first 2 shown]
	s_waitcnt vmcnt(26) lgkmcnt(1)
	v_fma_f64 v[91:92], v[119:120], v[91:92], v[103:104]
	s_clause 0x5
	buffer_load_dword v104, off, s[0:3], 0 offset:332
	buffer_load_dword v105, off, s[0:3], 0 offset:344
	;; [unrolled: 1-line block ×6, first 2 shown]
	s_waitcnt vmcnt(31)
	v_fma_f64 v[91:92], v[113:114], v[93:94], v[91:92]
	s_waitcnt vmcnt(30) lgkmcnt(0)
	v_fma_f64 v[91:92], v[111:112], v[95:96], v[91:92]
	s_waitcnt vmcnt(25)
	v_fma_f64 v[111:112], v[115:116], v[97:98], v[91:92]
	ds_read_b128 v[91:94], v90 offset:592
	s_clause 0x1
	buffer_load_dword v113, off, s[0:3], 0 offset:8
	buffer_load_dword v114, off, s[0:3], 0 offset:12
	ds_read_b128 v[95:98], v90 offset:608
	s_waitcnt vmcnt(26) lgkmcnt(1)
	v_fma_f64 v[91:92], v[127:128], v[91:92], v[111:112]
	s_waitcnt vmcnt(25)
	v_fma_f64 v[91:92], v[121:122], v[93:94], v[91:92]
	s_waitcnt vmcnt(24) lgkmcnt(0)
	v_fma_f64 v[91:92], v[117:118], v[95:96], v[91:92]
	s_waitcnt vmcnt(19)
	v_fma_f64 v[99:100], v[99:100], v[97:98], v[91:92]
	ds_read_b128 v[91:94], v90 offset:624
	ds_read_b128 v[95:98], v90 offset:640
	s_waitcnt vmcnt(18) lgkmcnt(1)
	v_fma_f64 v[91:92], v[133:134], v[91:92], v[99:100]
	s_waitcnt vmcnt(17)
	v_fma_f64 v[91:92], v[125:126], v[93:94], v[91:92]
	s_waitcnt vmcnt(16) lgkmcnt(0)
	v_fma_f64 v[91:92], v[123:124], v[95:96], v[91:92]
	s_waitcnt vmcnt(11)
	v_fma_f64 v[99:100], v[101:102], v[97:98], v[91:92]
	ds_read_b128 v[91:94], v90 offset:656
	;; [unrolled: 10-line block ×3, first 2 shown]
	s_waitcnt vmcnt(3) lgkmcnt(0)
	v_fma_f64 v[90:91], v[109:110], v[90:91], v[94:95]
	s_waitcnt vmcnt(2)
	v_fma_f64 v[90:91], v[105:106], v[92:93], v[90:91]
	s_waitcnt vmcnt(0)
	v_add_f64 v[90:91], v[113:114], -v[90:91]
	buffer_store_dword v91, off, s[0:3], 0 offset:12
	buffer_store_dword v90, off, s[0:3], 0 offset:8
	v_cmpx_ne_u32_e32 0, v0
	s_cbranch_execz .LBB43_273
; %bb.272:
	s_clause 0x1
	buffer_load_dword v90, off, s[0:3], 0
	buffer_load_dword v91, off, s[0:3], 0 offset:4
	v_mov_b32_e32 v0, 0
	buffer_store_dword v0, off, s[0:3], 0
	buffer_store_dword v0, off, s[0:3], 0 offset:4
	s_waitcnt vmcnt(0)
	ds_write_b64 v89, v[90:91]
.LBB43_273:
	s_or_b32 exec_lo, exec_lo, s4
	s_waitcnt lgkmcnt(0)
	s_waitcnt_vscnt null, 0x0
	s_barrier
	buffer_gl0_inv
	s_clause 0x1c
	buffer_load_dword v97, off, s[0:3], 0 offset:8
	buffer_load_dword v98, off, s[0:3], 0 offset:12
	buffer_load_dword v99, off, s[0:3], 0 offset:16
	buffer_load_dword v100, off, s[0:3], 0 offset:20
	buffer_load_dword v101, off, s[0:3], 0 offset:24
	buffer_load_dword v102, off, s[0:3], 0 offset:28
	buffer_load_dword v103, off, s[0:3], 0 offset:32
	buffer_load_dword v104, off, s[0:3], 0 offset:36
	buffer_load_dword v105, off, s[0:3], 0 offset:40
	buffer_load_dword v106, off, s[0:3], 0 offset:44
	buffer_load_dword v107, off, s[0:3], 0 offset:48
	buffer_load_dword v108, off, s[0:3], 0 offset:52
	buffer_load_dword v109, off, s[0:3], 0 offset:56
	buffer_load_dword v110, off, s[0:3], 0 offset:60
	buffer_load_dword v112, off, s[0:3], 0 offset:68
	buffer_load_dword v113, off, s[0:3], 0 offset:88
	buffer_load_dword v115, off, s[0:3], 0 offset:80
	buffer_load_dword v117, off, s[0:3], 0 offset:72
	buffer_load_dword v111, off, s[0:3], 0 offset:64
	buffer_load_dword v118, off, s[0:3], 0 offset:76
	buffer_load_dword v116, off, s[0:3], 0 offset:84
	buffer_load_dword v114, off, s[0:3], 0 offset:92
	buffer_load_dword v120, off, s[0:3], 0 offset:100
	buffer_load_dword v121, off, s[0:3], 0 offset:120
	buffer_load_dword v123, off, s[0:3], 0 offset:112
	buffer_load_dword v125, off, s[0:3], 0 offset:104
	buffer_load_dword v119, off, s[0:3], 0 offset:96
	buffer_load_dword v126, off, s[0:3], 0 offset:108
	buffer_load_dword v124, off, s[0:3], 0 offset:116
	v_mov_b32_e32 v0, 0
	buffer_load_dword v122, off, s[0:3], 0 offset:124
	s_and_b32 vcc_lo, exec_lo, s22
	ds_read2_b64 v[89:92], v0 offset0:45 offset1:46
	ds_read2_b64 v[93:96], v0 offset0:47 offset1:48
	s_waitcnt vmcnt(28) lgkmcnt(1)
	v_fma_f64 v[89:90], v[97:98], v[89:90], 0
	s_clause 0x7
	buffer_load_dword v98, off, s[0:3], 0 offset:132
	buffer_load_dword v127, off, s[0:3], 0 offset:152
	buffer_load_dword v129, off, s[0:3], 0 offset:144
	buffer_load_dword v131, off, s[0:3], 0 offset:136
	buffer_load_dword v97, off, s[0:3], 0 offset:128
	buffer_load_dword v132, off, s[0:3], 0 offset:140
	buffer_load_dword v130, off, s[0:3], 0 offset:148
	buffer_load_dword v128, off, s[0:3], 0 offset:156
	s_waitcnt vmcnt(34)
	v_fma_f64 v[89:90], v[99:100], v[91:92], v[89:90]
	s_waitcnt vmcnt(32) lgkmcnt(0)
	v_fma_f64 v[89:90], v[101:102], v[93:94], v[89:90]
	s_waitcnt vmcnt(30)
	v_fma_f64 v[99:100], v[103:104], v[95:96], v[89:90]
	ds_read2_b64 v[89:92], v0 offset0:49 offset1:50
	ds_read2_b64 v[93:96], v0 offset0:51 offset1:52
	s_waitcnt vmcnt(28) lgkmcnt(1)
	v_fma_f64 v[89:90], v[105:106], v[89:90], v[99:100]
	s_clause 0x7
	buffer_load_dword v100, off, s[0:3], 0 offset:164
	buffer_load_dword v101, off, s[0:3], 0 offset:184
	buffer_load_dword v103, off, s[0:3], 0 offset:176
	buffer_load_dword v105, off, s[0:3], 0 offset:168
	buffer_load_dword v99, off, s[0:3], 0 offset:160
	buffer_load_dword v106, off, s[0:3], 0 offset:172
	buffer_load_dword v104, off, s[0:3], 0 offset:180
	buffer_load_dword v102, off, s[0:3], 0 offset:188
	s_waitcnt vmcnt(34)
	v_fma_f64 v[89:90], v[107:108], v[91:92], v[89:90]
	s_waitcnt vmcnt(32) lgkmcnt(0)
	v_fma_f64 v[89:90], v[109:110], v[93:94], v[89:90]
	s_waitcnt vmcnt(27)
	v_fma_f64 v[107:108], v[111:112], v[95:96], v[89:90]
	;; [unrolled: 19-line block ×6, first 2 shown]
	ds_read2_b64 v[89:92], v0 offset0:69 offset1:70
	ds_read2_b64 v[93:96], v0 offset0:71 offset1:72
	s_waitcnt vmcnt(26) lgkmcnt(1)
	v_fma_f64 v[97:98], v[117:118], v[89:90], v[97:98]
	s_clause 0x6
	buffer_load_dword v102, off, s[0:3], 0 offset:324
	buffer_load_dword v103, off, s[0:3], 0 offset:344
	;; [unrolled: 1-line block ×7, first 2 shown]
	s_waitcnt vmcnt(32)
	v_fma_f64 v[90:91], v[111:112], v[91:92], v[97:98]
	s_waitcnt vmcnt(31) lgkmcnt(0)
	v_fma_f64 v[91:92], v[109:110], v[93:94], v[90:91]
	buffer_load_dword v90, off, s[0:3], 0 offset:340
	s_waitcnt vmcnt(27)
	v_fma_f64 v[109:110], v[113:114], v[95:96], v[91:92]
	ds_read2_b64 v[91:94], v0 offset0:73 offset1:74
	ds_read2_b64 v[95:98], v0 offset0:75 offset1:76
	s_waitcnt vmcnt(26) lgkmcnt(1)
	v_fma_f64 v[91:92], v[125:126], v[91:92], v[109:110]
	s_clause 0x1
	buffer_load_dword v109, off, s[0:3], 0
	buffer_load_dword v110, off, s[0:3], 0 offset:4
	s_waitcnt vmcnt(27)
	v_fma_f64 v[91:92], v[119:120], v[93:94], v[91:92]
	s_waitcnt vmcnt(26) lgkmcnt(0)
	v_fma_f64 v[91:92], v[115:116], v[95:96], v[91:92]
	s_waitcnt vmcnt(21)
	v_fma_f64 v[111:112], v[121:122], v[97:98], v[91:92]
	ds_read2_b64 v[91:94], v0 offset0:77 offset1:78
	ds_read2_b64 v[95:98], v0 offset0:79 offset1:80
	s_waitcnt vmcnt(20) lgkmcnt(1)
	v_fma_f64 v[91:92], v[133:134], v[91:92], v[111:112]
	s_waitcnt vmcnt(19)
	v_fma_f64 v[91:92], v[131:132], v[93:94], v[91:92]
	s_waitcnt vmcnt(18) lgkmcnt(0)
	v_fma_f64 v[91:92], v[123:124], v[95:96], v[91:92]
	s_waitcnt vmcnt(13)
	v_fma_f64 v[99:100], v[99:100], v[97:98], v[91:92]
	ds_read2_b64 v[91:94], v0 offset0:81 offset1:82
	ds_read2_b64 v[95:98], v0 offset0:83 offset1:84
	s_waitcnt vmcnt(12) lgkmcnt(1)
	v_fma_f64 v[91:92], v[129:130], v[91:92], v[99:100]
	s_waitcnt vmcnt(11)
	v_fma_f64 v[91:92], v[127:128], v[93:94], v[91:92]
	s_waitcnt vmcnt(10) lgkmcnt(0)
	v_fma_f64 v[91:92], v[105:106], v[95:96], v[91:92]
	s_waitcnt vmcnt(5)
	v_fma_f64 v[95:96], v[101:102], v[97:98], v[91:92]
	ds_read2_b64 v[91:94], v0 offset0:85 offset1:86
	ds_read_b64 v[97:98], v0 offset:696
	s_waitcnt vmcnt(4) lgkmcnt(1)
	v_fma_f64 v[91:92], v[107:108], v[91:92], v[95:96]
	s_waitcnt vmcnt(2)
	v_fma_f64 v[91:92], v[89:90], v[93:94], v[91:92]
	s_waitcnt lgkmcnt(0)
	v_fma_f64 v[91:92], v[103:104], v[97:98], v[91:92]
	s_waitcnt vmcnt(0)
	v_add_f64 v[91:92], v[109:110], -v[91:92]
	buffer_store_dword v92, off, s[0:3], 0 offset:4
	buffer_store_dword v91, off, s[0:3], 0
	s_cbranch_vccz .LBB43_360
; %bb.274:
	global_load_dword v0, v0, s[20:21] offset:168
	s_waitcnt vmcnt(0)
	v_add_nc_u32_e32 v0, -1, v0
	v_cmp_ne_u32_e32 vcc_lo, 42, v0
	s_cbranch_vccz .LBB43_276
; %bb.275:
	v_lshlrev_b32_e32 v0, 3, v0
	s_clause 0x1
	buffer_load_dword v91, v0, s[0:3], 0 offen offset:4
	buffer_load_dword v92, v0, s[0:3], 0 offen
	s_waitcnt vmcnt(1)
	buffer_store_dword v91, off, s[0:3], 0 offset:340
	s_waitcnt vmcnt(0)
	buffer_store_dword v92, off, s[0:3], 0 offset:336
	buffer_store_dword v90, v0, s[0:3], 0 offen offset:4
	buffer_store_dword v89, v0, s[0:3], 0 offen
.LBB43_276:
	v_mov_b32_e32 v0, 0
	global_load_dword v89, v0, s[20:21] offset:164
	s_waitcnt vmcnt(0)
	v_add_nc_u32_e32 v89, -1, v89
	v_cmp_eq_u32_e32 vcc_lo, 41, v89
	s_cbranch_vccnz .LBB43_278
; %bb.277:
	v_lshlrev_b32_e32 v89, 3, v89
	s_clause 0x3
	buffer_load_dword v90, v89, s[0:3], 0 offen
	buffer_load_dword v91, v89, s[0:3], 0 offen offset:4
	buffer_load_dword v92, off, s[0:3], 0 offset:328
	buffer_load_dword v93, off, s[0:3], 0 offset:332
	s_waitcnt vmcnt(3)
	buffer_store_dword v90, off, s[0:3], 0 offset:328
	s_waitcnt vmcnt(2)
	buffer_store_dword v91, off, s[0:3], 0 offset:332
	s_waitcnt vmcnt(1)
	buffer_store_dword v92, v89, s[0:3], 0 offen
	s_waitcnt vmcnt(0)
	buffer_store_dword v93, v89, s[0:3], 0 offen offset:4
.LBB43_278:
	global_load_dword v0, v0, s[20:21] offset:160
	s_waitcnt vmcnt(0)
	v_add_nc_u32_e32 v0, -1, v0
	v_cmp_eq_u32_e32 vcc_lo, 40, v0
	s_cbranch_vccnz .LBB43_280
; %bb.279:
	v_lshlrev_b32_e32 v0, 3, v0
	s_clause 0x3
	buffer_load_dword v89, v0, s[0:3], 0 offen
	buffer_load_dword v90, v0, s[0:3], 0 offen offset:4
	buffer_load_dword v91, off, s[0:3], 0 offset:324
	buffer_load_dword v92, off, s[0:3], 0 offset:320
	s_waitcnt vmcnt(3)
	buffer_store_dword v89, off, s[0:3], 0 offset:320
	s_waitcnt vmcnt(2)
	buffer_store_dword v90, off, s[0:3], 0 offset:324
	s_waitcnt vmcnt(1)
	buffer_store_dword v91, v0, s[0:3], 0 offen offset:4
	s_waitcnt vmcnt(0)
	buffer_store_dword v92, v0, s[0:3], 0 offen
.LBB43_280:
	v_mov_b32_e32 v0, 0
	global_load_dword v89, v0, s[20:21] offset:156
	s_waitcnt vmcnt(0)
	v_add_nc_u32_e32 v89, -1, v89
	v_cmp_eq_u32_e32 vcc_lo, 39, v89
	s_cbranch_vccnz .LBB43_282
; %bb.281:
	v_lshlrev_b32_e32 v89, 3, v89
	s_clause 0x3
	buffer_load_dword v90, v89, s[0:3], 0 offen
	buffer_load_dword v91, v89, s[0:3], 0 offen offset:4
	buffer_load_dword v92, off, s[0:3], 0 offset:312
	buffer_load_dword v93, off, s[0:3], 0 offset:316
	s_waitcnt vmcnt(3)
	buffer_store_dword v90, off, s[0:3], 0 offset:312
	s_waitcnt vmcnt(2)
	buffer_store_dword v91, off, s[0:3], 0 offset:316
	s_waitcnt vmcnt(1)
	buffer_store_dword v92, v89, s[0:3], 0 offen
	s_waitcnt vmcnt(0)
	buffer_store_dword v93, v89, s[0:3], 0 offen offset:4
.LBB43_282:
	global_load_dword v0, v0, s[20:21] offset:152
	s_waitcnt vmcnt(0)
	v_add_nc_u32_e32 v0, -1, v0
	v_cmp_eq_u32_e32 vcc_lo, 38, v0
	s_cbranch_vccnz .LBB43_284
; %bb.283:
	v_lshlrev_b32_e32 v0, 3, v0
	s_clause 0x3
	buffer_load_dword v89, v0, s[0:3], 0 offen
	buffer_load_dword v90, v0, s[0:3], 0 offen offset:4
	buffer_load_dword v91, off, s[0:3], 0 offset:308
	buffer_load_dword v92, off, s[0:3], 0 offset:304
	s_waitcnt vmcnt(3)
	buffer_store_dword v89, off, s[0:3], 0 offset:304
	s_waitcnt vmcnt(2)
	buffer_store_dword v90, off, s[0:3], 0 offset:308
	s_waitcnt vmcnt(1)
	buffer_store_dword v91, v0, s[0:3], 0 offen offset:4
	s_waitcnt vmcnt(0)
	buffer_store_dword v92, v0, s[0:3], 0 offen
.LBB43_284:
	;; [unrolled: 43-line block ×20, first 2 shown]
	v_mov_b32_e32 v0, 0
	global_load_dword v89, v0, s[20:21] offset:4
	s_waitcnt vmcnt(0)
	v_add_nc_u32_e32 v89, -1, v89
	v_cmp_eq_u32_e32 vcc_lo, 1, v89
	s_cbranch_vccnz .LBB43_358
; %bb.357:
	v_lshlrev_b32_e32 v89, 3, v89
	s_clause 0x3
	buffer_load_dword v90, v89, s[0:3], 0 offen
	buffer_load_dword v91, v89, s[0:3], 0 offen offset:4
	buffer_load_dword v92, off, s[0:3], 0 offset:8
	buffer_load_dword v93, off, s[0:3], 0 offset:12
	s_waitcnt vmcnt(3)
	buffer_store_dword v90, off, s[0:3], 0 offset:8
	s_waitcnt vmcnt(2)
	buffer_store_dword v91, off, s[0:3], 0 offset:12
	s_waitcnt vmcnt(1)
	buffer_store_dword v92, v89, s[0:3], 0 offen
	s_waitcnt vmcnt(0)
	buffer_store_dword v93, v89, s[0:3], 0 offen offset:4
.LBB43_358:
	global_load_dword v0, v0, s[20:21]
	s_clause 0x1
	buffer_load_dword v91, off, s[0:3], 0
	buffer_load_dword v92, off, s[0:3], 0 offset:4
	s_waitcnt vmcnt(2)
	v_add_nc_u32_e32 v0, -1, v0
	v_cmp_eq_u32_e32 vcc_lo, 0, v0
	s_cbranch_vccnz .LBB43_360
; %bb.359:
	v_lshlrev_b32_e32 v0, 3, v0
	s_clause 0x1
	buffer_load_dword v89, v0, s[0:3], 0 offen offset:4
	buffer_load_dword v90, v0, s[0:3], 0 offen
	s_waitcnt vmcnt(1)
	buffer_store_dword v89, off, s[0:3], 0 offset:4
	s_waitcnt vmcnt(0)
	buffer_store_dword v90, off, s[0:3], 0
	buffer_store_dword v92, v0, s[0:3], 0 offen offset:4
	buffer_store_dword v91, v0, s[0:3], 0 offen
	s_clause 0x1
	buffer_load_dword v91, off, s[0:3], 0
	buffer_load_dword v92, off, s[0:3], 0 offset:4
.LBB43_360:
	s_clause 0xf
	buffer_load_dword v89, off, s[0:3], 0 offset:8
	buffer_load_dword v90, off, s[0:3], 0 offset:12
	buffer_load_dword v93, off, s[0:3], 0 offset:16
	buffer_load_dword v94, off, s[0:3], 0 offset:20
	buffer_load_dword v95, off, s[0:3], 0 offset:24
	buffer_load_dword v96, off, s[0:3], 0 offset:28
	buffer_load_dword v97, off, s[0:3], 0 offset:32
	buffer_load_dword v98, off, s[0:3], 0 offset:36
	buffer_load_dword v99, off, s[0:3], 0 offset:40
	buffer_load_dword v100, off, s[0:3], 0 offset:44
	buffer_load_dword v101, off, s[0:3], 0 offset:48
	buffer_load_dword v102, off, s[0:3], 0 offset:52
	buffer_load_dword v103, off, s[0:3], 0 offset:56
	buffer_load_dword v104, off, s[0:3], 0 offset:60
	buffer_load_dword v105, off, s[0:3], 0 offset:64
	buffer_load_dword v106, off, s[0:3], 0 offset:68
	s_waitcnt vmcnt(16)
	global_store_dwordx2 v[87:88], v[91:92], off
	s_clause 0x1f
	buffer_load_dword v87, off, s[0:3], 0 offset:72
	buffer_load_dword v88, off, s[0:3], 0 offset:76
	;; [unrolled: 1-line block ×32, first 2 shown]
	s_waitcnt vmcnt(46)
	global_store_dwordx2 v[49:50], v[89:90], off
	s_clause 0x7
	buffer_load_dword v49, off, s[0:3], 0 offset:200
	buffer_load_dword v50, off, s[0:3], 0 offset:204
	buffer_load_dword v89, off, s[0:3], 0 offset:208
	buffer_load_dword v90, off, s[0:3], 0 offset:212
	buffer_load_dword v135, off, s[0:3], 0 offset:216
	buffer_load_dword v136, off, s[0:3], 0 offset:220
	buffer_load_dword v137, off, s[0:3], 0 offset:224
	buffer_load_dword v138, off, s[0:3], 0 offset:228
	s_waitcnt vmcnt(52)
	global_store_dwordx2 v[1:2], v[93:94], off
	s_waitcnt vmcnt(50)
	global_store_dwordx2 v[5:6], v[95:96], off
	s_clause 0x7
	buffer_load_dword v0, off, s[0:3], 0 offset:232
	buffer_load_dword v1, off, s[0:3], 0 offset:236
	buffer_load_dword v5, off, s[0:3], 0 offset:240
	buffer_load_dword v6, off, s[0:3], 0 offset:244
	buffer_load_dword v93, off, s[0:3], 0 offset:248
	buffer_load_dword v94, off, s[0:3], 0 offset:252
	buffer_load_dword v95, off, s[0:3], 0 offset:256
	buffer_load_dword v96, off, s[0:3], 0 offset:260
	s_waitcnt vmcnt(56)
	global_store_dwordx2 v[3:4], v[97:98], off
	;; [unrolled: 13-line block ×4, first 2 shown]
	s_clause 0x5
	buffer_load_dword v13, off, s[0:3], 0 offset:328
	buffer_load_dword v14, off, s[0:3], 0 offset:332
	;; [unrolled: 1-line block ×6, first 2 shown]
	global_store_dwordx2 v[11:12], v[87:88], off
	s_waitcnt vmcnt(62)
	global_store_dwordx2 v[17:18], v[91:92], off
	global_store_dwordx2 v[19:20], v[107:108], off
	;; [unrolled: 1-line block ×3, first 2 shown]
	s_waitcnt vmcnt(60)
	global_store_dwordx2 v[23:24], v[111:112], off
	s_waitcnt vmcnt(58)
	global_store_dwordx2 v[25:26], v[113:114], off
	;; [unrolled: 2-line block ×31, first 2 shown]
	s_endpgm
	.section	.rodata,"a",@progbits
	.p2align	6, 0x0
	.amdhsa_kernel _ZN9rocsolver6v33100L18getri_kernel_smallILi44EdPdEEvT1_iilPiilS4_bb
		.amdhsa_group_segment_fixed_size 712
		.amdhsa_private_segment_fixed_size 368
		.amdhsa_kernarg_size 60
		.amdhsa_user_sgpr_count 6
		.amdhsa_user_sgpr_private_segment_buffer 1
		.amdhsa_user_sgpr_dispatch_ptr 0
		.amdhsa_user_sgpr_queue_ptr 0
		.amdhsa_user_sgpr_kernarg_segment_ptr 1
		.amdhsa_user_sgpr_dispatch_id 0
		.amdhsa_user_sgpr_flat_scratch_init 0
		.amdhsa_user_sgpr_private_segment_size 0
		.amdhsa_wavefront_size32 1
		.amdhsa_uses_dynamic_stack 0
		.amdhsa_system_sgpr_private_segment_wavefront_offset 1
		.amdhsa_system_sgpr_workgroup_id_x 1
		.amdhsa_system_sgpr_workgroup_id_y 0
		.amdhsa_system_sgpr_workgroup_id_z 0
		.amdhsa_system_sgpr_workgroup_info 0
		.amdhsa_system_vgpr_workitem_id 0
		.amdhsa_next_free_vgpr 141
		.amdhsa_next_free_sgpr 23
		.amdhsa_reserve_vcc 1
		.amdhsa_reserve_flat_scratch 0
		.amdhsa_float_round_mode_32 0
		.amdhsa_float_round_mode_16_64 0
		.amdhsa_float_denorm_mode_32 3
		.amdhsa_float_denorm_mode_16_64 3
		.amdhsa_dx10_clamp 1
		.amdhsa_ieee_mode 1
		.amdhsa_fp16_overflow 0
		.amdhsa_workgroup_processor_mode 1
		.amdhsa_memory_ordered 1
		.amdhsa_forward_progress 1
		.amdhsa_shared_vgpr_count 0
		.amdhsa_exception_fp_ieee_invalid_op 0
		.amdhsa_exception_fp_denorm_src 0
		.amdhsa_exception_fp_ieee_div_zero 0
		.amdhsa_exception_fp_ieee_overflow 0
		.amdhsa_exception_fp_ieee_underflow 0
		.amdhsa_exception_fp_ieee_inexact 0
		.amdhsa_exception_int_div_zero 0
	.end_amdhsa_kernel
	.section	.text._ZN9rocsolver6v33100L18getri_kernel_smallILi44EdPdEEvT1_iilPiilS4_bb,"axG",@progbits,_ZN9rocsolver6v33100L18getri_kernel_smallILi44EdPdEEvT1_iilPiilS4_bb,comdat
.Lfunc_end43:
	.size	_ZN9rocsolver6v33100L18getri_kernel_smallILi44EdPdEEvT1_iilPiilS4_bb, .Lfunc_end43-_ZN9rocsolver6v33100L18getri_kernel_smallILi44EdPdEEvT1_iilPiilS4_bb
                                        ; -- End function
	.set _ZN9rocsolver6v33100L18getri_kernel_smallILi44EdPdEEvT1_iilPiilS4_bb.num_vgpr, 141
	.set _ZN9rocsolver6v33100L18getri_kernel_smallILi44EdPdEEvT1_iilPiilS4_bb.num_agpr, 0
	.set _ZN9rocsolver6v33100L18getri_kernel_smallILi44EdPdEEvT1_iilPiilS4_bb.numbered_sgpr, 23
	.set _ZN9rocsolver6v33100L18getri_kernel_smallILi44EdPdEEvT1_iilPiilS4_bb.num_named_barrier, 0
	.set _ZN9rocsolver6v33100L18getri_kernel_smallILi44EdPdEEvT1_iilPiilS4_bb.private_seg_size, 368
	.set _ZN9rocsolver6v33100L18getri_kernel_smallILi44EdPdEEvT1_iilPiilS4_bb.uses_vcc, 1
	.set _ZN9rocsolver6v33100L18getri_kernel_smallILi44EdPdEEvT1_iilPiilS4_bb.uses_flat_scratch, 0
	.set _ZN9rocsolver6v33100L18getri_kernel_smallILi44EdPdEEvT1_iilPiilS4_bb.has_dyn_sized_stack, 0
	.set _ZN9rocsolver6v33100L18getri_kernel_smallILi44EdPdEEvT1_iilPiilS4_bb.has_recursion, 0
	.set _ZN9rocsolver6v33100L18getri_kernel_smallILi44EdPdEEvT1_iilPiilS4_bb.has_indirect_call, 0
	.section	.AMDGPU.csdata,"",@progbits
; Kernel info:
; codeLenInByte = 55644
; TotalNumSgprs: 25
; NumVgprs: 141
; ScratchSize: 368
; MemoryBound: 1
; FloatMode: 240
; IeeeMode: 1
; LDSByteSize: 712 bytes/workgroup (compile time only)
; SGPRBlocks: 0
; VGPRBlocks: 17
; NumSGPRsForWavesPerEU: 25
; NumVGPRsForWavesPerEU: 141
; Occupancy: 7
; WaveLimiterHint : 1
; COMPUTE_PGM_RSRC2:SCRATCH_EN: 1
; COMPUTE_PGM_RSRC2:USER_SGPR: 6
; COMPUTE_PGM_RSRC2:TRAP_HANDLER: 0
; COMPUTE_PGM_RSRC2:TGID_X_EN: 1
; COMPUTE_PGM_RSRC2:TGID_Y_EN: 0
; COMPUTE_PGM_RSRC2:TGID_Z_EN: 0
; COMPUTE_PGM_RSRC2:TIDIG_COMP_CNT: 0
	.section	.text._ZN9rocsolver6v33100L18getri_kernel_smallILi45EdPdEEvT1_iilPiilS4_bb,"axG",@progbits,_ZN9rocsolver6v33100L18getri_kernel_smallILi45EdPdEEvT1_iilPiilS4_bb,comdat
	.globl	_ZN9rocsolver6v33100L18getri_kernel_smallILi45EdPdEEvT1_iilPiilS4_bb ; -- Begin function _ZN9rocsolver6v33100L18getri_kernel_smallILi45EdPdEEvT1_iilPiilS4_bb
	.p2align	8
	.type	_ZN9rocsolver6v33100L18getri_kernel_smallILi45EdPdEEvT1_iilPiilS4_bb,@function
_ZN9rocsolver6v33100L18getri_kernel_smallILi45EdPdEEvT1_iilPiilS4_bb: ; @_ZN9rocsolver6v33100L18getri_kernel_smallILi45EdPdEEvT1_iilPiilS4_bb
; %bb.0:
	s_add_u32 s0, s0, s7
	s_addc_u32 s1, s1, 0
	s_mov_b32 s7, exec_lo
	v_cmpx_gt_u32_e32 45, v0
	s_cbranch_execz .LBB44_190
; %bb.1:
	s_clause 0x2
	s_load_dword s7, s[4:5], 0x38
	s_load_dwordx4 s[16:19], s[4:5], 0x10
	s_load_dwordx4 s[8:11], s[4:5], 0x28
                                        ; implicit-def: $sgpr20_sgpr21
	s_waitcnt lgkmcnt(0)
	s_bitcmp1_b32 s7, 8
	s_cselect_b32 s22, -1, 0
	s_bfe_u32 s12, s7, 0x10008
	s_ashr_i32 s7, s6, 31
	s_cmp_eq_u32 s12, 0
	s_cbranch_scc1 .LBB44_3
; %bb.2:
	s_load_dword s12, s[4:5], 0x20
	s_mul_i32 s13, s8, s7
	s_mul_hi_u32 s14, s8, s6
	s_mul_i32 s9, s9, s6
	s_add_i32 s13, s14, s13
	s_mul_i32 s8, s8, s6
	s_add_i32 s9, s13, s9
	s_lshl_b64 s[8:9], s[8:9], 2
	s_waitcnt lgkmcnt(0)
	s_ashr_i32 s13, s12, 31
	s_add_u32 s14, s18, s8
	s_addc_u32 s15, s19, s9
	s_lshl_b64 s[8:9], s[12:13], 2
	s_add_u32 s20, s14, s8
	s_addc_u32 s21, s15, s9
.LBB44_3:
	s_clause 0x1
	s_load_dwordx4 s[12:15], s[4:5], 0x0
	s_load_dword s8, s[4:5], 0x38
	s_mul_i32 s4, s16, s7
	s_mul_hi_u32 s5, s16, s6
	s_mul_i32 s9, s17, s6
	s_add_i32 s5, s5, s4
	s_mul_i32 s4, s16, s6
	s_add_i32 s5, s5, s9
	v_lshlrev_b32_e32 v93, 3, v0
	s_lshl_b64 s[4:5], s[4:5], 3
	s_waitcnt lgkmcnt(0)
	v_add3_u32 v1, s15, s15, v0
	s_ashr_i32 s17, s14, 31
	s_mov_b32 s16, s14
	s_add_u32 s9, s12, s4
	s_addc_u32 s12, s13, s5
	v_add_nc_u32_e32 v3, s15, v1
	v_ashrrev_i32_e32 v2, 31, v1
	s_lshl_b64 s[4:5], s[16:17], 3
	s_add_u32 s4, s9, s4
	v_add_nc_u32_e32 v5, s15, v3
	v_ashrrev_i32_e32 v4, 31, v3
	v_lshlrev_b64 v[1:2], 3, v[1:2]
	s_addc_u32 s5, s12, s5
	v_add_co_u32 v89, s9, s4, v93
	v_add_nc_u32_e32 v7, s15, v5
	v_ashrrev_i32_e32 v6, 31, v5
	v_lshlrev_b64 v[3:4], 3, v[3:4]
	v_add_co_u32 v1, vcc_lo, s4, v1
	v_add_nc_u32_e32 v11, s15, v7
	v_ashrrev_i32_e32 v8, 31, v7
	v_lshlrev_b64 v[9:10], 3, v[5:6]
	v_add_co_ci_u32_e64 v2, null, s5, v2, vcc_lo
	v_add_nc_u32_e32 v13, s15, v11
	v_ashrrev_i32_e32 v12, 31, v11
	v_lshlrev_b64 v[7:8], 3, v[7:8]
	v_add_co_u32 v5, vcc_lo, s4, v3
	v_add_nc_u32_e32 v15, s15, v13
	v_lshlrev_b64 v[11:12], 3, v[11:12]
	v_add_co_ci_u32_e64 v6, null, s5, v4, vcc_lo
	v_add_co_u32 v3, vcc_lo, s4, v9
	v_ashrrev_i32_e32 v16, 31, v15
	v_add_nc_u32_e32 v17, s15, v15
	v_add_co_ci_u32_e64 v4, null, s5, v10, vcc_lo
	v_add_co_u32 v9, vcc_lo, s4, v7
	v_add_co_ci_u32_e64 v10, null, s5, v8, vcc_lo
	v_add_co_u32 v7, vcc_lo, s4, v11
	v_add_co_ci_u32_e64 v8, null, s5, v12, vcc_lo
	v_lshlrev_b64 v[11:12], 3, v[15:16]
	v_add_nc_u32_e32 v15, s15, v17
	v_ashrrev_i32_e32 v14, 31, v13
	v_ashrrev_i32_e32 v18, 31, v17
	s_mov_b32 s12, s15
	s_ashr_i32 s13, s15, 31
	v_add_nc_u32_e32 v19, s15, v15
	v_lshlrev_b64 v[13:14], 3, v[13:14]
	v_ashrrev_i32_e32 v16, 31, v15
	v_lshlrev_b64 v[17:18], 3, v[17:18]
	v_add_co_ci_u32_e64 v90, null, s5, 0, s9
	v_add_nc_u32_e32 v21, s15, v19
	v_ashrrev_i32_e32 v20, 31, v19
	v_add_co_u32 v13, vcc_lo, s4, v13
	v_lshlrev_b64 v[15:16], 3, v[15:16]
	v_add_nc_u32_e32 v23, s15, v21
	v_ashrrev_i32_e32 v22, 31, v21
	v_add_co_ci_u32_e64 v14, null, s5, v14, vcc_lo
	v_add_co_u32 v11, vcc_lo, s4, v11
	v_add_nc_u32_e32 v25, s15, v23
	v_ashrrev_i32_e32 v24, 31, v23
	v_lshlrev_b64 v[19:20], 3, v[19:20]
	v_add_co_ci_u32_e64 v12, null, s5, v12, vcc_lo
	v_add_nc_u32_e32 v27, s15, v25
	v_add_co_u32 v17, vcc_lo, s4, v17
	v_lshlrev_b64 v[21:22], 3, v[21:22]
	v_ashrrev_i32_e32 v26, 31, v25
	v_add_nc_u32_e32 v29, s15, v27
	v_add_co_ci_u32_e64 v18, null, s5, v18, vcc_lo
	v_add_co_u32 v15, vcc_lo, s4, v15
	v_add_nc_u32_e32 v31, s15, v29
	v_lshlrev_b64 v[23:24], 3, v[23:24]
	v_ashrrev_i32_e32 v28, 31, v27
	v_add_co_ci_u32_e64 v16, null, s5, v16, vcc_lo
	v_add_nc_u32_e32 v33, s15, v31
	v_add_co_u32 v19, vcc_lo, s4, v19
	v_ashrrev_i32_e32 v30, 31, v29
	v_add_co_ci_u32_e64 v20, null, s5, v20, vcc_lo
	v_add_nc_u32_e32 v35, s15, v33
	v_add_co_u32 v21, vcc_lo, s4, v21
	v_lshlrev_b64 v[25:26], 3, v[25:26]
	v_ashrrev_i32_e32 v32, 31, v31
	v_add_co_ci_u32_e64 v22, null, s5, v22, vcc_lo
	v_add_co_u32 v23, vcc_lo, s4, v23
	v_lshlrev_b64 v[27:28], 3, v[27:28]
	s_lshl_b64 s[12:13], s[12:13], 3
	v_add_nc_u32_e32 v39, s15, v35
	v_ashrrev_i32_e32 v34, 31, v33
	v_add_co_ci_u32_e64 v24, null, s5, v24, vcc_lo
	v_add_co_u32 v55, vcc_lo, v89, s12
	v_lshlrev_b64 v[29:30], 3, v[29:30]
	v_ashrrev_i32_e32 v36, 31, v35
	v_add_co_ci_u32_e64 v56, null, s13, v90, vcc_lo
	v_add_co_u32 v25, vcc_lo, s4, v25
	v_lshlrev_b64 v[31:32], 3, v[31:32]
	;; [unrolled: 4-line block ×3, first 2 shown]
	v_add_co_ci_u32_e64 v28, null, s5, v28, vcc_lo
	v_add_co_u32 v29, vcc_lo, s4, v29
	v_lshlrev_b64 v[35:36], 3, v[35:36]
	v_add_co_ci_u32_e64 v30, null, s5, v30, vcc_lo
	v_add_co_u32 v31, vcc_lo, s4, v31
	v_lshlrev_b64 v[37:38], 3, v[39:40]
	v_add_co_ci_u32_e64 v32, null, s5, v32, vcc_lo
	v_add_co_u32 v33, vcc_lo, s4, v33
	v_add_co_ci_u32_e64 v34, null, s5, v34, vcc_lo
	v_add_co_u32 v35, vcc_lo, s4, v35
	s_clause 0x4
	global_load_dwordx2 v[91:92], v93, s[4:5]
	global_load_dwordx2 v[94:95], v[55:56], off
	global_load_dwordx2 v[96:97], v[1:2], off
	;; [unrolled: 1-line block ×4, first 2 shown]
	v_add_co_ci_u32_e64 v36, null, s5, v36, vcc_lo
	v_add_co_u32 v37, vcc_lo, s4, v37
	s_clause 0x7
	global_load_dwordx2 v[102:103], v[9:10], off
	global_load_dwordx2 v[104:105], v[7:8], off
	;; [unrolled: 1-line block ×8, first 2 shown]
	v_add_co_ci_u32_e64 v38, null, s5, v38, vcc_lo
	s_clause 0x7
	global_load_dwordx2 v[118:119], v[23:24], off
	global_load_dwordx2 v[120:121], v[25:26], off
	;; [unrolled: 1-line block ×8, first 2 shown]
	v_add_nc_u32_e32 v39, s15, v39
	s_bitcmp0_b32 s8, 0
	s_waitcnt vmcnt(20)
	buffer_store_dword v92, off, s[0:3], 0 offset:4
	buffer_store_dword v91, off, s[0:3], 0
	v_add_nc_u32_e32 v41, s15, v39
	v_ashrrev_i32_e32 v40, 31, v39
	v_add_nc_u32_e32 v43, s15, v41
	v_ashrrev_i32_e32 v42, 31, v41
	v_lshlrev_b64 v[39:40], 3, v[39:40]
	v_add_nc_u32_e32 v45, s15, v43
	v_ashrrev_i32_e32 v44, 31, v43
	v_lshlrev_b64 v[41:42], 3, v[41:42]
	v_add_co_u32 v39, vcc_lo, s4, v39
	v_add_nc_u32_e32 v47, s15, v45
	v_ashrrev_i32_e32 v46, 31, v45
	v_lshlrev_b64 v[43:44], 3, v[43:44]
	v_add_co_ci_u32_e64 v40, null, s5, v40, vcc_lo
	v_add_nc_u32_e32 v49, s15, v47
	v_ashrrev_i32_e32 v48, 31, v47
	v_lshlrev_b64 v[45:46], 3, v[45:46]
	v_add_co_u32 v41, vcc_lo, s4, v41
	v_add_nc_u32_e32 v51, s15, v49
	v_ashrrev_i32_e32 v50, 31, v49
	v_lshlrev_b64 v[47:48], 3, v[47:48]
	v_add_co_ci_u32_e64 v42, null, s5, v42, vcc_lo
	v_add_nc_u32_e32 v53, s15, v51
	v_ashrrev_i32_e32 v52, 31, v51
	v_add_co_u32 v43, vcc_lo, s4, v43
	v_lshlrev_b64 v[49:50], 3, v[49:50]
	v_add_nc_u32_e32 v57, s15, v53
	v_ashrrev_i32_e32 v54, 31, v53
	v_add_co_ci_u32_e64 v44, null, s5, v44, vcc_lo
	v_add_co_u32 v45, vcc_lo, s4, v45
	v_add_nc_u32_e32 v59, s15, v57
	v_ashrrev_i32_e32 v58, 31, v57
	v_lshlrev_b64 v[51:52], 3, v[51:52]
	v_add_co_ci_u32_e64 v46, null, s5, v46, vcc_lo
	v_add_nc_u32_e32 v61, s15, v59
	v_ashrrev_i32_e32 v60, 31, v59
	v_add_co_u32 v47, vcc_lo, s4, v47
	v_lshlrev_b64 v[53:54], 3, v[53:54]
	v_add_nc_u32_e32 v63, s15, v61
	v_ashrrev_i32_e32 v62, 31, v61
	v_add_co_ci_u32_e64 v48, null, s5, v48, vcc_lo
	v_add_co_u32 v49, vcc_lo, s4, v49
	v_add_nc_u32_e32 v65, s15, v63
	v_lshlrev_b64 v[57:58], 3, v[57:58]
	v_ashrrev_i32_e32 v64, 31, v63
	v_add_co_ci_u32_e64 v50, null, s5, v50, vcc_lo
	v_add_nc_u32_e32 v67, s15, v65
	v_add_co_u32 v51, vcc_lo, s4, v51
	v_lshlrev_b64 v[59:60], 3, v[59:60]
	v_ashrrev_i32_e32 v66, 31, v65
	v_add_nc_u32_e32 v69, s15, v67
	v_add_co_ci_u32_e64 v52, null, s5, v52, vcc_lo
	v_add_co_u32 v53, vcc_lo, s4, v53
	v_add_nc_u32_e32 v71, s15, v69
	v_lshlrev_b64 v[61:62], 3, v[61:62]
	v_ashrrev_i32_e32 v68, 31, v67
	v_add_co_ci_u32_e64 v54, null, s5, v54, vcc_lo
	v_add_nc_u32_e32 v73, s15, v71
	v_add_co_u32 v57, vcc_lo, s4, v57
	v_lshlrev_b64 v[63:64], 3, v[63:64]
	v_ashrrev_i32_e32 v70, 31, v69
	v_add_nc_u32_e32 v75, s15, v73
	;; [unrolled: 11-line block ×3, first 2 shown]
	v_add_co_ci_u32_e64 v62, null, s5, v62, vcc_lo
	v_add_co_u32 v63, vcc_lo, s4, v63
	v_add_nc_u32_e32 v83, s15, v81
	v_lshlrev_b64 v[69:70], 3, v[69:70]
	v_ashrrev_i32_e32 v76, 31, v75
	v_add_co_ci_u32_e64 v64, null, s5, v64, vcc_lo
	v_add_co_u32 v65, vcc_lo, s4, v65
	v_lshlrev_b64 v[71:72], 3, v[71:72]
	v_ashrrev_i32_e32 v78, 31, v77
	v_add_nc_u32_e32 v85, s15, v83
	v_add_co_ci_u32_e64 v66, null, s5, v66, vcc_lo
	v_add_co_u32 v67, vcc_lo, s4, v67
	v_lshlrev_b64 v[73:74], 3, v[73:74]
	v_ashrrev_i32_e32 v80, 31, v79
	v_add_co_ci_u32_e64 v68, null, s5, v68, vcc_lo
	v_add_co_u32 v69, vcc_lo, s4, v69
	v_lshlrev_b64 v[75:76], 3, v[75:76]
	v_ashrrev_i32_e32 v82, 31, v81
	v_add_co_ci_u32_e64 v70, null, s5, v70, vcc_lo
	v_add_co_u32 v71, vcc_lo, s4, v71
	v_lshlrev_b64 v[77:78], 3, v[77:78]
	v_add_nc_u32_e32 v87, s15, v85
	v_ashrrev_i32_e32 v84, 31, v83
	v_add_co_ci_u32_e64 v72, null, s5, v72, vcc_lo
	v_add_co_u32 v73, vcc_lo, s4, v73
	v_lshlrev_b64 v[79:80], 3, v[79:80]
	v_ashrrev_i32_e32 v86, 31, v85
	v_add_co_ci_u32_e64 v74, null, s5, v74, vcc_lo
	v_add_co_u32 v75, vcc_lo, s4, v75
	v_lshlrev_b64 v[81:82], 3, v[81:82]
	;; [unrolled: 4-line block ×3, first 2 shown]
	v_add_co_ci_u32_e64 v78, null, s5, v78, vcc_lo
	v_add_co_u32 v79, vcc_lo, s4, v79
	v_lshlrev_b64 v[85:86], 3, v[85:86]
	v_add_co_ci_u32_e64 v80, null, s5, v80, vcc_lo
	v_add_co_u32 v81, vcc_lo, s4, v81
	v_lshlrev_b64 v[134:135], 3, v[87:88]
	v_add_co_ci_u32_e64 v82, null, s5, v82, vcc_lo
	v_add_co_u32 v83, vcc_lo, s4, v83
	v_add_co_ci_u32_e64 v84, null, s5, v84, vcc_lo
	v_add_co_u32 v87, vcc_lo, s4, v85
	;; [unrolled: 2-line block ×3, first 2 shown]
	v_add_co_ci_u32_e64 v86, null, s5, v135, vcc_lo
	s_clause 0x3
	global_load_dwordx2 v[91:92], v[39:40], off
	global_load_dwordx2 v[134:135], v[41:42], off
	global_load_dwordx2 v[136:137], v[43:44], off
	global_load_dwordx2 v[138:139], v[45:46], off
	s_waitcnt vmcnt(23)
	buffer_store_dword v95, off, s[0:3], 0 offset:12
	buffer_store_dword v94, off, s[0:3], 0 offset:8
	s_waitcnt vmcnt(22)
	buffer_store_dword v97, off, s[0:3], 0 offset:20
	buffer_store_dword v96, off, s[0:3], 0 offset:16
	s_waitcnt vmcnt(21)
	buffer_store_dword v99, off, s[0:3], 0 offset:28
	buffer_store_dword v98, off, s[0:3], 0 offset:24
	s_waitcnt vmcnt(20)
	buffer_store_dword v101, off, s[0:3], 0 offset:36
	buffer_store_dword v100, off, s[0:3], 0 offset:32
	s_clause 0x3
	global_load_dwordx2 v[94:95], v[47:48], off
	global_load_dwordx2 v[96:97], v[49:50], off
	global_load_dwordx2 v[98:99], v[51:52], off
	global_load_dwordx2 v[100:101], v[53:54], off
	s_waitcnt vmcnt(23)
	buffer_store_dword v103, off, s[0:3], 0 offset:44
	buffer_store_dword v102, off, s[0:3], 0 offset:40
	s_waitcnt vmcnt(22)
	buffer_store_dword v105, off, s[0:3], 0 offset:52
	buffer_store_dword v104, off, s[0:3], 0 offset:48
	s_waitcnt vmcnt(21)
	buffer_store_dword v107, off, s[0:3], 0 offset:60
	buffer_store_dword v106, off, s[0:3], 0 offset:56
	s_waitcnt vmcnt(20)
	buffer_store_dword v109, off, s[0:3], 0 offset:68
	buffer_store_dword v108, off, s[0:3], 0 offset:64
	;; [unrolled: 17-line block ×4, first 2 shown]
	s_clause 0x3
	global_load_dwordx2 v[118:119], v[73:74], off
	global_load_dwordx2 v[120:121], v[75:76], off
	;; [unrolled: 1-line block ×4, first 2 shown]
	s_waitcnt vmcnt(23)
	buffer_store_dword v126, off, s[0:3], 0 offset:136
	buffer_store_dword v127, off, s[0:3], 0 offset:140
	global_load_dwordx2 v[126:127], v[81:82], off
	s_waitcnt vmcnt(23)
	buffer_store_dword v128, off, s[0:3], 0 offset:144
	buffer_store_dword v129, off, s[0:3], 0 offset:148
	s_waitcnt vmcnt(22)
	buffer_store_dword v131, off, s[0:3], 0 offset:156
	buffer_store_dword v130, off, s[0:3], 0 offset:152
	s_clause 0x1
	global_load_dwordx2 v[128:129], v[83:84], off
	global_load_dwordx2 v[130:131], v[87:88], off
	s_waitcnt vmcnt(23)
	buffer_store_dword v133, off, s[0:3], 0 offset:164
	buffer_store_dword v132, off, s[0:3], 0 offset:160
	global_load_dwordx2 v[132:133], v[85:86], off
	s_mov_b32 s5, -1
	s_waitcnt vmcnt(23)
	buffer_store_dword v91, off, s[0:3], 0 offset:168
	buffer_store_dword v92, off, s[0:3], 0 offset:172
	s_waitcnt vmcnt(22)
	buffer_store_dword v134, off, s[0:3], 0 offset:176
	buffer_store_dword v135, off, s[0:3], 0 offset:180
	;; [unrolled: 3-line block ×24, first 2 shown]
	s_cbranch_scc1 .LBB44_188
; %bb.4:
	v_cmp_eq_u32_e64 s4, 0, v0
	s_and_saveexec_b32 s5, s4
; %bb.5:
	v_mov_b32_e32 v91, 0
	ds_write_b32 v91, v91 offset:360
; %bb.6:
	s_or_b32 exec_lo, exec_lo, s5
	v_lshl_add_u32 v91, v0, 3, 0
	s_waitcnt lgkmcnt(0)
	s_waitcnt_vscnt null, 0x0
	s_barrier
	buffer_gl0_inv
	s_mov_b32 s8, exec_lo
	s_clause 0x1
	buffer_load_dword v94, v91, s[0:3], 0 offen
	buffer_load_dword v95, v91, s[0:3], 0 offen offset:4
	s_waitcnt vmcnt(0)
	v_cmpx_eq_f64_e32 0, v[94:95]
	s_cbranch_execz .LBB44_10
; %bb.7:
	v_mov_b32_e32 v92, 0
	s_mov_b32 s9, 0
	ds_read_b32 v94, v92 offset:360
	s_waitcnt lgkmcnt(0)
	v_readfirstlane_b32 s5, v94
	v_add_nc_u32_e32 v94, 1, v0
	s_cmp_eq_u32 s5, 0
	v_cmp_gt_i32_e32 vcc_lo, s5, v94
	s_cselect_b32 s12, -1, 0
	s_or_b32 s12, s12, vcc_lo
	s_and_b32 exec_lo, exec_lo, s12
	s_cbranch_execz .LBB44_10
; %bb.8:
	v_mov_b32_e32 v95, s5
.LBB44_9:                               ; =>This Inner Loop Header: Depth=1
	ds_cmpst_rtn_b32 v95, v92, v95, v94 offset:360
	s_waitcnt lgkmcnt(0)
	v_cmp_ne_u32_e32 vcc_lo, 0, v95
	v_cmp_le_i32_e64 s5, v95, v94
	s_and_b32 s5, vcc_lo, s5
	s_and_b32 s5, exec_lo, s5
	s_or_b32 s9, s5, s9
	s_andn2_b32 exec_lo, exec_lo, s9
	s_cbranch_execnz .LBB44_9
.LBB44_10:
	s_or_b32 exec_lo, exec_lo, s8
	v_mov_b32_e32 v92, 0
	s_barrier
	buffer_gl0_inv
	ds_read_b32 v94, v92 offset:360
	s_and_saveexec_b32 s5, s4
	s_cbranch_execz .LBB44_12
; %bb.11:
	s_lshl_b64 s[8:9], s[6:7], 2
	s_add_u32 s8, s10, s8
	s_addc_u32 s9, s11, s9
	s_waitcnt lgkmcnt(0)
	global_store_dword v92, v94, s[8:9]
.LBB44_12:
	s_or_b32 exec_lo, exec_lo, s5
	s_waitcnt lgkmcnt(0)
	v_cmp_ne_u32_e32 vcc_lo, 0, v94
	s_mov_b32 s5, 0
	s_cbranch_vccnz .LBB44_188
; %bb.13:
	s_clause 0x1
	buffer_load_dword v94, v91, s[0:3], 0 offen
	buffer_load_dword v95, v91, s[0:3], 0 offen offset:4
	s_waitcnt vmcnt(0)
	v_div_scale_f64 v[96:97], null, v[94:95], v[94:95], 1.0
	v_div_scale_f64 v[102:103], vcc_lo, 1.0, v[94:95], 1.0
	v_rcp_f64_e32 v[98:99], v[96:97]
	v_fma_f64 v[100:101], -v[96:97], v[98:99], 1.0
	v_fma_f64 v[98:99], v[98:99], v[100:101], v[98:99]
	v_fma_f64 v[100:101], -v[96:97], v[98:99], 1.0
	v_fma_f64 v[98:99], v[98:99], v[100:101], v[98:99]
	v_mul_f64 v[100:101], v[102:103], v[98:99]
	v_fma_f64 v[96:97], -v[96:97], v[100:101], v[102:103]
	v_div_fmas_f64 v[96:97], v[96:97], v[98:99], v[100:101]
	v_div_fixup_f64 v[95:96], v[96:97], v[94:95], 1.0
	v_add_nc_u32_e32 v94, 0x170, v93
	buffer_store_dword v96, v91, s[0:3], 0 offen offset:4
	buffer_store_dword v95, v91, s[0:3], 0 offen
	s_clause 0x1
	buffer_load_dword v98, off, s[0:3], 0 offset:12
	buffer_load_dword v97, off, s[0:3], 0 offset:8
	v_xor_b32_e32 v96, 0x80000000, v96
	s_waitcnt vmcnt(0)
	ds_write2_b64 v93, v[95:96], v[97:98] offset1:46
	s_waitcnt lgkmcnt(0)
	s_waitcnt_vscnt null, 0x0
	s_barrier
	buffer_gl0_inv
	s_and_saveexec_b32 s5, s4
	s_cbranch_execz .LBB44_15
; %bb.14:
	s_clause 0x1
	buffer_load_dword v95, v91, s[0:3], 0 offen
	buffer_load_dword v96, v91, s[0:3], 0 offen offset:4
	ds_read_b64 v[97:98], v94
	v_mov_b32_e32 v92, 0
	ds_read_b64 v[99:100], v92 offset:8
	s_waitcnt vmcnt(0) lgkmcnt(1)
	v_fma_f64 v[95:96], v[95:96], v[97:98], 0
	s_waitcnt lgkmcnt(0)
	v_mul_f64 v[95:96], v[95:96], v[99:100]
	buffer_store_dword v95, off, s[0:3], 0 offset:8
	buffer_store_dword v96, off, s[0:3], 0 offset:12
.LBB44_15:
	s_or_b32 exec_lo, exec_lo, s5
	s_waitcnt_vscnt null, 0x0
	s_barrier
	buffer_gl0_inv
	s_clause 0x1
	buffer_load_dword v95, off, s[0:3], 0 offset:16
	buffer_load_dword v96, off, s[0:3], 0 offset:20
	s_mov_b32 s5, exec_lo
	s_waitcnt vmcnt(0)
	ds_write_b64 v94, v[95:96]
	s_waitcnt lgkmcnt(0)
	s_barrier
	buffer_gl0_inv
	v_cmpx_gt_u32_e32 2, v0
	s_cbranch_execz .LBB44_19
; %bb.16:
	s_clause 0x1
	buffer_load_dword v95, v91, s[0:3], 0 offen
	buffer_load_dword v96, v91, s[0:3], 0 offen offset:4
	ds_read_b64 v[91:92], v94
	s_waitcnt vmcnt(0) lgkmcnt(0)
	v_fma_f64 v[91:92], v[95:96], v[91:92], 0
	s_and_saveexec_b32 s8, s4
	s_cbranch_execz .LBB44_18
; %bb.17:
	s_clause 0x1
	buffer_load_dword v95, off, s[0:3], 0 offset:8
	buffer_load_dword v96, off, s[0:3], 0 offset:12
	v_mov_b32_e32 v97, 0
	ds_read_b64 v[97:98], v97 offset:376
	s_waitcnt vmcnt(0) lgkmcnt(0)
	v_fma_f64 v[91:92], v[95:96], v[97:98], v[91:92]
.LBB44_18:
	s_or_b32 exec_lo, exec_lo, s8
	v_mov_b32_e32 v95, 0
	ds_read_b64 v[95:96], v95 offset:16
	s_waitcnt lgkmcnt(0)
	v_mul_f64 v[91:92], v[91:92], v[95:96]
	buffer_store_dword v92, off, s[0:3], 0 offset:20
	buffer_store_dword v91, off, s[0:3], 0 offset:16
.LBB44_19:
	s_or_b32 exec_lo, exec_lo, s5
	s_waitcnt_vscnt null, 0x0
	s_barrier
	buffer_gl0_inv
	s_clause 0x1
	buffer_load_dword v91, off, s[0:3], 0 offset:24
	buffer_load_dword v92, off, s[0:3], 0 offset:28
	v_add_nc_u32_e32 v95, -1, v0
	s_mov_b32 s4, exec_lo
	s_waitcnt vmcnt(0)
	ds_write_b64 v94, v[91:92]
	s_waitcnt lgkmcnt(0)
	s_barrier
	buffer_gl0_inv
	v_cmpx_gt_u32_e32 3, v0
	s_cbranch_execz .LBB44_23
; %bb.20:
	v_mov_b32_e32 v91, 0
	v_add_nc_u32_e32 v96, -1, v0
	v_add_nc_u32_e32 v97, 0x170, v93
	v_mov_b32_e32 v92, 0
	v_mov_b32_e32 v98, v93
	s_mov_b32 s5, 0
.LBB44_21:                              ; =>This Inner Loop Header: Depth=1
	s_clause 0x1
	buffer_load_dword v99, v98, s[0:3], 0 offen
	buffer_load_dword v100, v98, s[0:3], 0 offen offset:4
	ds_read_b64 v[101:102], v97
	v_add_nc_u32_e32 v96, 1, v96
	v_add_nc_u32_e32 v97, 8, v97
	v_add_nc_u32_e32 v98, 8, v98
	v_cmp_lt_u32_e32 vcc_lo, 1, v96
	s_or_b32 s5, vcc_lo, s5
	s_waitcnt vmcnt(0) lgkmcnt(0)
	v_fma_f64 v[91:92], v[99:100], v[101:102], v[91:92]
	s_andn2_b32 exec_lo, exec_lo, s5
	s_cbranch_execnz .LBB44_21
; %bb.22:
	s_or_b32 exec_lo, exec_lo, s5
	v_mov_b32_e32 v96, 0
	ds_read_b64 v[96:97], v96 offset:24
	s_waitcnt lgkmcnt(0)
	v_mul_f64 v[91:92], v[91:92], v[96:97]
	buffer_store_dword v92, off, s[0:3], 0 offset:28
	buffer_store_dword v91, off, s[0:3], 0 offset:24
.LBB44_23:
	s_or_b32 exec_lo, exec_lo, s4
	s_waitcnt_vscnt null, 0x0
	s_barrier
	buffer_gl0_inv
	s_clause 0x1
	buffer_load_dword v91, off, s[0:3], 0 offset:32
	buffer_load_dword v92, off, s[0:3], 0 offset:36
	s_mov_b32 s4, exec_lo
	s_waitcnt vmcnt(0)
	ds_write_b64 v94, v[91:92]
	s_waitcnt lgkmcnt(0)
	s_barrier
	buffer_gl0_inv
	v_cmpx_gt_u32_e32 4, v0
	s_cbranch_execz .LBB44_27
; %bb.24:
	v_mov_b32_e32 v91, 0
	v_add_nc_u32_e32 v96, -1, v0
	v_add_nc_u32_e32 v97, 0x170, v93
	v_mov_b32_e32 v92, 0
	v_mov_b32_e32 v98, v93
	s_mov_b32 s5, 0
.LBB44_25:                              ; =>This Inner Loop Header: Depth=1
	s_clause 0x1
	buffer_load_dword v99, v98, s[0:3], 0 offen
	buffer_load_dword v100, v98, s[0:3], 0 offen offset:4
	ds_read_b64 v[101:102], v97
	v_add_nc_u32_e32 v96, 1, v96
	v_add_nc_u32_e32 v97, 8, v97
	v_add_nc_u32_e32 v98, 8, v98
	v_cmp_lt_u32_e32 vcc_lo, 2, v96
	s_or_b32 s5, vcc_lo, s5
	s_waitcnt vmcnt(0) lgkmcnt(0)
	v_fma_f64 v[91:92], v[99:100], v[101:102], v[91:92]
	s_andn2_b32 exec_lo, exec_lo, s5
	s_cbranch_execnz .LBB44_25
; %bb.26:
	s_or_b32 exec_lo, exec_lo, s5
	v_mov_b32_e32 v96, 0
	ds_read_b64 v[96:97], v96 offset:32
	s_waitcnt lgkmcnt(0)
	v_mul_f64 v[91:92], v[91:92], v[96:97]
	buffer_store_dword v92, off, s[0:3], 0 offset:36
	buffer_store_dword v91, off, s[0:3], 0 offset:32
.LBB44_27:
	s_or_b32 exec_lo, exec_lo, s4
	s_waitcnt_vscnt null, 0x0
	s_barrier
	buffer_gl0_inv
	s_clause 0x1
	buffer_load_dword v91, off, s[0:3], 0 offset:40
	buffer_load_dword v92, off, s[0:3], 0 offset:44
	;; [unrolled: 45-line block ×20, first 2 shown]
	s_mov_b32 s4, exec_lo
	s_waitcnt vmcnt(0)
	ds_write_b64 v94, v[91:92]
	s_waitcnt lgkmcnt(0)
	s_barrier
	buffer_gl0_inv
	v_cmpx_gt_u32_e32 23, v0
	s_cbranch_execz .LBB44_103
; %bb.100:
	v_mov_b32_e32 v91, 0
	v_add_nc_u32_e32 v96, -1, v0
	v_add_nc_u32_e32 v97, 0x170, v93
	v_mov_b32_e32 v92, 0
	v_mov_b32_e32 v98, v93
	s_mov_b32 s5, 0
.LBB44_101:                             ; =>This Inner Loop Header: Depth=1
	s_clause 0x1
	buffer_load_dword v99, v98, s[0:3], 0 offen
	buffer_load_dword v100, v98, s[0:3], 0 offen offset:4
	ds_read_b64 v[101:102], v97
	v_add_nc_u32_e32 v96, 1, v96
	v_add_nc_u32_e32 v97, 8, v97
	v_add_nc_u32_e32 v98, 8, v98
	v_cmp_lt_u32_e32 vcc_lo, 21, v96
	s_or_b32 s5, vcc_lo, s5
	s_waitcnt vmcnt(0) lgkmcnt(0)
	v_fma_f64 v[91:92], v[99:100], v[101:102], v[91:92]
	s_andn2_b32 exec_lo, exec_lo, s5
	s_cbranch_execnz .LBB44_101
; %bb.102:
	s_or_b32 exec_lo, exec_lo, s5
	v_mov_b32_e32 v96, 0
	ds_read_b64 v[96:97], v96 offset:184
	s_waitcnt lgkmcnt(0)
	v_mul_f64 v[91:92], v[91:92], v[96:97]
	buffer_store_dword v92, off, s[0:3], 0 offset:188
	buffer_store_dword v91, off, s[0:3], 0 offset:184
.LBB44_103:
	s_or_b32 exec_lo, exec_lo, s4
	s_waitcnt_vscnt null, 0x0
	s_barrier
	buffer_gl0_inv
	s_clause 0x1
	buffer_load_dword v91, off, s[0:3], 0 offset:192
	buffer_load_dword v92, off, s[0:3], 0 offset:196
	s_mov_b32 s4, exec_lo
	s_waitcnt vmcnt(0)
	ds_write_b64 v94, v[91:92]
	s_waitcnt lgkmcnt(0)
	s_barrier
	buffer_gl0_inv
	v_cmpx_gt_u32_e32 24, v0
	s_cbranch_execz .LBB44_107
; %bb.104:
	v_mov_b32_e32 v91, 0
	v_add_nc_u32_e32 v96, -1, v0
	v_add_nc_u32_e32 v97, 0x170, v93
	v_mov_b32_e32 v92, 0
	v_mov_b32_e32 v98, v93
	s_mov_b32 s5, 0
.LBB44_105:                             ; =>This Inner Loop Header: Depth=1
	s_clause 0x1
	buffer_load_dword v99, v98, s[0:3], 0 offen
	buffer_load_dword v100, v98, s[0:3], 0 offen offset:4
	ds_read_b64 v[101:102], v97
	v_add_nc_u32_e32 v96, 1, v96
	v_add_nc_u32_e32 v97, 8, v97
	v_add_nc_u32_e32 v98, 8, v98
	v_cmp_lt_u32_e32 vcc_lo, 22, v96
	s_or_b32 s5, vcc_lo, s5
	s_waitcnt vmcnt(0) lgkmcnt(0)
	v_fma_f64 v[91:92], v[99:100], v[101:102], v[91:92]
	s_andn2_b32 exec_lo, exec_lo, s5
	s_cbranch_execnz .LBB44_105
; %bb.106:
	s_or_b32 exec_lo, exec_lo, s5
	v_mov_b32_e32 v96, 0
	ds_read_b64 v[96:97], v96 offset:192
	s_waitcnt lgkmcnt(0)
	v_mul_f64 v[91:92], v[91:92], v[96:97]
	buffer_store_dword v92, off, s[0:3], 0 offset:196
	buffer_store_dword v91, off, s[0:3], 0 offset:192
.LBB44_107:
	s_or_b32 exec_lo, exec_lo, s4
	s_waitcnt_vscnt null, 0x0
	s_barrier
	buffer_gl0_inv
	s_clause 0x1
	buffer_load_dword v91, off, s[0:3], 0 offset:200
	buffer_load_dword v92, off, s[0:3], 0 offset:204
	;; [unrolled: 45-line block ×21, first 2 shown]
	s_mov_b32 s4, exec_lo
	s_waitcnt vmcnt(0)
	ds_write_b64 v94, v[91:92]
	s_waitcnt lgkmcnt(0)
	s_barrier
	buffer_gl0_inv
	v_cmpx_ne_u32_e32 44, v0
	s_cbranch_execz .LBB44_187
; %bb.184:
	v_mov_b32_e32 v91, 0
	v_mov_b32_e32 v92, 0
	s_mov_b32 s5, 0
.LBB44_185:                             ; =>This Inner Loop Header: Depth=1
	s_clause 0x1
	buffer_load_dword v96, v93, s[0:3], 0 offen
	buffer_load_dword v97, v93, s[0:3], 0 offen offset:4
	ds_read_b64 v[98:99], v94
	v_add_nc_u32_e32 v95, 1, v95
	v_add_nc_u32_e32 v94, 8, v94
	;; [unrolled: 1-line block ×3, first 2 shown]
	v_cmp_lt_u32_e32 vcc_lo, 42, v95
	s_or_b32 s5, vcc_lo, s5
	s_waitcnt vmcnt(0) lgkmcnt(0)
	v_fma_f64 v[91:92], v[96:97], v[98:99], v[91:92]
	s_andn2_b32 exec_lo, exec_lo, s5
	s_cbranch_execnz .LBB44_185
; %bb.186:
	s_or_b32 exec_lo, exec_lo, s5
	v_mov_b32_e32 v93, 0
	ds_read_b64 v[93:94], v93 offset:352
	s_waitcnt lgkmcnt(0)
	v_mul_f64 v[91:92], v[91:92], v[93:94]
	buffer_store_dword v92, off, s[0:3], 0 offset:356
	buffer_store_dword v91, off, s[0:3], 0 offset:352
.LBB44_187:
	s_or_b32 exec_lo, exec_lo, s4
	s_mov_b32 s5, -1
	s_waitcnt_vscnt null, 0x0
	s_barrier
	buffer_gl0_inv
.LBB44_188:
	s_and_b32 vcc_lo, exec_lo, s5
	s_cbranch_vccz .LBB44_190
; %bb.189:
	s_lshl_b64 s[4:5], s[6:7], 2
	v_mov_b32_e32 v91, 0
	s_add_u32 s4, s10, s4
	s_addc_u32 s5, s11, s5
	global_load_dword v91, v91, s[4:5]
	s_waitcnt vmcnt(0)
	v_cmp_ne_u32_e32 vcc_lo, 0, v91
	s_cbranch_vccz .LBB44_191
.LBB44_190:
	s_endpgm
.LBB44_191:
	v_lshl_add_u32 v91, v0, 3, 0x170
	s_mov_b32 s4, exec_lo
	v_cmpx_eq_u32_e32 44, v0
	s_cbranch_execz .LBB44_193
; %bb.192:
	s_clause 0x1
	buffer_load_dword v92, off, s[0:3], 0 offset:344
	buffer_load_dword v93, off, s[0:3], 0 offset:348
	v_mov_b32_e32 v94, 0
	buffer_store_dword v94, off, s[0:3], 0 offset:344
	buffer_store_dword v94, off, s[0:3], 0 offset:348
	s_waitcnt vmcnt(0)
	ds_write_b64 v91, v[92:93]
.LBB44_193:
	s_or_b32 exec_lo, exec_lo, s4
	s_waitcnt lgkmcnt(0)
	s_waitcnt_vscnt null, 0x0
	s_barrier
	buffer_gl0_inv
	s_clause 0x3
	buffer_load_dword v93, off, s[0:3], 0 offset:352
	buffer_load_dword v94, off, s[0:3], 0 offset:356
	;; [unrolled: 1-line block ×4, first 2 shown]
	v_mov_b32_e32 v92, 0
	s_mov_b32 s4, exec_lo
	ds_read_b64 v[97:98], v92 offset:720
	s_waitcnt vmcnt(2) lgkmcnt(0)
	v_fma_f64 v[93:94], v[93:94], v[97:98], 0
	s_waitcnt vmcnt(0)
	v_add_f64 v[93:94], v[95:96], -v[93:94]
	buffer_store_dword v93, off, s[0:3], 0 offset:344
	buffer_store_dword v94, off, s[0:3], 0 offset:348
	v_cmpx_lt_u32_e32 42, v0
	s_cbranch_execz .LBB44_195
; %bb.194:
	s_clause 0x1
	buffer_load_dword v93, off, s[0:3], 0 offset:336
	buffer_load_dword v94, off, s[0:3], 0 offset:340
	buffer_store_dword v92, off, s[0:3], 0 offset:336
	buffer_store_dword v92, off, s[0:3], 0 offset:340
	s_waitcnt vmcnt(0)
	ds_write_b64 v91, v[93:94]
.LBB44_195:
	s_or_b32 exec_lo, exec_lo, s4
	s_waitcnt lgkmcnt(0)
	s_waitcnt_vscnt null, 0x0
	s_barrier
	buffer_gl0_inv
	s_clause 0x5
	buffer_load_dword v96, off, s[0:3], 0 offset:344
	buffer_load_dword v97, off, s[0:3], 0 offset:348
	;; [unrolled: 1-line block ×6, first 2 shown]
	ds_read2_b64 v[92:95], v92 offset0:89 offset1:90
	s_mov_b32 s4, exec_lo
	s_waitcnt vmcnt(4) lgkmcnt(0)
	v_fma_f64 v[92:93], v[96:97], v[92:93], 0
	s_waitcnt vmcnt(2)
	v_fma_f64 v[92:93], v[98:99], v[94:95], v[92:93]
	s_waitcnt vmcnt(0)
	v_add_f64 v[92:93], v[100:101], -v[92:93]
	buffer_store_dword v92, off, s[0:3], 0 offset:336
	buffer_store_dword v93, off, s[0:3], 0 offset:340
	v_cmpx_lt_u32_e32 41, v0
	s_cbranch_execz .LBB44_197
; %bb.196:
	s_clause 0x1
	buffer_load_dword v92, off, s[0:3], 0 offset:328
	buffer_load_dword v93, off, s[0:3], 0 offset:332
	v_mov_b32_e32 v94, 0
	buffer_store_dword v94, off, s[0:3], 0 offset:328
	buffer_store_dword v94, off, s[0:3], 0 offset:332
	s_waitcnt vmcnt(0)
	ds_write_b64 v91, v[92:93]
.LBB44_197:
	s_or_b32 exec_lo, exec_lo, s4
	s_waitcnt lgkmcnt(0)
	s_waitcnt_vscnt null, 0x0
	s_barrier
	buffer_gl0_inv
	s_clause 0x7
	buffer_load_dword v97, off, s[0:3], 0 offset:336
	buffer_load_dword v98, off, s[0:3], 0 offset:340
	;; [unrolled: 1-line block ×8, first 2 shown]
	v_mov_b32_e32 v92, 0
	ds_read_b128 v[93:96], v92 offset:704
	ds_read_b64 v[105:106], v92 offset:720
	s_mov_b32 s4, exec_lo
	s_waitcnt vmcnt(6) lgkmcnt(1)
	v_fma_f64 v[93:94], v[97:98], v[93:94], 0
	s_waitcnt vmcnt(4)
	v_fma_f64 v[93:94], v[99:100], v[95:96], v[93:94]
	s_waitcnt vmcnt(2) lgkmcnt(0)
	v_fma_f64 v[93:94], v[101:102], v[105:106], v[93:94]
	s_waitcnt vmcnt(0)
	v_add_f64 v[93:94], v[103:104], -v[93:94]
	buffer_store_dword v93, off, s[0:3], 0 offset:328
	buffer_store_dword v94, off, s[0:3], 0 offset:332
	v_cmpx_lt_u32_e32 40, v0
	s_cbranch_execz .LBB44_199
; %bb.198:
	s_clause 0x1
	buffer_load_dword v93, off, s[0:3], 0 offset:320
	buffer_load_dword v94, off, s[0:3], 0 offset:324
	buffer_store_dword v92, off, s[0:3], 0 offset:320
	buffer_store_dword v92, off, s[0:3], 0 offset:324
	s_waitcnt vmcnt(0)
	ds_write_b64 v91, v[93:94]
.LBB44_199:
	s_or_b32 exec_lo, exec_lo, s4
	s_waitcnt lgkmcnt(0)
	s_waitcnt_vscnt null, 0x0
	s_barrier
	buffer_gl0_inv
	s_clause 0x9
	buffer_load_dword v101, off, s[0:3], 0 offset:328
	buffer_load_dword v102, off, s[0:3], 0 offset:332
	;; [unrolled: 1-line block ×10, first 2 shown]
	ds_read2_b64 v[93:96], v92 offset0:87 offset1:88
	ds_read2_b64 v[97:100], v92 offset0:89 offset1:90
	s_mov_b32 s4, exec_lo
	s_waitcnt vmcnt(8) lgkmcnt(1)
	v_fma_f64 v[92:93], v[101:102], v[93:94], 0
	s_waitcnt vmcnt(6)
	v_fma_f64 v[92:93], v[103:104], v[95:96], v[92:93]
	s_waitcnt vmcnt(4) lgkmcnt(0)
	v_fma_f64 v[92:93], v[105:106], v[97:98], v[92:93]
	s_waitcnt vmcnt(2)
	v_fma_f64 v[92:93], v[107:108], v[99:100], v[92:93]
	s_waitcnt vmcnt(0)
	v_add_f64 v[92:93], v[109:110], -v[92:93]
	buffer_store_dword v92, off, s[0:3], 0 offset:320
	buffer_store_dword v93, off, s[0:3], 0 offset:324
	v_cmpx_lt_u32_e32 39, v0
	s_cbranch_execz .LBB44_201
; %bb.200:
	s_clause 0x1
	buffer_load_dword v92, off, s[0:3], 0 offset:312
	buffer_load_dword v93, off, s[0:3], 0 offset:316
	v_mov_b32_e32 v94, 0
	buffer_store_dword v94, off, s[0:3], 0 offset:312
	buffer_store_dword v94, off, s[0:3], 0 offset:316
	s_waitcnt vmcnt(0)
	ds_write_b64 v91, v[92:93]
.LBB44_201:
	s_or_b32 exec_lo, exec_lo, s4
	s_waitcnt lgkmcnt(0)
	s_waitcnt_vscnt null, 0x0
	s_barrier
	buffer_gl0_inv
	s_clause 0xb
	buffer_load_dword v101, off, s[0:3], 0 offset:320
	buffer_load_dword v102, off, s[0:3], 0 offset:324
	;; [unrolled: 1-line block ×12, first 2 shown]
	v_mov_b32_e32 v92, 0
	ds_read_b128 v[93:96], v92 offset:688
	ds_read_b128 v[97:100], v92 offset:704
	s_mov_b32 s4, exec_lo
	s_waitcnt vmcnt(10) lgkmcnt(1)
	v_fma_f64 v[93:94], v[101:102], v[93:94], 0
	s_waitcnt vmcnt(8)
	v_fma_f64 v[93:94], v[103:104], v[95:96], v[93:94]
	ds_read_b64 v[95:96], v92 offset:720
	s_waitcnt vmcnt(6) lgkmcnt(1)
	v_fma_f64 v[93:94], v[105:106], v[97:98], v[93:94]
	s_waitcnt vmcnt(4)
	v_fma_f64 v[93:94], v[107:108], v[99:100], v[93:94]
	s_waitcnt vmcnt(2) lgkmcnt(0)
	v_fma_f64 v[93:94], v[109:110], v[95:96], v[93:94]
	s_waitcnt vmcnt(0)
	v_add_f64 v[93:94], v[111:112], -v[93:94]
	buffer_store_dword v93, off, s[0:3], 0 offset:312
	buffer_store_dword v94, off, s[0:3], 0 offset:316
	v_cmpx_lt_u32_e32 38, v0
	s_cbranch_execz .LBB44_203
; %bb.202:
	s_clause 0x1
	buffer_load_dword v93, off, s[0:3], 0 offset:304
	buffer_load_dword v94, off, s[0:3], 0 offset:308
	buffer_store_dword v92, off, s[0:3], 0 offset:304
	buffer_store_dword v92, off, s[0:3], 0 offset:308
	s_waitcnt vmcnt(0)
	ds_write_b64 v91, v[93:94]
.LBB44_203:
	s_or_b32 exec_lo, exec_lo, s4
	s_waitcnt lgkmcnt(0)
	s_waitcnt_vscnt null, 0x0
	s_barrier
	buffer_gl0_inv
	s_clause 0xd
	buffer_load_dword v101, off, s[0:3], 0 offset:312
	buffer_load_dword v102, off, s[0:3], 0 offset:316
	;; [unrolled: 1-line block ×14, first 2 shown]
	ds_read2_b64 v[93:96], v92 offset0:85 offset1:86
	ds_read2_b64 v[97:100], v92 offset0:87 offset1:88
	s_mov_b32 s4, exec_lo
	s_waitcnt vmcnt(12) lgkmcnt(1)
	v_fma_f64 v[93:94], v[101:102], v[93:94], 0
	s_waitcnt vmcnt(10)
	v_fma_f64 v[93:94], v[103:104], v[95:96], v[93:94]
	s_waitcnt vmcnt(8) lgkmcnt(0)
	v_fma_f64 v[93:94], v[105:106], v[97:98], v[93:94]
	s_waitcnt vmcnt(6)
	v_fma_f64 v[96:97], v[107:108], v[99:100], v[93:94]
	ds_read2_b64 v[92:95], v92 offset0:89 offset1:90
	s_waitcnt vmcnt(4) lgkmcnt(0)
	v_fma_f64 v[92:93], v[109:110], v[92:93], v[96:97]
	s_waitcnt vmcnt(2)
	v_fma_f64 v[92:93], v[111:112], v[94:95], v[92:93]
	s_waitcnt vmcnt(0)
	v_add_f64 v[92:93], v[113:114], -v[92:93]
	buffer_store_dword v92, off, s[0:3], 0 offset:304
	buffer_store_dword v93, off, s[0:3], 0 offset:308
	v_cmpx_lt_u32_e32 37, v0
	s_cbranch_execz .LBB44_205
; %bb.204:
	s_clause 0x1
	buffer_load_dword v92, off, s[0:3], 0 offset:296
	buffer_load_dword v93, off, s[0:3], 0 offset:300
	v_mov_b32_e32 v94, 0
	buffer_store_dword v94, off, s[0:3], 0 offset:296
	buffer_store_dword v94, off, s[0:3], 0 offset:300
	s_waitcnt vmcnt(0)
	ds_write_b64 v91, v[92:93]
.LBB44_205:
	s_or_b32 exec_lo, exec_lo, s4
	s_waitcnt lgkmcnt(0)
	s_waitcnt_vscnt null, 0x0
	s_barrier
	buffer_gl0_inv
	s_clause 0xf
	buffer_load_dword v101, off, s[0:3], 0 offset:304
	buffer_load_dword v102, off, s[0:3], 0 offset:308
	;; [unrolled: 1-line block ×16, first 2 shown]
	v_mov_b32_e32 v92, 0
	ds_read_b128 v[93:96], v92 offset:672
	ds_read_b128 v[97:100], v92 offset:688
	s_mov_b32 s4, exec_lo
	s_waitcnt vmcnt(14) lgkmcnt(1)
	v_fma_f64 v[93:94], v[101:102], v[93:94], 0
	s_waitcnt vmcnt(12)
	v_fma_f64 v[93:94], v[103:104], v[95:96], v[93:94]
	s_waitcnt vmcnt(10) lgkmcnt(0)
	v_fma_f64 v[93:94], v[105:106], v[97:98], v[93:94]
	s_waitcnt vmcnt(8)
	v_fma_f64 v[97:98], v[107:108], v[99:100], v[93:94]
	ds_read_b128 v[93:96], v92 offset:704
	ds_read_b64 v[99:100], v92 offset:720
	s_waitcnt vmcnt(6) lgkmcnt(1)
	v_fma_f64 v[93:94], v[109:110], v[93:94], v[97:98]
	s_waitcnt vmcnt(4)
	v_fma_f64 v[93:94], v[111:112], v[95:96], v[93:94]
	s_waitcnt vmcnt(2) lgkmcnt(0)
	v_fma_f64 v[93:94], v[113:114], v[99:100], v[93:94]
	s_waitcnt vmcnt(0)
	v_add_f64 v[93:94], v[115:116], -v[93:94]
	buffer_store_dword v93, off, s[0:3], 0 offset:296
	buffer_store_dword v94, off, s[0:3], 0 offset:300
	v_cmpx_lt_u32_e32 36, v0
	s_cbranch_execz .LBB44_207
; %bb.206:
	s_clause 0x1
	buffer_load_dword v93, off, s[0:3], 0 offset:288
	buffer_load_dword v94, off, s[0:3], 0 offset:292
	buffer_store_dword v92, off, s[0:3], 0 offset:288
	buffer_store_dword v92, off, s[0:3], 0 offset:292
	s_waitcnt vmcnt(0)
	ds_write_b64 v91, v[93:94]
.LBB44_207:
	s_or_b32 exec_lo, exec_lo, s4
	s_waitcnt lgkmcnt(0)
	s_waitcnt_vscnt null, 0x0
	s_barrier
	buffer_gl0_inv
	s_clause 0x11
	buffer_load_dword v101, off, s[0:3], 0 offset:296
	buffer_load_dword v102, off, s[0:3], 0 offset:300
	;; [unrolled: 1-line block ×18, first 2 shown]
	ds_read2_b64 v[93:96], v92 offset0:83 offset1:84
	ds_read2_b64 v[97:100], v92 offset0:85 offset1:86
	s_mov_b32 s4, exec_lo
	s_waitcnt vmcnt(16) lgkmcnt(1)
	v_fma_f64 v[93:94], v[101:102], v[93:94], 0
	s_waitcnt vmcnt(14)
	v_fma_f64 v[93:94], v[103:104], v[95:96], v[93:94]
	s_waitcnt vmcnt(12) lgkmcnt(0)
	v_fma_f64 v[93:94], v[105:106], v[97:98], v[93:94]
	s_waitcnt vmcnt(10)
	v_fma_f64 v[101:102], v[107:108], v[99:100], v[93:94]
	ds_read2_b64 v[93:96], v92 offset0:87 offset1:88
	ds_read2_b64 v[97:100], v92 offset0:89 offset1:90
	s_waitcnt vmcnt(8) lgkmcnt(1)
	v_fma_f64 v[92:93], v[109:110], v[93:94], v[101:102]
	s_waitcnt vmcnt(6)
	v_fma_f64 v[92:93], v[111:112], v[95:96], v[92:93]
	s_waitcnt vmcnt(4) lgkmcnt(0)
	v_fma_f64 v[92:93], v[113:114], v[97:98], v[92:93]
	s_waitcnt vmcnt(2)
	v_fma_f64 v[92:93], v[115:116], v[99:100], v[92:93]
	s_waitcnt vmcnt(0)
	v_add_f64 v[92:93], v[117:118], -v[92:93]
	buffer_store_dword v92, off, s[0:3], 0 offset:288
	buffer_store_dword v93, off, s[0:3], 0 offset:292
	v_cmpx_lt_u32_e32 35, v0
	s_cbranch_execz .LBB44_209
; %bb.208:
	s_clause 0x1
	buffer_load_dword v92, off, s[0:3], 0 offset:280
	buffer_load_dword v93, off, s[0:3], 0 offset:284
	v_mov_b32_e32 v94, 0
	buffer_store_dword v94, off, s[0:3], 0 offset:280
	buffer_store_dword v94, off, s[0:3], 0 offset:284
	s_waitcnt vmcnt(0)
	ds_write_b64 v91, v[92:93]
.LBB44_209:
	s_or_b32 exec_lo, exec_lo, s4
	s_waitcnt lgkmcnt(0)
	s_waitcnt_vscnt null, 0x0
	s_barrier
	buffer_gl0_inv
	s_clause 0x13
	buffer_load_dword v101, off, s[0:3], 0 offset:288
	buffer_load_dword v102, off, s[0:3], 0 offset:292
	;; [unrolled: 1-line block ×20, first 2 shown]
	v_mov_b32_e32 v92, 0
	ds_read_b128 v[93:96], v92 offset:656
	ds_read_b128 v[97:100], v92 offset:672
	s_mov_b32 s4, exec_lo
	s_waitcnt vmcnt(18) lgkmcnt(1)
	v_fma_f64 v[93:94], v[101:102], v[93:94], 0
	s_waitcnt vmcnt(16)
	v_fma_f64 v[93:94], v[103:104], v[95:96], v[93:94]
	s_waitcnt vmcnt(14) lgkmcnt(0)
	v_fma_f64 v[93:94], v[105:106], v[97:98], v[93:94]
	s_waitcnt vmcnt(12)
	v_fma_f64 v[101:102], v[107:108], v[99:100], v[93:94]
	ds_read_b128 v[93:96], v92 offset:688
	ds_read_b128 v[97:100], v92 offset:704
	s_waitcnt vmcnt(10) lgkmcnt(1)
	v_fma_f64 v[93:94], v[109:110], v[93:94], v[101:102]
	s_waitcnt vmcnt(8)
	v_fma_f64 v[93:94], v[111:112], v[95:96], v[93:94]
	ds_read_b64 v[95:96], v92 offset:720
	s_waitcnt vmcnt(6) lgkmcnt(1)
	v_fma_f64 v[93:94], v[113:114], v[97:98], v[93:94]
	s_waitcnt vmcnt(3)
	v_fma_f64 v[93:94], v[115:116], v[99:100], v[93:94]
	s_waitcnt vmcnt(2) lgkmcnt(0)
	v_fma_f64 v[93:94], v[117:118], v[95:96], v[93:94]
	s_waitcnt vmcnt(0)
	v_add_f64 v[93:94], v[119:120], -v[93:94]
	buffer_store_dword v93, off, s[0:3], 0 offset:280
	buffer_store_dword v94, off, s[0:3], 0 offset:284
	v_cmpx_lt_u32_e32 34, v0
	s_cbranch_execz .LBB44_211
; %bb.210:
	s_clause 0x1
	buffer_load_dword v93, off, s[0:3], 0 offset:272
	buffer_load_dword v94, off, s[0:3], 0 offset:276
	buffer_store_dword v92, off, s[0:3], 0 offset:272
	buffer_store_dword v92, off, s[0:3], 0 offset:276
	s_waitcnt vmcnt(0)
	ds_write_b64 v91, v[93:94]
.LBB44_211:
	s_or_b32 exec_lo, exec_lo, s4
	s_waitcnt lgkmcnt(0)
	s_waitcnt_vscnt null, 0x0
	s_barrier
	buffer_gl0_inv
	s_clause 0x15
	buffer_load_dword v101, off, s[0:3], 0 offset:280
	buffer_load_dword v102, off, s[0:3], 0 offset:284
	;; [unrolled: 1-line block ×22, first 2 shown]
	ds_read2_b64 v[93:96], v92 offset0:81 offset1:82
	ds_read2_b64 v[97:100], v92 offset0:83 offset1:84
	s_mov_b32 s4, exec_lo
	s_waitcnt vmcnt(20) lgkmcnt(1)
	v_fma_f64 v[93:94], v[101:102], v[93:94], 0
	s_waitcnt vmcnt(18)
	v_fma_f64 v[93:94], v[103:104], v[95:96], v[93:94]
	s_waitcnt vmcnt(16) lgkmcnt(0)
	v_fma_f64 v[93:94], v[105:106], v[97:98], v[93:94]
	s_waitcnt vmcnt(14)
	v_fma_f64 v[101:102], v[107:108], v[99:100], v[93:94]
	ds_read2_b64 v[93:96], v92 offset0:85 offset1:86
	ds_read2_b64 v[97:100], v92 offset0:87 offset1:88
	s_waitcnt vmcnt(12) lgkmcnt(1)
	v_fma_f64 v[93:94], v[109:110], v[93:94], v[101:102]
	s_waitcnt vmcnt(10)
	v_fma_f64 v[93:94], v[111:112], v[95:96], v[93:94]
	s_waitcnt vmcnt(8) lgkmcnt(0)
	v_fma_f64 v[93:94], v[113:114], v[97:98], v[93:94]
	s_waitcnt vmcnt(4)
	v_fma_f64 v[96:97], v[115:116], v[99:100], v[93:94]
	ds_read2_b64 v[92:95], v92 offset0:89 offset1:90
	s_waitcnt vmcnt(3) lgkmcnt(0)
	v_fma_f64 v[92:93], v[119:120], v[92:93], v[96:97]
	s_waitcnt vmcnt(2)
	v_fma_f64 v[92:93], v[117:118], v[94:95], v[92:93]
	s_waitcnt vmcnt(0)
	v_add_f64 v[92:93], v[121:122], -v[92:93]
	buffer_store_dword v92, off, s[0:3], 0 offset:272
	buffer_store_dword v93, off, s[0:3], 0 offset:276
	v_cmpx_lt_u32_e32 33, v0
	s_cbranch_execz .LBB44_213
; %bb.212:
	s_clause 0x1
	buffer_load_dword v92, off, s[0:3], 0 offset:264
	buffer_load_dword v93, off, s[0:3], 0 offset:268
	v_mov_b32_e32 v94, 0
	buffer_store_dword v94, off, s[0:3], 0 offset:264
	buffer_store_dword v94, off, s[0:3], 0 offset:268
	s_waitcnt vmcnt(0)
	ds_write_b64 v91, v[92:93]
.LBB44_213:
	s_or_b32 exec_lo, exec_lo, s4
	s_waitcnt lgkmcnt(0)
	s_waitcnt_vscnt null, 0x0
	s_barrier
	buffer_gl0_inv
	s_clause 0x17
	buffer_load_dword v101, off, s[0:3], 0 offset:272
	buffer_load_dword v102, off, s[0:3], 0 offset:276
	;; [unrolled: 1-line block ×24, first 2 shown]
	v_mov_b32_e32 v92, 0
	ds_read_b128 v[93:96], v92 offset:640
	ds_read_b128 v[97:100], v92 offset:656
	s_mov_b32 s4, exec_lo
	s_waitcnt vmcnt(22) lgkmcnt(1)
	v_fma_f64 v[93:94], v[101:102], v[93:94], 0
	s_waitcnt vmcnt(20)
	v_fma_f64 v[93:94], v[103:104], v[95:96], v[93:94]
	s_waitcnt vmcnt(18) lgkmcnt(0)
	v_fma_f64 v[93:94], v[105:106], v[97:98], v[93:94]
	s_waitcnt vmcnt(16)
	v_fma_f64 v[101:102], v[107:108], v[99:100], v[93:94]
	ds_read_b128 v[93:96], v92 offset:672
	ds_read_b128 v[97:100], v92 offset:688
	s_waitcnt vmcnt(14) lgkmcnt(1)
	v_fma_f64 v[93:94], v[109:110], v[93:94], v[101:102]
	s_waitcnt vmcnt(12)
	v_fma_f64 v[93:94], v[111:112], v[95:96], v[93:94]
	s_waitcnt vmcnt(10) lgkmcnt(0)
	v_fma_f64 v[93:94], v[113:114], v[97:98], v[93:94]
	s_waitcnt vmcnt(5)
	v_fma_f64 v[97:98], v[115:116], v[99:100], v[93:94]
	ds_read_b128 v[93:96], v92 offset:704
	ds_read_b64 v[99:100], v92 offset:720
	s_waitcnt vmcnt(4) lgkmcnt(1)
	v_fma_f64 v[93:94], v[121:122], v[93:94], v[97:98]
	s_waitcnt vmcnt(3)
	v_fma_f64 v[93:94], v[119:120], v[95:96], v[93:94]
	s_waitcnt vmcnt(2) lgkmcnt(0)
	v_fma_f64 v[93:94], v[117:118], v[99:100], v[93:94]
	s_waitcnt vmcnt(0)
	v_add_f64 v[93:94], v[123:124], -v[93:94]
	buffer_store_dword v94, off, s[0:3], 0 offset:268
	buffer_store_dword v93, off, s[0:3], 0 offset:264
	v_cmpx_lt_u32_e32 32, v0
	s_cbranch_execz .LBB44_215
; %bb.214:
	s_clause 0x1
	buffer_load_dword v93, off, s[0:3], 0 offset:256
	buffer_load_dword v94, off, s[0:3], 0 offset:260
	buffer_store_dword v92, off, s[0:3], 0 offset:256
	buffer_store_dword v92, off, s[0:3], 0 offset:260
	s_waitcnt vmcnt(0)
	ds_write_b64 v91, v[93:94]
.LBB44_215:
	s_or_b32 exec_lo, exec_lo, s4
	s_waitcnt lgkmcnt(0)
	s_waitcnt_vscnt null, 0x0
	s_barrier
	buffer_gl0_inv
	s_clause 0x19
	buffer_load_dword v97, off, s[0:3], 0 offset:264
	buffer_load_dword v98, off, s[0:3], 0 offset:268
	;; [unrolled: 1-line block ×26, first 2 shown]
	ds_read2_b64 v[93:96], v92 offset0:79 offset1:80
	s_mov_b32 s4, exec_lo
	s_waitcnt vmcnt(24) lgkmcnt(0)
	v_fma_f64 v[93:94], v[97:98], v[93:94], 0
	s_waitcnt vmcnt(22)
	v_fma_f64 v[97:98], v[99:100], v[95:96], v[93:94]
	ds_read2_b64 v[93:96], v92 offset0:81 offset1:82
	s_waitcnt vmcnt(20) lgkmcnt(0)
	v_fma_f64 v[93:94], v[101:102], v[93:94], v[97:98]
	s_waitcnt vmcnt(18)
	v_fma_f64 v[97:98], v[103:104], v[95:96], v[93:94]
	ds_read2_b64 v[93:96], v92 offset0:83 offset1:84
	;; [unrolled: 5-line block ×5, first 2 shown]
	s_waitcnt vmcnt(4) lgkmcnt(0)
	v_fma_f64 v[92:93], v[117:118], v[92:93], v[96:97]
	s_waitcnt vmcnt(2)
	v_fma_f64 v[92:93], v[119:120], v[94:95], v[92:93]
	s_waitcnt vmcnt(0)
	v_add_f64 v[92:93], v[121:122], -v[92:93]
	buffer_store_dword v93, off, s[0:3], 0 offset:260
	buffer_store_dword v92, off, s[0:3], 0 offset:256
	v_cmpx_lt_u32_e32 31, v0
	s_cbranch_execz .LBB44_217
; %bb.216:
	s_clause 0x1
	buffer_load_dword v92, off, s[0:3], 0 offset:248
	buffer_load_dword v93, off, s[0:3], 0 offset:252
	v_mov_b32_e32 v94, 0
	buffer_store_dword v94, off, s[0:3], 0 offset:248
	buffer_store_dword v94, off, s[0:3], 0 offset:252
	s_waitcnt vmcnt(0)
	ds_write_b64 v91, v[92:93]
.LBB44_217:
	s_or_b32 exec_lo, exec_lo, s4
	s_waitcnt lgkmcnt(0)
	s_waitcnt_vscnt null, 0x0
	s_barrier
	buffer_gl0_inv
	s_clause 0x1b
	buffer_load_dword v97, off, s[0:3], 0 offset:256
	buffer_load_dword v98, off, s[0:3], 0 offset:260
	;; [unrolled: 1-line block ×28, first 2 shown]
	v_mov_b32_e32 v92, 0
	s_mov_b32 s4, exec_lo
	ds_read_b128 v[93:96], v92 offset:624
	s_waitcnt vmcnt(26) lgkmcnt(0)
	v_fma_f64 v[93:94], v[97:98], v[93:94], 0
	s_waitcnt vmcnt(24)
	v_fma_f64 v[97:98], v[99:100], v[95:96], v[93:94]
	ds_read_b128 v[93:96], v92 offset:640
	s_waitcnt vmcnt(22) lgkmcnt(0)
	v_fma_f64 v[93:94], v[101:102], v[93:94], v[97:98]
	s_waitcnt vmcnt(20)
	v_fma_f64 v[97:98], v[103:104], v[95:96], v[93:94]
	;; [unrolled: 5-line block ×6, first 2 shown]
	ds_read_b64 v[95:96], v92 offset:720
	s_waitcnt vmcnt(2) lgkmcnt(0)
	v_fma_f64 v[93:94], v[121:122], v[95:96], v[93:94]
	s_waitcnt vmcnt(0)
	v_add_f64 v[93:94], v[123:124], -v[93:94]
	buffer_store_dword v94, off, s[0:3], 0 offset:252
	buffer_store_dword v93, off, s[0:3], 0 offset:248
	v_cmpx_lt_u32_e32 30, v0
	s_cbranch_execz .LBB44_219
; %bb.218:
	s_clause 0x1
	buffer_load_dword v93, off, s[0:3], 0 offset:240
	buffer_load_dword v94, off, s[0:3], 0 offset:244
	buffer_store_dword v92, off, s[0:3], 0 offset:240
	buffer_store_dword v92, off, s[0:3], 0 offset:244
	s_waitcnt vmcnt(0)
	ds_write_b64 v91, v[93:94]
.LBB44_219:
	s_or_b32 exec_lo, exec_lo, s4
	s_waitcnt lgkmcnt(0)
	s_waitcnt_vscnt null, 0x0
	s_barrier
	buffer_gl0_inv
	s_clause 0x1b
	buffer_load_dword v97, off, s[0:3], 0 offset:248
	buffer_load_dword v98, off, s[0:3], 0 offset:252
	;; [unrolled: 1-line block ×28, first 2 shown]
	ds_read2_b64 v[93:96], v92 offset0:77 offset1:78
	s_clause 0x1
	buffer_load_dword v125, off, s[0:3], 0 offset:240
	buffer_load_dword v126, off, s[0:3], 0 offset:244
	s_mov_b32 s4, exec_lo
	s_waitcnt vmcnt(28) lgkmcnt(0)
	v_fma_f64 v[93:94], v[97:98], v[93:94], 0
	s_waitcnt vmcnt(26)
	v_fma_f64 v[97:98], v[99:100], v[95:96], v[93:94]
	ds_read2_b64 v[93:96], v92 offset0:79 offset1:80
	s_waitcnt vmcnt(24) lgkmcnt(0)
	v_fma_f64 v[93:94], v[101:102], v[93:94], v[97:98]
	s_waitcnt vmcnt(22)
	v_fma_f64 v[97:98], v[103:104], v[95:96], v[93:94]
	ds_read2_b64 v[93:96], v92 offset0:81 offset1:82
	;; [unrolled: 5-line block ×6, first 2 shown]
	s_waitcnt vmcnt(4) lgkmcnt(0)
	v_fma_f64 v[92:93], v[121:122], v[92:93], v[96:97]
	s_waitcnt vmcnt(2)
	v_fma_f64 v[92:93], v[123:124], v[94:95], v[92:93]
	s_waitcnt vmcnt(0)
	v_add_f64 v[92:93], v[125:126], -v[92:93]
	buffer_store_dword v93, off, s[0:3], 0 offset:244
	buffer_store_dword v92, off, s[0:3], 0 offset:240
	v_cmpx_lt_u32_e32 29, v0
	s_cbranch_execz .LBB44_221
; %bb.220:
	s_clause 0x1
	buffer_load_dword v92, off, s[0:3], 0 offset:232
	buffer_load_dword v93, off, s[0:3], 0 offset:236
	v_mov_b32_e32 v94, 0
	buffer_store_dword v94, off, s[0:3], 0 offset:232
	buffer_store_dword v94, off, s[0:3], 0 offset:236
	s_waitcnt vmcnt(0)
	ds_write_b64 v91, v[92:93]
.LBB44_221:
	s_or_b32 exec_lo, exec_lo, s4
	s_waitcnt lgkmcnt(0)
	s_waitcnt_vscnt null, 0x0
	s_barrier
	buffer_gl0_inv
	s_clause 0x1c
	buffer_load_dword v101, off, s[0:3], 0 offset:240
	buffer_load_dword v102, off, s[0:3], 0 offset:244
	;; [unrolled: 1-line block ×29, first 2 shown]
	v_mov_b32_e32 v92, 0
	buffer_load_dword v126, off, s[0:3], 0 offset:356
	s_mov_b32 s4, exec_lo
	ds_read_b128 v[93:96], v92 offset:608
	ds_read_b128 v[97:100], v92 offset:624
	s_waitcnt vmcnt(28) lgkmcnt(1)
	v_fma_f64 v[93:94], v[101:102], v[93:94], 0
	s_clause 0x1
	buffer_load_dword v101, off, s[0:3], 0 offset:232
	buffer_load_dword v102, off, s[0:3], 0 offset:236
	s_waitcnt vmcnt(28)
	v_fma_f64 v[93:94], v[103:104], v[95:96], v[93:94]
	s_waitcnt vmcnt(26) lgkmcnt(0)
	v_fma_f64 v[93:94], v[105:106], v[97:98], v[93:94]
	s_waitcnt vmcnt(24)
	v_fma_f64 v[103:104], v[107:108], v[99:100], v[93:94]
	ds_read_b128 v[93:96], v92 offset:640
	ds_read_b128 v[97:100], v92 offset:656
	s_waitcnt vmcnt(22) lgkmcnt(1)
	v_fma_f64 v[93:94], v[109:110], v[93:94], v[103:104]
	s_waitcnt vmcnt(20)
	v_fma_f64 v[93:94], v[111:112], v[95:96], v[93:94]
	s_waitcnt vmcnt(18) lgkmcnt(0)
	v_fma_f64 v[93:94], v[113:114], v[97:98], v[93:94]
	s_waitcnt vmcnt(13)
	v_fma_f64 v[103:104], v[115:116], v[99:100], v[93:94]
	ds_read_b128 v[93:96], v92 offset:672
	ds_read_b128 v[97:100], v92 offset:688
	s_waitcnt vmcnt(12) lgkmcnt(1)
	v_fma_f64 v[93:94], v[121:122], v[93:94], v[103:104]
	s_waitcnt vmcnt(11)
	v_fma_f64 v[93:94], v[119:120], v[95:96], v[93:94]
	s_waitcnt vmcnt(10) lgkmcnt(0)
	v_fma_f64 v[93:94], v[117:118], v[97:98], v[93:94]
	s_waitcnt vmcnt(5)
	v_fma_f64 v[97:98], v[123:124], v[99:100], v[93:94]
	ds_read_b128 v[93:96], v92 offset:704
	ds_read_b64 v[99:100], v92 offset:720
	s_waitcnt vmcnt(4) lgkmcnt(1)
	v_fma_f64 v[93:94], v[129:130], v[93:94], v[97:98]
	s_waitcnt vmcnt(3)
	v_fma_f64 v[93:94], v[127:128], v[95:96], v[93:94]
	s_waitcnt vmcnt(2) lgkmcnt(0)
	v_fma_f64 v[93:94], v[125:126], v[99:100], v[93:94]
	s_waitcnt vmcnt(0)
	v_add_f64 v[93:94], v[101:102], -v[93:94]
	buffer_store_dword v94, off, s[0:3], 0 offset:236
	buffer_store_dword v93, off, s[0:3], 0 offset:232
	v_cmpx_lt_u32_e32 28, v0
	s_cbranch_execz .LBB44_223
; %bb.222:
	s_clause 0x1
	buffer_load_dword v93, off, s[0:3], 0 offset:224
	buffer_load_dword v94, off, s[0:3], 0 offset:228
	buffer_store_dword v92, off, s[0:3], 0 offset:224
	buffer_store_dword v92, off, s[0:3], 0 offset:228
	s_waitcnt vmcnt(0)
	ds_write_b64 v91, v[93:94]
.LBB44_223:
	s_or_b32 exec_lo, exec_lo, s4
	s_waitcnt lgkmcnt(0)
	s_waitcnt_vscnt null, 0x0
	s_barrier
	buffer_gl0_inv
	s_clause 0x1c
	buffer_load_dword v101, off, s[0:3], 0 offset:232
	buffer_load_dword v102, off, s[0:3], 0 offset:236
	buffer_load_dword v103, off, s[0:3], 0 offset:240
	buffer_load_dword v104, off, s[0:3], 0 offset:244
	buffer_load_dword v105, off, s[0:3], 0 offset:248
	buffer_load_dword v106, off, s[0:3], 0 offset:252
	buffer_load_dword v107, off, s[0:3], 0 offset:256
	buffer_load_dword v108, off, s[0:3], 0 offset:260
	buffer_load_dword v109, off, s[0:3], 0 offset:264
	buffer_load_dword v110, off, s[0:3], 0 offset:268
	buffer_load_dword v111, off, s[0:3], 0 offset:272
	buffer_load_dword v112, off, s[0:3], 0 offset:276
	buffer_load_dword v113, off, s[0:3], 0 offset:280
	buffer_load_dword v114, off, s[0:3], 0 offset:284
	buffer_load_dword v116, off, s[0:3], 0 offset:292
	buffer_load_dword v117, off, s[0:3], 0 offset:312
	buffer_load_dword v119, off, s[0:3], 0 offset:304
	buffer_load_dword v121, off, s[0:3], 0 offset:296
	buffer_load_dword v115, off, s[0:3], 0 offset:288
	buffer_load_dword v122, off, s[0:3], 0 offset:300
	buffer_load_dword v120, off, s[0:3], 0 offset:308
	buffer_load_dword v118, off, s[0:3], 0 offset:316
	buffer_load_dword v124, off, s[0:3], 0 offset:324
	buffer_load_dword v125, off, s[0:3], 0 offset:344
	buffer_load_dword v127, off, s[0:3], 0 offset:336
	buffer_load_dword v129, off, s[0:3], 0 offset:328
	buffer_load_dword v123, off, s[0:3], 0 offset:320
	buffer_load_dword v130, off, s[0:3], 0 offset:332
	buffer_load_dword v128, off, s[0:3], 0 offset:340
	ds_read2_b64 v[93:96], v92 offset0:75 offset1:76
	ds_read2_b64 v[97:100], v92 offset0:77 offset1:78
	buffer_load_dword v126, off, s[0:3], 0 offset:348
	s_mov_b32 s4, exec_lo
	s_waitcnt vmcnt(28) lgkmcnt(1)
	v_fma_f64 v[93:94], v[101:102], v[93:94], 0
	s_clause 0x1
	buffer_load_dword v102, off, s[0:3], 0 offset:356
	buffer_load_dword v101, off, s[0:3], 0 offset:352
	s_waitcnt vmcnt(28)
	v_fma_f64 v[93:94], v[103:104], v[95:96], v[93:94]
	s_clause 0x1
	buffer_load_dword v103, off, s[0:3], 0 offset:224
	buffer_load_dword v104, off, s[0:3], 0 offset:228
	s_waitcnt vmcnt(28) lgkmcnt(0)
	v_fma_f64 v[93:94], v[105:106], v[97:98], v[93:94]
	s_waitcnt vmcnt(26)
	v_fma_f64 v[105:106], v[107:108], v[99:100], v[93:94]
	ds_read2_b64 v[93:96], v92 offset0:79 offset1:80
	ds_read2_b64 v[97:100], v92 offset0:81 offset1:82
	s_waitcnt vmcnt(24) lgkmcnt(1)
	v_fma_f64 v[93:94], v[109:110], v[93:94], v[105:106]
	s_waitcnt vmcnt(22)
	v_fma_f64 v[93:94], v[111:112], v[95:96], v[93:94]
	s_waitcnt vmcnt(20) lgkmcnt(0)
	v_fma_f64 v[93:94], v[113:114], v[97:98], v[93:94]
	s_waitcnt vmcnt(15)
	v_fma_f64 v[105:106], v[115:116], v[99:100], v[93:94]
	ds_read2_b64 v[93:96], v92 offset0:83 offset1:84
	ds_read2_b64 v[97:100], v92 offset0:85 offset1:86
	s_waitcnt vmcnt(14) lgkmcnt(1)
	v_fma_f64 v[93:94], v[121:122], v[93:94], v[105:106]
	s_waitcnt vmcnt(13)
	v_fma_f64 v[93:94], v[119:120], v[95:96], v[93:94]
	;; [unrolled: 10-line block ×3, first 2 shown]
	s_waitcnt vmcnt(4) lgkmcnt(0)
	v_fma_f64 v[92:93], v[125:126], v[97:98], v[92:93]
	s_waitcnt vmcnt(2)
	v_fma_f64 v[92:93], v[101:102], v[99:100], v[92:93]
	s_waitcnt vmcnt(0)
	v_add_f64 v[92:93], v[103:104], -v[92:93]
	buffer_store_dword v93, off, s[0:3], 0 offset:228
	buffer_store_dword v92, off, s[0:3], 0 offset:224
	v_cmpx_lt_u32_e32 27, v0
	s_cbranch_execz .LBB44_225
; %bb.224:
	s_clause 0x1
	buffer_load_dword v92, off, s[0:3], 0 offset:216
	buffer_load_dword v93, off, s[0:3], 0 offset:220
	v_mov_b32_e32 v94, 0
	buffer_store_dword v94, off, s[0:3], 0 offset:216
	buffer_store_dword v94, off, s[0:3], 0 offset:220
	s_waitcnt vmcnt(0)
	ds_write_b64 v91, v[92:93]
.LBB44_225:
	s_or_b32 exec_lo, exec_lo, s4
	s_waitcnt lgkmcnt(0)
	s_waitcnt_vscnt null, 0x0
	s_barrier
	buffer_gl0_inv
	s_clause 0x1c
	buffer_load_dword v101, off, s[0:3], 0 offset:224
	buffer_load_dword v102, off, s[0:3], 0 offset:228
	;; [unrolled: 1-line block ×29, first 2 shown]
	v_mov_b32_e32 v92, 0
	buffer_load_dword v126, off, s[0:3], 0 offset:340
	s_mov_b32 s4, exec_lo
	ds_read_b128 v[93:96], v92 offset:592
	ds_read_b128 v[97:100], v92 offset:608
	s_waitcnt vmcnt(28) lgkmcnt(1)
	v_fma_f64 v[93:94], v[101:102], v[93:94], 0
	s_clause 0x3
	buffer_load_dword v102, off, s[0:3], 0 offset:348
	buffer_load_dword v131, off, s[0:3], 0 offset:352
	;; [unrolled: 1-line block ×4, first 2 shown]
	s_waitcnt vmcnt(30)
	v_fma_f64 v[93:94], v[103:104], v[95:96], v[93:94]
	s_clause 0x1
	buffer_load_dword v103, off, s[0:3], 0 offset:216
	buffer_load_dword v104, off, s[0:3], 0 offset:220
	s_waitcnt vmcnt(30) lgkmcnt(0)
	v_fma_f64 v[93:94], v[105:106], v[97:98], v[93:94]
	s_waitcnt vmcnt(28)
	v_fma_f64 v[105:106], v[107:108], v[99:100], v[93:94]
	ds_read_b128 v[93:96], v92 offset:624
	ds_read_b128 v[97:100], v92 offset:640
	s_waitcnt vmcnt(26) lgkmcnt(1)
	v_fma_f64 v[93:94], v[109:110], v[93:94], v[105:106]
	s_waitcnt vmcnt(24)
	v_fma_f64 v[93:94], v[111:112], v[95:96], v[93:94]
	s_waitcnt vmcnt(22) lgkmcnt(0)
	v_fma_f64 v[93:94], v[113:114], v[97:98], v[93:94]
	s_waitcnt vmcnt(17)
	v_fma_f64 v[105:106], v[115:116], v[99:100], v[93:94]
	ds_read_b128 v[93:96], v92 offset:656
	ds_read_b128 v[97:100], v92 offset:672
	s_waitcnt vmcnt(16) lgkmcnt(1)
	v_fma_f64 v[93:94], v[121:122], v[93:94], v[105:106]
	s_waitcnt vmcnt(15)
	v_fma_f64 v[93:94], v[119:120], v[95:96], v[93:94]
	;; [unrolled: 10-line block ×3, first 2 shown]
	ds_read_b64 v[95:96], v92 offset:720
	s_waitcnt vmcnt(6) lgkmcnt(1)
	v_fma_f64 v[93:94], v[125:126], v[97:98], v[93:94]
	s_waitcnt vmcnt(3)
	v_fma_f64 v[93:94], v[101:102], v[99:100], v[93:94]
	s_waitcnt vmcnt(2) lgkmcnt(0)
	v_fma_f64 v[93:94], v[131:132], v[95:96], v[93:94]
	s_waitcnt vmcnt(0)
	v_add_f64 v[93:94], v[103:104], -v[93:94]
	buffer_store_dword v94, off, s[0:3], 0 offset:220
	buffer_store_dword v93, off, s[0:3], 0 offset:216
	v_cmpx_lt_u32_e32 26, v0
	s_cbranch_execz .LBB44_227
; %bb.226:
	s_clause 0x1
	buffer_load_dword v93, off, s[0:3], 0 offset:208
	buffer_load_dword v94, off, s[0:3], 0 offset:212
	buffer_store_dword v92, off, s[0:3], 0 offset:208
	buffer_store_dword v92, off, s[0:3], 0 offset:212
	s_waitcnt vmcnt(0)
	ds_write_b64 v91, v[93:94]
.LBB44_227:
	s_or_b32 exec_lo, exec_lo, s4
	s_waitcnt lgkmcnt(0)
	s_waitcnt_vscnt null, 0x0
	s_barrier
	buffer_gl0_inv
	s_clause 0x1c
	buffer_load_dword v101, off, s[0:3], 0 offset:216
	buffer_load_dword v102, off, s[0:3], 0 offset:220
	;; [unrolled: 1-line block ×29, first 2 shown]
	ds_read2_b64 v[93:96], v92 offset0:73 offset1:74
	ds_read2_b64 v[97:100], v92 offset0:75 offset1:76
	buffer_load_dword v126, off, s[0:3], 0 offset:332
	s_mov_b32 s4, exec_lo
	s_waitcnt vmcnt(28) lgkmcnt(1)
	v_fma_f64 v[93:94], v[101:102], v[93:94], 0
	s_clause 0x5
	buffer_load_dword v102, off, s[0:3], 0 offset:340
	buffer_load_dword v131, off, s[0:3], 0 offset:352
	;; [unrolled: 1-line block ×6, first 2 shown]
	s_waitcnt vmcnt(32)
	v_fma_f64 v[93:94], v[103:104], v[95:96], v[93:94]
	s_waitcnt vmcnt(30) lgkmcnt(0)
	v_fma_f64 v[93:94], v[105:106], v[97:98], v[93:94]
	s_waitcnt vmcnt(28)
	v_fma_f64 v[103:104], v[107:108], v[99:100], v[93:94]
	ds_read2_b64 v[93:96], v92 offset0:77 offset1:78
	s_clause 0x1
	buffer_load_dword v105, off, s[0:3], 0 offset:208
	buffer_load_dword v106, off, s[0:3], 0 offset:212
	ds_read2_b64 v[97:100], v92 offset0:79 offset1:80
	s_waitcnt vmcnt(28) lgkmcnt(1)
	v_fma_f64 v[93:94], v[109:110], v[93:94], v[103:104]
	s_waitcnt vmcnt(26)
	v_fma_f64 v[93:94], v[111:112], v[95:96], v[93:94]
	s_waitcnt vmcnt(24) lgkmcnt(0)
	v_fma_f64 v[93:94], v[113:114], v[97:98], v[93:94]
	s_waitcnt vmcnt(19)
	v_fma_f64 v[103:104], v[115:116], v[99:100], v[93:94]
	ds_read2_b64 v[93:96], v92 offset0:81 offset1:82
	ds_read2_b64 v[97:100], v92 offset0:83 offset1:84
	s_waitcnt vmcnt(18) lgkmcnt(1)
	v_fma_f64 v[93:94], v[121:122], v[93:94], v[103:104]
	s_waitcnt vmcnt(17)
	v_fma_f64 v[93:94], v[119:120], v[95:96], v[93:94]
	s_waitcnt vmcnt(16) lgkmcnt(0)
	v_fma_f64 v[93:94], v[117:118], v[97:98], v[93:94]
	s_waitcnt vmcnt(11)
	v_fma_f64 v[103:104], v[123:124], v[99:100], v[93:94]
	ds_read2_b64 v[93:96], v92 offset0:85 offset1:86
	;; [unrolled: 10-line block ×3, first 2 shown]
	s_waitcnt vmcnt(3) lgkmcnt(0)
	v_fma_f64 v[92:93], v[133:134], v[92:93], v[96:97]
	s_waitcnt vmcnt(2)
	v_fma_f64 v[92:93], v[131:132], v[94:95], v[92:93]
	s_waitcnt vmcnt(0)
	v_add_f64 v[92:93], v[105:106], -v[92:93]
	buffer_store_dword v93, off, s[0:3], 0 offset:212
	buffer_store_dword v92, off, s[0:3], 0 offset:208
	v_cmpx_lt_u32_e32 25, v0
	s_cbranch_execz .LBB44_229
; %bb.228:
	s_clause 0x1
	buffer_load_dword v92, off, s[0:3], 0 offset:200
	buffer_load_dword v93, off, s[0:3], 0 offset:204
	v_mov_b32_e32 v94, 0
	buffer_store_dword v94, off, s[0:3], 0 offset:200
	buffer_store_dword v94, off, s[0:3], 0 offset:204
	s_waitcnt vmcnt(0)
	ds_write_b64 v91, v[92:93]
.LBB44_229:
	s_or_b32 exec_lo, exec_lo, s4
	s_waitcnt lgkmcnt(0)
	s_waitcnt_vscnt null, 0x0
	s_barrier
	buffer_gl0_inv
	s_clause 0x1c
	buffer_load_dword v101, off, s[0:3], 0 offset:208
	buffer_load_dword v102, off, s[0:3], 0 offset:212
	;; [unrolled: 1-line block ×29, first 2 shown]
	v_mov_b32_e32 v92, 0
	buffer_load_dword v126, off, s[0:3], 0 offset:324
	s_mov_b32 s4, exec_lo
	ds_read_b128 v[93:96], v92 offset:576
	ds_read_b128 v[97:100], v92 offset:592
	s_waitcnt vmcnt(28) lgkmcnt(1)
	v_fma_f64 v[93:94], v[101:102], v[93:94], 0
	s_clause 0x7
	buffer_load_dword v102, off, s[0:3], 0 offset:332
	buffer_load_dword v131, off, s[0:3], 0 offset:352
	;; [unrolled: 1-line block ×8, first 2 shown]
	s_waitcnt vmcnt(34)
	v_fma_f64 v[93:94], v[103:104], v[95:96], v[93:94]
	s_waitcnt vmcnt(32) lgkmcnt(0)
	v_fma_f64 v[93:94], v[105:106], v[97:98], v[93:94]
	s_waitcnt vmcnt(30)
	v_fma_f64 v[103:104], v[107:108], v[99:100], v[93:94]
	ds_read_b128 v[93:96], v92 offset:608
	ds_read_b128 v[97:100], v92 offset:624
	s_waitcnt vmcnt(28) lgkmcnt(1)
	v_fma_f64 v[93:94], v[109:110], v[93:94], v[103:104]
	s_clause 0x1
	buffer_load_dword v103, off, s[0:3], 0 offset:200
	buffer_load_dword v104, off, s[0:3], 0 offset:204
	s_waitcnt vmcnt(28)
	v_fma_f64 v[93:94], v[111:112], v[95:96], v[93:94]
	s_waitcnt vmcnt(26) lgkmcnt(0)
	v_fma_f64 v[93:94], v[113:114], v[97:98], v[93:94]
	s_waitcnt vmcnt(21)
	v_fma_f64 v[105:106], v[115:116], v[99:100], v[93:94]
	ds_read_b128 v[93:96], v92 offset:640
	ds_read_b128 v[97:100], v92 offset:656
	s_waitcnt vmcnt(20) lgkmcnt(1)
	v_fma_f64 v[93:94], v[121:122], v[93:94], v[105:106]
	s_waitcnt vmcnt(19)
	v_fma_f64 v[93:94], v[119:120], v[95:96], v[93:94]
	s_waitcnt vmcnt(18) lgkmcnt(0)
	v_fma_f64 v[93:94], v[117:118], v[97:98], v[93:94]
	s_waitcnt vmcnt(13)
	v_fma_f64 v[105:106], v[123:124], v[99:100], v[93:94]
	ds_read_b128 v[93:96], v92 offset:672
	ds_read_b128 v[97:100], v92 offset:688
	s_waitcnt vmcnt(12) lgkmcnt(1)
	v_fma_f64 v[93:94], v[129:130], v[93:94], v[105:106]
	s_waitcnt vmcnt(11)
	v_fma_f64 v[93:94], v[127:128], v[95:96], v[93:94]
	s_waitcnt vmcnt(10) lgkmcnt(0)
	v_fma_f64 v[93:94], v[125:126], v[97:98], v[93:94]
	s_waitcnt vmcnt(5)
	v_fma_f64 v[97:98], v[101:102], v[99:100], v[93:94]
	ds_read_b128 v[93:96], v92 offset:704
	ds_read_b64 v[99:100], v92 offset:720
	s_waitcnt vmcnt(4) lgkmcnt(1)
	v_fma_f64 v[93:94], v[135:136], v[93:94], v[97:98]
	s_waitcnt vmcnt(3)
	v_fma_f64 v[93:94], v[133:134], v[95:96], v[93:94]
	s_waitcnt vmcnt(2) lgkmcnt(0)
	v_fma_f64 v[93:94], v[131:132], v[99:100], v[93:94]
	s_waitcnt vmcnt(0)
	v_add_f64 v[93:94], v[103:104], -v[93:94]
	buffer_store_dword v94, off, s[0:3], 0 offset:204
	buffer_store_dword v93, off, s[0:3], 0 offset:200
	v_cmpx_lt_u32_e32 24, v0
	s_cbranch_execz .LBB44_231
; %bb.230:
	s_clause 0x1
	buffer_load_dword v93, off, s[0:3], 0 offset:192
	buffer_load_dword v94, off, s[0:3], 0 offset:196
	buffer_store_dword v92, off, s[0:3], 0 offset:192
	buffer_store_dword v92, off, s[0:3], 0 offset:196
	s_waitcnt vmcnt(0)
	ds_write_b64 v91, v[93:94]
.LBB44_231:
	s_or_b32 exec_lo, exec_lo, s4
	s_waitcnt lgkmcnt(0)
	s_waitcnt_vscnt null, 0x0
	s_barrier
	buffer_gl0_inv
	s_clause 0x1c
	buffer_load_dword v101, off, s[0:3], 0 offset:200
	buffer_load_dword v102, off, s[0:3], 0 offset:204
	;; [unrolled: 1-line block ×29, first 2 shown]
	ds_read2_b64 v[93:96], v92 offset0:71 offset1:72
	ds_read2_b64 v[97:100], v92 offset0:73 offset1:74
	buffer_load_dword v126, off, s[0:3], 0 offset:316
	s_mov_b32 s4, exec_lo
	s_waitcnt vmcnt(28) lgkmcnt(1)
	v_fma_f64 v[93:94], v[101:102], v[93:94], 0
	s_clause 0x7
	buffer_load_dword v102, off, s[0:3], 0 offset:324
	buffer_load_dword v131, off, s[0:3], 0 offset:344
	;; [unrolled: 1-line block ×8, first 2 shown]
	s_waitcnt vmcnt(34)
	v_fma_f64 v[93:94], v[103:104], v[95:96], v[93:94]
	s_waitcnt vmcnt(32) lgkmcnt(0)
	v_fma_f64 v[93:94], v[105:106], v[97:98], v[93:94]
	s_waitcnt vmcnt(30)
	v_fma_f64 v[103:104], v[107:108], v[99:100], v[93:94]
	ds_read2_b64 v[93:96], v92 offset0:75 offset1:76
	ds_read2_b64 v[97:100], v92 offset0:77 offset1:78
	s_waitcnt vmcnt(28) lgkmcnt(1)
	v_fma_f64 v[93:94], v[109:110], v[93:94], v[103:104]
	s_clause 0x3
	buffer_load_dword v104, off, s[0:3], 0 offset:356
	buffer_load_dword v103, off, s[0:3], 0 offset:352
	;; [unrolled: 1-line block ×4, first 2 shown]
	s_waitcnt vmcnt(30)
	v_fma_f64 v[93:94], v[111:112], v[95:96], v[93:94]
	s_waitcnt vmcnt(28) lgkmcnt(0)
	v_fma_f64 v[93:94], v[113:114], v[97:98], v[93:94]
	s_waitcnt vmcnt(23)
	v_fma_f64 v[107:108], v[115:116], v[99:100], v[93:94]
	ds_read2_b64 v[93:96], v92 offset0:79 offset1:80
	ds_read2_b64 v[97:100], v92 offset0:81 offset1:82
	s_waitcnt vmcnt(22) lgkmcnt(1)
	v_fma_f64 v[93:94], v[121:122], v[93:94], v[107:108]
	s_waitcnt vmcnt(21)
	v_fma_f64 v[93:94], v[119:120], v[95:96], v[93:94]
	s_waitcnt vmcnt(20) lgkmcnt(0)
	v_fma_f64 v[93:94], v[117:118], v[97:98], v[93:94]
	s_waitcnt vmcnt(15)
	v_fma_f64 v[107:108], v[123:124], v[99:100], v[93:94]
	ds_read2_b64 v[93:96], v92 offset0:83 offset1:84
	ds_read2_b64 v[97:100], v92 offset0:85 offset1:86
	s_waitcnt vmcnt(14) lgkmcnt(1)
	v_fma_f64 v[93:94], v[129:130], v[93:94], v[107:108]
	;; [unrolled: 10-line block ×3, first 2 shown]
	s_waitcnt vmcnt(5)
	v_fma_f64 v[92:93], v[133:134], v[95:96], v[92:93]
	s_waitcnt vmcnt(4) lgkmcnt(0)
	v_fma_f64 v[92:93], v[131:132], v[97:98], v[92:93]
	s_waitcnt vmcnt(2)
	v_fma_f64 v[92:93], v[103:104], v[99:100], v[92:93]
	s_waitcnt vmcnt(0)
	v_add_f64 v[92:93], v[105:106], -v[92:93]
	buffer_store_dword v93, off, s[0:3], 0 offset:196
	buffer_store_dword v92, off, s[0:3], 0 offset:192
	v_cmpx_lt_u32_e32 23, v0
	s_cbranch_execz .LBB44_233
; %bb.232:
	s_clause 0x1
	buffer_load_dword v92, off, s[0:3], 0 offset:184
	buffer_load_dword v93, off, s[0:3], 0 offset:188
	v_mov_b32_e32 v94, 0
	buffer_store_dword v94, off, s[0:3], 0 offset:184
	buffer_store_dword v94, off, s[0:3], 0 offset:188
	s_waitcnt vmcnt(0)
	ds_write_b64 v91, v[92:93]
.LBB44_233:
	s_or_b32 exec_lo, exec_lo, s4
	s_waitcnt lgkmcnt(0)
	s_waitcnt_vscnt null, 0x0
	s_barrier
	buffer_gl0_inv
	s_clause 0x1c
	buffer_load_dword v101, off, s[0:3], 0 offset:192
	buffer_load_dword v102, off, s[0:3], 0 offset:196
	;; [unrolled: 1-line block ×29, first 2 shown]
	v_mov_b32_e32 v92, 0
	buffer_load_dword v126, off, s[0:3], 0 offset:308
	s_mov_b32 s4, exec_lo
	ds_read_b128 v[93:96], v92 offset:560
	ds_read_b128 v[97:100], v92 offset:576
	s_waitcnt vmcnt(28) lgkmcnt(1)
	v_fma_f64 v[93:94], v[101:102], v[93:94], 0
	s_clause 0x7
	buffer_load_dword v102, off, s[0:3], 0 offset:316
	buffer_load_dword v131, off, s[0:3], 0 offset:336
	;; [unrolled: 1-line block ×8, first 2 shown]
	s_waitcnt vmcnt(34)
	v_fma_f64 v[93:94], v[103:104], v[95:96], v[93:94]
	s_waitcnt vmcnt(32) lgkmcnt(0)
	v_fma_f64 v[93:94], v[105:106], v[97:98], v[93:94]
	s_waitcnt vmcnt(30)
	v_fma_f64 v[103:104], v[107:108], v[99:100], v[93:94]
	ds_read_b128 v[93:96], v92 offset:592
	ds_read_b128 v[97:100], v92 offset:608
	s_waitcnt vmcnt(28) lgkmcnt(1)
	v_fma_f64 v[93:94], v[109:110], v[93:94], v[103:104]
	s_clause 0x5
	buffer_load_dword v104, off, s[0:3], 0 offset:348
	buffer_load_dword v105, off, s[0:3], 0 offset:352
	;; [unrolled: 1-line block ×6, first 2 shown]
	s_waitcnt vmcnt(32)
	v_fma_f64 v[93:94], v[111:112], v[95:96], v[93:94]
	s_waitcnt vmcnt(30) lgkmcnt(0)
	v_fma_f64 v[93:94], v[113:114], v[97:98], v[93:94]
	s_waitcnt vmcnt(25)
	v_fma_f64 v[109:110], v[115:116], v[99:100], v[93:94]
	ds_read_b128 v[93:96], v92 offset:624
	ds_read_b128 v[97:100], v92 offset:640
	s_waitcnt vmcnt(24) lgkmcnt(1)
	v_fma_f64 v[93:94], v[121:122], v[93:94], v[109:110]
	s_waitcnt vmcnt(23)
	v_fma_f64 v[93:94], v[119:120], v[95:96], v[93:94]
	s_waitcnt vmcnt(22) lgkmcnt(0)
	v_fma_f64 v[93:94], v[117:118], v[97:98], v[93:94]
	s_waitcnt vmcnt(17)
	v_fma_f64 v[109:110], v[123:124], v[99:100], v[93:94]
	ds_read_b128 v[93:96], v92 offset:656
	ds_read_b128 v[97:100], v92 offset:672
	s_waitcnt vmcnt(16) lgkmcnt(1)
	v_fma_f64 v[93:94], v[129:130], v[93:94], v[109:110]
	;; [unrolled: 10-line block ×3, first 2 shown]
	s_waitcnt vmcnt(7)
	v_fma_f64 v[93:94], v[133:134], v[95:96], v[93:94]
	ds_read_b64 v[95:96], v92 offset:720
	s_waitcnt vmcnt(6) lgkmcnt(1)
	v_fma_f64 v[93:94], v[131:132], v[97:98], v[93:94]
	s_waitcnt vmcnt(3)
	v_fma_f64 v[93:94], v[103:104], v[99:100], v[93:94]
	s_waitcnt vmcnt(2) lgkmcnt(0)
	v_fma_f64 v[93:94], v[105:106], v[95:96], v[93:94]
	s_waitcnt vmcnt(0)
	v_add_f64 v[93:94], v[107:108], -v[93:94]
	buffer_store_dword v94, off, s[0:3], 0 offset:188
	buffer_store_dword v93, off, s[0:3], 0 offset:184
	v_cmpx_lt_u32_e32 22, v0
	s_cbranch_execz .LBB44_235
; %bb.234:
	s_clause 0x1
	buffer_load_dword v93, off, s[0:3], 0 offset:176
	buffer_load_dword v94, off, s[0:3], 0 offset:180
	buffer_store_dword v92, off, s[0:3], 0 offset:176
	buffer_store_dword v92, off, s[0:3], 0 offset:180
	s_waitcnt vmcnt(0)
	ds_write_b64 v91, v[93:94]
.LBB44_235:
	s_or_b32 exec_lo, exec_lo, s4
	s_waitcnt lgkmcnt(0)
	s_waitcnt_vscnt null, 0x0
	s_barrier
	buffer_gl0_inv
	s_clause 0x1c
	buffer_load_dword v101, off, s[0:3], 0 offset:184
	buffer_load_dword v102, off, s[0:3], 0 offset:188
	;; [unrolled: 1-line block ×29, first 2 shown]
	ds_read2_b64 v[93:96], v92 offset0:69 offset1:70
	ds_read2_b64 v[97:100], v92 offset0:71 offset1:72
	buffer_load_dword v126, off, s[0:3], 0 offset:300
	s_mov_b32 s4, exec_lo
	s_waitcnt vmcnt(28) lgkmcnt(1)
	v_fma_f64 v[93:94], v[101:102], v[93:94], 0
	s_clause 0x7
	buffer_load_dword v102, off, s[0:3], 0 offset:308
	buffer_load_dword v131, off, s[0:3], 0 offset:328
	;; [unrolled: 1-line block ×8, first 2 shown]
	s_waitcnt vmcnt(34)
	v_fma_f64 v[93:94], v[103:104], v[95:96], v[93:94]
	s_waitcnt vmcnt(32) lgkmcnt(0)
	v_fma_f64 v[93:94], v[105:106], v[97:98], v[93:94]
	s_waitcnt vmcnt(30)
	v_fma_f64 v[103:104], v[107:108], v[99:100], v[93:94]
	ds_read2_b64 v[93:96], v92 offset0:73 offset1:74
	ds_read2_b64 v[97:100], v92 offset0:75 offset1:76
	s_waitcnt vmcnt(28) lgkmcnt(1)
	v_fma_f64 v[93:94], v[109:110], v[93:94], v[103:104]
	s_clause 0x5
	buffer_load_dword v104, off, s[0:3], 0 offset:340
	buffer_load_dword v105, off, s[0:3], 0 offset:352
	;; [unrolled: 1-line block ×6, first 2 shown]
	s_waitcnt vmcnt(32)
	v_fma_f64 v[93:94], v[111:112], v[95:96], v[93:94]
	s_waitcnt vmcnt(30) lgkmcnt(0)
	v_fma_f64 v[93:94], v[113:114], v[97:98], v[93:94]
	s_waitcnt vmcnt(25)
	v_fma_f64 v[109:110], v[115:116], v[99:100], v[93:94]
	ds_read2_b64 v[93:96], v92 offset0:77 offset1:78
	s_clause 0x1
	buffer_load_dword v111, off, s[0:3], 0 offset:176
	buffer_load_dword v112, off, s[0:3], 0 offset:180
	ds_read2_b64 v[97:100], v92 offset0:79 offset1:80
	s_waitcnt vmcnt(26) lgkmcnt(1)
	v_fma_f64 v[93:94], v[121:122], v[93:94], v[109:110]
	s_waitcnt vmcnt(25)
	v_fma_f64 v[93:94], v[119:120], v[95:96], v[93:94]
	s_waitcnt vmcnt(24) lgkmcnt(0)
	v_fma_f64 v[93:94], v[117:118], v[97:98], v[93:94]
	s_waitcnt vmcnt(19)
	v_fma_f64 v[109:110], v[123:124], v[99:100], v[93:94]
	ds_read2_b64 v[93:96], v92 offset0:81 offset1:82
	ds_read2_b64 v[97:100], v92 offset0:83 offset1:84
	s_waitcnt vmcnt(18) lgkmcnt(1)
	v_fma_f64 v[93:94], v[129:130], v[93:94], v[109:110]
	s_waitcnt vmcnt(17)
	v_fma_f64 v[93:94], v[127:128], v[95:96], v[93:94]
	s_waitcnt vmcnt(16) lgkmcnt(0)
	v_fma_f64 v[93:94], v[125:126], v[97:98], v[93:94]
	s_waitcnt vmcnt(11)
	v_fma_f64 v[101:102], v[101:102], v[99:100], v[93:94]
	ds_read2_b64 v[93:96], v92 offset0:85 offset1:86
	;; [unrolled: 10-line block ×3, first 2 shown]
	s_waitcnt vmcnt(3) lgkmcnt(0)
	v_fma_f64 v[92:93], v[107:108], v[92:93], v[96:97]
	s_waitcnt vmcnt(2)
	v_fma_f64 v[92:93], v[105:106], v[94:95], v[92:93]
	s_waitcnt vmcnt(0)
	v_add_f64 v[92:93], v[111:112], -v[92:93]
	buffer_store_dword v93, off, s[0:3], 0 offset:180
	buffer_store_dword v92, off, s[0:3], 0 offset:176
	v_cmpx_lt_u32_e32 21, v0
	s_cbranch_execz .LBB44_237
; %bb.236:
	s_clause 0x1
	buffer_load_dword v92, off, s[0:3], 0 offset:168
	buffer_load_dword v93, off, s[0:3], 0 offset:172
	v_mov_b32_e32 v94, 0
	buffer_store_dword v94, off, s[0:3], 0 offset:168
	buffer_store_dword v94, off, s[0:3], 0 offset:172
	s_waitcnt vmcnt(0)
	ds_write_b64 v91, v[92:93]
.LBB44_237:
	s_or_b32 exec_lo, exec_lo, s4
	s_waitcnt lgkmcnt(0)
	s_waitcnt_vscnt null, 0x0
	s_barrier
	buffer_gl0_inv
	s_clause 0x1c
	buffer_load_dword v101, off, s[0:3], 0 offset:176
	buffer_load_dword v102, off, s[0:3], 0 offset:180
	;; [unrolled: 1-line block ×29, first 2 shown]
	v_mov_b32_e32 v92, 0
	buffer_load_dword v126, off, s[0:3], 0 offset:292
	s_mov_b32 s4, exec_lo
	ds_read_b128 v[93:96], v92 offset:544
	ds_read_b128 v[97:100], v92 offset:560
	s_waitcnt vmcnt(28) lgkmcnt(1)
	v_fma_f64 v[93:94], v[101:102], v[93:94], 0
	s_clause 0x7
	buffer_load_dword v102, off, s[0:3], 0 offset:300
	buffer_load_dword v131, off, s[0:3], 0 offset:320
	;; [unrolled: 1-line block ×8, first 2 shown]
	s_waitcnt vmcnt(34)
	v_fma_f64 v[93:94], v[103:104], v[95:96], v[93:94]
	s_waitcnt vmcnt(32) lgkmcnt(0)
	v_fma_f64 v[93:94], v[105:106], v[97:98], v[93:94]
	s_waitcnt vmcnt(30)
	v_fma_f64 v[103:104], v[107:108], v[99:100], v[93:94]
	ds_read_b128 v[93:96], v92 offset:576
	ds_read_b128 v[97:100], v92 offset:592
	s_waitcnt vmcnt(28) lgkmcnt(1)
	v_fma_f64 v[93:94], v[109:110], v[93:94], v[103:104]
	s_clause 0x7
	buffer_load_dword v104, off, s[0:3], 0 offset:332
	buffer_load_dword v105, off, s[0:3], 0 offset:352
	;; [unrolled: 1-line block ×8, first 2 shown]
	s_waitcnt vmcnt(34)
	v_fma_f64 v[93:94], v[111:112], v[95:96], v[93:94]
	s_waitcnt vmcnt(32) lgkmcnt(0)
	v_fma_f64 v[93:94], v[113:114], v[97:98], v[93:94]
	s_waitcnt vmcnt(27)
	v_fma_f64 v[111:112], v[115:116], v[99:100], v[93:94]
	ds_read_b128 v[93:96], v92 offset:608
	ds_read_b128 v[97:100], v92 offset:624
	s_waitcnt vmcnt(26) lgkmcnt(1)
	v_fma_f64 v[93:94], v[121:122], v[93:94], v[111:112]
	s_clause 0x1
	buffer_load_dword v111, off, s[0:3], 0 offset:168
	buffer_load_dword v112, off, s[0:3], 0 offset:172
	s_waitcnt vmcnt(27)
	v_fma_f64 v[93:94], v[119:120], v[95:96], v[93:94]
	s_waitcnt vmcnt(26) lgkmcnt(0)
	v_fma_f64 v[93:94], v[117:118], v[97:98], v[93:94]
	s_waitcnt vmcnt(21)
	v_fma_f64 v[113:114], v[123:124], v[99:100], v[93:94]
	ds_read_b128 v[93:96], v92 offset:640
	ds_read_b128 v[97:100], v92 offset:656
	s_waitcnt vmcnt(20) lgkmcnt(1)
	v_fma_f64 v[93:94], v[129:130], v[93:94], v[113:114]
	s_waitcnt vmcnt(19)
	v_fma_f64 v[93:94], v[127:128], v[95:96], v[93:94]
	s_waitcnt vmcnt(18) lgkmcnt(0)
	v_fma_f64 v[93:94], v[125:126], v[97:98], v[93:94]
	s_waitcnt vmcnt(13)
	v_fma_f64 v[101:102], v[101:102], v[99:100], v[93:94]
	ds_read_b128 v[93:96], v92 offset:672
	ds_read_b128 v[97:100], v92 offset:688
	s_waitcnt vmcnt(12) lgkmcnt(1)
	v_fma_f64 v[93:94], v[135:136], v[93:94], v[101:102]
	s_waitcnt vmcnt(11)
	v_fma_f64 v[93:94], v[133:134], v[95:96], v[93:94]
	s_waitcnt vmcnt(10) lgkmcnt(0)
	v_fma_f64 v[93:94], v[131:132], v[97:98], v[93:94]
	s_waitcnt vmcnt(5)
	v_fma_f64 v[97:98], v[103:104], v[99:100], v[93:94]
	ds_read_b128 v[93:96], v92 offset:704
	ds_read_b64 v[99:100], v92 offset:720
	s_waitcnt vmcnt(4) lgkmcnt(1)
	v_fma_f64 v[93:94], v[109:110], v[93:94], v[97:98]
	s_waitcnt vmcnt(3)
	v_fma_f64 v[93:94], v[107:108], v[95:96], v[93:94]
	s_waitcnt vmcnt(2) lgkmcnt(0)
	v_fma_f64 v[93:94], v[105:106], v[99:100], v[93:94]
	s_waitcnt vmcnt(0)
	v_add_f64 v[93:94], v[111:112], -v[93:94]
	buffer_store_dword v94, off, s[0:3], 0 offset:172
	buffer_store_dword v93, off, s[0:3], 0 offset:168
	v_cmpx_lt_u32_e32 20, v0
	s_cbranch_execz .LBB44_239
; %bb.238:
	s_clause 0x1
	buffer_load_dword v93, off, s[0:3], 0 offset:160
	buffer_load_dword v94, off, s[0:3], 0 offset:164
	buffer_store_dword v92, off, s[0:3], 0 offset:160
	buffer_store_dword v92, off, s[0:3], 0 offset:164
	s_waitcnt vmcnt(0)
	ds_write_b64 v91, v[93:94]
.LBB44_239:
	s_or_b32 exec_lo, exec_lo, s4
	s_waitcnt lgkmcnt(0)
	s_waitcnt_vscnt null, 0x0
	s_barrier
	buffer_gl0_inv
	s_clause 0x1c
	buffer_load_dword v101, off, s[0:3], 0 offset:168
	buffer_load_dword v102, off, s[0:3], 0 offset:172
	;; [unrolled: 1-line block ×29, first 2 shown]
	ds_read2_b64 v[93:96], v92 offset0:67 offset1:68
	ds_read2_b64 v[97:100], v92 offset0:69 offset1:70
	buffer_load_dword v126, off, s[0:3], 0 offset:284
	s_mov_b32 s4, exec_lo
	s_waitcnt vmcnt(28) lgkmcnt(1)
	v_fma_f64 v[93:94], v[101:102], v[93:94], 0
	s_clause 0x7
	buffer_load_dword v102, off, s[0:3], 0 offset:292
	buffer_load_dword v131, off, s[0:3], 0 offset:312
	;; [unrolled: 1-line block ×8, first 2 shown]
	s_waitcnt vmcnt(34)
	v_fma_f64 v[93:94], v[103:104], v[95:96], v[93:94]
	s_waitcnt vmcnt(32) lgkmcnt(0)
	v_fma_f64 v[93:94], v[105:106], v[97:98], v[93:94]
	s_waitcnt vmcnt(30)
	v_fma_f64 v[103:104], v[107:108], v[99:100], v[93:94]
	ds_read2_b64 v[93:96], v92 offset0:71 offset1:72
	ds_read2_b64 v[97:100], v92 offset0:73 offset1:74
	s_waitcnt vmcnt(28) lgkmcnt(1)
	v_fma_f64 v[93:94], v[109:110], v[93:94], v[103:104]
	s_clause 0x7
	buffer_load_dword v104, off, s[0:3], 0 offset:324
	buffer_load_dword v105, off, s[0:3], 0 offset:344
	;; [unrolled: 1-line block ×8, first 2 shown]
	s_waitcnt vmcnt(34)
	v_fma_f64 v[93:94], v[111:112], v[95:96], v[93:94]
	s_waitcnt vmcnt(32) lgkmcnt(0)
	v_fma_f64 v[93:94], v[113:114], v[97:98], v[93:94]
	s_waitcnt vmcnt(27)
	v_fma_f64 v[111:112], v[115:116], v[99:100], v[93:94]
	ds_read2_b64 v[93:96], v92 offset0:75 offset1:76
	ds_read2_b64 v[97:100], v92 offset0:77 offset1:78
	s_waitcnt vmcnt(26) lgkmcnt(1)
	v_fma_f64 v[93:94], v[121:122], v[93:94], v[111:112]
	s_clause 0x3
	buffer_load_dword v112, off, s[0:3], 0 offset:356
	buffer_load_dword v111, off, s[0:3], 0 offset:352
	;; [unrolled: 1-line block ×4, first 2 shown]
	s_waitcnt vmcnt(29)
	v_fma_f64 v[93:94], v[119:120], v[95:96], v[93:94]
	s_waitcnt vmcnt(28) lgkmcnt(0)
	v_fma_f64 v[93:94], v[117:118], v[97:98], v[93:94]
	s_waitcnt vmcnt(23)
	v_fma_f64 v[115:116], v[123:124], v[99:100], v[93:94]
	ds_read2_b64 v[93:96], v92 offset0:79 offset1:80
	ds_read2_b64 v[97:100], v92 offset0:81 offset1:82
	s_waitcnt vmcnt(22) lgkmcnt(1)
	v_fma_f64 v[93:94], v[129:130], v[93:94], v[115:116]
	s_waitcnt vmcnt(21)
	v_fma_f64 v[93:94], v[127:128], v[95:96], v[93:94]
	s_waitcnt vmcnt(20) lgkmcnt(0)
	v_fma_f64 v[93:94], v[125:126], v[97:98], v[93:94]
	s_waitcnt vmcnt(15)
	v_fma_f64 v[101:102], v[101:102], v[99:100], v[93:94]
	ds_read2_b64 v[93:96], v92 offset0:83 offset1:84
	ds_read2_b64 v[97:100], v92 offset0:85 offset1:86
	s_waitcnt vmcnt(14) lgkmcnt(1)
	v_fma_f64 v[93:94], v[135:136], v[93:94], v[101:102]
	s_waitcnt vmcnt(13)
	v_fma_f64 v[93:94], v[133:134], v[95:96], v[93:94]
	s_waitcnt vmcnt(12) lgkmcnt(0)
	v_fma_f64 v[93:94], v[131:132], v[97:98], v[93:94]
	s_waitcnt vmcnt(7)
	v_fma_f64 v[101:102], v[103:104], v[99:100], v[93:94]
	ds_read2_b64 v[93:96], v92 offset0:87 offset1:88
	ds_read2_b64 v[97:100], v92 offset0:89 offset1:90
	s_waitcnt vmcnt(6) lgkmcnt(1)
	v_fma_f64 v[92:93], v[109:110], v[93:94], v[101:102]
	s_waitcnt vmcnt(5)
	v_fma_f64 v[92:93], v[107:108], v[95:96], v[92:93]
	s_waitcnt vmcnt(4) lgkmcnt(0)
	v_fma_f64 v[92:93], v[105:106], v[97:98], v[92:93]
	s_waitcnt vmcnt(2)
	v_fma_f64 v[92:93], v[111:112], v[99:100], v[92:93]
	s_waitcnt vmcnt(0)
	v_add_f64 v[92:93], v[113:114], -v[92:93]
	buffer_store_dword v93, off, s[0:3], 0 offset:164
	buffer_store_dword v92, off, s[0:3], 0 offset:160
	v_cmpx_lt_u32_e32 19, v0
	s_cbranch_execz .LBB44_241
; %bb.240:
	s_clause 0x1
	buffer_load_dword v92, off, s[0:3], 0 offset:152
	buffer_load_dword v93, off, s[0:3], 0 offset:156
	v_mov_b32_e32 v94, 0
	buffer_store_dword v94, off, s[0:3], 0 offset:152
	buffer_store_dword v94, off, s[0:3], 0 offset:156
	s_waitcnt vmcnt(0)
	ds_write_b64 v91, v[92:93]
.LBB44_241:
	s_or_b32 exec_lo, exec_lo, s4
	s_waitcnt lgkmcnt(0)
	s_waitcnt_vscnt null, 0x0
	s_barrier
	buffer_gl0_inv
	s_clause 0x1c
	buffer_load_dword v101, off, s[0:3], 0 offset:160
	buffer_load_dword v102, off, s[0:3], 0 offset:164
	;; [unrolled: 1-line block ×29, first 2 shown]
	v_mov_b32_e32 v92, 0
	buffer_load_dword v126, off, s[0:3], 0 offset:276
	s_mov_b32 s4, exec_lo
	ds_read_b128 v[93:96], v92 offset:528
	ds_read_b128 v[97:100], v92 offset:544
	s_waitcnt vmcnt(28) lgkmcnt(1)
	v_fma_f64 v[93:94], v[101:102], v[93:94], 0
	s_clause 0x7
	buffer_load_dword v102, off, s[0:3], 0 offset:284
	buffer_load_dword v131, off, s[0:3], 0 offset:304
	buffer_load_dword v133, off, s[0:3], 0 offset:296
	buffer_load_dword v135, off, s[0:3], 0 offset:288
	buffer_load_dword v101, off, s[0:3], 0 offset:280
	buffer_load_dword v136, off, s[0:3], 0 offset:292
	buffer_load_dword v134, off, s[0:3], 0 offset:300
	buffer_load_dword v132, off, s[0:3], 0 offset:308
	s_waitcnt vmcnt(34)
	v_fma_f64 v[93:94], v[103:104], v[95:96], v[93:94]
	s_waitcnt vmcnt(32) lgkmcnt(0)
	v_fma_f64 v[93:94], v[105:106], v[97:98], v[93:94]
	s_waitcnt vmcnt(30)
	v_fma_f64 v[103:104], v[107:108], v[99:100], v[93:94]
	ds_read_b128 v[93:96], v92 offset:560
	ds_read_b128 v[97:100], v92 offset:576
	s_waitcnt vmcnt(28) lgkmcnt(1)
	v_fma_f64 v[93:94], v[109:110], v[93:94], v[103:104]
	s_clause 0x7
	buffer_load_dword v104, off, s[0:3], 0 offset:316
	buffer_load_dword v105, off, s[0:3], 0 offset:336
	buffer_load_dword v107, off, s[0:3], 0 offset:328
	buffer_load_dword v109, off, s[0:3], 0 offset:320
	buffer_load_dword v103, off, s[0:3], 0 offset:312
	buffer_load_dword v110, off, s[0:3], 0 offset:324
	buffer_load_dword v108, off, s[0:3], 0 offset:332
	buffer_load_dword v106, off, s[0:3], 0 offset:340
	s_waitcnt vmcnt(34)
	v_fma_f64 v[93:94], v[111:112], v[95:96], v[93:94]
	s_waitcnt vmcnt(32) lgkmcnt(0)
	v_fma_f64 v[93:94], v[113:114], v[97:98], v[93:94]
	s_waitcnt vmcnt(27)
	v_fma_f64 v[111:112], v[115:116], v[99:100], v[93:94]
	ds_read_b128 v[93:96], v92 offset:592
	ds_read_b128 v[97:100], v92 offset:608
	s_waitcnt vmcnt(26) lgkmcnt(1)
	v_fma_f64 v[93:94], v[121:122], v[93:94], v[111:112]
	s_clause 0x5
	buffer_load_dword v112, off, s[0:3], 0 offset:348
	buffer_load_dword v113, off, s[0:3], 0 offset:352
	;; [unrolled: 1-line block ×6, first 2 shown]
	s_waitcnt vmcnt(31)
	v_fma_f64 v[93:94], v[119:120], v[95:96], v[93:94]
	s_waitcnt vmcnt(30) lgkmcnt(0)
	v_fma_f64 v[93:94], v[117:118], v[97:98], v[93:94]
	s_waitcnt vmcnt(25)
	v_fma_f64 v[117:118], v[123:124], v[99:100], v[93:94]
	ds_read_b128 v[93:96], v92 offset:624
	ds_read_b128 v[97:100], v92 offset:640
	s_waitcnt vmcnt(24) lgkmcnt(1)
	v_fma_f64 v[93:94], v[129:130], v[93:94], v[117:118]
	s_waitcnt vmcnt(23)
	v_fma_f64 v[93:94], v[127:128], v[95:96], v[93:94]
	s_waitcnt vmcnt(22) lgkmcnt(0)
	v_fma_f64 v[93:94], v[125:126], v[97:98], v[93:94]
	s_waitcnt vmcnt(17)
	v_fma_f64 v[101:102], v[101:102], v[99:100], v[93:94]
	ds_read_b128 v[93:96], v92 offset:656
	ds_read_b128 v[97:100], v92 offset:672
	s_waitcnt vmcnt(16) lgkmcnt(1)
	v_fma_f64 v[93:94], v[135:136], v[93:94], v[101:102]
	;; [unrolled: 10-line block ×3, first 2 shown]
	s_waitcnt vmcnt(7)
	v_fma_f64 v[93:94], v[107:108], v[95:96], v[93:94]
	ds_read_b64 v[95:96], v92 offset:720
	s_waitcnt vmcnt(6) lgkmcnt(1)
	v_fma_f64 v[93:94], v[105:106], v[97:98], v[93:94]
	s_waitcnt vmcnt(3)
	v_fma_f64 v[93:94], v[111:112], v[99:100], v[93:94]
	s_waitcnt vmcnt(2) lgkmcnt(0)
	v_fma_f64 v[93:94], v[113:114], v[95:96], v[93:94]
	s_waitcnt vmcnt(0)
	v_add_f64 v[93:94], v[115:116], -v[93:94]
	buffer_store_dword v94, off, s[0:3], 0 offset:156
	buffer_store_dword v93, off, s[0:3], 0 offset:152
	v_cmpx_lt_u32_e32 18, v0
	s_cbranch_execz .LBB44_243
; %bb.242:
	s_clause 0x1
	buffer_load_dword v93, off, s[0:3], 0 offset:144
	buffer_load_dword v94, off, s[0:3], 0 offset:148
	buffer_store_dword v92, off, s[0:3], 0 offset:144
	buffer_store_dword v92, off, s[0:3], 0 offset:148
	s_waitcnt vmcnt(0)
	ds_write_b64 v91, v[93:94]
.LBB44_243:
	s_or_b32 exec_lo, exec_lo, s4
	s_waitcnt lgkmcnt(0)
	s_waitcnt_vscnt null, 0x0
	s_barrier
	buffer_gl0_inv
	s_clause 0x1c
	buffer_load_dword v101, off, s[0:3], 0 offset:152
	buffer_load_dword v102, off, s[0:3], 0 offset:156
	;; [unrolled: 1-line block ×29, first 2 shown]
	ds_read2_b64 v[93:96], v92 offset0:65 offset1:66
	ds_read2_b64 v[97:100], v92 offset0:67 offset1:68
	buffer_load_dword v126, off, s[0:3], 0 offset:268
	s_mov_b32 s4, exec_lo
	s_waitcnt vmcnt(28) lgkmcnt(1)
	v_fma_f64 v[93:94], v[101:102], v[93:94], 0
	s_clause 0x7
	buffer_load_dword v102, off, s[0:3], 0 offset:276
	buffer_load_dword v131, off, s[0:3], 0 offset:296
	;; [unrolled: 1-line block ×8, first 2 shown]
	s_waitcnt vmcnt(34)
	v_fma_f64 v[93:94], v[103:104], v[95:96], v[93:94]
	s_waitcnt vmcnt(32) lgkmcnt(0)
	v_fma_f64 v[93:94], v[105:106], v[97:98], v[93:94]
	s_waitcnt vmcnt(30)
	v_fma_f64 v[103:104], v[107:108], v[99:100], v[93:94]
	ds_read2_b64 v[93:96], v92 offset0:69 offset1:70
	ds_read2_b64 v[97:100], v92 offset0:71 offset1:72
	s_waitcnt vmcnt(28) lgkmcnt(1)
	v_fma_f64 v[93:94], v[109:110], v[93:94], v[103:104]
	s_clause 0x7
	buffer_load_dword v104, off, s[0:3], 0 offset:308
	buffer_load_dword v105, off, s[0:3], 0 offset:328
	;; [unrolled: 1-line block ×8, first 2 shown]
	s_waitcnt vmcnt(34)
	v_fma_f64 v[93:94], v[111:112], v[95:96], v[93:94]
	s_waitcnt vmcnt(32) lgkmcnt(0)
	v_fma_f64 v[93:94], v[113:114], v[97:98], v[93:94]
	s_waitcnt vmcnt(27)
	v_fma_f64 v[111:112], v[115:116], v[99:100], v[93:94]
	ds_read2_b64 v[93:96], v92 offset0:73 offset1:74
	ds_read2_b64 v[97:100], v92 offset0:75 offset1:76
	s_waitcnt vmcnt(26) lgkmcnt(1)
	v_fma_f64 v[93:94], v[121:122], v[93:94], v[111:112]
	s_clause 0x5
	buffer_load_dword v112, off, s[0:3], 0 offset:340
	buffer_load_dword v113, off, s[0:3], 0 offset:352
	;; [unrolled: 1-line block ×6, first 2 shown]
	s_waitcnt vmcnt(31)
	v_fma_f64 v[93:94], v[119:120], v[95:96], v[93:94]
	s_waitcnt vmcnt(30) lgkmcnt(0)
	v_fma_f64 v[93:94], v[117:118], v[97:98], v[93:94]
	s_waitcnt vmcnt(25)
	v_fma_f64 v[117:118], v[123:124], v[99:100], v[93:94]
	ds_read2_b64 v[93:96], v92 offset0:77 offset1:78
	s_clause 0x1
	buffer_load_dword v119, off, s[0:3], 0 offset:144
	buffer_load_dword v120, off, s[0:3], 0 offset:148
	ds_read2_b64 v[97:100], v92 offset0:79 offset1:80
	s_waitcnt vmcnt(26) lgkmcnt(1)
	v_fma_f64 v[93:94], v[129:130], v[93:94], v[117:118]
	s_waitcnt vmcnt(25)
	v_fma_f64 v[93:94], v[127:128], v[95:96], v[93:94]
	s_waitcnt vmcnt(24) lgkmcnt(0)
	v_fma_f64 v[93:94], v[125:126], v[97:98], v[93:94]
	s_waitcnt vmcnt(19)
	v_fma_f64 v[101:102], v[101:102], v[99:100], v[93:94]
	ds_read2_b64 v[93:96], v92 offset0:81 offset1:82
	ds_read2_b64 v[97:100], v92 offset0:83 offset1:84
	s_waitcnt vmcnt(18) lgkmcnt(1)
	v_fma_f64 v[93:94], v[135:136], v[93:94], v[101:102]
	s_waitcnt vmcnt(17)
	v_fma_f64 v[93:94], v[133:134], v[95:96], v[93:94]
	s_waitcnt vmcnt(16) lgkmcnt(0)
	v_fma_f64 v[93:94], v[131:132], v[97:98], v[93:94]
	s_waitcnt vmcnt(11)
	v_fma_f64 v[101:102], v[103:104], v[99:100], v[93:94]
	ds_read2_b64 v[93:96], v92 offset0:85 offset1:86
	;; [unrolled: 10-line block ×3, first 2 shown]
	s_waitcnt vmcnt(3) lgkmcnt(0)
	v_fma_f64 v[92:93], v[115:116], v[92:93], v[96:97]
	s_waitcnt vmcnt(2)
	v_fma_f64 v[92:93], v[113:114], v[94:95], v[92:93]
	s_waitcnt vmcnt(0)
	v_add_f64 v[92:93], v[119:120], -v[92:93]
	buffer_store_dword v93, off, s[0:3], 0 offset:148
	buffer_store_dword v92, off, s[0:3], 0 offset:144
	v_cmpx_lt_u32_e32 17, v0
	s_cbranch_execz .LBB44_245
; %bb.244:
	s_clause 0x1
	buffer_load_dword v92, off, s[0:3], 0 offset:136
	buffer_load_dword v93, off, s[0:3], 0 offset:140
	v_mov_b32_e32 v94, 0
	buffer_store_dword v94, off, s[0:3], 0 offset:136
	buffer_store_dword v94, off, s[0:3], 0 offset:140
	s_waitcnt vmcnt(0)
	ds_write_b64 v91, v[92:93]
.LBB44_245:
	s_or_b32 exec_lo, exec_lo, s4
	s_waitcnt lgkmcnt(0)
	s_waitcnt_vscnt null, 0x0
	s_barrier
	buffer_gl0_inv
	s_clause 0x1c
	buffer_load_dword v101, off, s[0:3], 0 offset:144
	buffer_load_dword v102, off, s[0:3], 0 offset:148
	buffer_load_dword v103, off, s[0:3], 0 offset:152
	buffer_load_dword v104, off, s[0:3], 0 offset:156
	buffer_load_dword v105, off, s[0:3], 0 offset:160
	buffer_load_dword v106, off, s[0:3], 0 offset:164
	buffer_load_dword v107, off, s[0:3], 0 offset:168
	buffer_load_dword v108, off, s[0:3], 0 offset:172
	buffer_load_dword v109, off, s[0:3], 0 offset:176
	buffer_load_dword v110, off, s[0:3], 0 offset:180
	buffer_load_dword v111, off, s[0:3], 0 offset:184
	buffer_load_dword v112, off, s[0:3], 0 offset:188
	buffer_load_dword v113, off, s[0:3], 0 offset:192
	buffer_load_dword v114, off, s[0:3], 0 offset:196
	buffer_load_dword v116, off, s[0:3], 0 offset:204
	buffer_load_dword v117, off, s[0:3], 0 offset:224
	buffer_load_dword v119, off, s[0:3], 0 offset:216
	buffer_load_dword v121, off, s[0:3], 0 offset:208
	buffer_load_dword v115, off, s[0:3], 0 offset:200
	buffer_load_dword v122, off, s[0:3], 0 offset:212
	buffer_load_dword v120, off, s[0:3], 0 offset:220
	buffer_load_dword v118, off, s[0:3], 0 offset:228
	buffer_load_dword v124, off, s[0:3], 0 offset:236
	buffer_load_dword v125, off, s[0:3], 0 offset:256
	buffer_load_dword v127, off, s[0:3], 0 offset:248
	buffer_load_dword v129, off, s[0:3], 0 offset:240
	buffer_load_dword v123, off, s[0:3], 0 offset:232
	buffer_load_dword v130, off, s[0:3], 0 offset:244
	buffer_load_dword v128, off, s[0:3], 0 offset:252
	v_mov_b32_e32 v92, 0
	buffer_load_dword v126, off, s[0:3], 0 offset:260
	s_mov_b32 s4, exec_lo
	ds_read_b128 v[93:96], v92 offset:512
	ds_read_b128 v[97:100], v92 offset:528
	s_waitcnt vmcnt(28) lgkmcnt(1)
	v_fma_f64 v[93:94], v[101:102], v[93:94], 0
	s_clause 0x7
	buffer_load_dword v102, off, s[0:3], 0 offset:268
	buffer_load_dword v131, off, s[0:3], 0 offset:288
	buffer_load_dword v133, off, s[0:3], 0 offset:280
	buffer_load_dword v135, off, s[0:3], 0 offset:272
	buffer_load_dword v101, off, s[0:3], 0 offset:264
	buffer_load_dword v136, off, s[0:3], 0 offset:276
	buffer_load_dword v134, off, s[0:3], 0 offset:284
	buffer_load_dword v132, off, s[0:3], 0 offset:292
	s_waitcnt vmcnt(34)
	v_fma_f64 v[93:94], v[103:104], v[95:96], v[93:94]
	s_waitcnt vmcnt(32) lgkmcnt(0)
	v_fma_f64 v[93:94], v[105:106], v[97:98], v[93:94]
	s_waitcnt vmcnt(30)
	v_fma_f64 v[103:104], v[107:108], v[99:100], v[93:94]
	ds_read_b128 v[93:96], v92 offset:544
	ds_read_b128 v[97:100], v92 offset:560
	s_waitcnt vmcnt(28) lgkmcnt(1)
	v_fma_f64 v[93:94], v[109:110], v[93:94], v[103:104]
	s_clause 0x7
	buffer_load_dword v104, off, s[0:3], 0 offset:300
	buffer_load_dword v105, off, s[0:3], 0 offset:320
	buffer_load_dword v107, off, s[0:3], 0 offset:312
	buffer_load_dword v109, off, s[0:3], 0 offset:304
	buffer_load_dword v103, off, s[0:3], 0 offset:296
	buffer_load_dword v110, off, s[0:3], 0 offset:308
	buffer_load_dword v108, off, s[0:3], 0 offset:316
	buffer_load_dword v106, off, s[0:3], 0 offset:324
	s_waitcnt vmcnt(34)
	v_fma_f64 v[93:94], v[111:112], v[95:96], v[93:94]
	s_waitcnt vmcnt(32) lgkmcnt(0)
	v_fma_f64 v[93:94], v[113:114], v[97:98], v[93:94]
	s_waitcnt vmcnt(27)
	v_fma_f64 v[111:112], v[115:116], v[99:100], v[93:94]
	;; [unrolled: 19-line block ×3, first 2 shown]
	ds_read_b128 v[93:96], v92 offset:608
	ds_read_b128 v[97:100], v92 offset:624
	s_waitcnt vmcnt(26) lgkmcnt(1)
	v_fma_f64 v[93:94], v[129:130], v[93:94], v[117:118]
	s_clause 0x1
	buffer_load_dword v117, off, s[0:3], 0 offset:136
	buffer_load_dword v118, off, s[0:3], 0 offset:140
	s_waitcnt vmcnt(27)
	v_fma_f64 v[93:94], v[127:128], v[95:96], v[93:94]
	s_waitcnt vmcnt(26) lgkmcnt(0)
	v_fma_f64 v[93:94], v[125:126], v[97:98], v[93:94]
	s_waitcnt vmcnt(21)
	v_fma_f64 v[101:102], v[101:102], v[99:100], v[93:94]
	ds_read_b128 v[93:96], v92 offset:640
	ds_read_b128 v[97:100], v92 offset:656
	s_waitcnt vmcnt(20) lgkmcnt(1)
	v_fma_f64 v[93:94], v[135:136], v[93:94], v[101:102]
	s_waitcnt vmcnt(19)
	v_fma_f64 v[93:94], v[133:134], v[95:96], v[93:94]
	s_waitcnt vmcnt(18) lgkmcnt(0)
	v_fma_f64 v[93:94], v[131:132], v[97:98], v[93:94]
	s_waitcnt vmcnt(13)
	v_fma_f64 v[101:102], v[103:104], v[99:100], v[93:94]
	ds_read_b128 v[93:96], v92 offset:672
	ds_read_b128 v[97:100], v92 offset:688
	s_waitcnt vmcnt(12) lgkmcnt(1)
	v_fma_f64 v[93:94], v[109:110], v[93:94], v[101:102]
	s_waitcnt vmcnt(11)
	v_fma_f64 v[93:94], v[107:108], v[95:96], v[93:94]
	s_waitcnt vmcnt(10) lgkmcnt(0)
	v_fma_f64 v[93:94], v[105:106], v[97:98], v[93:94]
	s_waitcnt vmcnt(5)
	v_fma_f64 v[97:98], v[111:112], v[99:100], v[93:94]
	ds_read_b128 v[93:96], v92 offset:704
	ds_read_b64 v[99:100], v92 offset:720
	s_waitcnt vmcnt(4) lgkmcnt(1)
	v_fma_f64 v[93:94], v[121:122], v[93:94], v[97:98]
	s_waitcnt vmcnt(3)
	v_fma_f64 v[93:94], v[115:116], v[95:96], v[93:94]
	s_waitcnt vmcnt(2) lgkmcnt(0)
	v_fma_f64 v[93:94], v[113:114], v[99:100], v[93:94]
	s_waitcnt vmcnt(0)
	v_add_f64 v[93:94], v[117:118], -v[93:94]
	buffer_store_dword v94, off, s[0:3], 0 offset:140
	buffer_store_dword v93, off, s[0:3], 0 offset:136
	v_cmpx_lt_u32_e32 16, v0
	s_cbranch_execz .LBB44_247
; %bb.246:
	s_clause 0x1
	buffer_load_dword v93, off, s[0:3], 0 offset:128
	buffer_load_dword v94, off, s[0:3], 0 offset:132
	buffer_store_dword v92, off, s[0:3], 0 offset:128
	buffer_store_dword v92, off, s[0:3], 0 offset:132
	s_waitcnt vmcnt(0)
	ds_write_b64 v91, v[93:94]
.LBB44_247:
	s_or_b32 exec_lo, exec_lo, s4
	s_waitcnt lgkmcnt(0)
	s_waitcnt_vscnt null, 0x0
	s_barrier
	buffer_gl0_inv
	s_clause 0x1c
	buffer_load_dword v101, off, s[0:3], 0 offset:136
	buffer_load_dword v102, off, s[0:3], 0 offset:140
	;; [unrolled: 1-line block ×29, first 2 shown]
	ds_read2_b64 v[93:96], v92 offset0:63 offset1:64
	ds_read2_b64 v[97:100], v92 offset0:65 offset1:66
	buffer_load_dword v126, off, s[0:3], 0 offset:252
	s_mov_b32 s4, exec_lo
	s_waitcnt vmcnt(28) lgkmcnt(1)
	v_fma_f64 v[93:94], v[101:102], v[93:94], 0
	s_clause 0x7
	buffer_load_dword v102, off, s[0:3], 0 offset:260
	buffer_load_dword v131, off, s[0:3], 0 offset:280
	buffer_load_dword v133, off, s[0:3], 0 offset:272
	buffer_load_dword v135, off, s[0:3], 0 offset:264
	buffer_load_dword v101, off, s[0:3], 0 offset:256
	buffer_load_dword v136, off, s[0:3], 0 offset:268
	buffer_load_dword v134, off, s[0:3], 0 offset:276
	buffer_load_dword v132, off, s[0:3], 0 offset:284
	s_waitcnt vmcnt(34)
	v_fma_f64 v[93:94], v[103:104], v[95:96], v[93:94]
	s_waitcnt vmcnt(32) lgkmcnt(0)
	v_fma_f64 v[93:94], v[105:106], v[97:98], v[93:94]
	s_waitcnt vmcnt(30)
	v_fma_f64 v[103:104], v[107:108], v[99:100], v[93:94]
	ds_read2_b64 v[93:96], v92 offset0:67 offset1:68
	ds_read2_b64 v[97:100], v92 offset0:69 offset1:70
	s_waitcnt vmcnt(28) lgkmcnt(1)
	v_fma_f64 v[93:94], v[109:110], v[93:94], v[103:104]
	s_clause 0x7
	buffer_load_dword v104, off, s[0:3], 0 offset:292
	buffer_load_dword v105, off, s[0:3], 0 offset:312
	buffer_load_dword v107, off, s[0:3], 0 offset:304
	buffer_load_dword v109, off, s[0:3], 0 offset:296
	buffer_load_dword v103, off, s[0:3], 0 offset:288
	buffer_load_dword v110, off, s[0:3], 0 offset:300
	buffer_load_dword v108, off, s[0:3], 0 offset:308
	buffer_load_dword v106, off, s[0:3], 0 offset:316
	s_waitcnt vmcnt(34)
	v_fma_f64 v[93:94], v[111:112], v[95:96], v[93:94]
	s_waitcnt vmcnt(32) lgkmcnt(0)
	v_fma_f64 v[93:94], v[113:114], v[97:98], v[93:94]
	s_waitcnt vmcnt(27)
	v_fma_f64 v[111:112], v[115:116], v[99:100], v[93:94]
	ds_read2_b64 v[93:96], v92 offset0:71 offset1:72
	ds_read2_b64 v[97:100], v92 offset0:73 offset1:74
	;; [unrolled: 19-line block ×3, first 2 shown]
	s_waitcnt vmcnt(26) lgkmcnt(1)
	v_fma_f64 v[93:94], v[129:130], v[93:94], v[117:118]
	s_clause 0x3
	buffer_load_dword v118, off, s[0:3], 0 offset:356
	buffer_load_dword v117, off, s[0:3], 0 offset:352
	;; [unrolled: 1-line block ×4, first 2 shown]
	s_waitcnt vmcnt(29)
	v_fma_f64 v[93:94], v[127:128], v[95:96], v[93:94]
	s_waitcnt vmcnt(28) lgkmcnt(0)
	v_fma_f64 v[93:94], v[125:126], v[97:98], v[93:94]
	s_waitcnt vmcnt(23)
	v_fma_f64 v[101:102], v[101:102], v[99:100], v[93:94]
	ds_read2_b64 v[93:96], v92 offset0:79 offset1:80
	ds_read2_b64 v[97:100], v92 offset0:81 offset1:82
	s_waitcnt vmcnt(22) lgkmcnt(1)
	v_fma_f64 v[93:94], v[135:136], v[93:94], v[101:102]
	s_waitcnt vmcnt(21)
	v_fma_f64 v[93:94], v[133:134], v[95:96], v[93:94]
	s_waitcnt vmcnt(20) lgkmcnt(0)
	v_fma_f64 v[93:94], v[131:132], v[97:98], v[93:94]
	s_waitcnt vmcnt(15)
	v_fma_f64 v[101:102], v[103:104], v[99:100], v[93:94]
	ds_read2_b64 v[93:96], v92 offset0:83 offset1:84
	ds_read2_b64 v[97:100], v92 offset0:85 offset1:86
	s_waitcnt vmcnt(14) lgkmcnt(1)
	v_fma_f64 v[93:94], v[109:110], v[93:94], v[101:102]
	;; [unrolled: 10-line block ×3, first 2 shown]
	s_waitcnt vmcnt(5)
	v_fma_f64 v[92:93], v[115:116], v[95:96], v[92:93]
	s_waitcnt vmcnt(4) lgkmcnt(0)
	v_fma_f64 v[92:93], v[113:114], v[97:98], v[92:93]
	s_waitcnt vmcnt(2)
	v_fma_f64 v[92:93], v[117:118], v[99:100], v[92:93]
	s_waitcnt vmcnt(0)
	v_add_f64 v[92:93], v[119:120], -v[92:93]
	buffer_store_dword v93, off, s[0:3], 0 offset:132
	buffer_store_dword v92, off, s[0:3], 0 offset:128
	v_cmpx_lt_u32_e32 15, v0
	s_cbranch_execz .LBB44_249
; %bb.248:
	s_clause 0x1
	buffer_load_dword v92, off, s[0:3], 0 offset:120
	buffer_load_dword v93, off, s[0:3], 0 offset:124
	v_mov_b32_e32 v94, 0
	buffer_store_dword v94, off, s[0:3], 0 offset:120
	buffer_store_dword v94, off, s[0:3], 0 offset:124
	s_waitcnt vmcnt(0)
	ds_write_b64 v91, v[92:93]
.LBB44_249:
	s_or_b32 exec_lo, exec_lo, s4
	s_waitcnt lgkmcnt(0)
	s_waitcnt_vscnt null, 0x0
	s_barrier
	buffer_gl0_inv
	s_clause 0x1c
	buffer_load_dword v101, off, s[0:3], 0 offset:128
	buffer_load_dword v102, off, s[0:3], 0 offset:132
	buffer_load_dword v103, off, s[0:3], 0 offset:136
	buffer_load_dword v104, off, s[0:3], 0 offset:140
	buffer_load_dword v105, off, s[0:3], 0 offset:144
	buffer_load_dword v106, off, s[0:3], 0 offset:148
	buffer_load_dword v107, off, s[0:3], 0 offset:152
	buffer_load_dword v108, off, s[0:3], 0 offset:156
	buffer_load_dword v109, off, s[0:3], 0 offset:160
	buffer_load_dword v110, off, s[0:3], 0 offset:164
	buffer_load_dword v111, off, s[0:3], 0 offset:168
	buffer_load_dword v112, off, s[0:3], 0 offset:172
	buffer_load_dword v113, off, s[0:3], 0 offset:176
	buffer_load_dword v114, off, s[0:3], 0 offset:180
	buffer_load_dword v116, off, s[0:3], 0 offset:188
	buffer_load_dword v117, off, s[0:3], 0 offset:208
	buffer_load_dword v119, off, s[0:3], 0 offset:200
	buffer_load_dword v121, off, s[0:3], 0 offset:192
	buffer_load_dword v115, off, s[0:3], 0 offset:184
	buffer_load_dword v122, off, s[0:3], 0 offset:196
	buffer_load_dword v120, off, s[0:3], 0 offset:204
	buffer_load_dword v118, off, s[0:3], 0 offset:212
	buffer_load_dword v124, off, s[0:3], 0 offset:220
	buffer_load_dword v125, off, s[0:3], 0 offset:240
	buffer_load_dword v127, off, s[0:3], 0 offset:232
	buffer_load_dword v129, off, s[0:3], 0 offset:224
	buffer_load_dword v123, off, s[0:3], 0 offset:216
	buffer_load_dword v130, off, s[0:3], 0 offset:228
	buffer_load_dword v128, off, s[0:3], 0 offset:236
	v_mov_b32_e32 v92, 0
	buffer_load_dword v126, off, s[0:3], 0 offset:244
	s_mov_b32 s4, exec_lo
	ds_read_b128 v[93:96], v92 offset:496
	ds_read_b128 v[97:100], v92 offset:512
	s_waitcnt vmcnt(28) lgkmcnt(1)
	v_fma_f64 v[93:94], v[101:102], v[93:94], 0
	s_clause 0x7
	buffer_load_dword v102, off, s[0:3], 0 offset:252
	buffer_load_dword v131, off, s[0:3], 0 offset:272
	buffer_load_dword v133, off, s[0:3], 0 offset:264
	buffer_load_dword v135, off, s[0:3], 0 offset:256
	buffer_load_dword v101, off, s[0:3], 0 offset:248
	buffer_load_dword v136, off, s[0:3], 0 offset:260
	buffer_load_dword v134, off, s[0:3], 0 offset:268
	buffer_load_dword v132, off, s[0:3], 0 offset:276
	s_waitcnt vmcnt(34)
	v_fma_f64 v[93:94], v[103:104], v[95:96], v[93:94]
	s_waitcnt vmcnt(32) lgkmcnt(0)
	v_fma_f64 v[93:94], v[105:106], v[97:98], v[93:94]
	s_waitcnt vmcnt(30)
	v_fma_f64 v[103:104], v[107:108], v[99:100], v[93:94]
	ds_read_b128 v[93:96], v92 offset:528
	ds_read_b128 v[97:100], v92 offset:544
	s_waitcnt vmcnt(28) lgkmcnt(1)
	v_fma_f64 v[93:94], v[109:110], v[93:94], v[103:104]
	s_clause 0x7
	buffer_load_dword v104, off, s[0:3], 0 offset:284
	buffer_load_dword v105, off, s[0:3], 0 offset:304
	buffer_load_dword v107, off, s[0:3], 0 offset:296
	buffer_load_dword v109, off, s[0:3], 0 offset:288
	buffer_load_dword v103, off, s[0:3], 0 offset:280
	buffer_load_dword v110, off, s[0:3], 0 offset:292
	buffer_load_dword v108, off, s[0:3], 0 offset:300
	buffer_load_dword v106, off, s[0:3], 0 offset:308
	s_waitcnt vmcnt(34)
	v_fma_f64 v[93:94], v[111:112], v[95:96], v[93:94]
	s_waitcnt vmcnt(32) lgkmcnt(0)
	v_fma_f64 v[93:94], v[113:114], v[97:98], v[93:94]
	s_waitcnt vmcnt(27)
	v_fma_f64 v[111:112], v[115:116], v[99:100], v[93:94]
	;; [unrolled: 19-line block ×3, first 2 shown]
	ds_read_b128 v[93:96], v92 offset:592
	ds_read_b128 v[97:100], v92 offset:608
	s_waitcnt vmcnt(26) lgkmcnt(1)
	v_fma_f64 v[93:94], v[129:130], v[93:94], v[117:118]
	s_clause 0x5
	buffer_load_dword v118, off, s[0:3], 0 offset:348
	buffer_load_dword v119, off, s[0:3], 0 offset:352
	;; [unrolled: 1-line block ×6, first 2 shown]
	s_waitcnt vmcnt(31)
	v_fma_f64 v[93:94], v[127:128], v[95:96], v[93:94]
	s_waitcnt vmcnt(30) lgkmcnt(0)
	v_fma_f64 v[93:94], v[125:126], v[97:98], v[93:94]
	s_waitcnt vmcnt(25)
	v_fma_f64 v[101:102], v[101:102], v[99:100], v[93:94]
	ds_read_b128 v[93:96], v92 offset:624
	ds_read_b128 v[97:100], v92 offset:640
	s_waitcnt vmcnt(24) lgkmcnt(1)
	v_fma_f64 v[93:94], v[135:136], v[93:94], v[101:102]
	s_waitcnt vmcnt(23)
	v_fma_f64 v[93:94], v[133:134], v[95:96], v[93:94]
	s_waitcnt vmcnt(22) lgkmcnt(0)
	v_fma_f64 v[93:94], v[131:132], v[97:98], v[93:94]
	s_waitcnt vmcnt(17)
	v_fma_f64 v[101:102], v[103:104], v[99:100], v[93:94]
	ds_read_b128 v[93:96], v92 offset:656
	ds_read_b128 v[97:100], v92 offset:672
	s_waitcnt vmcnt(16) lgkmcnt(1)
	v_fma_f64 v[93:94], v[109:110], v[93:94], v[101:102]
	;; [unrolled: 10-line block ×3, first 2 shown]
	s_waitcnt vmcnt(7)
	v_fma_f64 v[93:94], v[115:116], v[95:96], v[93:94]
	ds_read_b64 v[95:96], v92 offset:720
	s_waitcnt vmcnt(6) lgkmcnt(1)
	v_fma_f64 v[93:94], v[113:114], v[97:98], v[93:94]
	s_waitcnt vmcnt(3)
	v_fma_f64 v[93:94], v[117:118], v[99:100], v[93:94]
	s_waitcnt vmcnt(2) lgkmcnt(0)
	v_fma_f64 v[93:94], v[119:120], v[95:96], v[93:94]
	s_waitcnt vmcnt(0)
	v_add_f64 v[93:94], v[123:124], -v[93:94]
	buffer_store_dword v94, off, s[0:3], 0 offset:124
	buffer_store_dword v93, off, s[0:3], 0 offset:120
	v_cmpx_lt_u32_e32 14, v0
	s_cbranch_execz .LBB44_251
; %bb.250:
	s_clause 0x1
	buffer_load_dword v93, off, s[0:3], 0 offset:112
	buffer_load_dword v94, off, s[0:3], 0 offset:116
	buffer_store_dword v92, off, s[0:3], 0 offset:112
	buffer_store_dword v92, off, s[0:3], 0 offset:116
	s_waitcnt vmcnt(0)
	ds_write_b64 v91, v[93:94]
.LBB44_251:
	s_or_b32 exec_lo, exec_lo, s4
	s_waitcnt lgkmcnt(0)
	s_waitcnt_vscnt null, 0x0
	s_barrier
	buffer_gl0_inv
	s_clause 0x1c
	buffer_load_dword v101, off, s[0:3], 0 offset:120
	buffer_load_dword v102, off, s[0:3], 0 offset:124
	buffer_load_dword v103, off, s[0:3], 0 offset:128
	buffer_load_dword v104, off, s[0:3], 0 offset:132
	buffer_load_dword v105, off, s[0:3], 0 offset:136
	buffer_load_dword v106, off, s[0:3], 0 offset:140
	buffer_load_dword v107, off, s[0:3], 0 offset:144
	buffer_load_dword v108, off, s[0:3], 0 offset:148
	buffer_load_dword v109, off, s[0:3], 0 offset:152
	buffer_load_dword v110, off, s[0:3], 0 offset:156
	buffer_load_dword v111, off, s[0:3], 0 offset:160
	buffer_load_dword v112, off, s[0:3], 0 offset:164
	buffer_load_dword v113, off, s[0:3], 0 offset:168
	buffer_load_dword v114, off, s[0:3], 0 offset:172
	buffer_load_dword v116, off, s[0:3], 0 offset:180
	buffer_load_dword v117, off, s[0:3], 0 offset:200
	buffer_load_dword v119, off, s[0:3], 0 offset:192
	buffer_load_dword v121, off, s[0:3], 0 offset:184
	buffer_load_dword v115, off, s[0:3], 0 offset:176
	buffer_load_dword v122, off, s[0:3], 0 offset:188
	buffer_load_dword v120, off, s[0:3], 0 offset:196
	buffer_load_dword v118, off, s[0:3], 0 offset:204
	buffer_load_dword v124, off, s[0:3], 0 offset:212
	buffer_load_dword v125, off, s[0:3], 0 offset:232
	buffer_load_dword v127, off, s[0:3], 0 offset:224
	buffer_load_dword v129, off, s[0:3], 0 offset:216
	buffer_load_dword v123, off, s[0:3], 0 offset:208
	buffer_load_dword v130, off, s[0:3], 0 offset:220
	buffer_load_dword v128, off, s[0:3], 0 offset:228
	ds_read2_b64 v[93:96], v92 offset0:61 offset1:62
	ds_read2_b64 v[97:100], v92 offset0:63 offset1:64
	buffer_load_dword v126, off, s[0:3], 0 offset:236
	s_mov_b32 s4, exec_lo
	s_waitcnt vmcnt(28) lgkmcnt(1)
	v_fma_f64 v[93:94], v[101:102], v[93:94], 0
	s_clause 0x7
	buffer_load_dword v102, off, s[0:3], 0 offset:244
	buffer_load_dword v131, off, s[0:3], 0 offset:264
	buffer_load_dword v133, off, s[0:3], 0 offset:256
	buffer_load_dword v135, off, s[0:3], 0 offset:248
	buffer_load_dword v101, off, s[0:3], 0 offset:240
	buffer_load_dword v136, off, s[0:3], 0 offset:252
	buffer_load_dword v134, off, s[0:3], 0 offset:260
	buffer_load_dword v132, off, s[0:3], 0 offset:268
	s_waitcnt vmcnt(34)
	v_fma_f64 v[93:94], v[103:104], v[95:96], v[93:94]
	s_waitcnt vmcnt(32) lgkmcnt(0)
	v_fma_f64 v[93:94], v[105:106], v[97:98], v[93:94]
	s_waitcnt vmcnt(30)
	v_fma_f64 v[103:104], v[107:108], v[99:100], v[93:94]
	ds_read2_b64 v[93:96], v92 offset0:65 offset1:66
	ds_read2_b64 v[97:100], v92 offset0:67 offset1:68
	s_waitcnt vmcnt(28) lgkmcnt(1)
	v_fma_f64 v[93:94], v[109:110], v[93:94], v[103:104]
	s_clause 0x7
	buffer_load_dword v104, off, s[0:3], 0 offset:276
	buffer_load_dword v105, off, s[0:3], 0 offset:296
	buffer_load_dword v107, off, s[0:3], 0 offset:288
	buffer_load_dword v109, off, s[0:3], 0 offset:280
	buffer_load_dword v103, off, s[0:3], 0 offset:272
	buffer_load_dword v110, off, s[0:3], 0 offset:284
	buffer_load_dword v108, off, s[0:3], 0 offset:292
	buffer_load_dword v106, off, s[0:3], 0 offset:300
	s_waitcnt vmcnt(34)
	v_fma_f64 v[93:94], v[111:112], v[95:96], v[93:94]
	s_waitcnt vmcnt(32) lgkmcnt(0)
	v_fma_f64 v[93:94], v[113:114], v[97:98], v[93:94]
	s_waitcnt vmcnt(27)
	v_fma_f64 v[111:112], v[115:116], v[99:100], v[93:94]
	ds_read2_b64 v[93:96], v92 offset0:69 offset1:70
	ds_read2_b64 v[97:100], v92 offset0:71 offset1:72
	;; [unrolled: 19-line block ×3, first 2 shown]
	s_waitcnt vmcnt(26) lgkmcnt(1)
	v_fma_f64 v[93:94], v[129:130], v[93:94], v[117:118]
	s_clause 0x5
	buffer_load_dword v118, off, s[0:3], 0 offset:340
	buffer_load_dword v119, off, s[0:3], 0 offset:352
	;; [unrolled: 1-line block ×6, first 2 shown]
	s_waitcnt vmcnt(31)
	v_fma_f64 v[93:94], v[127:128], v[95:96], v[93:94]
	s_waitcnt vmcnt(30) lgkmcnt(0)
	v_fma_f64 v[93:94], v[125:126], v[97:98], v[93:94]
	s_waitcnt vmcnt(25)
	v_fma_f64 v[101:102], v[101:102], v[99:100], v[93:94]
	ds_read2_b64 v[93:96], v92 offset0:77 offset1:78
	s_clause 0x1
	buffer_load_dword v125, off, s[0:3], 0 offset:112
	buffer_load_dword v126, off, s[0:3], 0 offset:116
	ds_read2_b64 v[97:100], v92 offset0:79 offset1:80
	s_waitcnt vmcnt(26) lgkmcnt(1)
	v_fma_f64 v[93:94], v[135:136], v[93:94], v[101:102]
	s_waitcnt vmcnt(25)
	v_fma_f64 v[93:94], v[133:134], v[95:96], v[93:94]
	s_waitcnt vmcnt(24) lgkmcnt(0)
	v_fma_f64 v[93:94], v[131:132], v[97:98], v[93:94]
	s_waitcnt vmcnt(19)
	v_fma_f64 v[101:102], v[103:104], v[99:100], v[93:94]
	ds_read2_b64 v[93:96], v92 offset0:81 offset1:82
	ds_read2_b64 v[97:100], v92 offset0:83 offset1:84
	s_waitcnt vmcnt(18) lgkmcnt(1)
	v_fma_f64 v[93:94], v[109:110], v[93:94], v[101:102]
	s_waitcnt vmcnt(17)
	v_fma_f64 v[93:94], v[107:108], v[95:96], v[93:94]
	s_waitcnt vmcnt(16) lgkmcnt(0)
	v_fma_f64 v[93:94], v[105:106], v[97:98], v[93:94]
	s_waitcnt vmcnt(11)
	v_fma_f64 v[101:102], v[111:112], v[99:100], v[93:94]
	ds_read2_b64 v[93:96], v92 offset0:85 offset1:86
	;; [unrolled: 10-line block ×3, first 2 shown]
	s_waitcnt vmcnt(3) lgkmcnt(0)
	v_fma_f64 v[92:93], v[123:124], v[92:93], v[96:97]
	s_waitcnt vmcnt(2)
	v_fma_f64 v[92:93], v[119:120], v[94:95], v[92:93]
	s_waitcnt vmcnt(0)
	v_add_f64 v[92:93], v[125:126], -v[92:93]
	buffer_store_dword v93, off, s[0:3], 0 offset:116
	buffer_store_dword v92, off, s[0:3], 0 offset:112
	v_cmpx_lt_u32_e32 13, v0
	s_cbranch_execz .LBB44_253
; %bb.252:
	s_clause 0x1
	buffer_load_dword v92, off, s[0:3], 0 offset:104
	buffer_load_dword v93, off, s[0:3], 0 offset:108
	v_mov_b32_e32 v94, 0
	buffer_store_dword v94, off, s[0:3], 0 offset:104
	buffer_store_dword v94, off, s[0:3], 0 offset:108
	s_waitcnt vmcnt(0)
	ds_write_b64 v91, v[92:93]
.LBB44_253:
	s_or_b32 exec_lo, exec_lo, s4
	s_waitcnt lgkmcnt(0)
	s_waitcnt_vscnt null, 0x0
	s_barrier
	buffer_gl0_inv
	s_clause 0x1c
	buffer_load_dword v101, off, s[0:3], 0 offset:112
	buffer_load_dword v102, off, s[0:3], 0 offset:116
	;; [unrolled: 1-line block ×29, first 2 shown]
	v_mov_b32_e32 v92, 0
	buffer_load_dword v126, off, s[0:3], 0 offset:228
	s_mov_b32 s4, exec_lo
	ds_read_b128 v[93:96], v92 offset:480
	ds_read_b128 v[97:100], v92 offset:496
	s_waitcnt vmcnt(28) lgkmcnt(1)
	v_fma_f64 v[93:94], v[101:102], v[93:94], 0
	s_clause 0x7
	buffer_load_dword v102, off, s[0:3], 0 offset:236
	buffer_load_dword v131, off, s[0:3], 0 offset:256
	buffer_load_dword v133, off, s[0:3], 0 offset:248
	buffer_load_dword v135, off, s[0:3], 0 offset:240
	buffer_load_dword v101, off, s[0:3], 0 offset:232
	buffer_load_dword v136, off, s[0:3], 0 offset:244
	buffer_load_dword v134, off, s[0:3], 0 offset:252
	buffer_load_dword v132, off, s[0:3], 0 offset:260
	s_waitcnt vmcnt(34)
	v_fma_f64 v[93:94], v[103:104], v[95:96], v[93:94]
	s_waitcnt vmcnt(32) lgkmcnt(0)
	v_fma_f64 v[93:94], v[105:106], v[97:98], v[93:94]
	s_waitcnt vmcnt(30)
	v_fma_f64 v[103:104], v[107:108], v[99:100], v[93:94]
	ds_read_b128 v[93:96], v92 offset:512
	ds_read_b128 v[97:100], v92 offset:528
	s_waitcnt vmcnt(28) lgkmcnt(1)
	v_fma_f64 v[93:94], v[109:110], v[93:94], v[103:104]
	s_clause 0x7
	buffer_load_dword v104, off, s[0:3], 0 offset:268
	buffer_load_dword v105, off, s[0:3], 0 offset:288
	buffer_load_dword v107, off, s[0:3], 0 offset:280
	buffer_load_dword v109, off, s[0:3], 0 offset:272
	buffer_load_dword v103, off, s[0:3], 0 offset:264
	buffer_load_dword v110, off, s[0:3], 0 offset:276
	buffer_load_dword v108, off, s[0:3], 0 offset:284
	buffer_load_dword v106, off, s[0:3], 0 offset:292
	s_waitcnt vmcnt(34)
	v_fma_f64 v[93:94], v[111:112], v[95:96], v[93:94]
	s_waitcnt vmcnt(32) lgkmcnt(0)
	v_fma_f64 v[93:94], v[113:114], v[97:98], v[93:94]
	s_waitcnt vmcnt(27)
	v_fma_f64 v[111:112], v[115:116], v[99:100], v[93:94]
	;; [unrolled: 19-line block ×4, first 2 shown]
	ds_read_b128 v[93:96], v92 offset:608
	ds_read_b128 v[97:100], v92 offset:624
	s_waitcnt vmcnt(26) lgkmcnt(1)
	v_fma_f64 v[93:94], v[135:136], v[93:94], v[101:102]
	s_clause 0x1
	buffer_load_dword v101, off, s[0:3], 0 offset:104
	buffer_load_dword v102, off, s[0:3], 0 offset:108
	s_waitcnt vmcnt(27)
	v_fma_f64 v[93:94], v[133:134], v[95:96], v[93:94]
	s_waitcnt vmcnt(26) lgkmcnt(0)
	v_fma_f64 v[93:94], v[131:132], v[97:98], v[93:94]
	s_waitcnt vmcnt(21)
	v_fma_f64 v[103:104], v[103:104], v[99:100], v[93:94]
	ds_read_b128 v[93:96], v92 offset:640
	ds_read_b128 v[97:100], v92 offset:656
	s_waitcnt vmcnt(20) lgkmcnt(1)
	v_fma_f64 v[93:94], v[109:110], v[93:94], v[103:104]
	s_waitcnt vmcnt(19)
	v_fma_f64 v[93:94], v[107:108], v[95:96], v[93:94]
	s_waitcnt vmcnt(18) lgkmcnt(0)
	v_fma_f64 v[93:94], v[105:106], v[97:98], v[93:94]
	s_waitcnt vmcnt(13)
	v_fma_f64 v[103:104], v[111:112], v[99:100], v[93:94]
	ds_read_b128 v[93:96], v92 offset:672
	ds_read_b128 v[97:100], v92 offset:688
	s_waitcnt vmcnt(12) lgkmcnt(1)
	v_fma_f64 v[93:94], v[121:122], v[93:94], v[103:104]
	s_waitcnt vmcnt(11)
	v_fma_f64 v[93:94], v[115:116], v[95:96], v[93:94]
	s_waitcnt vmcnt(10) lgkmcnt(0)
	v_fma_f64 v[93:94], v[113:114], v[97:98], v[93:94]
	s_waitcnt vmcnt(5)
	v_fma_f64 v[97:98], v[117:118], v[99:100], v[93:94]
	ds_read_b128 v[93:96], v92 offset:704
	ds_read_b64 v[99:100], v92 offset:720
	s_waitcnt vmcnt(4) lgkmcnt(1)
	v_fma_f64 v[93:94], v[129:130], v[93:94], v[97:98]
	s_waitcnt vmcnt(3)
	v_fma_f64 v[93:94], v[123:124], v[95:96], v[93:94]
	s_waitcnt vmcnt(2) lgkmcnt(0)
	v_fma_f64 v[93:94], v[119:120], v[99:100], v[93:94]
	s_waitcnt vmcnt(0)
	v_add_f64 v[93:94], v[101:102], -v[93:94]
	buffer_store_dword v94, off, s[0:3], 0 offset:108
	buffer_store_dword v93, off, s[0:3], 0 offset:104
	v_cmpx_lt_u32_e32 12, v0
	s_cbranch_execz .LBB44_255
; %bb.254:
	s_clause 0x1
	buffer_load_dword v93, off, s[0:3], 0 offset:96
	buffer_load_dword v94, off, s[0:3], 0 offset:100
	buffer_store_dword v92, off, s[0:3], 0 offset:96
	buffer_store_dword v92, off, s[0:3], 0 offset:100
	s_waitcnt vmcnt(0)
	ds_write_b64 v91, v[93:94]
.LBB44_255:
	s_or_b32 exec_lo, exec_lo, s4
	s_waitcnt lgkmcnt(0)
	s_waitcnt_vscnt null, 0x0
	s_barrier
	buffer_gl0_inv
	s_clause 0x1c
	buffer_load_dword v101, off, s[0:3], 0 offset:104
	buffer_load_dword v102, off, s[0:3], 0 offset:108
	;; [unrolled: 1-line block ×29, first 2 shown]
	ds_read2_b64 v[93:96], v92 offset0:59 offset1:60
	ds_read2_b64 v[97:100], v92 offset0:61 offset1:62
	buffer_load_dword v126, off, s[0:3], 0 offset:220
	s_mov_b32 s4, exec_lo
	s_waitcnt vmcnt(28) lgkmcnt(1)
	v_fma_f64 v[93:94], v[101:102], v[93:94], 0
	s_clause 0x7
	buffer_load_dword v102, off, s[0:3], 0 offset:228
	buffer_load_dword v131, off, s[0:3], 0 offset:248
	buffer_load_dword v133, off, s[0:3], 0 offset:240
	buffer_load_dword v135, off, s[0:3], 0 offset:232
	buffer_load_dword v101, off, s[0:3], 0 offset:224
	buffer_load_dword v136, off, s[0:3], 0 offset:236
	buffer_load_dword v134, off, s[0:3], 0 offset:244
	buffer_load_dword v132, off, s[0:3], 0 offset:252
	s_waitcnt vmcnt(34)
	v_fma_f64 v[93:94], v[103:104], v[95:96], v[93:94]
	s_waitcnt vmcnt(32) lgkmcnt(0)
	v_fma_f64 v[93:94], v[105:106], v[97:98], v[93:94]
	s_waitcnt vmcnt(30)
	v_fma_f64 v[103:104], v[107:108], v[99:100], v[93:94]
	ds_read2_b64 v[93:96], v92 offset0:63 offset1:64
	ds_read2_b64 v[97:100], v92 offset0:65 offset1:66
	s_waitcnt vmcnt(28) lgkmcnt(1)
	v_fma_f64 v[93:94], v[109:110], v[93:94], v[103:104]
	s_clause 0x7
	buffer_load_dword v104, off, s[0:3], 0 offset:260
	buffer_load_dword v105, off, s[0:3], 0 offset:280
	buffer_load_dword v107, off, s[0:3], 0 offset:272
	buffer_load_dword v109, off, s[0:3], 0 offset:264
	buffer_load_dword v103, off, s[0:3], 0 offset:256
	buffer_load_dword v110, off, s[0:3], 0 offset:268
	buffer_load_dword v108, off, s[0:3], 0 offset:276
	buffer_load_dword v106, off, s[0:3], 0 offset:284
	s_waitcnt vmcnt(34)
	v_fma_f64 v[93:94], v[111:112], v[95:96], v[93:94]
	s_waitcnt vmcnt(32) lgkmcnt(0)
	v_fma_f64 v[93:94], v[113:114], v[97:98], v[93:94]
	s_waitcnt vmcnt(27)
	v_fma_f64 v[111:112], v[115:116], v[99:100], v[93:94]
	ds_read2_b64 v[93:96], v92 offset0:67 offset1:68
	ds_read2_b64 v[97:100], v92 offset0:69 offset1:70
	;; [unrolled: 19-line block ×4, first 2 shown]
	s_waitcnt vmcnt(26) lgkmcnt(1)
	v_fma_f64 v[93:94], v[135:136], v[93:94], v[101:102]
	s_clause 0x3
	buffer_load_dword v102, off, s[0:3], 0 offset:356
	buffer_load_dword v101, off, s[0:3], 0 offset:352
	;; [unrolled: 1-line block ×4, first 2 shown]
	s_waitcnt vmcnt(29)
	v_fma_f64 v[93:94], v[133:134], v[95:96], v[93:94]
	s_waitcnt vmcnt(28) lgkmcnt(0)
	v_fma_f64 v[93:94], v[131:132], v[97:98], v[93:94]
	s_waitcnt vmcnt(23)
	v_fma_f64 v[103:104], v[103:104], v[99:100], v[93:94]
	ds_read2_b64 v[93:96], v92 offset0:79 offset1:80
	ds_read2_b64 v[97:100], v92 offset0:81 offset1:82
	s_waitcnt vmcnt(22) lgkmcnt(1)
	v_fma_f64 v[93:94], v[109:110], v[93:94], v[103:104]
	s_waitcnt vmcnt(21)
	v_fma_f64 v[93:94], v[107:108], v[95:96], v[93:94]
	s_waitcnt vmcnt(20) lgkmcnt(0)
	v_fma_f64 v[93:94], v[105:106], v[97:98], v[93:94]
	s_waitcnt vmcnt(15)
	v_fma_f64 v[103:104], v[111:112], v[99:100], v[93:94]
	ds_read2_b64 v[93:96], v92 offset0:83 offset1:84
	ds_read2_b64 v[97:100], v92 offset0:85 offset1:86
	s_waitcnt vmcnt(14) lgkmcnt(1)
	v_fma_f64 v[93:94], v[121:122], v[93:94], v[103:104]
	;; [unrolled: 10-line block ×3, first 2 shown]
	s_waitcnt vmcnt(5)
	v_fma_f64 v[92:93], v[123:124], v[95:96], v[92:93]
	s_waitcnt vmcnt(4) lgkmcnt(0)
	v_fma_f64 v[92:93], v[119:120], v[97:98], v[92:93]
	s_waitcnt vmcnt(2)
	v_fma_f64 v[92:93], v[101:102], v[99:100], v[92:93]
	s_waitcnt vmcnt(0)
	v_add_f64 v[92:93], v[125:126], -v[92:93]
	buffer_store_dword v93, off, s[0:3], 0 offset:100
	buffer_store_dword v92, off, s[0:3], 0 offset:96
	v_cmpx_lt_u32_e32 11, v0
	s_cbranch_execz .LBB44_257
; %bb.256:
	s_clause 0x1
	buffer_load_dword v92, off, s[0:3], 0 offset:88
	buffer_load_dword v93, off, s[0:3], 0 offset:92
	v_mov_b32_e32 v94, 0
	buffer_store_dword v94, off, s[0:3], 0 offset:88
	buffer_store_dword v94, off, s[0:3], 0 offset:92
	s_waitcnt vmcnt(0)
	ds_write_b64 v91, v[92:93]
.LBB44_257:
	s_or_b32 exec_lo, exec_lo, s4
	s_waitcnt lgkmcnt(0)
	s_waitcnt_vscnt null, 0x0
	s_barrier
	buffer_gl0_inv
	s_clause 0x1c
	buffer_load_dword v101, off, s[0:3], 0 offset:96
	buffer_load_dword v102, off, s[0:3], 0 offset:100
	buffer_load_dword v103, off, s[0:3], 0 offset:104
	buffer_load_dword v104, off, s[0:3], 0 offset:108
	buffer_load_dword v105, off, s[0:3], 0 offset:112
	buffer_load_dword v106, off, s[0:3], 0 offset:116
	buffer_load_dword v107, off, s[0:3], 0 offset:120
	buffer_load_dword v108, off, s[0:3], 0 offset:124
	buffer_load_dword v109, off, s[0:3], 0 offset:128
	buffer_load_dword v110, off, s[0:3], 0 offset:132
	buffer_load_dword v111, off, s[0:3], 0 offset:136
	buffer_load_dword v112, off, s[0:3], 0 offset:140
	buffer_load_dword v113, off, s[0:3], 0 offset:144
	buffer_load_dword v114, off, s[0:3], 0 offset:148
	buffer_load_dword v116, off, s[0:3], 0 offset:156
	buffer_load_dword v117, off, s[0:3], 0 offset:176
	buffer_load_dword v119, off, s[0:3], 0 offset:168
	buffer_load_dword v121, off, s[0:3], 0 offset:160
	buffer_load_dword v115, off, s[0:3], 0 offset:152
	buffer_load_dword v122, off, s[0:3], 0 offset:164
	buffer_load_dword v120, off, s[0:3], 0 offset:172
	buffer_load_dword v118, off, s[0:3], 0 offset:180
	buffer_load_dword v124, off, s[0:3], 0 offset:188
	buffer_load_dword v125, off, s[0:3], 0 offset:208
	buffer_load_dword v127, off, s[0:3], 0 offset:200
	buffer_load_dword v129, off, s[0:3], 0 offset:192
	buffer_load_dword v123, off, s[0:3], 0 offset:184
	buffer_load_dword v130, off, s[0:3], 0 offset:196
	buffer_load_dword v128, off, s[0:3], 0 offset:204
	v_mov_b32_e32 v92, 0
	buffer_load_dword v126, off, s[0:3], 0 offset:212
	s_mov_b32 s4, exec_lo
	ds_read_b128 v[93:96], v92 offset:464
	ds_read_b128 v[97:100], v92 offset:480
	s_waitcnt vmcnt(28) lgkmcnt(1)
	v_fma_f64 v[93:94], v[101:102], v[93:94], 0
	s_clause 0x7
	buffer_load_dword v102, off, s[0:3], 0 offset:220
	buffer_load_dword v131, off, s[0:3], 0 offset:240
	buffer_load_dword v133, off, s[0:3], 0 offset:232
	buffer_load_dword v135, off, s[0:3], 0 offset:224
	buffer_load_dword v101, off, s[0:3], 0 offset:216
	buffer_load_dword v136, off, s[0:3], 0 offset:228
	buffer_load_dword v134, off, s[0:3], 0 offset:236
	buffer_load_dword v132, off, s[0:3], 0 offset:244
	s_waitcnt vmcnt(34)
	v_fma_f64 v[93:94], v[103:104], v[95:96], v[93:94]
	s_waitcnt vmcnt(32) lgkmcnt(0)
	v_fma_f64 v[93:94], v[105:106], v[97:98], v[93:94]
	s_waitcnt vmcnt(30)
	v_fma_f64 v[103:104], v[107:108], v[99:100], v[93:94]
	ds_read_b128 v[93:96], v92 offset:496
	ds_read_b128 v[97:100], v92 offset:512
	s_waitcnt vmcnt(28) lgkmcnt(1)
	v_fma_f64 v[93:94], v[109:110], v[93:94], v[103:104]
	s_clause 0x7
	buffer_load_dword v104, off, s[0:3], 0 offset:252
	buffer_load_dword v105, off, s[0:3], 0 offset:272
	buffer_load_dword v107, off, s[0:3], 0 offset:264
	buffer_load_dword v109, off, s[0:3], 0 offset:256
	buffer_load_dword v103, off, s[0:3], 0 offset:248
	buffer_load_dword v110, off, s[0:3], 0 offset:260
	buffer_load_dword v108, off, s[0:3], 0 offset:268
	buffer_load_dword v106, off, s[0:3], 0 offset:276
	s_waitcnt vmcnt(34)
	v_fma_f64 v[93:94], v[111:112], v[95:96], v[93:94]
	s_waitcnt vmcnt(32) lgkmcnt(0)
	v_fma_f64 v[93:94], v[113:114], v[97:98], v[93:94]
	s_waitcnt vmcnt(27)
	v_fma_f64 v[111:112], v[115:116], v[99:100], v[93:94]
	;; [unrolled: 19-line block ×4, first 2 shown]
	ds_read_b128 v[93:96], v92 offset:592
	ds_read_b128 v[97:100], v92 offset:608
	s_waitcnt vmcnt(26) lgkmcnt(1)
	v_fma_f64 v[93:94], v[135:136], v[93:94], v[101:102]
	s_clause 0x5
	buffer_load_dword v102, off, s[0:3], 0 offset:348
	buffer_load_dword v125, off, s[0:3], 0 offset:352
	;; [unrolled: 1-line block ×6, first 2 shown]
	s_waitcnt vmcnt(31)
	v_fma_f64 v[93:94], v[133:134], v[95:96], v[93:94]
	s_waitcnt vmcnt(30) lgkmcnt(0)
	v_fma_f64 v[93:94], v[131:132], v[97:98], v[93:94]
	s_waitcnt vmcnt(25)
	v_fma_f64 v[103:104], v[103:104], v[99:100], v[93:94]
	ds_read_b128 v[93:96], v92 offset:624
	ds_read_b128 v[97:100], v92 offset:640
	s_waitcnt vmcnt(24) lgkmcnt(1)
	v_fma_f64 v[93:94], v[109:110], v[93:94], v[103:104]
	s_waitcnt vmcnt(23)
	v_fma_f64 v[93:94], v[107:108], v[95:96], v[93:94]
	s_waitcnt vmcnt(22) lgkmcnt(0)
	v_fma_f64 v[93:94], v[105:106], v[97:98], v[93:94]
	s_waitcnt vmcnt(17)
	v_fma_f64 v[103:104], v[111:112], v[99:100], v[93:94]
	ds_read_b128 v[93:96], v92 offset:656
	ds_read_b128 v[97:100], v92 offset:672
	s_waitcnt vmcnt(16) lgkmcnt(1)
	v_fma_f64 v[93:94], v[121:122], v[93:94], v[103:104]
	;; [unrolled: 10-line block ×3, first 2 shown]
	s_waitcnt vmcnt(7)
	v_fma_f64 v[93:94], v[123:124], v[95:96], v[93:94]
	ds_read_b64 v[95:96], v92 offset:720
	s_waitcnt vmcnt(6) lgkmcnt(1)
	v_fma_f64 v[93:94], v[119:120], v[97:98], v[93:94]
	s_waitcnt vmcnt(3)
	v_fma_f64 v[93:94], v[101:102], v[99:100], v[93:94]
	s_waitcnt vmcnt(2) lgkmcnt(0)
	v_fma_f64 v[93:94], v[125:126], v[95:96], v[93:94]
	s_waitcnt vmcnt(0)
	v_add_f64 v[93:94], v[127:128], -v[93:94]
	buffer_store_dword v94, off, s[0:3], 0 offset:92
	buffer_store_dword v93, off, s[0:3], 0 offset:88
	v_cmpx_lt_u32_e32 10, v0
	s_cbranch_execz .LBB44_259
; %bb.258:
	s_clause 0x1
	buffer_load_dword v93, off, s[0:3], 0 offset:80
	buffer_load_dword v94, off, s[0:3], 0 offset:84
	buffer_store_dword v92, off, s[0:3], 0 offset:80
	buffer_store_dword v92, off, s[0:3], 0 offset:84
	s_waitcnt vmcnt(0)
	ds_write_b64 v91, v[93:94]
.LBB44_259:
	s_or_b32 exec_lo, exec_lo, s4
	s_waitcnt lgkmcnt(0)
	s_waitcnt_vscnt null, 0x0
	s_barrier
	buffer_gl0_inv
	s_clause 0x1c
	buffer_load_dword v101, off, s[0:3], 0 offset:88
	buffer_load_dword v102, off, s[0:3], 0 offset:92
	;; [unrolled: 1-line block ×29, first 2 shown]
	ds_read2_b64 v[93:96], v92 offset0:57 offset1:58
	ds_read2_b64 v[97:100], v92 offset0:59 offset1:60
	buffer_load_dword v126, off, s[0:3], 0 offset:204
	s_mov_b32 s4, exec_lo
	s_waitcnt vmcnt(28) lgkmcnt(1)
	v_fma_f64 v[93:94], v[101:102], v[93:94], 0
	s_clause 0x7
	buffer_load_dword v102, off, s[0:3], 0 offset:212
	buffer_load_dword v131, off, s[0:3], 0 offset:232
	buffer_load_dword v133, off, s[0:3], 0 offset:224
	buffer_load_dword v135, off, s[0:3], 0 offset:216
	buffer_load_dword v101, off, s[0:3], 0 offset:208
	buffer_load_dword v136, off, s[0:3], 0 offset:220
	buffer_load_dword v134, off, s[0:3], 0 offset:228
	buffer_load_dword v132, off, s[0:3], 0 offset:236
	s_waitcnt vmcnt(34)
	v_fma_f64 v[93:94], v[103:104], v[95:96], v[93:94]
	s_waitcnt vmcnt(32) lgkmcnt(0)
	v_fma_f64 v[93:94], v[105:106], v[97:98], v[93:94]
	s_waitcnt vmcnt(30)
	v_fma_f64 v[103:104], v[107:108], v[99:100], v[93:94]
	ds_read2_b64 v[93:96], v92 offset0:61 offset1:62
	ds_read2_b64 v[97:100], v92 offset0:63 offset1:64
	s_waitcnt vmcnt(28) lgkmcnt(1)
	v_fma_f64 v[93:94], v[109:110], v[93:94], v[103:104]
	s_clause 0x7
	buffer_load_dword v104, off, s[0:3], 0 offset:244
	buffer_load_dword v105, off, s[0:3], 0 offset:264
	buffer_load_dword v107, off, s[0:3], 0 offset:256
	buffer_load_dword v109, off, s[0:3], 0 offset:248
	buffer_load_dword v103, off, s[0:3], 0 offset:240
	buffer_load_dword v110, off, s[0:3], 0 offset:252
	buffer_load_dword v108, off, s[0:3], 0 offset:260
	buffer_load_dword v106, off, s[0:3], 0 offset:268
	s_waitcnt vmcnt(34)
	v_fma_f64 v[93:94], v[111:112], v[95:96], v[93:94]
	s_waitcnt vmcnt(32) lgkmcnt(0)
	v_fma_f64 v[93:94], v[113:114], v[97:98], v[93:94]
	s_waitcnt vmcnt(27)
	v_fma_f64 v[111:112], v[115:116], v[99:100], v[93:94]
	ds_read2_b64 v[93:96], v92 offset0:65 offset1:66
	ds_read2_b64 v[97:100], v92 offset0:67 offset1:68
	;; [unrolled: 19-line block ×4, first 2 shown]
	s_waitcnt vmcnt(26) lgkmcnt(1)
	v_fma_f64 v[93:94], v[135:136], v[93:94], v[101:102]
	s_clause 0x5
	buffer_load_dword v102, off, s[0:3], 0 offset:340
	buffer_load_dword v125, off, s[0:3], 0 offset:352
	;; [unrolled: 1-line block ×6, first 2 shown]
	s_waitcnt vmcnt(31)
	v_fma_f64 v[93:94], v[133:134], v[95:96], v[93:94]
	s_waitcnt vmcnt(30) lgkmcnt(0)
	v_fma_f64 v[93:94], v[131:132], v[97:98], v[93:94]
	s_waitcnt vmcnt(25)
	v_fma_f64 v[103:104], v[103:104], v[99:100], v[93:94]
	ds_read2_b64 v[93:96], v92 offset0:77 offset1:78
	s_clause 0x1
	buffer_load_dword v131, off, s[0:3], 0 offset:80
	buffer_load_dword v132, off, s[0:3], 0 offset:84
	ds_read2_b64 v[97:100], v92 offset0:79 offset1:80
	s_waitcnt vmcnt(26) lgkmcnt(1)
	v_fma_f64 v[93:94], v[109:110], v[93:94], v[103:104]
	s_waitcnt vmcnt(25)
	v_fma_f64 v[93:94], v[107:108], v[95:96], v[93:94]
	s_waitcnt vmcnt(24) lgkmcnt(0)
	v_fma_f64 v[93:94], v[105:106], v[97:98], v[93:94]
	s_waitcnt vmcnt(19)
	v_fma_f64 v[103:104], v[111:112], v[99:100], v[93:94]
	ds_read2_b64 v[93:96], v92 offset0:81 offset1:82
	ds_read2_b64 v[97:100], v92 offset0:83 offset1:84
	s_waitcnt vmcnt(18) lgkmcnt(1)
	v_fma_f64 v[93:94], v[121:122], v[93:94], v[103:104]
	s_waitcnt vmcnt(17)
	v_fma_f64 v[93:94], v[115:116], v[95:96], v[93:94]
	s_waitcnt vmcnt(16) lgkmcnt(0)
	v_fma_f64 v[93:94], v[113:114], v[97:98], v[93:94]
	s_waitcnt vmcnt(11)
	v_fma_f64 v[103:104], v[117:118], v[99:100], v[93:94]
	ds_read2_b64 v[93:96], v92 offset0:85 offset1:86
	;; [unrolled: 10-line block ×3, first 2 shown]
	s_waitcnt vmcnt(3) lgkmcnt(0)
	v_fma_f64 v[92:93], v[127:128], v[92:93], v[96:97]
	s_waitcnt vmcnt(2)
	v_fma_f64 v[92:93], v[125:126], v[94:95], v[92:93]
	s_waitcnt vmcnt(0)
	v_add_f64 v[92:93], v[131:132], -v[92:93]
	buffer_store_dword v93, off, s[0:3], 0 offset:84
	buffer_store_dword v92, off, s[0:3], 0 offset:80
	v_cmpx_lt_u32_e32 9, v0
	s_cbranch_execz .LBB44_261
; %bb.260:
	s_clause 0x1
	buffer_load_dword v92, off, s[0:3], 0 offset:72
	buffer_load_dword v93, off, s[0:3], 0 offset:76
	v_mov_b32_e32 v94, 0
	buffer_store_dword v94, off, s[0:3], 0 offset:72
	buffer_store_dword v94, off, s[0:3], 0 offset:76
	s_waitcnt vmcnt(0)
	ds_write_b64 v91, v[92:93]
.LBB44_261:
	s_or_b32 exec_lo, exec_lo, s4
	s_waitcnt lgkmcnt(0)
	s_waitcnt_vscnt null, 0x0
	s_barrier
	buffer_gl0_inv
	s_clause 0x1c
	buffer_load_dword v101, off, s[0:3], 0 offset:80
	buffer_load_dword v102, off, s[0:3], 0 offset:84
	;; [unrolled: 1-line block ×29, first 2 shown]
	v_mov_b32_e32 v92, 0
	buffer_load_dword v126, off, s[0:3], 0 offset:196
	s_mov_b32 s4, exec_lo
	ds_read_b128 v[93:96], v92 offset:448
	ds_read_b128 v[97:100], v92 offset:464
	s_waitcnt vmcnt(28) lgkmcnt(1)
	v_fma_f64 v[93:94], v[101:102], v[93:94], 0
	s_clause 0x7
	buffer_load_dword v102, off, s[0:3], 0 offset:204
	buffer_load_dword v131, off, s[0:3], 0 offset:224
	buffer_load_dword v133, off, s[0:3], 0 offset:216
	buffer_load_dword v135, off, s[0:3], 0 offset:208
	buffer_load_dword v101, off, s[0:3], 0 offset:200
	buffer_load_dword v136, off, s[0:3], 0 offset:212
	buffer_load_dword v134, off, s[0:3], 0 offset:220
	buffer_load_dword v132, off, s[0:3], 0 offset:228
	s_waitcnt vmcnt(34)
	v_fma_f64 v[93:94], v[103:104], v[95:96], v[93:94]
	s_waitcnt vmcnt(32) lgkmcnt(0)
	v_fma_f64 v[93:94], v[105:106], v[97:98], v[93:94]
	s_waitcnt vmcnt(30)
	v_fma_f64 v[103:104], v[107:108], v[99:100], v[93:94]
	ds_read_b128 v[93:96], v92 offset:480
	ds_read_b128 v[97:100], v92 offset:496
	s_waitcnt vmcnt(28) lgkmcnt(1)
	v_fma_f64 v[93:94], v[109:110], v[93:94], v[103:104]
	s_clause 0x7
	buffer_load_dword v104, off, s[0:3], 0 offset:236
	buffer_load_dword v105, off, s[0:3], 0 offset:256
	buffer_load_dword v107, off, s[0:3], 0 offset:248
	buffer_load_dword v109, off, s[0:3], 0 offset:240
	buffer_load_dword v103, off, s[0:3], 0 offset:232
	buffer_load_dword v110, off, s[0:3], 0 offset:244
	buffer_load_dword v108, off, s[0:3], 0 offset:252
	buffer_load_dword v106, off, s[0:3], 0 offset:260
	s_waitcnt vmcnt(34)
	v_fma_f64 v[93:94], v[111:112], v[95:96], v[93:94]
	s_waitcnt vmcnt(32) lgkmcnt(0)
	v_fma_f64 v[93:94], v[113:114], v[97:98], v[93:94]
	s_waitcnt vmcnt(27)
	v_fma_f64 v[111:112], v[115:116], v[99:100], v[93:94]
	;; [unrolled: 19-line block ×5, first 2 shown]
	ds_read_b128 v[93:96], v92 offset:608
	ds_read_b128 v[97:100], v92 offset:624
	s_waitcnt vmcnt(26) lgkmcnt(1)
	v_fma_f64 v[93:94], v[109:110], v[93:94], v[103:104]
	s_clause 0x1
	buffer_load_dword v103, off, s[0:3], 0 offset:72
	buffer_load_dword v104, off, s[0:3], 0 offset:76
	s_waitcnt vmcnt(27)
	v_fma_f64 v[93:94], v[107:108], v[95:96], v[93:94]
	s_waitcnt vmcnt(26) lgkmcnt(0)
	v_fma_f64 v[93:94], v[105:106], v[97:98], v[93:94]
	s_waitcnt vmcnt(21)
	v_fma_f64 v[105:106], v[111:112], v[99:100], v[93:94]
	ds_read_b128 v[93:96], v92 offset:640
	ds_read_b128 v[97:100], v92 offset:656
	s_waitcnt vmcnt(20) lgkmcnt(1)
	v_fma_f64 v[93:94], v[121:122], v[93:94], v[105:106]
	s_waitcnt vmcnt(19)
	v_fma_f64 v[93:94], v[115:116], v[95:96], v[93:94]
	s_waitcnt vmcnt(18) lgkmcnt(0)
	v_fma_f64 v[93:94], v[113:114], v[97:98], v[93:94]
	s_waitcnt vmcnt(13)
	v_fma_f64 v[105:106], v[117:118], v[99:100], v[93:94]
	ds_read_b128 v[93:96], v92 offset:672
	ds_read_b128 v[97:100], v92 offset:688
	s_waitcnt vmcnt(12) lgkmcnt(1)
	v_fma_f64 v[93:94], v[129:130], v[93:94], v[105:106]
	s_waitcnt vmcnt(11)
	v_fma_f64 v[93:94], v[123:124], v[95:96], v[93:94]
	s_waitcnt vmcnt(10) lgkmcnt(0)
	v_fma_f64 v[93:94], v[119:120], v[97:98], v[93:94]
	s_waitcnt vmcnt(5)
	v_fma_f64 v[97:98], v[101:102], v[99:100], v[93:94]
	ds_read_b128 v[93:96], v92 offset:704
	ds_read_b64 v[99:100], v92 offset:720
	s_waitcnt vmcnt(4) lgkmcnt(1)
	v_fma_f64 v[93:94], v[135:136], v[93:94], v[97:98]
	s_waitcnt vmcnt(3)
	v_fma_f64 v[93:94], v[127:128], v[95:96], v[93:94]
	s_waitcnt vmcnt(2) lgkmcnt(0)
	v_fma_f64 v[93:94], v[125:126], v[99:100], v[93:94]
	s_waitcnt vmcnt(0)
	v_add_f64 v[93:94], v[103:104], -v[93:94]
	buffer_store_dword v94, off, s[0:3], 0 offset:76
	buffer_store_dword v93, off, s[0:3], 0 offset:72
	v_cmpx_lt_u32_e32 8, v0
	s_cbranch_execz .LBB44_263
; %bb.262:
	s_clause 0x1
	buffer_load_dword v93, off, s[0:3], 0 offset:64
	buffer_load_dword v94, off, s[0:3], 0 offset:68
	buffer_store_dword v92, off, s[0:3], 0 offset:64
	buffer_store_dword v92, off, s[0:3], 0 offset:68
	s_waitcnt vmcnt(0)
	ds_write_b64 v91, v[93:94]
.LBB44_263:
	s_or_b32 exec_lo, exec_lo, s4
	s_waitcnt lgkmcnt(0)
	s_waitcnt_vscnt null, 0x0
	s_barrier
	buffer_gl0_inv
	s_clause 0x1c
	buffer_load_dword v101, off, s[0:3], 0 offset:72
	buffer_load_dword v102, off, s[0:3], 0 offset:76
	buffer_load_dword v103, off, s[0:3], 0 offset:80
	buffer_load_dword v104, off, s[0:3], 0 offset:84
	buffer_load_dword v105, off, s[0:3], 0 offset:88
	buffer_load_dword v106, off, s[0:3], 0 offset:92
	buffer_load_dword v107, off, s[0:3], 0 offset:96
	buffer_load_dword v108, off, s[0:3], 0 offset:100
	buffer_load_dword v109, off, s[0:3], 0 offset:104
	buffer_load_dword v110, off, s[0:3], 0 offset:108
	buffer_load_dword v111, off, s[0:3], 0 offset:112
	buffer_load_dword v112, off, s[0:3], 0 offset:116
	buffer_load_dword v113, off, s[0:3], 0 offset:120
	buffer_load_dword v114, off, s[0:3], 0 offset:124
	buffer_load_dword v116, off, s[0:3], 0 offset:132
	buffer_load_dword v117, off, s[0:3], 0 offset:152
	buffer_load_dword v119, off, s[0:3], 0 offset:144
	buffer_load_dword v121, off, s[0:3], 0 offset:136
	buffer_load_dword v115, off, s[0:3], 0 offset:128
	buffer_load_dword v122, off, s[0:3], 0 offset:140
	buffer_load_dword v120, off, s[0:3], 0 offset:148
	buffer_load_dword v118, off, s[0:3], 0 offset:156
	buffer_load_dword v124, off, s[0:3], 0 offset:164
	buffer_load_dword v125, off, s[0:3], 0 offset:184
	buffer_load_dword v127, off, s[0:3], 0 offset:176
	buffer_load_dword v129, off, s[0:3], 0 offset:168
	buffer_load_dword v123, off, s[0:3], 0 offset:160
	buffer_load_dword v130, off, s[0:3], 0 offset:172
	buffer_load_dword v128, off, s[0:3], 0 offset:180
	ds_read2_b64 v[93:96], v92 offset0:55 offset1:56
	ds_read2_b64 v[97:100], v92 offset0:57 offset1:58
	buffer_load_dword v126, off, s[0:3], 0 offset:188
	s_mov_b32 s4, exec_lo
	s_waitcnt vmcnt(28) lgkmcnt(1)
	v_fma_f64 v[93:94], v[101:102], v[93:94], 0
	s_clause 0x7
	buffer_load_dword v102, off, s[0:3], 0 offset:196
	buffer_load_dword v131, off, s[0:3], 0 offset:216
	buffer_load_dword v133, off, s[0:3], 0 offset:208
	buffer_load_dword v135, off, s[0:3], 0 offset:200
	buffer_load_dword v101, off, s[0:3], 0 offset:192
	buffer_load_dword v136, off, s[0:3], 0 offset:204
	buffer_load_dword v134, off, s[0:3], 0 offset:212
	buffer_load_dword v132, off, s[0:3], 0 offset:220
	s_waitcnt vmcnt(34)
	v_fma_f64 v[93:94], v[103:104], v[95:96], v[93:94]
	s_waitcnt vmcnt(32) lgkmcnt(0)
	v_fma_f64 v[93:94], v[105:106], v[97:98], v[93:94]
	s_waitcnt vmcnt(30)
	v_fma_f64 v[103:104], v[107:108], v[99:100], v[93:94]
	ds_read2_b64 v[93:96], v92 offset0:59 offset1:60
	ds_read2_b64 v[97:100], v92 offset0:61 offset1:62
	s_waitcnt vmcnt(28) lgkmcnt(1)
	v_fma_f64 v[93:94], v[109:110], v[93:94], v[103:104]
	s_clause 0x7
	buffer_load_dword v104, off, s[0:3], 0 offset:228
	buffer_load_dword v105, off, s[0:3], 0 offset:248
	buffer_load_dword v107, off, s[0:3], 0 offset:240
	buffer_load_dword v109, off, s[0:3], 0 offset:232
	buffer_load_dword v103, off, s[0:3], 0 offset:224
	buffer_load_dword v110, off, s[0:3], 0 offset:236
	buffer_load_dword v108, off, s[0:3], 0 offset:244
	buffer_load_dword v106, off, s[0:3], 0 offset:252
	s_waitcnt vmcnt(34)
	v_fma_f64 v[93:94], v[111:112], v[95:96], v[93:94]
	s_waitcnt vmcnt(32) lgkmcnt(0)
	v_fma_f64 v[93:94], v[113:114], v[97:98], v[93:94]
	s_waitcnt vmcnt(27)
	v_fma_f64 v[111:112], v[115:116], v[99:100], v[93:94]
	ds_read2_b64 v[93:96], v92 offset0:63 offset1:64
	ds_read2_b64 v[97:100], v92 offset0:65 offset1:66
	;; [unrolled: 19-line block ×5, first 2 shown]
	s_waitcnt vmcnt(26) lgkmcnt(1)
	v_fma_f64 v[93:94], v[109:110], v[93:94], v[103:104]
	s_clause 0x1
	buffer_load_dword v104, off, s[0:3], 0 offset:356
	buffer_load_dword v103, off, s[0:3], 0 offset:352
	s_waitcnt vmcnt(27)
	v_fma_f64 v[93:94], v[107:108], v[95:96], v[93:94]
	s_clause 0x1
	buffer_load_dword v107, off, s[0:3], 0 offset:64
	buffer_load_dword v108, off, s[0:3], 0 offset:68
	s_waitcnt vmcnt(28) lgkmcnt(0)
	v_fma_f64 v[93:94], v[105:106], v[97:98], v[93:94]
	s_waitcnt vmcnt(23)
	v_fma_f64 v[105:106], v[111:112], v[99:100], v[93:94]
	ds_read2_b64 v[93:96], v92 offset0:79 offset1:80
	ds_read2_b64 v[97:100], v92 offset0:81 offset1:82
	s_waitcnt vmcnt(22) lgkmcnt(1)
	v_fma_f64 v[93:94], v[121:122], v[93:94], v[105:106]
	s_waitcnt vmcnt(21)
	v_fma_f64 v[93:94], v[115:116], v[95:96], v[93:94]
	s_waitcnt vmcnt(20) lgkmcnt(0)
	v_fma_f64 v[93:94], v[113:114], v[97:98], v[93:94]
	s_waitcnt vmcnt(15)
	v_fma_f64 v[105:106], v[117:118], v[99:100], v[93:94]
	ds_read2_b64 v[93:96], v92 offset0:83 offset1:84
	ds_read2_b64 v[97:100], v92 offset0:85 offset1:86
	s_waitcnt vmcnt(14) lgkmcnt(1)
	v_fma_f64 v[93:94], v[129:130], v[93:94], v[105:106]
	s_waitcnt vmcnt(13)
	v_fma_f64 v[93:94], v[123:124], v[95:96], v[93:94]
	;; [unrolled: 10-line block ×3, first 2 shown]
	s_waitcnt vmcnt(4) lgkmcnt(0)
	v_fma_f64 v[92:93], v[125:126], v[97:98], v[92:93]
	s_waitcnt vmcnt(2)
	v_fma_f64 v[92:93], v[103:104], v[99:100], v[92:93]
	s_waitcnt vmcnt(0)
	v_add_f64 v[92:93], v[107:108], -v[92:93]
	buffer_store_dword v93, off, s[0:3], 0 offset:68
	buffer_store_dword v92, off, s[0:3], 0 offset:64
	v_cmpx_lt_u32_e32 7, v0
	s_cbranch_execz .LBB44_265
; %bb.264:
	s_clause 0x1
	buffer_load_dword v92, off, s[0:3], 0 offset:56
	buffer_load_dword v93, off, s[0:3], 0 offset:60
	v_mov_b32_e32 v94, 0
	buffer_store_dword v94, off, s[0:3], 0 offset:56
	buffer_store_dword v94, off, s[0:3], 0 offset:60
	s_waitcnt vmcnt(0)
	ds_write_b64 v91, v[92:93]
.LBB44_265:
	s_or_b32 exec_lo, exec_lo, s4
	s_waitcnt lgkmcnt(0)
	s_waitcnt_vscnt null, 0x0
	s_barrier
	buffer_gl0_inv
	s_clause 0x1c
	buffer_load_dword v101, off, s[0:3], 0 offset:64
	buffer_load_dword v102, off, s[0:3], 0 offset:68
	;; [unrolled: 1-line block ×29, first 2 shown]
	v_mov_b32_e32 v92, 0
	buffer_load_dword v126, off, s[0:3], 0 offset:180
	s_mov_b32 s4, exec_lo
	ds_read_b128 v[93:96], v92 offset:432
	ds_read_b128 v[97:100], v92 offset:448
	s_waitcnt vmcnt(28) lgkmcnt(1)
	v_fma_f64 v[93:94], v[101:102], v[93:94], 0
	s_clause 0x7
	buffer_load_dword v102, off, s[0:3], 0 offset:188
	buffer_load_dword v131, off, s[0:3], 0 offset:208
	buffer_load_dword v133, off, s[0:3], 0 offset:200
	buffer_load_dword v135, off, s[0:3], 0 offset:192
	buffer_load_dword v101, off, s[0:3], 0 offset:184
	buffer_load_dword v136, off, s[0:3], 0 offset:196
	buffer_load_dword v134, off, s[0:3], 0 offset:204
	buffer_load_dword v132, off, s[0:3], 0 offset:212
	s_waitcnt vmcnt(34)
	v_fma_f64 v[93:94], v[103:104], v[95:96], v[93:94]
	s_waitcnt vmcnt(32) lgkmcnt(0)
	v_fma_f64 v[93:94], v[105:106], v[97:98], v[93:94]
	s_waitcnt vmcnt(30)
	v_fma_f64 v[103:104], v[107:108], v[99:100], v[93:94]
	ds_read_b128 v[93:96], v92 offset:464
	ds_read_b128 v[97:100], v92 offset:480
	s_waitcnt vmcnt(28) lgkmcnt(1)
	v_fma_f64 v[93:94], v[109:110], v[93:94], v[103:104]
	s_clause 0x7
	buffer_load_dword v104, off, s[0:3], 0 offset:220
	buffer_load_dword v105, off, s[0:3], 0 offset:240
	buffer_load_dword v107, off, s[0:3], 0 offset:232
	buffer_load_dword v109, off, s[0:3], 0 offset:224
	buffer_load_dword v103, off, s[0:3], 0 offset:216
	buffer_load_dword v110, off, s[0:3], 0 offset:228
	buffer_load_dword v108, off, s[0:3], 0 offset:236
	buffer_load_dword v106, off, s[0:3], 0 offset:244
	s_waitcnt vmcnt(34)
	v_fma_f64 v[93:94], v[111:112], v[95:96], v[93:94]
	s_waitcnt vmcnt(32) lgkmcnt(0)
	v_fma_f64 v[93:94], v[113:114], v[97:98], v[93:94]
	s_waitcnt vmcnt(27)
	v_fma_f64 v[111:112], v[115:116], v[99:100], v[93:94]
	;; [unrolled: 19-line block ×5, first 2 shown]
	ds_read_b128 v[93:96], v92 offset:592
	ds_read_b128 v[97:100], v92 offset:608
	s_waitcnt vmcnt(26) lgkmcnt(1)
	v_fma_f64 v[93:94], v[109:110], v[93:94], v[103:104]
	s_clause 0x3
	buffer_load_dword v104, off, s[0:3], 0 offset:348
	buffer_load_dword v109, off, s[0:3], 0 offset:352
	;; [unrolled: 1-line block ×4, first 2 shown]
	s_waitcnt vmcnt(29)
	v_fma_f64 v[93:94], v[107:108], v[95:96], v[93:94]
	s_waitcnt vmcnt(28) lgkmcnt(0)
	v_fma_f64 v[93:94], v[105:106], v[97:98], v[93:94]
	s_clause 0x1
	buffer_load_dword v105, off, s[0:3], 0 offset:56
	buffer_load_dword v106, off, s[0:3], 0 offset:60
	s_waitcnt vmcnt(25)
	v_fma_f64 v[107:108], v[111:112], v[99:100], v[93:94]
	ds_read_b128 v[93:96], v92 offset:624
	ds_read_b128 v[97:100], v92 offset:640
	s_waitcnt vmcnt(24) lgkmcnt(1)
	v_fma_f64 v[93:94], v[121:122], v[93:94], v[107:108]
	s_waitcnt vmcnt(23)
	v_fma_f64 v[93:94], v[115:116], v[95:96], v[93:94]
	s_waitcnt vmcnt(22) lgkmcnt(0)
	v_fma_f64 v[93:94], v[113:114], v[97:98], v[93:94]
	s_waitcnt vmcnt(17)
	v_fma_f64 v[107:108], v[117:118], v[99:100], v[93:94]
	ds_read_b128 v[93:96], v92 offset:656
	ds_read_b128 v[97:100], v92 offset:672
	s_waitcnt vmcnt(16) lgkmcnt(1)
	v_fma_f64 v[93:94], v[129:130], v[93:94], v[107:108]
	s_waitcnt vmcnt(15)
	v_fma_f64 v[93:94], v[123:124], v[95:96], v[93:94]
	s_waitcnt vmcnt(14) lgkmcnt(0)
	v_fma_f64 v[93:94], v[119:120], v[97:98], v[93:94]
	s_waitcnt vmcnt(9)
	v_fma_f64 v[101:102], v[101:102], v[99:100], v[93:94]
	ds_read_b128 v[93:96], v92 offset:688
	ds_read_b128 v[97:100], v92 offset:704
	s_waitcnt vmcnt(8) lgkmcnt(1)
	v_fma_f64 v[93:94], v[135:136], v[93:94], v[101:102]
	s_waitcnt vmcnt(7)
	v_fma_f64 v[93:94], v[127:128], v[95:96], v[93:94]
	ds_read_b64 v[95:96], v92 offset:720
	s_waitcnt vmcnt(6) lgkmcnt(1)
	v_fma_f64 v[93:94], v[125:126], v[97:98], v[93:94]
	s_waitcnt vmcnt(3)
	v_fma_f64 v[93:94], v[103:104], v[99:100], v[93:94]
	s_waitcnt vmcnt(2) lgkmcnt(0)
	v_fma_f64 v[93:94], v[109:110], v[95:96], v[93:94]
	s_waitcnt vmcnt(0)
	v_add_f64 v[93:94], v[105:106], -v[93:94]
	buffer_store_dword v94, off, s[0:3], 0 offset:60
	buffer_store_dword v93, off, s[0:3], 0 offset:56
	v_cmpx_lt_u32_e32 6, v0
	s_cbranch_execz .LBB44_267
; %bb.266:
	s_clause 0x1
	buffer_load_dword v93, off, s[0:3], 0 offset:48
	buffer_load_dword v94, off, s[0:3], 0 offset:52
	buffer_store_dword v92, off, s[0:3], 0 offset:48
	buffer_store_dword v92, off, s[0:3], 0 offset:52
	s_waitcnt vmcnt(0)
	ds_write_b64 v91, v[93:94]
.LBB44_267:
	s_or_b32 exec_lo, exec_lo, s4
	s_waitcnt lgkmcnt(0)
	s_waitcnt_vscnt null, 0x0
	s_barrier
	buffer_gl0_inv
	s_clause 0x1c
	buffer_load_dword v101, off, s[0:3], 0 offset:56
	buffer_load_dword v102, off, s[0:3], 0 offset:60
	;; [unrolled: 1-line block ×29, first 2 shown]
	ds_read2_b64 v[93:96], v92 offset0:53 offset1:54
	ds_read2_b64 v[97:100], v92 offset0:55 offset1:56
	buffer_load_dword v126, off, s[0:3], 0 offset:172
	s_mov_b32 s4, exec_lo
	s_waitcnt vmcnt(28) lgkmcnt(1)
	v_fma_f64 v[93:94], v[101:102], v[93:94], 0
	s_clause 0x7
	buffer_load_dword v102, off, s[0:3], 0 offset:180
	buffer_load_dword v131, off, s[0:3], 0 offset:200
	buffer_load_dword v133, off, s[0:3], 0 offset:192
	buffer_load_dword v135, off, s[0:3], 0 offset:184
	buffer_load_dword v101, off, s[0:3], 0 offset:176
	buffer_load_dword v136, off, s[0:3], 0 offset:188
	buffer_load_dword v134, off, s[0:3], 0 offset:196
	buffer_load_dword v132, off, s[0:3], 0 offset:204
	s_waitcnt vmcnt(34)
	v_fma_f64 v[93:94], v[103:104], v[95:96], v[93:94]
	s_waitcnt vmcnt(32) lgkmcnt(0)
	v_fma_f64 v[93:94], v[105:106], v[97:98], v[93:94]
	s_waitcnt vmcnt(30)
	v_fma_f64 v[103:104], v[107:108], v[99:100], v[93:94]
	ds_read2_b64 v[93:96], v92 offset0:57 offset1:58
	ds_read2_b64 v[97:100], v92 offset0:59 offset1:60
	s_waitcnt vmcnt(28) lgkmcnt(1)
	v_fma_f64 v[93:94], v[109:110], v[93:94], v[103:104]
	s_clause 0x7
	buffer_load_dword v104, off, s[0:3], 0 offset:212
	buffer_load_dword v105, off, s[0:3], 0 offset:232
	buffer_load_dword v107, off, s[0:3], 0 offset:224
	buffer_load_dword v109, off, s[0:3], 0 offset:216
	buffer_load_dword v103, off, s[0:3], 0 offset:208
	buffer_load_dword v110, off, s[0:3], 0 offset:220
	buffer_load_dword v108, off, s[0:3], 0 offset:228
	buffer_load_dword v106, off, s[0:3], 0 offset:236
	s_waitcnt vmcnt(34)
	v_fma_f64 v[93:94], v[111:112], v[95:96], v[93:94]
	s_waitcnt vmcnt(32) lgkmcnt(0)
	v_fma_f64 v[93:94], v[113:114], v[97:98], v[93:94]
	s_waitcnt vmcnt(27)
	v_fma_f64 v[111:112], v[115:116], v[99:100], v[93:94]
	ds_read2_b64 v[93:96], v92 offset0:61 offset1:62
	ds_read2_b64 v[97:100], v92 offset0:63 offset1:64
	;; [unrolled: 19-line block ×5, first 2 shown]
	s_waitcnt vmcnt(26) lgkmcnt(1)
	v_fma_f64 v[93:94], v[109:110], v[93:94], v[103:104]
	s_clause 0x5
	buffer_load_dword v104, off, s[0:3], 0 offset:340
	buffer_load_dword v109, off, s[0:3], 0 offset:352
	;; [unrolled: 1-line block ×6, first 2 shown]
	s_waitcnt vmcnt(31)
	v_fma_f64 v[93:94], v[107:108], v[95:96], v[93:94]
	s_waitcnt vmcnt(30) lgkmcnt(0)
	v_fma_f64 v[93:94], v[105:106], v[97:98], v[93:94]
	s_waitcnt vmcnt(25)
	v_fma_f64 v[105:106], v[111:112], v[99:100], v[93:94]
	ds_read2_b64 v[93:96], v92 offset0:77 offset1:78
	s_clause 0x1
	buffer_load_dword v107, off, s[0:3], 0 offset:48
	buffer_load_dword v108, off, s[0:3], 0 offset:52
	ds_read2_b64 v[97:100], v92 offset0:79 offset1:80
	s_waitcnt vmcnt(26) lgkmcnt(1)
	v_fma_f64 v[93:94], v[121:122], v[93:94], v[105:106]
	s_waitcnt vmcnt(25)
	v_fma_f64 v[93:94], v[115:116], v[95:96], v[93:94]
	s_waitcnt vmcnt(24) lgkmcnt(0)
	v_fma_f64 v[93:94], v[113:114], v[97:98], v[93:94]
	s_waitcnt vmcnt(19)
	v_fma_f64 v[105:106], v[117:118], v[99:100], v[93:94]
	ds_read2_b64 v[93:96], v92 offset0:81 offset1:82
	ds_read2_b64 v[97:100], v92 offset0:83 offset1:84
	s_waitcnt vmcnt(18) lgkmcnt(1)
	v_fma_f64 v[93:94], v[129:130], v[93:94], v[105:106]
	s_waitcnt vmcnt(17)
	v_fma_f64 v[93:94], v[123:124], v[95:96], v[93:94]
	s_waitcnt vmcnt(16) lgkmcnt(0)
	v_fma_f64 v[93:94], v[119:120], v[97:98], v[93:94]
	s_waitcnt vmcnt(11)
	v_fma_f64 v[101:102], v[101:102], v[99:100], v[93:94]
	ds_read2_b64 v[93:96], v92 offset0:85 offset1:86
	;; [unrolled: 10-line block ×3, first 2 shown]
	s_waitcnt vmcnt(3) lgkmcnt(0)
	v_fma_f64 v[92:93], v[131:132], v[92:93], v[96:97]
	s_waitcnt vmcnt(2)
	v_fma_f64 v[92:93], v[109:110], v[94:95], v[92:93]
	s_waitcnt vmcnt(0)
	v_add_f64 v[92:93], v[107:108], -v[92:93]
	buffer_store_dword v93, off, s[0:3], 0 offset:52
	buffer_store_dword v92, off, s[0:3], 0 offset:48
	v_cmpx_lt_u32_e32 5, v0
	s_cbranch_execz .LBB44_269
; %bb.268:
	s_clause 0x1
	buffer_load_dword v92, off, s[0:3], 0 offset:40
	buffer_load_dword v93, off, s[0:3], 0 offset:44
	v_mov_b32_e32 v94, 0
	buffer_store_dword v94, off, s[0:3], 0 offset:40
	buffer_store_dword v94, off, s[0:3], 0 offset:44
	s_waitcnt vmcnt(0)
	ds_write_b64 v91, v[92:93]
.LBB44_269:
	s_or_b32 exec_lo, exec_lo, s4
	s_waitcnt lgkmcnt(0)
	s_waitcnt_vscnt null, 0x0
	s_barrier
	buffer_gl0_inv
	s_clause 0x1c
	buffer_load_dword v101, off, s[0:3], 0 offset:48
	buffer_load_dword v102, off, s[0:3], 0 offset:52
	;; [unrolled: 1-line block ×29, first 2 shown]
	v_mov_b32_e32 v92, 0
	buffer_load_dword v126, off, s[0:3], 0 offset:164
	s_mov_b32 s4, exec_lo
	ds_read_b128 v[93:96], v92 offset:416
	ds_read_b128 v[97:100], v92 offset:432
	s_waitcnt vmcnt(28) lgkmcnt(1)
	v_fma_f64 v[93:94], v[101:102], v[93:94], 0
	s_clause 0x7
	buffer_load_dword v102, off, s[0:3], 0 offset:172
	buffer_load_dword v131, off, s[0:3], 0 offset:192
	buffer_load_dword v133, off, s[0:3], 0 offset:184
	buffer_load_dword v135, off, s[0:3], 0 offset:176
	buffer_load_dword v101, off, s[0:3], 0 offset:168
	buffer_load_dword v136, off, s[0:3], 0 offset:180
	buffer_load_dword v134, off, s[0:3], 0 offset:188
	buffer_load_dword v132, off, s[0:3], 0 offset:196
	s_waitcnt vmcnt(34)
	v_fma_f64 v[93:94], v[103:104], v[95:96], v[93:94]
	s_waitcnt vmcnt(32) lgkmcnt(0)
	v_fma_f64 v[93:94], v[105:106], v[97:98], v[93:94]
	s_waitcnt vmcnt(30)
	v_fma_f64 v[103:104], v[107:108], v[99:100], v[93:94]
	ds_read_b128 v[93:96], v92 offset:448
	ds_read_b128 v[97:100], v92 offset:464
	s_waitcnt vmcnt(28) lgkmcnt(1)
	v_fma_f64 v[93:94], v[109:110], v[93:94], v[103:104]
	s_clause 0x7
	buffer_load_dword v104, off, s[0:3], 0 offset:204
	buffer_load_dword v105, off, s[0:3], 0 offset:224
	buffer_load_dword v107, off, s[0:3], 0 offset:216
	buffer_load_dword v109, off, s[0:3], 0 offset:208
	buffer_load_dword v103, off, s[0:3], 0 offset:200
	buffer_load_dword v110, off, s[0:3], 0 offset:212
	buffer_load_dword v108, off, s[0:3], 0 offset:220
	buffer_load_dword v106, off, s[0:3], 0 offset:228
	s_waitcnt vmcnt(34)
	v_fma_f64 v[93:94], v[111:112], v[95:96], v[93:94]
	s_waitcnt vmcnt(32) lgkmcnt(0)
	v_fma_f64 v[93:94], v[113:114], v[97:98], v[93:94]
	s_waitcnt vmcnt(27)
	v_fma_f64 v[111:112], v[115:116], v[99:100], v[93:94]
	;; [unrolled: 19-line block ×6, first 2 shown]
	ds_read_b128 v[93:96], v92 offset:608
	ds_read_b128 v[97:100], v92 offset:624
	s_waitcnt vmcnt(26) lgkmcnt(1)
	v_fma_f64 v[93:94], v[121:122], v[93:94], v[105:106]
	s_clause 0x1
	buffer_load_dword v105, off, s[0:3], 0 offset:40
	buffer_load_dword v106, off, s[0:3], 0 offset:44
	s_waitcnt vmcnt(27)
	v_fma_f64 v[93:94], v[115:116], v[95:96], v[93:94]
	s_waitcnt vmcnt(26) lgkmcnt(0)
	v_fma_f64 v[93:94], v[113:114], v[97:98], v[93:94]
	s_waitcnt vmcnt(21)
	v_fma_f64 v[107:108], v[117:118], v[99:100], v[93:94]
	ds_read_b128 v[93:96], v92 offset:640
	ds_read_b128 v[97:100], v92 offset:656
	s_waitcnt vmcnt(20) lgkmcnt(1)
	v_fma_f64 v[93:94], v[129:130], v[93:94], v[107:108]
	s_waitcnt vmcnt(19)
	v_fma_f64 v[93:94], v[123:124], v[95:96], v[93:94]
	s_waitcnt vmcnt(18) lgkmcnt(0)
	v_fma_f64 v[93:94], v[119:120], v[97:98], v[93:94]
	s_waitcnt vmcnt(13)
	v_fma_f64 v[101:102], v[101:102], v[99:100], v[93:94]
	ds_read_b128 v[93:96], v92 offset:672
	ds_read_b128 v[97:100], v92 offset:688
	s_waitcnt vmcnt(12) lgkmcnt(1)
	v_fma_f64 v[93:94], v[135:136], v[93:94], v[101:102]
	s_waitcnt vmcnt(11)
	v_fma_f64 v[93:94], v[127:128], v[95:96], v[93:94]
	s_waitcnt vmcnt(10) lgkmcnt(0)
	v_fma_f64 v[93:94], v[125:126], v[97:98], v[93:94]
	s_waitcnt vmcnt(5)
	v_fma_f64 v[97:98], v[103:104], v[99:100], v[93:94]
	ds_read_b128 v[93:96], v92 offset:704
	ds_read_b64 v[99:100], v92 offset:720
	s_waitcnt vmcnt(4) lgkmcnt(1)
	v_fma_f64 v[93:94], v[133:134], v[93:94], v[97:98]
	s_waitcnt vmcnt(3)
	v_fma_f64 v[93:94], v[131:132], v[95:96], v[93:94]
	s_waitcnt vmcnt(2) lgkmcnt(0)
	v_fma_f64 v[93:94], v[109:110], v[99:100], v[93:94]
	s_waitcnt vmcnt(0)
	v_add_f64 v[93:94], v[105:106], -v[93:94]
	buffer_store_dword v94, off, s[0:3], 0 offset:44
	buffer_store_dword v93, off, s[0:3], 0 offset:40
	v_cmpx_lt_u32_e32 4, v0
	s_cbranch_execz .LBB44_271
; %bb.270:
	s_clause 0x1
	buffer_load_dword v93, off, s[0:3], 0 offset:32
	buffer_load_dword v94, off, s[0:3], 0 offset:36
	buffer_store_dword v92, off, s[0:3], 0 offset:32
	buffer_store_dword v92, off, s[0:3], 0 offset:36
	s_waitcnt vmcnt(0)
	ds_write_b64 v91, v[93:94]
.LBB44_271:
	s_or_b32 exec_lo, exec_lo, s4
	s_waitcnt lgkmcnt(0)
	s_waitcnt_vscnt null, 0x0
	s_barrier
	buffer_gl0_inv
	s_clause 0x1c
	buffer_load_dword v101, off, s[0:3], 0 offset:40
	buffer_load_dword v102, off, s[0:3], 0 offset:44
	;; [unrolled: 1-line block ×29, first 2 shown]
	ds_read2_b64 v[93:96], v92 offset0:51 offset1:52
	ds_read2_b64 v[97:100], v92 offset0:53 offset1:54
	buffer_load_dword v126, off, s[0:3], 0 offset:156
	s_mov_b32 s4, exec_lo
	s_waitcnt vmcnt(28) lgkmcnt(1)
	v_fma_f64 v[93:94], v[101:102], v[93:94], 0
	s_clause 0x7
	buffer_load_dword v102, off, s[0:3], 0 offset:164
	buffer_load_dword v131, off, s[0:3], 0 offset:184
	buffer_load_dword v133, off, s[0:3], 0 offset:176
	buffer_load_dword v135, off, s[0:3], 0 offset:168
	buffer_load_dword v101, off, s[0:3], 0 offset:160
	buffer_load_dword v136, off, s[0:3], 0 offset:172
	buffer_load_dword v134, off, s[0:3], 0 offset:180
	buffer_load_dword v132, off, s[0:3], 0 offset:188
	s_waitcnt vmcnt(34)
	v_fma_f64 v[93:94], v[103:104], v[95:96], v[93:94]
	s_waitcnt vmcnt(32) lgkmcnt(0)
	v_fma_f64 v[93:94], v[105:106], v[97:98], v[93:94]
	s_waitcnt vmcnt(30)
	v_fma_f64 v[103:104], v[107:108], v[99:100], v[93:94]
	ds_read2_b64 v[93:96], v92 offset0:55 offset1:56
	ds_read2_b64 v[97:100], v92 offset0:57 offset1:58
	s_waitcnt vmcnt(28) lgkmcnt(1)
	v_fma_f64 v[93:94], v[109:110], v[93:94], v[103:104]
	s_clause 0x7
	buffer_load_dword v104, off, s[0:3], 0 offset:196
	buffer_load_dword v105, off, s[0:3], 0 offset:216
	buffer_load_dword v107, off, s[0:3], 0 offset:208
	buffer_load_dword v109, off, s[0:3], 0 offset:200
	buffer_load_dword v103, off, s[0:3], 0 offset:192
	buffer_load_dword v110, off, s[0:3], 0 offset:204
	buffer_load_dword v108, off, s[0:3], 0 offset:212
	buffer_load_dword v106, off, s[0:3], 0 offset:220
	s_waitcnt vmcnt(34)
	v_fma_f64 v[93:94], v[111:112], v[95:96], v[93:94]
	s_waitcnt vmcnt(32) lgkmcnt(0)
	v_fma_f64 v[93:94], v[113:114], v[97:98], v[93:94]
	s_waitcnt vmcnt(27)
	v_fma_f64 v[111:112], v[115:116], v[99:100], v[93:94]
	ds_read2_b64 v[93:96], v92 offset0:59 offset1:60
	ds_read2_b64 v[97:100], v92 offset0:61 offset1:62
	;; [unrolled: 19-line block ×6, first 2 shown]
	s_waitcnt vmcnt(26) lgkmcnt(1)
	v_fma_f64 v[93:94], v[121:122], v[93:94], v[105:106]
	s_clause 0x3
	buffer_load_dword v106, off, s[0:3], 0 offset:356
	buffer_load_dword v105, off, s[0:3], 0 offset:352
	;; [unrolled: 1-line block ×4, first 2 shown]
	s_waitcnt vmcnt(29)
	v_fma_f64 v[93:94], v[115:116], v[95:96], v[93:94]
	s_waitcnt vmcnt(28) lgkmcnt(0)
	v_fma_f64 v[93:94], v[113:114], v[97:98], v[93:94]
	s_waitcnt vmcnt(23)
	v_fma_f64 v[111:112], v[117:118], v[99:100], v[93:94]
	ds_read2_b64 v[93:96], v92 offset0:79 offset1:80
	ds_read2_b64 v[97:100], v92 offset0:81 offset1:82
	s_waitcnt vmcnt(22) lgkmcnt(1)
	v_fma_f64 v[93:94], v[129:130], v[93:94], v[111:112]
	s_waitcnt vmcnt(21)
	v_fma_f64 v[93:94], v[123:124], v[95:96], v[93:94]
	s_waitcnt vmcnt(20) lgkmcnt(0)
	v_fma_f64 v[93:94], v[119:120], v[97:98], v[93:94]
	s_waitcnt vmcnt(15)
	v_fma_f64 v[101:102], v[101:102], v[99:100], v[93:94]
	ds_read2_b64 v[93:96], v92 offset0:83 offset1:84
	ds_read2_b64 v[97:100], v92 offset0:85 offset1:86
	s_waitcnt vmcnt(14) lgkmcnt(1)
	v_fma_f64 v[93:94], v[135:136], v[93:94], v[101:102]
	;; [unrolled: 10-line block ×3, first 2 shown]
	s_waitcnt vmcnt(5)
	v_fma_f64 v[92:93], v[131:132], v[95:96], v[92:93]
	s_waitcnt vmcnt(4) lgkmcnt(0)
	v_fma_f64 v[92:93], v[109:110], v[97:98], v[92:93]
	s_waitcnt vmcnt(2)
	v_fma_f64 v[92:93], v[105:106], v[99:100], v[92:93]
	s_waitcnt vmcnt(0)
	v_add_f64 v[92:93], v[107:108], -v[92:93]
	buffer_store_dword v93, off, s[0:3], 0 offset:36
	buffer_store_dword v92, off, s[0:3], 0 offset:32
	v_cmpx_lt_u32_e32 3, v0
	s_cbranch_execz .LBB44_273
; %bb.272:
	s_clause 0x1
	buffer_load_dword v92, off, s[0:3], 0 offset:24
	buffer_load_dword v93, off, s[0:3], 0 offset:28
	v_mov_b32_e32 v94, 0
	buffer_store_dword v94, off, s[0:3], 0 offset:24
	buffer_store_dword v94, off, s[0:3], 0 offset:28
	s_waitcnt vmcnt(0)
	ds_write_b64 v91, v[92:93]
.LBB44_273:
	s_or_b32 exec_lo, exec_lo, s4
	s_waitcnt lgkmcnt(0)
	s_waitcnt_vscnt null, 0x0
	s_barrier
	buffer_gl0_inv
	s_clause 0x1c
	buffer_load_dword v101, off, s[0:3], 0 offset:32
	buffer_load_dword v102, off, s[0:3], 0 offset:36
	;; [unrolled: 1-line block ×29, first 2 shown]
	v_mov_b32_e32 v92, 0
	buffer_load_dword v126, off, s[0:3], 0 offset:148
	s_mov_b32 s4, exec_lo
	ds_read_b128 v[93:96], v92 offset:400
	ds_read_b128 v[97:100], v92 offset:416
	s_waitcnt vmcnt(28) lgkmcnt(1)
	v_fma_f64 v[93:94], v[101:102], v[93:94], 0
	s_clause 0x7
	buffer_load_dword v102, off, s[0:3], 0 offset:156
	buffer_load_dword v131, off, s[0:3], 0 offset:176
	buffer_load_dword v133, off, s[0:3], 0 offset:168
	buffer_load_dword v135, off, s[0:3], 0 offset:160
	buffer_load_dword v101, off, s[0:3], 0 offset:152
	buffer_load_dword v136, off, s[0:3], 0 offset:164
	buffer_load_dword v134, off, s[0:3], 0 offset:172
	buffer_load_dword v132, off, s[0:3], 0 offset:180
	s_waitcnt vmcnt(34)
	v_fma_f64 v[93:94], v[103:104], v[95:96], v[93:94]
	s_waitcnt vmcnt(32) lgkmcnt(0)
	v_fma_f64 v[93:94], v[105:106], v[97:98], v[93:94]
	s_waitcnt vmcnt(30)
	v_fma_f64 v[103:104], v[107:108], v[99:100], v[93:94]
	ds_read_b128 v[93:96], v92 offset:432
	ds_read_b128 v[97:100], v92 offset:448
	s_waitcnt vmcnt(28) lgkmcnt(1)
	v_fma_f64 v[93:94], v[109:110], v[93:94], v[103:104]
	s_clause 0x7
	buffer_load_dword v104, off, s[0:3], 0 offset:188
	buffer_load_dword v105, off, s[0:3], 0 offset:208
	buffer_load_dword v107, off, s[0:3], 0 offset:200
	buffer_load_dword v109, off, s[0:3], 0 offset:192
	buffer_load_dword v103, off, s[0:3], 0 offset:184
	buffer_load_dword v110, off, s[0:3], 0 offset:196
	buffer_load_dword v108, off, s[0:3], 0 offset:204
	buffer_load_dword v106, off, s[0:3], 0 offset:212
	s_waitcnt vmcnt(34)
	v_fma_f64 v[93:94], v[111:112], v[95:96], v[93:94]
	s_waitcnt vmcnt(32) lgkmcnt(0)
	v_fma_f64 v[93:94], v[113:114], v[97:98], v[93:94]
	s_waitcnt vmcnt(27)
	v_fma_f64 v[111:112], v[115:116], v[99:100], v[93:94]
	;; [unrolled: 19-line block ×6, first 2 shown]
	ds_read_b128 v[93:96], v92 offset:592
	ds_read_b128 v[97:100], v92 offset:608
	s_waitcnt vmcnt(26) lgkmcnt(1)
	v_fma_f64 v[93:94], v[121:122], v[93:94], v[105:106]
	s_clause 0x5
	buffer_load_dword v106, off, s[0:3], 0 offset:348
	buffer_load_dword v107, off, s[0:3], 0 offset:352
	;; [unrolled: 1-line block ×6, first 2 shown]
	s_waitcnt vmcnt(31)
	v_fma_f64 v[93:94], v[115:116], v[95:96], v[93:94]
	s_waitcnt vmcnt(30) lgkmcnt(0)
	v_fma_f64 v[93:94], v[113:114], v[97:98], v[93:94]
	s_waitcnt vmcnt(25)
	v_fma_f64 v[113:114], v[117:118], v[99:100], v[93:94]
	ds_read_b128 v[93:96], v92 offset:624
	ds_read_b128 v[97:100], v92 offset:640
	s_waitcnt vmcnt(24) lgkmcnt(1)
	v_fma_f64 v[93:94], v[129:130], v[93:94], v[113:114]
	s_waitcnt vmcnt(23)
	v_fma_f64 v[93:94], v[123:124], v[95:96], v[93:94]
	s_waitcnt vmcnt(22) lgkmcnt(0)
	v_fma_f64 v[93:94], v[119:120], v[97:98], v[93:94]
	s_waitcnt vmcnt(17)
	v_fma_f64 v[101:102], v[101:102], v[99:100], v[93:94]
	ds_read_b128 v[93:96], v92 offset:656
	ds_read_b128 v[97:100], v92 offset:672
	s_waitcnt vmcnt(16) lgkmcnt(1)
	v_fma_f64 v[93:94], v[135:136], v[93:94], v[101:102]
	;; [unrolled: 10-line block ×3, first 2 shown]
	s_waitcnt vmcnt(7)
	v_fma_f64 v[93:94], v[131:132], v[95:96], v[93:94]
	ds_read_b64 v[95:96], v92 offset:720
	s_waitcnt vmcnt(6) lgkmcnt(1)
	v_fma_f64 v[93:94], v[109:110], v[97:98], v[93:94]
	s_waitcnt vmcnt(3)
	v_fma_f64 v[93:94], v[105:106], v[99:100], v[93:94]
	s_waitcnt vmcnt(2) lgkmcnt(0)
	v_fma_f64 v[93:94], v[107:108], v[95:96], v[93:94]
	s_waitcnt vmcnt(0)
	v_add_f64 v[93:94], v[111:112], -v[93:94]
	buffer_store_dword v94, off, s[0:3], 0 offset:28
	buffer_store_dword v93, off, s[0:3], 0 offset:24
	v_cmpx_lt_u32_e32 2, v0
	s_cbranch_execz .LBB44_275
; %bb.274:
	s_clause 0x1
	buffer_load_dword v93, off, s[0:3], 0 offset:16
	buffer_load_dword v94, off, s[0:3], 0 offset:20
	buffer_store_dword v92, off, s[0:3], 0 offset:16
	buffer_store_dword v92, off, s[0:3], 0 offset:20
	s_waitcnt vmcnt(0)
	ds_write_b64 v91, v[93:94]
.LBB44_275:
	s_or_b32 exec_lo, exec_lo, s4
	s_waitcnt lgkmcnt(0)
	s_waitcnt_vscnt null, 0x0
	s_barrier
	buffer_gl0_inv
	s_clause 0x1c
	buffer_load_dword v101, off, s[0:3], 0 offset:24
	buffer_load_dword v102, off, s[0:3], 0 offset:28
	;; [unrolled: 1-line block ×29, first 2 shown]
	ds_read2_b64 v[93:96], v92 offset0:49 offset1:50
	ds_read2_b64 v[97:100], v92 offset0:51 offset1:52
	buffer_load_dword v126, off, s[0:3], 0 offset:140
	s_mov_b32 s4, exec_lo
	s_waitcnt vmcnt(28) lgkmcnt(1)
	v_fma_f64 v[93:94], v[101:102], v[93:94], 0
	s_clause 0x7
	buffer_load_dword v102, off, s[0:3], 0 offset:148
	buffer_load_dword v131, off, s[0:3], 0 offset:168
	buffer_load_dword v133, off, s[0:3], 0 offset:160
	buffer_load_dword v135, off, s[0:3], 0 offset:152
	buffer_load_dword v101, off, s[0:3], 0 offset:144
	buffer_load_dword v136, off, s[0:3], 0 offset:156
	buffer_load_dword v134, off, s[0:3], 0 offset:164
	buffer_load_dword v132, off, s[0:3], 0 offset:172
	s_waitcnt vmcnt(34)
	v_fma_f64 v[93:94], v[103:104], v[95:96], v[93:94]
	s_waitcnt vmcnt(32) lgkmcnt(0)
	v_fma_f64 v[93:94], v[105:106], v[97:98], v[93:94]
	s_waitcnt vmcnt(30)
	v_fma_f64 v[103:104], v[107:108], v[99:100], v[93:94]
	ds_read2_b64 v[93:96], v92 offset0:53 offset1:54
	ds_read2_b64 v[97:100], v92 offset0:55 offset1:56
	s_waitcnt vmcnt(28) lgkmcnt(1)
	v_fma_f64 v[93:94], v[109:110], v[93:94], v[103:104]
	s_clause 0x7
	buffer_load_dword v104, off, s[0:3], 0 offset:180
	buffer_load_dword v105, off, s[0:3], 0 offset:200
	buffer_load_dword v107, off, s[0:3], 0 offset:192
	buffer_load_dword v109, off, s[0:3], 0 offset:184
	buffer_load_dword v103, off, s[0:3], 0 offset:176
	buffer_load_dword v110, off, s[0:3], 0 offset:188
	buffer_load_dword v108, off, s[0:3], 0 offset:196
	buffer_load_dword v106, off, s[0:3], 0 offset:204
	s_waitcnt vmcnt(34)
	v_fma_f64 v[93:94], v[111:112], v[95:96], v[93:94]
	s_waitcnt vmcnt(32) lgkmcnt(0)
	v_fma_f64 v[93:94], v[113:114], v[97:98], v[93:94]
	s_waitcnt vmcnt(27)
	v_fma_f64 v[111:112], v[115:116], v[99:100], v[93:94]
	ds_read2_b64 v[93:96], v92 offset0:57 offset1:58
	ds_read2_b64 v[97:100], v92 offset0:59 offset1:60
	s_waitcnt vmcnt(26) lgkmcnt(1)
	v_fma_f64 v[93:94], v[121:122], v[93:94], v[111:112]
	s_clause 0x7
	buffer_load_dword v112, off, s[0:3], 0 offset:212
	buffer_load_dword v113, off, s[0:3], 0 offset:232
	buffer_load_dword v115, off, s[0:3], 0 offset:224
	buffer_load_dword v121, off, s[0:3], 0 offset:216
	buffer_load_dword v111, off, s[0:3], 0 offset:208
	buffer_load_dword v122, off, s[0:3], 0 offset:220
	buffer_load_dword v116, off, s[0:3], 0 offset:228
	buffer_load_dword v114, off, s[0:3], 0 offset:236
	s_waitcnt vmcnt(33)
	v_fma_f64 v[93:94], v[119:120], v[95:96], v[93:94]
	s_waitcnt vmcnt(32) lgkmcnt(0)
	v_fma_f64 v[93:94], v[117:118], v[97:98], v[93:94]
	s_waitcnt vmcnt(27)
	v_fma_f64 v[117:118], v[123:124], v[99:100], v[93:94]
	ds_read2_b64 v[93:96], v92 offset0:61 offset1:62
	ds_read2_b64 v[97:100], v92 offset0:63 offset1:64
	s_waitcnt vmcnt(26) lgkmcnt(1)
	v_fma_f64 v[93:94], v[129:130], v[93:94], v[117:118]
	s_clause 0x7
	buffer_load_dword v118, off, s[0:3], 0 offset:244
	buffer_load_dword v119, off, s[0:3], 0 offset:264
	buffer_load_dword v123, off, s[0:3], 0 offset:256
	buffer_load_dword v129, off, s[0:3], 0 offset:248
	buffer_load_dword v117, off, s[0:3], 0 offset:240
	buffer_load_dword v130, off, s[0:3], 0 offset:252
	buffer_load_dword v124, off, s[0:3], 0 offset:260
	buffer_load_dword v120, off, s[0:3], 0 offset:268
	s_waitcnt vmcnt(33)
	v_fma_f64 v[93:94], v[127:128], v[95:96], v[93:94]
	s_waitcnt vmcnt(32) lgkmcnt(0)
	v_fma_f64 v[93:94], v[125:126], v[97:98], v[93:94]
	s_waitcnt vmcnt(27)
	v_fma_f64 v[101:102], v[101:102], v[99:100], v[93:94]
	ds_read2_b64 v[93:96], v92 offset0:65 offset1:66
	ds_read2_b64 v[97:100], v92 offset0:67 offset1:68
	s_waitcnt vmcnt(26) lgkmcnt(1)
	v_fma_f64 v[93:94], v[135:136], v[93:94], v[101:102]
	s_clause 0x7
	buffer_load_dword v102, off, s[0:3], 0 offset:276
	buffer_load_dword v125, off, s[0:3], 0 offset:296
	buffer_load_dword v127, off, s[0:3], 0 offset:288
	buffer_load_dword v135, off, s[0:3], 0 offset:280
	buffer_load_dword v101, off, s[0:3], 0 offset:272
	buffer_load_dword v136, off, s[0:3], 0 offset:284
	buffer_load_dword v128, off, s[0:3], 0 offset:292
	buffer_load_dword v126, off, s[0:3], 0 offset:300
	s_waitcnt vmcnt(33)
	v_fma_f64 v[93:94], v[133:134], v[95:96], v[93:94]
	s_waitcnt vmcnt(32) lgkmcnt(0)
	v_fma_f64 v[93:94], v[131:132], v[97:98], v[93:94]
	s_waitcnt vmcnt(27)
	v_fma_f64 v[103:104], v[103:104], v[99:100], v[93:94]
	ds_read2_b64 v[93:96], v92 offset0:69 offset1:70
	ds_read2_b64 v[97:100], v92 offset0:71 offset1:72
	s_waitcnt vmcnt(26) lgkmcnt(1)
	v_fma_f64 v[93:94], v[109:110], v[93:94], v[103:104]
	s_clause 0x7
	buffer_load_dword v104, off, s[0:3], 0 offset:308
	buffer_load_dword v109, off, s[0:3], 0 offset:328
	buffer_load_dword v131, off, s[0:3], 0 offset:320
	buffer_load_dword v133, off, s[0:3], 0 offset:312
	buffer_load_dword v103, off, s[0:3], 0 offset:304
	buffer_load_dword v134, off, s[0:3], 0 offset:316
	buffer_load_dword v132, off, s[0:3], 0 offset:324
	buffer_load_dword v110, off, s[0:3], 0 offset:332
	s_waitcnt vmcnt(33)
	v_fma_f64 v[93:94], v[107:108], v[95:96], v[93:94]
	s_waitcnt vmcnt(32) lgkmcnt(0)
	v_fma_f64 v[93:94], v[105:106], v[97:98], v[93:94]
	s_waitcnt vmcnt(27)
	v_fma_f64 v[105:106], v[111:112], v[99:100], v[93:94]
	ds_read2_b64 v[93:96], v92 offset0:73 offset1:74
	ds_read2_b64 v[97:100], v92 offset0:75 offset1:76
	s_waitcnt vmcnt(26) lgkmcnt(1)
	v_fma_f64 v[93:94], v[121:122], v[93:94], v[105:106]
	s_clause 0x5
	buffer_load_dword v106, off, s[0:3], 0 offset:340
	buffer_load_dword v107, off, s[0:3], 0 offset:352
	;; [unrolled: 1-line block ×6, first 2 shown]
	s_waitcnt vmcnt(31)
	v_fma_f64 v[93:94], v[115:116], v[95:96], v[93:94]
	s_waitcnt vmcnt(30) lgkmcnt(0)
	v_fma_f64 v[93:94], v[113:114], v[97:98], v[93:94]
	s_waitcnt vmcnt(25)
	v_fma_f64 v[113:114], v[117:118], v[99:100], v[93:94]
	ds_read2_b64 v[93:96], v92 offset0:77 offset1:78
	s_clause 0x1
	buffer_load_dword v115, off, s[0:3], 0 offset:16
	buffer_load_dword v116, off, s[0:3], 0 offset:20
	ds_read2_b64 v[97:100], v92 offset0:79 offset1:80
	s_waitcnt vmcnt(26) lgkmcnt(1)
	v_fma_f64 v[93:94], v[129:130], v[93:94], v[113:114]
	s_waitcnt vmcnt(25)
	v_fma_f64 v[93:94], v[123:124], v[95:96], v[93:94]
	s_waitcnt vmcnt(24) lgkmcnt(0)
	v_fma_f64 v[93:94], v[119:120], v[97:98], v[93:94]
	s_waitcnt vmcnt(19)
	v_fma_f64 v[101:102], v[101:102], v[99:100], v[93:94]
	ds_read2_b64 v[93:96], v92 offset0:81 offset1:82
	ds_read2_b64 v[97:100], v92 offset0:83 offset1:84
	s_waitcnt vmcnt(18) lgkmcnt(1)
	v_fma_f64 v[93:94], v[135:136], v[93:94], v[101:102]
	s_waitcnt vmcnt(17)
	v_fma_f64 v[93:94], v[127:128], v[95:96], v[93:94]
	s_waitcnt vmcnt(16) lgkmcnt(0)
	v_fma_f64 v[93:94], v[125:126], v[97:98], v[93:94]
	s_waitcnt vmcnt(11)
	v_fma_f64 v[101:102], v[103:104], v[99:100], v[93:94]
	ds_read2_b64 v[93:96], v92 offset0:85 offset1:86
	;; [unrolled: 10-line block ×3, first 2 shown]
	s_waitcnt vmcnt(3) lgkmcnt(0)
	v_fma_f64 v[92:93], v[111:112], v[92:93], v[96:97]
	s_waitcnt vmcnt(2)
	v_fma_f64 v[92:93], v[107:108], v[94:95], v[92:93]
	s_waitcnt vmcnt(0)
	v_add_f64 v[92:93], v[115:116], -v[92:93]
	buffer_store_dword v93, off, s[0:3], 0 offset:20
	buffer_store_dword v92, off, s[0:3], 0 offset:16
	v_cmpx_lt_u32_e32 1, v0
	s_cbranch_execz .LBB44_277
; %bb.276:
	s_clause 0x1
	buffer_load_dword v92, off, s[0:3], 0 offset:8
	buffer_load_dword v93, off, s[0:3], 0 offset:12
	v_mov_b32_e32 v94, 0
	buffer_store_dword v94, off, s[0:3], 0 offset:8
	buffer_store_dword v94, off, s[0:3], 0 offset:12
	s_waitcnt vmcnt(0)
	ds_write_b64 v91, v[92:93]
.LBB44_277:
	s_or_b32 exec_lo, exec_lo, s4
	s_waitcnt lgkmcnt(0)
	s_waitcnt_vscnt null, 0x0
	s_barrier
	buffer_gl0_inv
	s_clause 0x1c
	buffer_load_dword v101, off, s[0:3], 0 offset:16
	buffer_load_dword v102, off, s[0:3], 0 offset:20
	;; [unrolled: 1-line block ×29, first 2 shown]
	v_mov_b32_e32 v92, 0
	buffer_load_dword v126, off, s[0:3], 0 offset:132
	s_mov_b32 s4, exec_lo
	ds_read_b128 v[93:96], v92 offset:384
	ds_read_b128 v[97:100], v92 offset:400
	s_waitcnt vmcnt(28) lgkmcnt(1)
	v_fma_f64 v[93:94], v[101:102], v[93:94], 0
	s_clause 0x7
	buffer_load_dword v102, off, s[0:3], 0 offset:140
	buffer_load_dword v131, off, s[0:3], 0 offset:160
	buffer_load_dword v133, off, s[0:3], 0 offset:152
	buffer_load_dword v135, off, s[0:3], 0 offset:144
	buffer_load_dword v101, off, s[0:3], 0 offset:136
	buffer_load_dword v136, off, s[0:3], 0 offset:148
	buffer_load_dword v134, off, s[0:3], 0 offset:156
	buffer_load_dword v132, off, s[0:3], 0 offset:164
	s_waitcnt vmcnt(34)
	v_fma_f64 v[93:94], v[103:104], v[95:96], v[93:94]
	s_waitcnt vmcnt(32) lgkmcnt(0)
	v_fma_f64 v[93:94], v[105:106], v[97:98], v[93:94]
	s_waitcnt vmcnt(30)
	v_fma_f64 v[103:104], v[107:108], v[99:100], v[93:94]
	ds_read_b128 v[93:96], v92 offset:416
	ds_read_b128 v[97:100], v92 offset:432
	s_waitcnt vmcnt(28) lgkmcnt(1)
	v_fma_f64 v[93:94], v[109:110], v[93:94], v[103:104]
	s_clause 0x7
	buffer_load_dword v104, off, s[0:3], 0 offset:172
	buffer_load_dword v105, off, s[0:3], 0 offset:192
	buffer_load_dword v107, off, s[0:3], 0 offset:184
	buffer_load_dword v109, off, s[0:3], 0 offset:176
	buffer_load_dword v103, off, s[0:3], 0 offset:168
	buffer_load_dword v110, off, s[0:3], 0 offset:180
	buffer_load_dword v108, off, s[0:3], 0 offset:188
	buffer_load_dword v106, off, s[0:3], 0 offset:196
	s_waitcnt vmcnt(34)
	v_fma_f64 v[93:94], v[111:112], v[95:96], v[93:94]
	s_waitcnt vmcnt(32) lgkmcnt(0)
	v_fma_f64 v[93:94], v[113:114], v[97:98], v[93:94]
	s_waitcnt vmcnt(27)
	v_fma_f64 v[111:112], v[115:116], v[99:100], v[93:94]
	;; [unrolled: 19-line block ×7, first 2 shown]
	ds_read_b128 v[93:96], v92 offset:608
	ds_read_b128 v[97:100], v92 offset:624
	s_waitcnt vmcnt(26) lgkmcnt(1)
	v_fma_f64 v[93:94], v[129:130], v[93:94], v[113:114]
	s_clause 0x1
	buffer_load_dword v113, off, s[0:3], 0 offset:8
	buffer_load_dword v114, off, s[0:3], 0 offset:12
	s_waitcnt vmcnt(27)
	v_fma_f64 v[93:94], v[123:124], v[95:96], v[93:94]
	s_waitcnt vmcnt(26) lgkmcnt(0)
	v_fma_f64 v[93:94], v[119:120], v[97:98], v[93:94]
	s_waitcnt vmcnt(21)
	v_fma_f64 v[101:102], v[101:102], v[99:100], v[93:94]
	ds_read_b128 v[93:96], v92 offset:640
	ds_read_b128 v[97:100], v92 offset:656
	s_waitcnt vmcnt(20) lgkmcnt(1)
	v_fma_f64 v[93:94], v[135:136], v[93:94], v[101:102]
	s_waitcnt vmcnt(19)
	v_fma_f64 v[93:94], v[127:128], v[95:96], v[93:94]
	s_waitcnt vmcnt(18) lgkmcnt(0)
	v_fma_f64 v[93:94], v[125:126], v[97:98], v[93:94]
	s_waitcnt vmcnt(13)
	v_fma_f64 v[101:102], v[103:104], v[99:100], v[93:94]
	ds_read_b128 v[93:96], v92 offset:672
	ds_read_b128 v[97:100], v92 offset:688
	s_waitcnt vmcnt(12) lgkmcnt(1)
	v_fma_f64 v[93:94], v[133:134], v[93:94], v[101:102]
	s_waitcnt vmcnt(11)
	v_fma_f64 v[93:94], v[131:132], v[95:96], v[93:94]
	s_waitcnt vmcnt(10) lgkmcnt(0)
	v_fma_f64 v[93:94], v[109:110], v[97:98], v[93:94]
	s_waitcnt vmcnt(5)
	v_fma_f64 v[97:98], v[105:106], v[99:100], v[93:94]
	ds_read_b128 v[93:96], v92 offset:704
	ds_read_b64 v[99:100], v92 offset:720
	s_waitcnt vmcnt(4) lgkmcnt(1)
	v_fma_f64 v[93:94], v[121:122], v[93:94], v[97:98]
	s_waitcnt vmcnt(3)
	v_fma_f64 v[93:94], v[111:112], v[95:96], v[93:94]
	s_waitcnt vmcnt(2) lgkmcnt(0)
	v_fma_f64 v[93:94], v[107:108], v[99:100], v[93:94]
	s_waitcnt vmcnt(0)
	v_add_f64 v[93:94], v[113:114], -v[93:94]
	buffer_store_dword v94, off, s[0:3], 0 offset:12
	buffer_store_dword v93, off, s[0:3], 0 offset:8
	v_cmpx_ne_u32_e32 0, v0
	s_cbranch_execz .LBB44_279
; %bb.278:
	s_clause 0x1
	buffer_load_dword v93, off, s[0:3], 0
	buffer_load_dword v94, off, s[0:3], 0 offset:4
	buffer_store_dword v92, off, s[0:3], 0
	buffer_store_dword v92, off, s[0:3], 0 offset:4
	s_waitcnt vmcnt(0)
	ds_write_b64 v91, v[93:94]
.LBB44_279:
	s_or_b32 exec_lo, exec_lo, s4
	s_waitcnt lgkmcnt(0)
	s_waitcnt_vscnt null, 0x0
	s_barrier
	buffer_gl0_inv
	s_clause 0x1c
	buffer_load_dword v101, off, s[0:3], 0 offset:8
	buffer_load_dword v102, off, s[0:3], 0 offset:12
	;; [unrolled: 1-line block ×29, first 2 shown]
	ds_read2_b64 v[93:96], v92 offset0:47 offset1:48
	ds_read2_b64 v[97:100], v92 offset0:49 offset1:50
	buffer_load_dword v126, off, s[0:3], 0 offset:124
	s_and_b32 vcc_lo, exec_lo, s22
	s_waitcnt vmcnt(28) lgkmcnt(1)
	v_fma_f64 v[93:94], v[101:102], v[93:94], 0
	s_clause 0x7
	buffer_load_dword v102, off, s[0:3], 0 offset:132
	buffer_load_dword v131, off, s[0:3], 0 offset:152
	buffer_load_dword v133, off, s[0:3], 0 offset:144
	buffer_load_dword v135, off, s[0:3], 0 offset:136
	buffer_load_dword v101, off, s[0:3], 0 offset:128
	buffer_load_dword v136, off, s[0:3], 0 offset:140
	buffer_load_dword v134, off, s[0:3], 0 offset:148
	buffer_load_dword v132, off, s[0:3], 0 offset:156
	s_waitcnt vmcnt(34)
	v_fma_f64 v[93:94], v[103:104], v[95:96], v[93:94]
	s_waitcnt vmcnt(32) lgkmcnt(0)
	v_fma_f64 v[93:94], v[105:106], v[97:98], v[93:94]
	s_waitcnt vmcnt(30)
	v_fma_f64 v[103:104], v[107:108], v[99:100], v[93:94]
	ds_read2_b64 v[93:96], v92 offset0:51 offset1:52
	ds_read2_b64 v[97:100], v92 offset0:53 offset1:54
	s_waitcnt vmcnt(28) lgkmcnt(1)
	v_fma_f64 v[93:94], v[109:110], v[93:94], v[103:104]
	s_clause 0x7
	buffer_load_dword v104, off, s[0:3], 0 offset:164
	buffer_load_dword v105, off, s[0:3], 0 offset:184
	buffer_load_dword v107, off, s[0:3], 0 offset:176
	buffer_load_dword v109, off, s[0:3], 0 offset:168
	buffer_load_dword v103, off, s[0:3], 0 offset:160
	buffer_load_dword v110, off, s[0:3], 0 offset:172
	buffer_load_dword v108, off, s[0:3], 0 offset:180
	buffer_load_dword v106, off, s[0:3], 0 offset:188
	s_waitcnt vmcnt(34)
	v_fma_f64 v[93:94], v[111:112], v[95:96], v[93:94]
	s_waitcnt vmcnt(32) lgkmcnt(0)
	v_fma_f64 v[93:94], v[113:114], v[97:98], v[93:94]
	s_waitcnt vmcnt(27)
	v_fma_f64 v[111:112], v[115:116], v[99:100], v[93:94]
	ds_read2_b64 v[93:96], v92 offset0:55 offset1:56
	ds_read2_b64 v[97:100], v92 offset0:57 offset1:58
	s_waitcnt vmcnt(26) lgkmcnt(1)
	v_fma_f64 v[93:94], v[121:122], v[93:94], v[111:112]
	s_clause 0x7
	buffer_load_dword v112, off, s[0:3], 0 offset:196
	buffer_load_dword v113, off, s[0:3], 0 offset:216
	buffer_load_dword v115, off, s[0:3], 0 offset:208
	buffer_load_dword v121, off, s[0:3], 0 offset:200
	buffer_load_dword v111, off, s[0:3], 0 offset:192
	buffer_load_dword v122, off, s[0:3], 0 offset:204
	buffer_load_dword v116, off, s[0:3], 0 offset:212
	buffer_load_dword v114, off, s[0:3], 0 offset:220
	s_waitcnt vmcnt(33)
	v_fma_f64 v[93:94], v[119:120], v[95:96], v[93:94]
	s_waitcnt vmcnt(32) lgkmcnt(0)
	v_fma_f64 v[93:94], v[117:118], v[97:98], v[93:94]
	s_waitcnt vmcnt(27)
	v_fma_f64 v[117:118], v[123:124], v[99:100], v[93:94]
	ds_read2_b64 v[93:96], v92 offset0:59 offset1:60
	ds_read2_b64 v[97:100], v92 offset0:61 offset1:62
	s_waitcnt vmcnt(26) lgkmcnt(1)
	v_fma_f64 v[93:94], v[129:130], v[93:94], v[117:118]
	s_clause 0x7
	buffer_load_dword v118, off, s[0:3], 0 offset:228
	buffer_load_dword v119, off, s[0:3], 0 offset:248
	buffer_load_dword v123, off, s[0:3], 0 offset:240
	buffer_load_dword v129, off, s[0:3], 0 offset:232
	buffer_load_dword v117, off, s[0:3], 0 offset:224
	buffer_load_dword v130, off, s[0:3], 0 offset:236
	buffer_load_dword v124, off, s[0:3], 0 offset:244
	buffer_load_dword v120, off, s[0:3], 0 offset:252
	s_waitcnt vmcnt(33)
	v_fma_f64 v[93:94], v[127:128], v[95:96], v[93:94]
	s_waitcnt vmcnt(32) lgkmcnt(0)
	v_fma_f64 v[93:94], v[125:126], v[97:98], v[93:94]
	s_waitcnt vmcnt(27)
	v_fma_f64 v[101:102], v[101:102], v[99:100], v[93:94]
	ds_read2_b64 v[93:96], v92 offset0:63 offset1:64
	ds_read2_b64 v[97:100], v92 offset0:65 offset1:66
	s_waitcnt vmcnt(26) lgkmcnt(1)
	v_fma_f64 v[93:94], v[135:136], v[93:94], v[101:102]
	s_clause 0x7
	buffer_load_dword v126, off, s[0:3], 0 offset:260
	buffer_load_dword v127, off, s[0:3], 0 offset:280
	buffer_load_dword v135, off, s[0:3], 0 offset:272
	buffer_load_dword v137, off, s[0:3], 0 offset:264
	buffer_load_dword v125, off, s[0:3], 0 offset:256
	buffer_load_dword v138, off, s[0:3], 0 offset:268
	buffer_load_dword v136, off, s[0:3], 0 offset:276
	buffer_load_dword v128, off, s[0:3], 0 offset:284
	s_waitcnt vmcnt(33)
	v_fma_f64 v[93:94], v[133:134], v[95:96], v[93:94]
	s_waitcnt vmcnt(32) lgkmcnt(0)
	v_fma_f64 v[93:94], v[131:132], v[97:98], v[93:94]
	s_waitcnt vmcnt(27)
	v_fma_f64 v[101:102], v[103:104], v[99:100], v[93:94]
	ds_read2_b64 v[93:96], v92 offset0:67 offset1:68
	ds_read2_b64 v[97:100], v92 offset0:69 offset1:70
	s_waitcnt vmcnt(26) lgkmcnt(1)
	v_fma_f64 v[93:94], v[109:110], v[93:94], v[101:102]
	s_clause 0x7
	buffer_load_dword v104, off, s[0:3], 0 offset:292
	buffer_load_dword v109, off, s[0:3], 0 offset:312
	buffer_load_dword v131, off, s[0:3], 0 offset:304
	buffer_load_dword v133, off, s[0:3], 0 offset:296
	buffer_load_dword v103, off, s[0:3], 0 offset:288
	buffer_load_dword v134, off, s[0:3], 0 offset:300
	buffer_load_dword v132, off, s[0:3], 0 offset:308
	buffer_load_dword v110, off, s[0:3], 0 offset:316
	s_waitcnt vmcnt(33)
	v_fma_f64 v[93:94], v[107:108], v[95:96], v[93:94]
	s_waitcnt vmcnt(32) lgkmcnt(0)
	v_fma_f64 v[93:94], v[105:106], v[97:98], v[93:94]
	s_waitcnt vmcnt(27)
	v_fma_f64 v[101:102], v[111:112], v[99:100], v[93:94]
	ds_read2_b64 v[93:96], v92 offset0:71 offset1:72
	ds_read2_b64 v[97:100], v92 offset0:73 offset1:74
	s_waitcnt vmcnt(26) lgkmcnt(1)
	v_fma_f64 v[101:102], v[121:122], v[93:94], v[101:102]
	s_clause 0x6
	buffer_load_dword v106, off, s[0:3], 0 offset:324
	buffer_load_dword v93, off, s[0:3], 0 offset:344
	;; [unrolled: 1-line block ×7, first 2 shown]
	s_waitcnt vmcnt(32)
	v_fma_f64 v[94:95], v[115:116], v[95:96], v[101:102]
	s_waitcnt vmcnt(31) lgkmcnt(0)
	v_fma_f64 v[94:95], v[113:114], v[97:98], v[94:95]
	s_waitcnt vmcnt(26)
	v_fma_f64 v[113:114], v[117:118], v[99:100], v[94:95]
	ds_read2_b64 v[95:98], v92 offset0:75 offset1:76
	ds_read2_b64 v[99:102], v92 offset0:77 offset1:78
	buffer_load_dword v94, off, s[0:3], 0 offset:348
	s_waitcnt vmcnt(26) lgkmcnt(1)
	v_fma_f64 v[95:96], v[129:130], v[95:96], v[113:114]
	s_clause 0x3
	buffer_load_dword v114, off, s[0:3], 0 offset:356
	buffer_load_dword v113, off, s[0:3], 0 offset:352
	buffer_load_dword v115, off, s[0:3], 0
	buffer_load_dword v116, off, s[0:3], 0 offset:4
	s_waitcnt vmcnt(29)
	v_fma_f64 v[95:96], v[123:124], v[97:98], v[95:96]
	s_waitcnt vmcnt(28) lgkmcnt(0)
	v_fma_f64 v[95:96], v[119:120], v[99:100], v[95:96]
	s_waitcnt vmcnt(23)
	v_fma_f64 v[117:118], v[125:126], v[101:102], v[95:96]
	ds_read2_b64 v[95:98], v92 offset0:79 offset1:80
	ds_read2_b64 v[99:102], v92 offset0:81 offset1:82
	s_waitcnt vmcnt(22) lgkmcnt(1)
	v_fma_f64 v[95:96], v[137:138], v[95:96], v[117:118]
	s_waitcnt vmcnt(21)
	v_fma_f64 v[95:96], v[135:136], v[97:98], v[95:96]
	s_waitcnt vmcnt(20) lgkmcnt(0)
	v_fma_f64 v[95:96], v[127:128], v[99:100], v[95:96]
	s_waitcnt vmcnt(15)
	v_fma_f64 v[103:104], v[103:104], v[101:102], v[95:96]
	ds_read2_b64 v[95:98], v92 offset0:83 offset1:84
	ds_read2_b64 v[99:102], v92 offset0:85 offset1:86
	s_waitcnt vmcnt(14) lgkmcnt(1)
	v_fma_f64 v[95:96], v[133:134], v[95:96], v[103:104]
	;; [unrolled: 10-line block ×3, first 2 shown]
	s_waitcnt vmcnt(5)
	v_fma_f64 v[91:92], v[107:108], v[97:98], v[91:92]
	s_waitcnt vmcnt(4) lgkmcnt(0)
	v_fma_f64 v[91:92], v[93:94], v[99:100], v[91:92]
	s_waitcnt vmcnt(2)
	v_fma_f64 v[91:92], v[113:114], v[101:102], v[91:92]
	s_waitcnt vmcnt(0)
	v_add_f64 v[91:92], v[115:116], -v[91:92]
	buffer_store_dword v92, off, s[0:3], 0 offset:4
	buffer_store_dword v91, off, s[0:3], 0
	s_cbranch_vccz .LBB44_368
; %bb.280:
	v_mov_b32_e32 v0, 0
	global_load_dword v91, v0, s[20:21] offset:172
	s_waitcnt vmcnt(0)
	v_add_nc_u32_e32 v91, -1, v91
	v_cmp_ne_u32_e32 vcc_lo, 43, v91
	s_cbranch_vccz .LBB44_282
; %bb.281:
	v_lshlrev_b32_e32 v91, 3, v91
	s_clause 0x1
	buffer_load_dword v92, v91, s[0:3], 0 offen
	buffer_load_dword v95, v91, s[0:3], 0 offen offset:4
	s_waitcnt vmcnt(1)
	buffer_store_dword v92, off, s[0:3], 0 offset:344
	s_waitcnt vmcnt(0)
	buffer_store_dword v95, off, s[0:3], 0 offset:348
	buffer_store_dword v93, v91, s[0:3], 0 offen
	buffer_store_dword v94, v91, s[0:3], 0 offen offset:4
.LBB44_282:
	global_load_dword v0, v0, s[20:21] offset:168
	s_waitcnt vmcnt(0)
	v_add_nc_u32_e32 v0, -1, v0
	v_cmp_eq_u32_e32 vcc_lo, 42, v0
	s_cbranch_vccnz .LBB44_284
; %bb.283:
	v_lshlrev_b32_e32 v0, 3, v0
	s_clause 0x3
	buffer_load_dword v91, v0, s[0:3], 0 offen
	buffer_load_dword v92, v0, s[0:3], 0 offen offset:4
	buffer_load_dword v93, off, s[0:3], 0 offset:340
	buffer_load_dword v94, off, s[0:3], 0 offset:336
	s_waitcnt vmcnt(3)
	buffer_store_dword v91, off, s[0:3], 0 offset:336
	s_waitcnt vmcnt(2)
	buffer_store_dword v92, off, s[0:3], 0 offset:340
	s_waitcnt vmcnt(1)
	buffer_store_dword v93, v0, s[0:3], 0 offen offset:4
	s_waitcnt vmcnt(0)
	buffer_store_dword v94, v0, s[0:3], 0 offen
.LBB44_284:
	v_mov_b32_e32 v0, 0
	global_load_dword v91, v0, s[20:21] offset:164
	s_waitcnt vmcnt(0)
	v_add_nc_u32_e32 v91, -1, v91
	v_cmp_eq_u32_e32 vcc_lo, 41, v91
	s_cbranch_vccnz .LBB44_286
; %bb.285:
	v_lshlrev_b32_e32 v91, 3, v91
	s_clause 0x3
	buffer_load_dword v92, v91, s[0:3], 0 offen
	buffer_load_dword v93, v91, s[0:3], 0 offen offset:4
	buffer_load_dword v94, off, s[0:3], 0 offset:328
	buffer_load_dword v95, off, s[0:3], 0 offset:332
	s_waitcnt vmcnt(3)
	buffer_store_dword v92, off, s[0:3], 0 offset:328
	s_waitcnt vmcnt(2)
	buffer_store_dword v93, off, s[0:3], 0 offset:332
	s_waitcnt vmcnt(1)
	buffer_store_dword v94, v91, s[0:3], 0 offen
	s_waitcnt vmcnt(0)
	buffer_store_dword v95, v91, s[0:3], 0 offen offset:4
.LBB44_286:
	global_load_dword v0, v0, s[20:21] offset:160
	s_waitcnt vmcnt(0)
	v_add_nc_u32_e32 v0, -1, v0
	v_cmp_eq_u32_e32 vcc_lo, 40, v0
	s_cbranch_vccnz .LBB44_288
; %bb.287:
	v_lshlrev_b32_e32 v0, 3, v0
	s_clause 0x3
	buffer_load_dword v91, v0, s[0:3], 0 offen
	buffer_load_dword v92, v0, s[0:3], 0 offen offset:4
	buffer_load_dword v93, off, s[0:3], 0 offset:324
	buffer_load_dword v94, off, s[0:3], 0 offset:320
	s_waitcnt vmcnt(3)
	buffer_store_dword v91, off, s[0:3], 0 offset:320
	s_waitcnt vmcnt(2)
	buffer_store_dword v92, off, s[0:3], 0 offset:324
	s_waitcnt vmcnt(1)
	buffer_store_dword v93, v0, s[0:3], 0 offen offset:4
	s_waitcnt vmcnt(0)
	buffer_store_dword v94, v0, s[0:3], 0 offen
.LBB44_288:
	v_mov_b32_e32 v0, 0
	global_load_dword v91, v0, s[20:21] offset:156
	s_waitcnt vmcnt(0)
	v_add_nc_u32_e32 v91, -1, v91
	v_cmp_eq_u32_e32 vcc_lo, 39, v91
	s_cbranch_vccnz .LBB44_290
; %bb.289:
	v_lshlrev_b32_e32 v91, 3, v91
	s_clause 0x3
	buffer_load_dword v92, v91, s[0:3], 0 offen
	buffer_load_dword v93, v91, s[0:3], 0 offen offset:4
	buffer_load_dword v94, off, s[0:3], 0 offset:312
	buffer_load_dword v95, off, s[0:3], 0 offset:316
	s_waitcnt vmcnt(3)
	buffer_store_dword v92, off, s[0:3], 0 offset:312
	s_waitcnt vmcnt(2)
	buffer_store_dword v93, off, s[0:3], 0 offset:316
	s_waitcnt vmcnt(1)
	buffer_store_dword v94, v91, s[0:3], 0 offen
	s_waitcnt vmcnt(0)
	buffer_store_dword v95, v91, s[0:3], 0 offen offset:4
.LBB44_290:
	global_load_dword v0, v0, s[20:21] offset:152
	s_waitcnt vmcnt(0)
	v_add_nc_u32_e32 v0, -1, v0
	v_cmp_eq_u32_e32 vcc_lo, 38, v0
	s_cbranch_vccnz .LBB44_292
; %bb.291:
	v_lshlrev_b32_e32 v0, 3, v0
	s_clause 0x3
	buffer_load_dword v91, v0, s[0:3], 0 offen
	buffer_load_dword v92, v0, s[0:3], 0 offen offset:4
	buffer_load_dword v93, off, s[0:3], 0 offset:308
	buffer_load_dword v94, off, s[0:3], 0 offset:304
	s_waitcnt vmcnt(3)
	buffer_store_dword v91, off, s[0:3], 0 offset:304
	s_waitcnt vmcnt(2)
	buffer_store_dword v92, off, s[0:3], 0 offset:308
	s_waitcnt vmcnt(1)
	buffer_store_dword v93, v0, s[0:3], 0 offen offset:4
	s_waitcnt vmcnt(0)
	buffer_store_dword v94, v0, s[0:3], 0 offen
.LBB44_292:
	v_mov_b32_e32 v0, 0
	global_load_dword v91, v0, s[20:21] offset:148
	s_waitcnt vmcnt(0)
	v_add_nc_u32_e32 v91, -1, v91
	v_cmp_eq_u32_e32 vcc_lo, 37, v91
	s_cbranch_vccnz .LBB44_294
; %bb.293:
	v_lshlrev_b32_e32 v91, 3, v91
	s_clause 0x3
	buffer_load_dword v92, v91, s[0:3], 0 offen
	buffer_load_dword v93, v91, s[0:3], 0 offen offset:4
	buffer_load_dword v94, off, s[0:3], 0 offset:296
	buffer_load_dword v95, off, s[0:3], 0 offset:300
	s_waitcnt vmcnt(3)
	buffer_store_dword v92, off, s[0:3], 0 offset:296
	s_waitcnt vmcnt(2)
	buffer_store_dword v93, off, s[0:3], 0 offset:300
	s_waitcnt vmcnt(1)
	buffer_store_dword v94, v91, s[0:3], 0 offen
	s_waitcnt vmcnt(0)
	buffer_store_dword v95, v91, s[0:3], 0 offen offset:4
.LBB44_294:
	global_load_dword v0, v0, s[20:21] offset:144
	s_waitcnt vmcnt(0)
	v_add_nc_u32_e32 v0, -1, v0
	v_cmp_eq_u32_e32 vcc_lo, 36, v0
	s_cbranch_vccnz .LBB44_296
; %bb.295:
	v_lshlrev_b32_e32 v0, 3, v0
	s_clause 0x3
	buffer_load_dword v91, v0, s[0:3], 0 offen
	buffer_load_dword v92, v0, s[0:3], 0 offen offset:4
	buffer_load_dword v93, off, s[0:3], 0 offset:292
	buffer_load_dword v94, off, s[0:3], 0 offset:288
	s_waitcnt vmcnt(3)
	buffer_store_dword v91, off, s[0:3], 0 offset:288
	s_waitcnt vmcnt(2)
	buffer_store_dword v92, off, s[0:3], 0 offset:292
	s_waitcnt vmcnt(1)
	buffer_store_dword v93, v0, s[0:3], 0 offen offset:4
	s_waitcnt vmcnt(0)
	buffer_store_dword v94, v0, s[0:3], 0 offen
.LBB44_296:
	v_mov_b32_e32 v0, 0
	global_load_dword v91, v0, s[20:21] offset:140
	s_waitcnt vmcnt(0)
	v_add_nc_u32_e32 v91, -1, v91
	v_cmp_eq_u32_e32 vcc_lo, 35, v91
	s_cbranch_vccnz .LBB44_298
; %bb.297:
	v_lshlrev_b32_e32 v91, 3, v91
	s_clause 0x3
	buffer_load_dword v92, v91, s[0:3], 0 offen
	buffer_load_dword v93, v91, s[0:3], 0 offen offset:4
	buffer_load_dword v94, off, s[0:3], 0 offset:280
	buffer_load_dword v95, off, s[0:3], 0 offset:284
	s_waitcnt vmcnt(3)
	buffer_store_dword v92, off, s[0:3], 0 offset:280
	s_waitcnt vmcnt(2)
	buffer_store_dword v93, off, s[0:3], 0 offset:284
	s_waitcnt vmcnt(1)
	buffer_store_dword v94, v91, s[0:3], 0 offen
	s_waitcnt vmcnt(0)
	buffer_store_dword v95, v91, s[0:3], 0 offen offset:4
.LBB44_298:
	global_load_dword v0, v0, s[20:21] offset:136
	s_waitcnt vmcnt(0)
	v_add_nc_u32_e32 v0, -1, v0
	v_cmp_eq_u32_e32 vcc_lo, 34, v0
	s_cbranch_vccnz .LBB44_300
; %bb.299:
	v_lshlrev_b32_e32 v0, 3, v0
	s_clause 0x3
	buffer_load_dword v91, v0, s[0:3], 0 offen
	buffer_load_dword v92, v0, s[0:3], 0 offen offset:4
	buffer_load_dword v93, off, s[0:3], 0 offset:276
	buffer_load_dword v94, off, s[0:3], 0 offset:272
	s_waitcnt vmcnt(3)
	buffer_store_dword v91, off, s[0:3], 0 offset:272
	s_waitcnt vmcnt(2)
	buffer_store_dword v92, off, s[0:3], 0 offset:276
	s_waitcnt vmcnt(1)
	buffer_store_dword v93, v0, s[0:3], 0 offen offset:4
	s_waitcnt vmcnt(0)
	buffer_store_dword v94, v0, s[0:3], 0 offen
.LBB44_300:
	v_mov_b32_e32 v0, 0
	global_load_dword v91, v0, s[20:21] offset:132
	s_waitcnt vmcnt(0)
	v_add_nc_u32_e32 v91, -1, v91
	v_cmp_eq_u32_e32 vcc_lo, 33, v91
	s_cbranch_vccnz .LBB44_302
; %bb.301:
	v_lshlrev_b32_e32 v91, 3, v91
	s_clause 0x3
	buffer_load_dword v92, v91, s[0:3], 0 offen
	buffer_load_dword v93, v91, s[0:3], 0 offen offset:4
	buffer_load_dword v94, off, s[0:3], 0 offset:264
	buffer_load_dword v95, off, s[0:3], 0 offset:268
	s_waitcnt vmcnt(3)
	buffer_store_dword v92, off, s[0:3], 0 offset:264
	s_waitcnt vmcnt(2)
	buffer_store_dword v93, off, s[0:3], 0 offset:268
	s_waitcnt vmcnt(1)
	buffer_store_dword v94, v91, s[0:3], 0 offen
	s_waitcnt vmcnt(0)
	buffer_store_dword v95, v91, s[0:3], 0 offen offset:4
.LBB44_302:
	global_load_dword v0, v0, s[20:21] offset:128
	s_waitcnt vmcnt(0)
	v_add_nc_u32_e32 v0, -1, v0
	v_cmp_eq_u32_e32 vcc_lo, 32, v0
	s_cbranch_vccnz .LBB44_304
; %bb.303:
	v_lshlrev_b32_e32 v0, 3, v0
	s_clause 0x3
	buffer_load_dword v91, v0, s[0:3], 0 offen
	buffer_load_dword v92, v0, s[0:3], 0 offen offset:4
	buffer_load_dword v93, off, s[0:3], 0 offset:260
	buffer_load_dword v94, off, s[0:3], 0 offset:256
	s_waitcnt vmcnt(3)
	buffer_store_dword v91, off, s[0:3], 0 offset:256
	s_waitcnt vmcnt(2)
	buffer_store_dword v92, off, s[0:3], 0 offset:260
	s_waitcnt vmcnt(1)
	buffer_store_dword v93, v0, s[0:3], 0 offen offset:4
	s_waitcnt vmcnt(0)
	buffer_store_dword v94, v0, s[0:3], 0 offen
.LBB44_304:
	v_mov_b32_e32 v0, 0
	global_load_dword v91, v0, s[20:21] offset:124
	s_waitcnt vmcnt(0)
	v_add_nc_u32_e32 v91, -1, v91
	v_cmp_eq_u32_e32 vcc_lo, 31, v91
	s_cbranch_vccnz .LBB44_306
; %bb.305:
	v_lshlrev_b32_e32 v91, 3, v91
	s_clause 0x3
	buffer_load_dword v92, v91, s[0:3], 0 offen
	buffer_load_dword v93, v91, s[0:3], 0 offen offset:4
	buffer_load_dword v94, off, s[0:3], 0 offset:248
	buffer_load_dword v95, off, s[0:3], 0 offset:252
	s_waitcnt vmcnt(3)
	buffer_store_dword v92, off, s[0:3], 0 offset:248
	s_waitcnt vmcnt(2)
	buffer_store_dword v93, off, s[0:3], 0 offset:252
	s_waitcnt vmcnt(1)
	buffer_store_dword v94, v91, s[0:3], 0 offen
	s_waitcnt vmcnt(0)
	buffer_store_dword v95, v91, s[0:3], 0 offen offset:4
.LBB44_306:
	global_load_dword v0, v0, s[20:21] offset:120
	s_waitcnt vmcnt(0)
	v_add_nc_u32_e32 v0, -1, v0
	v_cmp_eq_u32_e32 vcc_lo, 30, v0
	s_cbranch_vccnz .LBB44_308
; %bb.307:
	v_lshlrev_b32_e32 v0, 3, v0
	s_clause 0x3
	buffer_load_dword v91, v0, s[0:3], 0 offen
	buffer_load_dword v92, v0, s[0:3], 0 offen offset:4
	buffer_load_dword v93, off, s[0:3], 0 offset:244
	buffer_load_dword v94, off, s[0:3], 0 offset:240
	s_waitcnt vmcnt(3)
	buffer_store_dword v91, off, s[0:3], 0 offset:240
	s_waitcnt vmcnt(2)
	buffer_store_dword v92, off, s[0:3], 0 offset:244
	s_waitcnt vmcnt(1)
	buffer_store_dword v93, v0, s[0:3], 0 offen offset:4
	s_waitcnt vmcnt(0)
	buffer_store_dword v94, v0, s[0:3], 0 offen
.LBB44_308:
	v_mov_b32_e32 v0, 0
	global_load_dword v91, v0, s[20:21] offset:116
	s_waitcnt vmcnt(0)
	v_add_nc_u32_e32 v91, -1, v91
	v_cmp_eq_u32_e32 vcc_lo, 29, v91
	s_cbranch_vccnz .LBB44_310
; %bb.309:
	v_lshlrev_b32_e32 v91, 3, v91
	s_clause 0x3
	buffer_load_dword v92, v91, s[0:3], 0 offen
	buffer_load_dword v93, v91, s[0:3], 0 offen offset:4
	buffer_load_dword v94, off, s[0:3], 0 offset:232
	buffer_load_dword v95, off, s[0:3], 0 offset:236
	s_waitcnt vmcnt(3)
	buffer_store_dword v92, off, s[0:3], 0 offset:232
	s_waitcnt vmcnt(2)
	buffer_store_dword v93, off, s[0:3], 0 offset:236
	s_waitcnt vmcnt(1)
	buffer_store_dword v94, v91, s[0:3], 0 offen
	s_waitcnt vmcnt(0)
	buffer_store_dword v95, v91, s[0:3], 0 offen offset:4
.LBB44_310:
	global_load_dword v0, v0, s[20:21] offset:112
	s_waitcnt vmcnt(0)
	v_add_nc_u32_e32 v0, -1, v0
	v_cmp_eq_u32_e32 vcc_lo, 28, v0
	s_cbranch_vccnz .LBB44_312
; %bb.311:
	v_lshlrev_b32_e32 v0, 3, v0
	s_clause 0x3
	buffer_load_dword v91, v0, s[0:3], 0 offen
	buffer_load_dword v92, v0, s[0:3], 0 offen offset:4
	buffer_load_dword v93, off, s[0:3], 0 offset:228
	buffer_load_dword v94, off, s[0:3], 0 offset:224
	s_waitcnt vmcnt(3)
	buffer_store_dword v91, off, s[0:3], 0 offset:224
	s_waitcnt vmcnt(2)
	buffer_store_dword v92, off, s[0:3], 0 offset:228
	s_waitcnt vmcnt(1)
	buffer_store_dword v93, v0, s[0:3], 0 offen offset:4
	s_waitcnt vmcnt(0)
	buffer_store_dword v94, v0, s[0:3], 0 offen
.LBB44_312:
	v_mov_b32_e32 v0, 0
	global_load_dword v91, v0, s[20:21] offset:108
	s_waitcnt vmcnt(0)
	v_add_nc_u32_e32 v91, -1, v91
	v_cmp_eq_u32_e32 vcc_lo, 27, v91
	s_cbranch_vccnz .LBB44_314
; %bb.313:
	v_lshlrev_b32_e32 v91, 3, v91
	s_clause 0x3
	buffer_load_dword v92, v91, s[0:3], 0 offen
	buffer_load_dword v93, v91, s[0:3], 0 offen offset:4
	buffer_load_dword v94, off, s[0:3], 0 offset:216
	buffer_load_dword v95, off, s[0:3], 0 offset:220
	s_waitcnt vmcnt(3)
	buffer_store_dword v92, off, s[0:3], 0 offset:216
	s_waitcnt vmcnt(2)
	buffer_store_dword v93, off, s[0:3], 0 offset:220
	s_waitcnt vmcnt(1)
	buffer_store_dword v94, v91, s[0:3], 0 offen
	s_waitcnt vmcnt(0)
	buffer_store_dword v95, v91, s[0:3], 0 offen offset:4
.LBB44_314:
	global_load_dword v0, v0, s[20:21] offset:104
	s_waitcnt vmcnt(0)
	v_add_nc_u32_e32 v0, -1, v0
	v_cmp_eq_u32_e32 vcc_lo, 26, v0
	s_cbranch_vccnz .LBB44_316
; %bb.315:
	v_lshlrev_b32_e32 v0, 3, v0
	s_clause 0x3
	buffer_load_dword v91, v0, s[0:3], 0 offen
	buffer_load_dword v92, v0, s[0:3], 0 offen offset:4
	buffer_load_dword v93, off, s[0:3], 0 offset:212
	buffer_load_dword v94, off, s[0:3], 0 offset:208
	s_waitcnt vmcnt(3)
	buffer_store_dword v91, off, s[0:3], 0 offset:208
	s_waitcnt vmcnt(2)
	buffer_store_dword v92, off, s[0:3], 0 offset:212
	s_waitcnt vmcnt(1)
	buffer_store_dword v93, v0, s[0:3], 0 offen offset:4
	s_waitcnt vmcnt(0)
	buffer_store_dword v94, v0, s[0:3], 0 offen
.LBB44_316:
	v_mov_b32_e32 v0, 0
	global_load_dword v91, v0, s[20:21] offset:100
	s_waitcnt vmcnt(0)
	v_add_nc_u32_e32 v91, -1, v91
	v_cmp_eq_u32_e32 vcc_lo, 25, v91
	s_cbranch_vccnz .LBB44_318
; %bb.317:
	v_lshlrev_b32_e32 v91, 3, v91
	s_clause 0x3
	buffer_load_dword v92, v91, s[0:3], 0 offen
	buffer_load_dword v93, v91, s[0:3], 0 offen offset:4
	buffer_load_dword v94, off, s[0:3], 0 offset:200
	buffer_load_dword v95, off, s[0:3], 0 offset:204
	s_waitcnt vmcnt(3)
	buffer_store_dword v92, off, s[0:3], 0 offset:200
	s_waitcnt vmcnt(2)
	buffer_store_dword v93, off, s[0:3], 0 offset:204
	s_waitcnt vmcnt(1)
	buffer_store_dword v94, v91, s[0:3], 0 offen
	s_waitcnt vmcnt(0)
	buffer_store_dword v95, v91, s[0:3], 0 offen offset:4
.LBB44_318:
	global_load_dword v0, v0, s[20:21] offset:96
	s_waitcnt vmcnt(0)
	v_add_nc_u32_e32 v0, -1, v0
	v_cmp_eq_u32_e32 vcc_lo, 24, v0
	s_cbranch_vccnz .LBB44_320
; %bb.319:
	v_lshlrev_b32_e32 v0, 3, v0
	s_clause 0x3
	buffer_load_dword v91, v0, s[0:3], 0 offen
	buffer_load_dword v92, v0, s[0:3], 0 offen offset:4
	buffer_load_dword v93, off, s[0:3], 0 offset:196
	buffer_load_dword v94, off, s[0:3], 0 offset:192
	s_waitcnt vmcnt(3)
	buffer_store_dword v91, off, s[0:3], 0 offset:192
	s_waitcnt vmcnt(2)
	buffer_store_dword v92, off, s[0:3], 0 offset:196
	s_waitcnt vmcnt(1)
	buffer_store_dword v93, v0, s[0:3], 0 offen offset:4
	s_waitcnt vmcnt(0)
	buffer_store_dword v94, v0, s[0:3], 0 offen
.LBB44_320:
	v_mov_b32_e32 v0, 0
	global_load_dword v91, v0, s[20:21] offset:92
	s_waitcnt vmcnt(0)
	v_add_nc_u32_e32 v91, -1, v91
	v_cmp_eq_u32_e32 vcc_lo, 23, v91
	s_cbranch_vccnz .LBB44_322
; %bb.321:
	v_lshlrev_b32_e32 v91, 3, v91
	s_clause 0x3
	buffer_load_dword v92, v91, s[0:3], 0 offen
	buffer_load_dword v93, v91, s[0:3], 0 offen offset:4
	buffer_load_dword v94, off, s[0:3], 0 offset:184
	buffer_load_dword v95, off, s[0:3], 0 offset:188
	s_waitcnt vmcnt(3)
	buffer_store_dword v92, off, s[0:3], 0 offset:184
	s_waitcnt vmcnt(2)
	buffer_store_dword v93, off, s[0:3], 0 offset:188
	s_waitcnt vmcnt(1)
	buffer_store_dword v94, v91, s[0:3], 0 offen
	s_waitcnt vmcnt(0)
	buffer_store_dword v95, v91, s[0:3], 0 offen offset:4
.LBB44_322:
	global_load_dword v0, v0, s[20:21] offset:88
	s_waitcnt vmcnt(0)
	v_add_nc_u32_e32 v0, -1, v0
	v_cmp_eq_u32_e32 vcc_lo, 22, v0
	s_cbranch_vccnz .LBB44_324
; %bb.323:
	v_lshlrev_b32_e32 v0, 3, v0
	s_clause 0x3
	buffer_load_dword v91, v0, s[0:3], 0 offen
	buffer_load_dword v92, v0, s[0:3], 0 offen offset:4
	buffer_load_dword v93, off, s[0:3], 0 offset:180
	buffer_load_dword v94, off, s[0:3], 0 offset:176
	s_waitcnt vmcnt(3)
	buffer_store_dword v91, off, s[0:3], 0 offset:176
	s_waitcnt vmcnt(2)
	buffer_store_dword v92, off, s[0:3], 0 offset:180
	s_waitcnt vmcnt(1)
	buffer_store_dword v93, v0, s[0:3], 0 offen offset:4
	s_waitcnt vmcnt(0)
	buffer_store_dword v94, v0, s[0:3], 0 offen
.LBB44_324:
	v_mov_b32_e32 v0, 0
	global_load_dword v91, v0, s[20:21] offset:84
	s_waitcnt vmcnt(0)
	v_add_nc_u32_e32 v91, -1, v91
	v_cmp_eq_u32_e32 vcc_lo, 21, v91
	s_cbranch_vccnz .LBB44_326
; %bb.325:
	v_lshlrev_b32_e32 v91, 3, v91
	s_clause 0x3
	buffer_load_dword v92, v91, s[0:3], 0 offen
	buffer_load_dword v93, v91, s[0:3], 0 offen offset:4
	buffer_load_dword v94, off, s[0:3], 0 offset:168
	buffer_load_dword v95, off, s[0:3], 0 offset:172
	s_waitcnt vmcnt(3)
	buffer_store_dword v92, off, s[0:3], 0 offset:168
	s_waitcnt vmcnt(2)
	buffer_store_dword v93, off, s[0:3], 0 offset:172
	s_waitcnt vmcnt(1)
	buffer_store_dword v94, v91, s[0:3], 0 offen
	s_waitcnt vmcnt(0)
	buffer_store_dword v95, v91, s[0:3], 0 offen offset:4
.LBB44_326:
	global_load_dword v0, v0, s[20:21] offset:80
	s_waitcnt vmcnt(0)
	v_add_nc_u32_e32 v0, -1, v0
	v_cmp_eq_u32_e32 vcc_lo, 20, v0
	s_cbranch_vccnz .LBB44_328
; %bb.327:
	v_lshlrev_b32_e32 v0, 3, v0
	s_clause 0x3
	buffer_load_dword v91, v0, s[0:3], 0 offen
	buffer_load_dword v92, v0, s[0:3], 0 offen offset:4
	buffer_load_dword v93, off, s[0:3], 0 offset:164
	buffer_load_dword v94, off, s[0:3], 0 offset:160
	s_waitcnt vmcnt(3)
	buffer_store_dword v91, off, s[0:3], 0 offset:160
	s_waitcnt vmcnt(2)
	buffer_store_dword v92, off, s[0:3], 0 offset:164
	s_waitcnt vmcnt(1)
	buffer_store_dword v93, v0, s[0:3], 0 offen offset:4
	s_waitcnt vmcnt(0)
	buffer_store_dword v94, v0, s[0:3], 0 offen
.LBB44_328:
	v_mov_b32_e32 v0, 0
	global_load_dword v91, v0, s[20:21] offset:76
	s_waitcnt vmcnt(0)
	v_add_nc_u32_e32 v91, -1, v91
	v_cmp_eq_u32_e32 vcc_lo, 19, v91
	s_cbranch_vccnz .LBB44_330
; %bb.329:
	v_lshlrev_b32_e32 v91, 3, v91
	s_clause 0x3
	buffer_load_dword v92, v91, s[0:3], 0 offen
	buffer_load_dword v93, v91, s[0:3], 0 offen offset:4
	buffer_load_dword v94, off, s[0:3], 0 offset:152
	buffer_load_dword v95, off, s[0:3], 0 offset:156
	s_waitcnt vmcnt(3)
	buffer_store_dword v92, off, s[0:3], 0 offset:152
	s_waitcnt vmcnt(2)
	buffer_store_dword v93, off, s[0:3], 0 offset:156
	s_waitcnt vmcnt(1)
	buffer_store_dword v94, v91, s[0:3], 0 offen
	s_waitcnt vmcnt(0)
	buffer_store_dword v95, v91, s[0:3], 0 offen offset:4
.LBB44_330:
	global_load_dword v0, v0, s[20:21] offset:72
	s_waitcnt vmcnt(0)
	v_add_nc_u32_e32 v0, -1, v0
	v_cmp_eq_u32_e32 vcc_lo, 18, v0
	s_cbranch_vccnz .LBB44_332
; %bb.331:
	v_lshlrev_b32_e32 v0, 3, v0
	s_clause 0x3
	buffer_load_dword v91, v0, s[0:3], 0 offen
	buffer_load_dword v92, v0, s[0:3], 0 offen offset:4
	buffer_load_dword v93, off, s[0:3], 0 offset:148
	buffer_load_dword v94, off, s[0:3], 0 offset:144
	s_waitcnt vmcnt(3)
	buffer_store_dword v91, off, s[0:3], 0 offset:144
	s_waitcnt vmcnt(2)
	buffer_store_dword v92, off, s[0:3], 0 offset:148
	s_waitcnt vmcnt(1)
	buffer_store_dword v93, v0, s[0:3], 0 offen offset:4
	s_waitcnt vmcnt(0)
	buffer_store_dword v94, v0, s[0:3], 0 offen
.LBB44_332:
	v_mov_b32_e32 v0, 0
	global_load_dword v91, v0, s[20:21] offset:68
	s_waitcnt vmcnt(0)
	v_add_nc_u32_e32 v91, -1, v91
	v_cmp_eq_u32_e32 vcc_lo, 17, v91
	s_cbranch_vccnz .LBB44_334
; %bb.333:
	v_lshlrev_b32_e32 v91, 3, v91
	s_clause 0x3
	buffer_load_dword v92, v91, s[0:3], 0 offen
	buffer_load_dword v93, v91, s[0:3], 0 offen offset:4
	buffer_load_dword v94, off, s[0:3], 0 offset:136
	buffer_load_dword v95, off, s[0:3], 0 offset:140
	s_waitcnt vmcnt(3)
	buffer_store_dword v92, off, s[0:3], 0 offset:136
	s_waitcnt vmcnt(2)
	buffer_store_dword v93, off, s[0:3], 0 offset:140
	s_waitcnt vmcnt(1)
	buffer_store_dword v94, v91, s[0:3], 0 offen
	s_waitcnt vmcnt(0)
	buffer_store_dword v95, v91, s[0:3], 0 offen offset:4
.LBB44_334:
	global_load_dword v0, v0, s[20:21] offset:64
	s_waitcnt vmcnt(0)
	v_add_nc_u32_e32 v0, -1, v0
	v_cmp_eq_u32_e32 vcc_lo, 16, v0
	s_cbranch_vccnz .LBB44_336
; %bb.335:
	v_lshlrev_b32_e32 v0, 3, v0
	s_clause 0x3
	buffer_load_dword v91, v0, s[0:3], 0 offen
	buffer_load_dword v92, v0, s[0:3], 0 offen offset:4
	buffer_load_dword v93, off, s[0:3], 0 offset:132
	buffer_load_dword v94, off, s[0:3], 0 offset:128
	s_waitcnt vmcnt(3)
	buffer_store_dword v91, off, s[0:3], 0 offset:128
	s_waitcnt vmcnt(2)
	buffer_store_dword v92, off, s[0:3], 0 offset:132
	s_waitcnt vmcnt(1)
	buffer_store_dword v93, v0, s[0:3], 0 offen offset:4
	s_waitcnt vmcnt(0)
	buffer_store_dword v94, v0, s[0:3], 0 offen
.LBB44_336:
	v_mov_b32_e32 v0, 0
	global_load_dword v91, v0, s[20:21] offset:60
	s_waitcnt vmcnt(0)
	v_add_nc_u32_e32 v91, -1, v91
	v_cmp_eq_u32_e32 vcc_lo, 15, v91
	s_cbranch_vccnz .LBB44_338
; %bb.337:
	v_lshlrev_b32_e32 v91, 3, v91
	s_clause 0x3
	buffer_load_dword v92, v91, s[0:3], 0 offen
	buffer_load_dword v93, v91, s[0:3], 0 offen offset:4
	buffer_load_dword v94, off, s[0:3], 0 offset:120
	buffer_load_dword v95, off, s[0:3], 0 offset:124
	s_waitcnt vmcnt(3)
	buffer_store_dword v92, off, s[0:3], 0 offset:120
	s_waitcnt vmcnt(2)
	buffer_store_dword v93, off, s[0:3], 0 offset:124
	s_waitcnt vmcnt(1)
	buffer_store_dword v94, v91, s[0:3], 0 offen
	s_waitcnt vmcnt(0)
	buffer_store_dword v95, v91, s[0:3], 0 offen offset:4
.LBB44_338:
	global_load_dword v0, v0, s[20:21] offset:56
	s_waitcnt vmcnt(0)
	v_add_nc_u32_e32 v0, -1, v0
	v_cmp_eq_u32_e32 vcc_lo, 14, v0
	s_cbranch_vccnz .LBB44_340
; %bb.339:
	v_lshlrev_b32_e32 v0, 3, v0
	s_clause 0x3
	buffer_load_dword v91, v0, s[0:3], 0 offen
	buffer_load_dword v92, v0, s[0:3], 0 offen offset:4
	buffer_load_dword v93, off, s[0:3], 0 offset:116
	buffer_load_dword v94, off, s[0:3], 0 offset:112
	s_waitcnt vmcnt(3)
	buffer_store_dword v91, off, s[0:3], 0 offset:112
	s_waitcnt vmcnt(2)
	buffer_store_dword v92, off, s[0:3], 0 offset:116
	s_waitcnt vmcnt(1)
	buffer_store_dword v93, v0, s[0:3], 0 offen offset:4
	s_waitcnt vmcnt(0)
	buffer_store_dword v94, v0, s[0:3], 0 offen
.LBB44_340:
	v_mov_b32_e32 v0, 0
	global_load_dword v91, v0, s[20:21] offset:52
	s_waitcnt vmcnt(0)
	v_add_nc_u32_e32 v91, -1, v91
	v_cmp_eq_u32_e32 vcc_lo, 13, v91
	s_cbranch_vccnz .LBB44_342
; %bb.341:
	v_lshlrev_b32_e32 v91, 3, v91
	s_clause 0x3
	buffer_load_dword v92, v91, s[0:3], 0 offen
	buffer_load_dword v93, v91, s[0:3], 0 offen offset:4
	buffer_load_dword v94, off, s[0:3], 0 offset:104
	buffer_load_dword v95, off, s[0:3], 0 offset:108
	s_waitcnt vmcnt(3)
	buffer_store_dword v92, off, s[0:3], 0 offset:104
	s_waitcnt vmcnt(2)
	buffer_store_dword v93, off, s[0:3], 0 offset:108
	s_waitcnt vmcnt(1)
	buffer_store_dword v94, v91, s[0:3], 0 offen
	s_waitcnt vmcnt(0)
	buffer_store_dword v95, v91, s[0:3], 0 offen offset:4
.LBB44_342:
	global_load_dword v0, v0, s[20:21] offset:48
	s_waitcnt vmcnt(0)
	v_add_nc_u32_e32 v0, -1, v0
	v_cmp_eq_u32_e32 vcc_lo, 12, v0
	s_cbranch_vccnz .LBB44_344
; %bb.343:
	v_lshlrev_b32_e32 v0, 3, v0
	s_clause 0x3
	buffer_load_dword v91, v0, s[0:3], 0 offen
	buffer_load_dword v92, v0, s[0:3], 0 offen offset:4
	buffer_load_dword v93, off, s[0:3], 0 offset:100
	buffer_load_dword v94, off, s[0:3], 0 offset:96
	s_waitcnt vmcnt(3)
	buffer_store_dword v91, off, s[0:3], 0 offset:96
	s_waitcnt vmcnt(2)
	buffer_store_dword v92, off, s[0:3], 0 offset:100
	s_waitcnt vmcnt(1)
	buffer_store_dword v93, v0, s[0:3], 0 offen offset:4
	s_waitcnt vmcnt(0)
	buffer_store_dword v94, v0, s[0:3], 0 offen
.LBB44_344:
	v_mov_b32_e32 v0, 0
	global_load_dword v91, v0, s[20:21] offset:44
	s_waitcnt vmcnt(0)
	v_add_nc_u32_e32 v91, -1, v91
	v_cmp_eq_u32_e32 vcc_lo, 11, v91
	s_cbranch_vccnz .LBB44_346
; %bb.345:
	v_lshlrev_b32_e32 v91, 3, v91
	s_clause 0x3
	buffer_load_dword v92, v91, s[0:3], 0 offen
	buffer_load_dword v93, v91, s[0:3], 0 offen offset:4
	buffer_load_dword v94, off, s[0:3], 0 offset:88
	buffer_load_dword v95, off, s[0:3], 0 offset:92
	s_waitcnt vmcnt(3)
	buffer_store_dword v92, off, s[0:3], 0 offset:88
	s_waitcnt vmcnt(2)
	buffer_store_dword v93, off, s[0:3], 0 offset:92
	s_waitcnt vmcnt(1)
	buffer_store_dword v94, v91, s[0:3], 0 offen
	s_waitcnt vmcnt(0)
	buffer_store_dword v95, v91, s[0:3], 0 offen offset:4
.LBB44_346:
	global_load_dword v0, v0, s[20:21] offset:40
	s_waitcnt vmcnt(0)
	v_add_nc_u32_e32 v0, -1, v0
	v_cmp_eq_u32_e32 vcc_lo, 10, v0
	s_cbranch_vccnz .LBB44_348
; %bb.347:
	v_lshlrev_b32_e32 v0, 3, v0
	s_clause 0x3
	buffer_load_dword v91, v0, s[0:3], 0 offen
	buffer_load_dword v92, v0, s[0:3], 0 offen offset:4
	buffer_load_dword v93, off, s[0:3], 0 offset:84
	buffer_load_dword v94, off, s[0:3], 0 offset:80
	s_waitcnt vmcnt(3)
	buffer_store_dword v91, off, s[0:3], 0 offset:80
	s_waitcnt vmcnt(2)
	buffer_store_dword v92, off, s[0:3], 0 offset:84
	s_waitcnt vmcnt(1)
	buffer_store_dword v93, v0, s[0:3], 0 offen offset:4
	s_waitcnt vmcnt(0)
	buffer_store_dword v94, v0, s[0:3], 0 offen
.LBB44_348:
	v_mov_b32_e32 v0, 0
	global_load_dword v91, v0, s[20:21] offset:36
	s_waitcnt vmcnt(0)
	v_add_nc_u32_e32 v91, -1, v91
	v_cmp_eq_u32_e32 vcc_lo, 9, v91
	s_cbranch_vccnz .LBB44_350
; %bb.349:
	v_lshlrev_b32_e32 v91, 3, v91
	s_clause 0x3
	buffer_load_dword v92, v91, s[0:3], 0 offen
	buffer_load_dword v93, v91, s[0:3], 0 offen offset:4
	buffer_load_dword v94, off, s[0:3], 0 offset:72
	buffer_load_dword v95, off, s[0:3], 0 offset:76
	s_waitcnt vmcnt(3)
	buffer_store_dword v92, off, s[0:3], 0 offset:72
	s_waitcnt vmcnt(2)
	buffer_store_dword v93, off, s[0:3], 0 offset:76
	s_waitcnt vmcnt(1)
	buffer_store_dword v94, v91, s[0:3], 0 offen
	s_waitcnt vmcnt(0)
	buffer_store_dword v95, v91, s[0:3], 0 offen offset:4
.LBB44_350:
	global_load_dword v0, v0, s[20:21] offset:32
	s_waitcnt vmcnt(0)
	v_add_nc_u32_e32 v0, -1, v0
	v_cmp_eq_u32_e32 vcc_lo, 8, v0
	s_cbranch_vccnz .LBB44_352
; %bb.351:
	v_lshlrev_b32_e32 v0, 3, v0
	s_clause 0x3
	buffer_load_dword v91, v0, s[0:3], 0 offen
	buffer_load_dword v92, v0, s[0:3], 0 offen offset:4
	buffer_load_dword v93, off, s[0:3], 0 offset:68
	buffer_load_dword v94, off, s[0:3], 0 offset:64
	s_waitcnt vmcnt(3)
	buffer_store_dword v91, off, s[0:3], 0 offset:64
	s_waitcnt vmcnt(2)
	buffer_store_dword v92, off, s[0:3], 0 offset:68
	s_waitcnt vmcnt(1)
	buffer_store_dword v93, v0, s[0:3], 0 offen offset:4
	s_waitcnt vmcnt(0)
	buffer_store_dword v94, v0, s[0:3], 0 offen
.LBB44_352:
	v_mov_b32_e32 v0, 0
	global_load_dword v91, v0, s[20:21] offset:28
	s_waitcnt vmcnt(0)
	v_add_nc_u32_e32 v91, -1, v91
	v_cmp_eq_u32_e32 vcc_lo, 7, v91
	s_cbranch_vccnz .LBB44_354
; %bb.353:
	v_lshlrev_b32_e32 v91, 3, v91
	s_clause 0x3
	buffer_load_dword v92, v91, s[0:3], 0 offen
	buffer_load_dword v93, v91, s[0:3], 0 offen offset:4
	buffer_load_dword v94, off, s[0:3], 0 offset:56
	buffer_load_dword v95, off, s[0:3], 0 offset:60
	s_waitcnt vmcnt(3)
	buffer_store_dword v92, off, s[0:3], 0 offset:56
	s_waitcnt vmcnt(2)
	buffer_store_dword v93, off, s[0:3], 0 offset:60
	s_waitcnt vmcnt(1)
	buffer_store_dword v94, v91, s[0:3], 0 offen
	s_waitcnt vmcnt(0)
	buffer_store_dword v95, v91, s[0:3], 0 offen offset:4
.LBB44_354:
	global_load_dword v0, v0, s[20:21] offset:24
	s_waitcnt vmcnt(0)
	v_add_nc_u32_e32 v0, -1, v0
	v_cmp_eq_u32_e32 vcc_lo, 6, v0
	s_cbranch_vccnz .LBB44_356
; %bb.355:
	v_lshlrev_b32_e32 v0, 3, v0
	s_clause 0x3
	buffer_load_dword v91, v0, s[0:3], 0 offen
	buffer_load_dword v92, v0, s[0:3], 0 offen offset:4
	buffer_load_dword v93, off, s[0:3], 0 offset:52
	buffer_load_dword v94, off, s[0:3], 0 offset:48
	s_waitcnt vmcnt(3)
	buffer_store_dword v91, off, s[0:3], 0 offset:48
	s_waitcnt vmcnt(2)
	buffer_store_dword v92, off, s[0:3], 0 offset:52
	s_waitcnt vmcnt(1)
	buffer_store_dword v93, v0, s[0:3], 0 offen offset:4
	s_waitcnt vmcnt(0)
	buffer_store_dword v94, v0, s[0:3], 0 offen
.LBB44_356:
	v_mov_b32_e32 v0, 0
	global_load_dword v91, v0, s[20:21] offset:20
	s_waitcnt vmcnt(0)
	v_add_nc_u32_e32 v91, -1, v91
	v_cmp_eq_u32_e32 vcc_lo, 5, v91
	s_cbranch_vccnz .LBB44_358
; %bb.357:
	v_lshlrev_b32_e32 v91, 3, v91
	s_clause 0x3
	buffer_load_dword v92, v91, s[0:3], 0 offen
	buffer_load_dword v93, v91, s[0:3], 0 offen offset:4
	buffer_load_dword v94, off, s[0:3], 0 offset:40
	buffer_load_dword v95, off, s[0:3], 0 offset:44
	s_waitcnt vmcnt(3)
	buffer_store_dword v92, off, s[0:3], 0 offset:40
	s_waitcnt vmcnt(2)
	buffer_store_dword v93, off, s[0:3], 0 offset:44
	s_waitcnt vmcnt(1)
	buffer_store_dword v94, v91, s[0:3], 0 offen
	s_waitcnt vmcnt(0)
	buffer_store_dword v95, v91, s[0:3], 0 offen offset:4
.LBB44_358:
	global_load_dword v0, v0, s[20:21] offset:16
	s_waitcnt vmcnt(0)
	v_add_nc_u32_e32 v0, -1, v0
	v_cmp_eq_u32_e32 vcc_lo, 4, v0
	s_cbranch_vccnz .LBB44_360
; %bb.359:
	v_lshlrev_b32_e32 v0, 3, v0
	s_clause 0x3
	buffer_load_dword v91, v0, s[0:3], 0 offen
	buffer_load_dword v92, v0, s[0:3], 0 offen offset:4
	buffer_load_dword v93, off, s[0:3], 0 offset:36
	buffer_load_dword v94, off, s[0:3], 0 offset:32
	s_waitcnt vmcnt(3)
	buffer_store_dword v91, off, s[0:3], 0 offset:32
	s_waitcnt vmcnt(2)
	buffer_store_dword v92, off, s[0:3], 0 offset:36
	s_waitcnt vmcnt(1)
	buffer_store_dword v93, v0, s[0:3], 0 offen offset:4
	s_waitcnt vmcnt(0)
	buffer_store_dword v94, v0, s[0:3], 0 offen
.LBB44_360:
	v_mov_b32_e32 v0, 0
	global_load_dword v91, v0, s[20:21] offset:12
	s_waitcnt vmcnt(0)
	v_add_nc_u32_e32 v91, -1, v91
	v_cmp_eq_u32_e32 vcc_lo, 3, v91
	s_cbranch_vccnz .LBB44_362
; %bb.361:
	v_lshlrev_b32_e32 v91, 3, v91
	s_clause 0x3
	buffer_load_dword v92, v91, s[0:3], 0 offen
	buffer_load_dword v93, v91, s[0:3], 0 offen offset:4
	buffer_load_dword v94, off, s[0:3], 0 offset:24
	buffer_load_dword v95, off, s[0:3], 0 offset:28
	s_waitcnt vmcnt(3)
	buffer_store_dword v92, off, s[0:3], 0 offset:24
	s_waitcnt vmcnt(2)
	buffer_store_dword v93, off, s[0:3], 0 offset:28
	s_waitcnt vmcnt(1)
	buffer_store_dword v94, v91, s[0:3], 0 offen
	s_waitcnt vmcnt(0)
	buffer_store_dword v95, v91, s[0:3], 0 offen offset:4
.LBB44_362:
	global_load_dword v0, v0, s[20:21] offset:8
	s_waitcnt vmcnt(0)
	v_add_nc_u32_e32 v0, -1, v0
	v_cmp_eq_u32_e32 vcc_lo, 2, v0
	s_cbranch_vccnz .LBB44_364
; %bb.363:
	v_lshlrev_b32_e32 v0, 3, v0
	s_clause 0x3
	buffer_load_dword v91, v0, s[0:3], 0 offen
	buffer_load_dword v92, v0, s[0:3], 0 offen offset:4
	buffer_load_dword v93, off, s[0:3], 0 offset:20
	buffer_load_dword v94, off, s[0:3], 0 offset:16
	s_waitcnt vmcnt(3)
	buffer_store_dword v91, off, s[0:3], 0 offset:16
	s_waitcnt vmcnt(2)
	buffer_store_dword v92, off, s[0:3], 0 offset:20
	s_waitcnt vmcnt(1)
	buffer_store_dword v93, v0, s[0:3], 0 offen offset:4
	s_waitcnt vmcnt(0)
	buffer_store_dword v94, v0, s[0:3], 0 offen
.LBB44_364:
	v_mov_b32_e32 v0, 0
	global_load_dword v91, v0, s[20:21] offset:4
	s_waitcnt vmcnt(0)
	v_add_nc_u32_e32 v91, -1, v91
	v_cmp_eq_u32_e32 vcc_lo, 1, v91
	s_cbranch_vccnz .LBB44_366
; %bb.365:
	v_lshlrev_b32_e32 v91, 3, v91
	s_clause 0x3
	buffer_load_dword v92, v91, s[0:3], 0 offen
	buffer_load_dword v93, v91, s[0:3], 0 offen offset:4
	buffer_load_dword v94, off, s[0:3], 0 offset:8
	buffer_load_dword v95, off, s[0:3], 0 offset:12
	s_waitcnt vmcnt(3)
	buffer_store_dword v92, off, s[0:3], 0 offset:8
	s_waitcnt vmcnt(2)
	buffer_store_dword v93, off, s[0:3], 0 offset:12
	s_waitcnt vmcnt(1)
	buffer_store_dword v94, v91, s[0:3], 0 offen
	s_waitcnt vmcnt(0)
	buffer_store_dword v95, v91, s[0:3], 0 offen offset:4
.LBB44_366:
	global_load_dword v0, v0, s[20:21]
	s_clause 0x1
	buffer_load_dword v91, off, s[0:3], 0
	buffer_load_dword v92, off, s[0:3], 0 offset:4
	s_waitcnt vmcnt(2)
	v_add_nc_u32_e32 v0, -1, v0
	v_cmp_eq_u32_e32 vcc_lo, 0, v0
	s_cbranch_vccnz .LBB44_368
; %bb.367:
	v_lshlrev_b32_e32 v0, 3, v0
	s_clause 0x1
	buffer_load_dword v93, v0, s[0:3], 0 offen offset:4
	buffer_load_dword v94, v0, s[0:3], 0 offen
	s_waitcnt vmcnt(1)
	buffer_store_dword v93, off, s[0:3], 0 offset:4
	s_waitcnt vmcnt(0)
	buffer_store_dword v94, off, s[0:3], 0
	buffer_store_dword v92, v0, s[0:3], 0 offen offset:4
	buffer_store_dword v91, v0, s[0:3], 0 offen
	s_clause 0x1
	buffer_load_dword v91, off, s[0:3], 0
	buffer_load_dword v92, off, s[0:3], 0 offset:4
.LBB44_368:
	s_clause 0x11
	buffer_load_dword v93, off, s[0:3], 0 offset:8
	buffer_load_dword v94, off, s[0:3], 0 offset:12
	;; [unrolled: 1-line block ×18, first 2 shown]
	s_waitcnt vmcnt(18)
	global_store_dwordx2 v[89:90], v[91:92], off
	s_clause 0x1d
	buffer_load_dword v89, off, s[0:3], 0 offset:80
	buffer_load_dword v90, off, s[0:3], 0 offset:84
	;; [unrolled: 1-line block ×30, first 2 shown]
	s_waitcnt vmcnt(46)
	global_store_dwordx2 v[55:56], v[93:94], off
	s_clause 0x7
	buffer_load_dword v55, off, s[0:3], 0 offset:200
	buffer_load_dword v56, off, s[0:3], 0 offset:204
	buffer_load_dword v93, off, s[0:3], 0 offset:208
	buffer_load_dword v94, off, s[0:3], 0 offset:212
	buffer_load_dword v137, off, s[0:3], 0 offset:216
	buffer_load_dword v138, off, s[0:3], 0 offset:220
	buffer_load_dword v139, off, s[0:3], 0 offset:224
	buffer_load_dword v140, off, s[0:3], 0 offset:228
	s_waitcnt vmcnt(52)
	global_store_dwordx2 v[1:2], v[95:96], off
	s_waitcnt vmcnt(50)
	global_store_dwordx2 v[5:6], v[97:98], off
	s_clause 0x7
	buffer_load_dword v0, off, s[0:3], 0 offset:232
	buffer_load_dword v1, off, s[0:3], 0 offset:236
	buffer_load_dword v5, off, s[0:3], 0 offset:240
	buffer_load_dword v6, off, s[0:3], 0 offset:244
	buffer_load_dword v95, off, s[0:3], 0 offset:248
	buffer_load_dword v96, off, s[0:3], 0 offset:252
	buffer_load_dword v97, off, s[0:3], 0 offset:256
	buffer_load_dword v98, off, s[0:3], 0 offset:260
	s_waitcnt vmcnt(56)
	global_store_dwordx2 v[3:4], v[99:100], off
	;; [unrolled: 13-line block ×4, first 2 shown]
	global_store_dwordx2 v[17:18], v[109:110], off
	s_clause 0x7
	buffer_load_dword v11, off, s[0:3], 0 offset:328
	buffer_load_dword v12, off, s[0:3], 0 offset:332
	;; [unrolled: 1-line block ×8, first 2 shown]
	s_waitcnt vmcnt(62)
	global_store_dwordx2 v[15:16], v[89:90], off
	global_store_dwordx2 v[19:20], v[91:92], off
	;; [unrolled: 1-line block ×4, first 2 shown]
	s_waitcnt vmcnt(60)
	global_store_dwordx2 v[25:26], v[115:116], off
	s_waitcnt vmcnt(58)
	global_store_dwordx2 v[27:28], v[117:118], off
	;; [unrolled: 2-line block ×31, first 2 shown]
	s_endpgm
	.section	.rodata,"a",@progbits
	.p2align	6, 0x0
	.amdhsa_kernel _ZN9rocsolver6v33100L18getri_kernel_smallILi45EdPdEEvT1_iilPiilS4_bb
		.amdhsa_group_segment_fixed_size 728
		.amdhsa_private_segment_fixed_size 368
		.amdhsa_kernarg_size 60
		.amdhsa_user_sgpr_count 6
		.amdhsa_user_sgpr_private_segment_buffer 1
		.amdhsa_user_sgpr_dispatch_ptr 0
		.amdhsa_user_sgpr_queue_ptr 0
		.amdhsa_user_sgpr_kernarg_segment_ptr 1
		.amdhsa_user_sgpr_dispatch_id 0
		.amdhsa_user_sgpr_flat_scratch_init 0
		.amdhsa_user_sgpr_private_segment_size 0
		.amdhsa_wavefront_size32 1
		.amdhsa_uses_dynamic_stack 0
		.amdhsa_system_sgpr_private_segment_wavefront_offset 1
		.amdhsa_system_sgpr_workgroup_id_x 1
		.amdhsa_system_sgpr_workgroup_id_y 0
		.amdhsa_system_sgpr_workgroup_id_z 0
		.amdhsa_system_sgpr_workgroup_info 0
		.amdhsa_system_vgpr_workitem_id 0
		.amdhsa_next_free_vgpr 141
		.amdhsa_next_free_sgpr 23
		.amdhsa_reserve_vcc 1
		.amdhsa_reserve_flat_scratch 0
		.amdhsa_float_round_mode_32 0
		.amdhsa_float_round_mode_16_64 0
		.amdhsa_float_denorm_mode_32 3
		.amdhsa_float_denorm_mode_16_64 3
		.amdhsa_dx10_clamp 1
		.amdhsa_ieee_mode 1
		.amdhsa_fp16_overflow 0
		.amdhsa_workgroup_processor_mode 1
		.amdhsa_memory_ordered 1
		.amdhsa_forward_progress 1
		.amdhsa_shared_vgpr_count 0
		.amdhsa_exception_fp_ieee_invalid_op 0
		.amdhsa_exception_fp_denorm_src 0
		.amdhsa_exception_fp_ieee_div_zero 0
		.amdhsa_exception_fp_ieee_overflow 0
		.amdhsa_exception_fp_ieee_underflow 0
		.amdhsa_exception_fp_ieee_inexact 0
		.amdhsa_exception_int_div_zero 0
	.end_amdhsa_kernel
	.section	.text._ZN9rocsolver6v33100L18getri_kernel_smallILi45EdPdEEvT1_iilPiilS4_bb,"axG",@progbits,_ZN9rocsolver6v33100L18getri_kernel_smallILi45EdPdEEvT1_iilPiilS4_bb,comdat
.Lfunc_end44:
	.size	_ZN9rocsolver6v33100L18getri_kernel_smallILi45EdPdEEvT1_iilPiilS4_bb, .Lfunc_end44-_ZN9rocsolver6v33100L18getri_kernel_smallILi45EdPdEEvT1_iilPiilS4_bb
                                        ; -- End function
	.set _ZN9rocsolver6v33100L18getri_kernel_smallILi45EdPdEEvT1_iilPiilS4_bb.num_vgpr, 141
	.set _ZN9rocsolver6v33100L18getri_kernel_smallILi45EdPdEEvT1_iilPiilS4_bb.num_agpr, 0
	.set _ZN9rocsolver6v33100L18getri_kernel_smallILi45EdPdEEvT1_iilPiilS4_bb.numbered_sgpr, 23
	.set _ZN9rocsolver6v33100L18getri_kernel_smallILi45EdPdEEvT1_iilPiilS4_bb.num_named_barrier, 0
	.set _ZN9rocsolver6v33100L18getri_kernel_smallILi45EdPdEEvT1_iilPiilS4_bb.private_seg_size, 368
	.set _ZN9rocsolver6v33100L18getri_kernel_smallILi45EdPdEEvT1_iilPiilS4_bb.uses_vcc, 1
	.set _ZN9rocsolver6v33100L18getri_kernel_smallILi45EdPdEEvT1_iilPiilS4_bb.uses_flat_scratch, 0
	.set _ZN9rocsolver6v33100L18getri_kernel_smallILi45EdPdEEvT1_iilPiilS4_bb.has_dyn_sized_stack, 0
	.set _ZN9rocsolver6v33100L18getri_kernel_smallILi45EdPdEEvT1_iilPiilS4_bb.has_recursion, 0
	.set _ZN9rocsolver6v33100L18getri_kernel_smallILi45EdPdEEvT1_iilPiilS4_bb.has_indirect_call, 0
	.section	.AMDGPU.csdata,"",@progbits
; Kernel info:
; codeLenInByte = 57628
; TotalNumSgprs: 25
; NumVgprs: 141
; ScratchSize: 368
; MemoryBound: 1
; FloatMode: 240
; IeeeMode: 1
; LDSByteSize: 728 bytes/workgroup (compile time only)
; SGPRBlocks: 0
; VGPRBlocks: 17
; NumSGPRsForWavesPerEU: 25
; NumVGPRsForWavesPerEU: 141
; Occupancy: 7
; WaveLimiterHint : 1
; COMPUTE_PGM_RSRC2:SCRATCH_EN: 1
; COMPUTE_PGM_RSRC2:USER_SGPR: 6
; COMPUTE_PGM_RSRC2:TRAP_HANDLER: 0
; COMPUTE_PGM_RSRC2:TGID_X_EN: 1
; COMPUTE_PGM_RSRC2:TGID_Y_EN: 0
; COMPUTE_PGM_RSRC2:TGID_Z_EN: 0
; COMPUTE_PGM_RSRC2:TIDIG_COMP_CNT: 0
	.section	.text._ZN9rocsolver6v33100L18getri_kernel_smallILi46EdPdEEvT1_iilPiilS4_bb,"axG",@progbits,_ZN9rocsolver6v33100L18getri_kernel_smallILi46EdPdEEvT1_iilPiilS4_bb,comdat
	.globl	_ZN9rocsolver6v33100L18getri_kernel_smallILi46EdPdEEvT1_iilPiilS4_bb ; -- Begin function _ZN9rocsolver6v33100L18getri_kernel_smallILi46EdPdEEvT1_iilPiilS4_bb
	.p2align	8
	.type	_ZN9rocsolver6v33100L18getri_kernel_smallILi46EdPdEEvT1_iilPiilS4_bb,@function
_ZN9rocsolver6v33100L18getri_kernel_smallILi46EdPdEEvT1_iilPiilS4_bb: ; @_ZN9rocsolver6v33100L18getri_kernel_smallILi46EdPdEEvT1_iilPiilS4_bb
; %bb.0:
	s_add_u32 s0, s0, s7
	s_addc_u32 s1, s1, 0
	s_mov_b32 s7, exec_lo
	v_cmpx_gt_u32_e32 46, v0
	s_cbranch_execz .LBB45_194
; %bb.1:
	s_clause 0x2
	s_load_dword s7, s[4:5], 0x38
	s_load_dwordx4 s[16:19], s[4:5], 0x10
	s_load_dwordx4 s[8:11], s[4:5], 0x28
                                        ; implicit-def: $sgpr20_sgpr21
	s_waitcnt lgkmcnt(0)
	s_bitcmp1_b32 s7, 8
	s_cselect_b32 s22, -1, 0
	s_bfe_u32 s12, s7, 0x10008
	s_ashr_i32 s7, s6, 31
	s_cmp_eq_u32 s12, 0
	s_cbranch_scc1 .LBB45_3
; %bb.2:
	s_load_dword s12, s[4:5], 0x20
	s_mul_i32 s13, s8, s7
	s_mul_hi_u32 s14, s8, s6
	s_mul_i32 s9, s9, s6
	s_add_i32 s13, s14, s13
	s_mul_i32 s8, s8, s6
	s_add_i32 s9, s13, s9
	s_lshl_b64 s[8:9], s[8:9], 2
	s_waitcnt lgkmcnt(0)
	s_ashr_i32 s13, s12, 31
	s_add_u32 s14, s18, s8
	s_addc_u32 s15, s19, s9
	s_lshl_b64 s[8:9], s[12:13], 2
	s_add_u32 s20, s14, s8
	s_addc_u32 s21, s15, s9
.LBB45_3:
	s_clause 0x1
	s_load_dwordx4 s[12:15], s[4:5], 0x0
	s_load_dword s8, s[4:5], 0x38
	s_mul_i32 s4, s16, s7
	s_mul_hi_u32 s5, s16, s6
	s_mul_i32 s9, s17, s6
	s_add_i32 s5, s5, s4
	s_mul_i32 s4, s16, s6
	s_add_i32 s5, s5, s9
	v_lshlrev_b32_e32 v95, 3, v0
	s_lshl_b64 s[4:5], s[4:5], 3
	s_waitcnt lgkmcnt(0)
	v_add3_u32 v1, s15, s15, v0
	s_ashr_i32 s17, s14, 31
	s_mov_b32 s16, s14
	s_add_u32 s9, s12, s4
	s_addc_u32 s12, s13, s5
	v_add_nc_u32_e32 v3, s15, v1
	v_ashrrev_i32_e32 v2, 31, v1
	s_lshl_b64 s[4:5], s[16:17], 3
	s_add_u32 s4, s9, s4
	v_add_nc_u32_e32 v5, s15, v3
	v_ashrrev_i32_e32 v4, 31, v3
	v_lshlrev_b64 v[1:2], 3, v[1:2]
	s_addc_u32 s5, s12, s5
	v_add_co_u32 v91, s9, s4, v95
	v_add_nc_u32_e32 v9, s15, v5
	v_ashrrev_i32_e32 v6, 31, v5
	v_lshlrev_b64 v[7:8], 3, v[3:4]
	v_add_co_u32 v3, vcc_lo, s4, v1
	v_add_nc_u32_e32 v11, s15, v9
	v_ashrrev_i32_e32 v10, 31, v9
	v_lshlrev_b64 v[5:6], 3, v[5:6]
	v_add_co_ci_u32_e64 v4, null, s5, v2, vcc_lo
	v_add_nc_u32_e32 v13, s15, v11
	v_lshlrev_b64 v[9:10], 3, v[9:10]
	v_add_co_u32 v1, vcc_lo, s4, v7
	v_add_co_ci_u32_e64 v2, null, s5, v8, vcc_lo
	v_ashrrev_i32_e32 v14, 31, v13
	v_add_nc_u32_e32 v15, s15, v13
	v_add_co_u32 v7, vcc_lo, s4, v5
	v_add_co_ci_u32_e64 v8, null, s5, v6, vcc_lo
	v_add_co_u32 v5, vcc_lo, s4, v9
	v_add_co_ci_u32_e64 v6, null, s5, v10, vcc_lo
	v_lshlrev_b64 v[9:10], 3, v[13:14]
	v_add_nc_u32_e32 v13, s15, v15
	v_ashrrev_i32_e32 v12, 31, v11
	v_ashrrev_i32_e32 v16, 31, v15
	s_mov_b32 s12, s15
	s_ashr_i32 s13, s15, 31
	v_add_nc_u32_e32 v19, s15, v13
	v_lshlrev_b64 v[11:12], 3, v[11:12]
	v_lshlrev_b64 v[15:16], 3, v[15:16]
	v_ashrrev_i32_e32 v14, 31, v13
	v_add_co_ci_u32_e64 v92, null, s5, 0, s9
	v_add_nc_u32_e32 v21, s15, v19
	v_add_co_u32 v11, vcc_lo, s4, v11
	v_ashrrev_i32_e32 v20, 31, v19
	v_add_co_ci_u32_e64 v12, null, s5, v12, vcc_lo
	v_add_nc_u32_e32 v23, s15, v21
	v_add_co_u32 v9, vcc_lo, s4, v9
	v_ashrrev_i32_e32 v22, 31, v21
	v_add_co_ci_u32_e64 v10, null, s5, v10, vcc_lo
	v_add_nc_u32_e32 v25, s15, v23
	v_lshlrev_b64 v[13:14], 3, v[13:14]
	v_add_co_u32 v17, vcc_lo, s4, v15
	v_ashrrev_i32_e32 v24, 31, v23
	v_add_nc_u32_e32 v27, s15, v25
	v_add_co_ci_u32_e64 v18, null, s5, v16, vcc_lo
	v_lshlrev_b64 v[15:16], 3, v[19:20]
	v_ashrrev_i32_e32 v26, 31, v25
	v_add_nc_u32_e32 v29, s15, v27
	v_lshlrev_b64 v[21:22], 3, v[21:22]
	v_ashrrev_i32_e32 v28, 31, v27
	v_add_co_u32 v13, vcc_lo, s4, v13
	v_add_nc_u32_e32 v31, s15, v29
	v_lshlrev_b64 v[23:24], 3, v[23:24]
	v_ashrrev_i32_e32 v30, 31, v29
	v_add_co_ci_u32_e64 v14, null, s5, v14, vcc_lo
	v_add_nc_u32_e32 v33, s15, v31
	v_add_co_u32 v19, vcc_lo, s4, v15
	v_lshlrev_b64 v[25:26], 3, v[25:26]
	v_ashrrev_i32_e32 v32, 31, v31
	v_add_nc_u32_e32 v35, s15, v33
	v_add_co_ci_u32_e64 v20, null, s5, v16, vcc_lo
	v_add_co_u32 v15, vcc_lo, s4, v21
	v_add_nc_u32_e32 v37, s15, v35
	v_lshlrev_b64 v[27:28], 3, v[27:28]
	v_ashrrev_i32_e32 v34, 31, v33
	v_add_co_ci_u32_e64 v16, null, s5, v22, vcc_lo
	v_add_nc_u32_e32 v39, s15, v37
	v_add_co_u32 v21, vcc_lo, s4, v23
	v_lshlrev_b64 v[29:30], 3, v[29:30]
	v_ashrrev_i32_e32 v36, 31, v35
	v_add_nc_u32_e32 v41, s15, v39
	v_add_co_ci_u32_e64 v22, null, s5, v24, vcc_lo
	v_add_co_u32 v23, vcc_lo, s4, v25
	v_add_nc_u32_e32 v43, s15, v41
	v_lshlrev_b64 v[31:32], 3, v[31:32]
	v_ashrrev_i32_e32 v38, 31, v37
	v_add_co_ci_u32_e64 v24, null, s5, v26, vcc_lo
	v_add_nc_u32_e32 v45, s15, v43
	v_add_co_u32 v25, vcc_lo, s4, v27
	v_lshlrev_b64 v[33:34], 3, v[33:34]
	v_ashrrev_i32_e32 v40, 31, v39
	v_add_nc_u32_e32 v47, s15, v45
	v_add_co_ci_u32_e64 v26, null, s5, v28, vcc_lo
	v_add_co_u32 v27, vcc_lo, s4, v29
	v_add_nc_u32_e32 v49, s15, v47
	v_lshlrev_b64 v[35:36], 3, v[35:36]
	v_ashrrev_i32_e32 v42, 31, v41
	v_add_co_ci_u32_e64 v28, null, s5, v30, vcc_lo
	v_add_nc_u32_e32 v51, s15, v49
	v_add_co_u32 v29, vcc_lo, s4, v31
	v_lshlrev_b64 v[37:38], 3, v[37:38]
	v_ashrrev_i32_e32 v44, 31, v43
	v_add_nc_u32_e32 v53, s15, v51
	v_add_co_ci_u32_e64 v30, null, s5, v32, vcc_lo
	v_add_co_u32 v31, vcc_lo, s4, v33
	v_add_nc_u32_e32 v55, s15, v53
	v_lshlrev_b64 v[39:40], 3, v[39:40]
	v_ashrrev_i32_e32 v46, 31, v45
	v_add_co_ci_u32_e64 v32, null, s5, v34, vcc_lo
	v_add_nc_u32_e32 v57, s15, v55
	v_add_co_u32 v33, vcc_lo, s4, v35
	v_lshlrev_b64 v[41:42], 3, v[41:42]
	v_ashrrev_i32_e32 v48, 31, v47
	v_add_nc_u32_e32 v59, s15, v57
	v_add_co_ci_u32_e64 v34, null, s5, v36, vcc_lo
	v_add_co_u32 v35, vcc_lo, s4, v37
	v_add_nc_u32_e32 v61, s15, v59
	v_lshlrev_b64 v[43:44], 3, v[43:44]
	v_ashrrev_i32_e32 v50, 31, v49
	v_add_co_ci_u32_e64 v36, null, s5, v38, vcc_lo
	v_add_nc_u32_e32 v63, s15, v61
	v_add_co_u32 v37, vcc_lo, s4, v39
	v_lshlrev_b64 v[45:46], 3, v[45:46]
	v_ashrrev_i32_e32 v52, 31, v51
	v_add_nc_u32_e32 v65, s15, v63
	v_add_co_ci_u32_e64 v38, null, s5, v40, vcc_lo
	v_add_co_u32 v39, vcc_lo, s4, v41
	v_add_nc_u32_e32 v67, s15, v65
	v_lshlrev_b64 v[47:48], 3, v[47:48]
	v_ashrrev_i32_e32 v54, 31, v53
	v_add_co_ci_u32_e64 v40, null, s5, v42, vcc_lo
	v_add_co_u32 v41, vcc_lo, s4, v43
	v_lshlrev_b64 v[49:50], 3, v[49:50]
	v_ashrrev_i32_e32 v56, 31, v55
	v_add_nc_u32_e32 v69, s15, v67
	v_add_co_ci_u32_e64 v42, null, s5, v44, vcc_lo
	v_add_co_u32 v43, vcc_lo, s4, v45
	v_lshlrev_b64 v[51:52], 3, v[51:52]
	v_ashrrev_i32_e32 v58, 31, v57
	v_add_co_ci_u32_e64 v44, null, s5, v46, vcc_lo
	v_add_co_u32 v45, vcc_lo, s4, v47
	v_lshlrev_b64 v[53:54], 3, v[53:54]
	v_ashrrev_i32_e32 v60, 31, v59
	v_add_co_ci_u32_e64 v46, null, s5, v48, vcc_lo
	v_add_co_u32 v47, vcc_lo, s4, v49
	v_lshlrev_b64 v[55:56], 3, v[55:56]
	v_add_nc_u32_e32 v71, s15, v69
	v_ashrrev_i32_e32 v62, 31, v61
	v_add_co_ci_u32_e64 v48, null, s5, v50, vcc_lo
	v_add_co_u32 v49, vcc_lo, s4, v51
	v_lshlrev_b64 v[57:58], 3, v[57:58]
	v_ashrrev_i32_e32 v64, 31, v63
	v_add_co_ci_u32_e64 v50, null, s5, v52, vcc_lo
	v_add_co_u32 v51, vcc_lo, s4, v53
	v_lshlrev_b64 v[59:60], 3, v[59:60]
	v_ashrrev_i32_e32 v66, 31, v65
	v_add_nc_u32_e32 v73, s15, v71
	v_add_co_ci_u32_e64 v52, null, s5, v54, vcc_lo
	v_add_co_u32 v53, vcc_lo, s4, v55
	v_lshlrev_b64 v[61:62], 3, v[61:62]
	v_ashrrev_i32_e32 v68, 31, v67
	v_add_co_ci_u32_e64 v54, null, s5, v56, vcc_lo
	v_add_co_u32 v55, vcc_lo, s4, v57
	v_lshlrev_b64 v[63:64], 3, v[63:64]
	v_ashrrev_i32_e32 v70, 31, v69
	v_add_co_ci_u32_e64 v56, null, s5, v58, vcc_lo
	v_add_co_u32 v57, vcc_lo, s4, v59
	v_lshlrev_b64 v[65:66], 3, v[65:66]
	v_add_nc_u32_e32 v75, s15, v73
	v_ashrrev_i32_e32 v72, 31, v71
	v_add_co_ci_u32_e64 v58, null, s5, v60, vcc_lo
	v_add_co_u32 v59, vcc_lo, s4, v61
	v_lshlrev_b64 v[67:68], 3, v[67:68]
	v_ashrrev_i32_e32 v74, 31, v73
	v_add_co_ci_u32_e64 v60, null, s5, v62, vcc_lo
	v_add_co_u32 v61, vcc_lo, s4, v63
	v_lshlrev_b64 v[69:70], 3, v[69:70]
	;; [unrolled: 4-line block ×3, first 2 shown]
	v_add_co_ci_u32_e64 v64, null, s5, v66, vcc_lo
	v_add_co_u32 v65, vcc_lo, s4, v67
	v_lshlrev_b64 v[73:74], 3, v[73:74]
	v_add_co_ci_u32_e64 v66, null, s5, v68, vcc_lo
	v_add_co_u32 v67, vcc_lo, s4, v69
	v_lshlrev_b64 v[76:77], 3, v[75:76]
	v_add_co_ci_u32_e64 v68, null, s5, v70, vcc_lo
	v_add_co_u32 v69, vcc_lo, s4, v71
	v_add_co_ci_u32_e64 v70, null, s5, v72, vcc_lo
	v_add_co_u32 v71, vcc_lo, s4, v73
	;; [unrolled: 2-line block ×3, first 2 shown]
	s_lshl_b64 s[12:13], s[12:13], 3
	v_add_co_ci_u32_e64 v74, null, s5, v77, vcc_lo
	v_add_co_u32 v89, vcc_lo, v91, s12
	v_add_co_ci_u32_e64 v90, null, s13, v92, vcc_lo
	s_clause 0x16
	global_load_dwordx2 v[93:94], v95, s[4:5]
	global_load_dwordx2 v[96:97], v[89:90], off
	global_load_dwordx2 v[98:99], v[3:4], off
	;; [unrolled: 1-line block ×22, first 2 shown]
	v_add_nc_u32_e32 v75, s15, v75
	s_bitcmp0_b32 s8, 0
	s_waitcnt vmcnt(22)
	buffer_store_dword v94, off, s[0:3], 0 offset:4
	buffer_store_dword v93, off, s[0:3], 0
	s_waitcnt vmcnt(21)
	buffer_store_dword v97, off, s[0:3], 0 offset:12
	buffer_store_dword v96, off, s[0:3], 0 offset:8
	v_add_nc_u32_e32 v77, s15, v75
	v_ashrrev_i32_e32 v76, 31, v75
	s_clause 0x1
	global_load_dwordx2 v[93:94], v[43:44], off
	global_load_dwordx2 v[96:97], v[45:46], off
	s_waitcnt vmcnt(22)
	buffer_store_dword v99, off, s[0:3], 0 offset:20
	buffer_store_dword v98, off, s[0:3], 0 offset:16
	s_waitcnt vmcnt(17)
	buffer_store_dword v101, off, s[0:3], 0 offset:28
	buffer_store_dword v100, off, s[0:3], 0 offset:24
	;; [unrolled: 3-line block ×4, first 2 shown]
	s_clause 0x3
	global_load_dwordx2 v[98:99], v[47:48], off
	global_load_dwordx2 v[100:101], v[49:50], off
	;; [unrolled: 1-line block ×4, first 2 shown]
	v_add_nc_u32_e32 v79, s15, v77
	v_ashrrev_i32_e32 v78, 31, v77
	v_lshlrev_b64 v[75:76], 3, v[75:76]
	buffer_store_dword v107, off, s[0:3], 0 offset:52
	buffer_store_dword v106, off, s[0:3], 0 offset:48
	;; [unrolled: 1-line block ×8, first 2 shown]
	s_clause 0x3
	global_load_dwordx2 v[106:107], v[55:56], off
	global_load_dwordx2 v[108:109], v[57:58], off
	;; [unrolled: 1-line block ×4, first 2 shown]
	v_add_nc_u32_e32 v81, s15, v79
	v_ashrrev_i32_e32 v80, 31, v79
	v_lshlrev_b64 v[77:78], 3, v[77:78]
	v_add_co_u32 v75, vcc_lo, s4, v75
	v_add_nc_u32_e32 v83, s15, v81
	v_ashrrev_i32_e32 v82, 31, v81
	v_lshlrev_b64 v[79:80], 3, v[79:80]
	v_add_co_ci_u32_e64 v76, null, s5, v76, vcc_lo
	v_add_nc_u32_e32 v85, s15, v83
	v_ashrrev_i32_e32 v84, 31, v83
	v_lshlrev_b64 v[81:82], 3, v[81:82]
	v_add_co_u32 v77, vcc_lo, s4, v77
	v_ashrrev_i32_e32 v86, 31, v85
	v_lshlrev_b64 v[83:84], 3, v[83:84]
	v_add_co_ci_u32_e64 v78, null, s5, v78, vcc_lo
	v_add_co_u32 v79, vcc_lo, s4, v79
	v_add_nc_u32_e32 v87, s15, v85
	v_lshlrev_b64 v[85:86], 3, v[85:86]
	v_add_co_ci_u32_e64 v80, null, s5, v80, vcc_lo
	v_add_co_u32 v81, vcc_lo, s4, v81
	v_add_co_ci_u32_e64 v82, null, s5, v82, vcc_lo
	v_add_co_u32 v83, vcc_lo, s4, v83
	;; [unrolled: 2-line block ×3, first 2 shown]
	v_add_co_ci_u32_e64 v86, null, s5, v86, vcc_lo
	s_waitcnt vmcnt(21)
	buffer_store_dword v114, off, s[0:3], 0 offset:80
	buffer_store_dword v115, off, s[0:3], 0 offset:84
	;; [unrolled: 1-line block ×4, first 2 shown]
	s_waitcnt vmcnt(20)
	buffer_store_dword v118, off, s[0:3], 0 offset:96
	buffer_store_dword v119, off, s[0:3], 0 offset:100
	s_waitcnt vmcnt(19)
	buffer_store_dword v120, off, s[0:3], 0 offset:104
	buffer_store_dword v121, off, s[0:3], 0 offset:108
	s_clause 0x3
	global_load_dwordx2 v[114:115], v[63:64], off
	global_load_dwordx2 v[116:117], v[65:66], off
	;; [unrolled: 1-line block ×4, first 2 shown]
	s_waitcnt vmcnt(22)
	buffer_store_dword v123, off, s[0:3], 0 offset:116
	buffer_store_dword v122, off, s[0:3], 0 offset:112
	s_waitcnt vmcnt(21)
	buffer_store_dword v124, off, s[0:3], 0 offset:120
	buffer_store_dword v125, off, s[0:3], 0 offset:124
	;; [unrolled: 3-line block ×4, first 2 shown]
	s_clause 0x3
	global_load_dwordx2 v[122:123], v[71:72], off
	global_load_dwordx2 v[124:125], v[73:74], off
	;; [unrolled: 1-line block ×4, first 2 shown]
	s_waitcnt vmcnt(22)
	buffer_store_dword v130, off, s[0:3], 0 offset:144
	buffer_store_dword v131, off, s[0:3], 0 offset:148
	s_waitcnt vmcnt(21)
	buffer_store_dword v133, off, s[0:3], 0 offset:156
	buffer_store_dword v132, off, s[0:3], 0 offset:152
	s_clause 0x1
	global_load_dwordx2 v[130:131], v[79:80], off
	global_load_dwordx2 v[132:133], v[81:82], off
	s_waitcnt vmcnt(22)
	buffer_store_dword v135, off, s[0:3], 0 offset:164
	buffer_store_dword v134, off, s[0:3], 0 offset:160
	s_waitcnt vmcnt(21)
	buffer_store_dword v136, off, s[0:3], 0 offset:168
	buffer_store_dword v137, off, s[0:3], 0 offset:172
	s_clause 0x1
	global_load_dwordx2 v[134:135], v[83:84], off
	global_load_dwordx2 v[136:137], v[85:86], off
	v_ashrrev_i32_e32 v88, 31, v87
	s_waitcnt vmcnt(22)
	buffer_store_dword v138, off, s[0:3], 0 offset:176
	buffer_store_dword v139, off, s[0:3], 0 offset:180
	v_lshlrev_b64 v[87:88], 3, v[87:88]
	v_add_co_u32 v87, vcc_lo, s4, v87
	v_add_co_ci_u32_e64 v88, null, s5, v88, vcc_lo
	s_mov_b32 s5, -1
	global_load_dwordx2 v[138:139], v[87:88], off
	s_waitcnt vmcnt(22)
	buffer_store_dword v93, off, s[0:3], 0 offset:184
	buffer_store_dword v94, off, s[0:3], 0 offset:188
	s_waitcnt vmcnt(21)
	buffer_store_dword v96, off, s[0:3], 0 offset:192
	buffer_store_dword v97, off, s[0:3], 0 offset:196
	;; [unrolled: 3-line block ×23, first 2 shown]
	s_cbranch_scc1 .LBB45_192
; %bb.4:
	v_cmp_eq_u32_e64 s4, 0, v0
	s_and_saveexec_b32 s5, s4
; %bb.5:
	v_mov_b32_e32 v93, 0
	ds_write_b32 v93, v93 offset:736
; %bb.6:
	s_or_b32 exec_lo, exec_lo, s5
	v_lshl_add_u32 v93, v0, 3, 0
	s_waitcnt lgkmcnt(0)
	s_waitcnt_vscnt null, 0x0
	s_barrier
	buffer_gl0_inv
	s_mov_b32 s8, exec_lo
	s_clause 0x1
	buffer_load_dword v96, v93, s[0:3], 0 offen
	buffer_load_dword v97, v93, s[0:3], 0 offen offset:4
	s_waitcnt vmcnt(0)
	v_cmpx_eq_f64_e32 0, v[96:97]
	s_cbranch_execz .LBB45_10
; %bb.7:
	v_mov_b32_e32 v94, 0
	s_mov_b32 s9, 0
	ds_read_b32 v96, v94 offset:736
	s_waitcnt lgkmcnt(0)
	v_readfirstlane_b32 s5, v96
	v_add_nc_u32_e32 v96, 1, v0
	s_cmp_eq_u32 s5, 0
	v_cmp_gt_i32_e32 vcc_lo, s5, v96
	s_cselect_b32 s12, -1, 0
	s_or_b32 s12, s12, vcc_lo
	s_and_b32 exec_lo, exec_lo, s12
	s_cbranch_execz .LBB45_10
; %bb.8:
	v_mov_b32_e32 v97, s5
.LBB45_9:                               ; =>This Inner Loop Header: Depth=1
	ds_cmpst_rtn_b32 v97, v94, v97, v96 offset:736
	s_waitcnt lgkmcnt(0)
	v_cmp_ne_u32_e32 vcc_lo, 0, v97
	v_cmp_le_i32_e64 s5, v97, v96
	s_and_b32 s5, vcc_lo, s5
	s_and_b32 s5, exec_lo, s5
	s_or_b32 s9, s5, s9
	s_andn2_b32 exec_lo, exec_lo, s9
	s_cbranch_execnz .LBB45_9
.LBB45_10:
	s_or_b32 exec_lo, exec_lo, s8
	v_mov_b32_e32 v94, 0
	s_barrier
	buffer_gl0_inv
	ds_read_b32 v96, v94 offset:736
	s_and_saveexec_b32 s5, s4
	s_cbranch_execz .LBB45_12
; %bb.11:
	s_lshl_b64 s[8:9], s[6:7], 2
	s_add_u32 s8, s10, s8
	s_addc_u32 s9, s11, s9
	s_waitcnt lgkmcnt(0)
	global_store_dword v94, v96, s[8:9]
.LBB45_12:
	s_or_b32 exec_lo, exec_lo, s5
	s_waitcnt lgkmcnt(0)
	v_cmp_ne_u32_e32 vcc_lo, 0, v96
	s_mov_b32 s5, 0
	s_cbranch_vccnz .LBB45_192
; %bb.13:
	s_clause 0x1
	buffer_load_dword v96, v93, s[0:3], 0 offen
	buffer_load_dword v97, v93, s[0:3], 0 offen offset:4
	s_waitcnt vmcnt(0)
	v_div_scale_f64 v[98:99], null, v[96:97], v[96:97], 1.0
	v_div_scale_f64 v[104:105], vcc_lo, 1.0, v[96:97], 1.0
	v_rcp_f64_e32 v[100:101], v[98:99]
	v_fma_f64 v[102:103], -v[98:99], v[100:101], 1.0
	v_fma_f64 v[100:101], v[100:101], v[102:103], v[100:101]
	v_fma_f64 v[102:103], -v[98:99], v[100:101], 1.0
	v_fma_f64 v[100:101], v[100:101], v[102:103], v[100:101]
	v_mul_f64 v[102:103], v[104:105], v[100:101]
	v_fma_f64 v[98:99], -v[98:99], v[102:103], v[104:105]
	v_div_fmas_f64 v[98:99], v[98:99], v[100:101], v[102:103]
	v_div_fixup_f64 v[97:98], v[98:99], v[96:97], 1.0
	v_add_nc_u32_e32 v96, 0x170, v95
	buffer_store_dword v98, v93, s[0:3], 0 offen offset:4
	buffer_store_dword v97, v93, s[0:3], 0 offen
	s_clause 0x1
	buffer_load_dword v100, off, s[0:3], 0 offset:12
	buffer_load_dword v99, off, s[0:3], 0 offset:8
	v_xor_b32_e32 v98, 0x80000000, v98
	s_waitcnt vmcnt(0)
	ds_write2_b64 v95, v[97:98], v[99:100] offset1:46
	s_waitcnt lgkmcnt(0)
	s_waitcnt_vscnt null, 0x0
	s_barrier
	buffer_gl0_inv
	s_and_saveexec_b32 s5, s4
	s_cbranch_execz .LBB45_15
; %bb.14:
	s_clause 0x1
	buffer_load_dword v97, v93, s[0:3], 0 offen
	buffer_load_dword v98, v93, s[0:3], 0 offen offset:4
	ds_read_b64 v[99:100], v96
	v_mov_b32_e32 v94, 0
	ds_read_b64 v[101:102], v94 offset:8
	s_waitcnt vmcnt(0) lgkmcnt(1)
	v_fma_f64 v[97:98], v[97:98], v[99:100], 0
	s_waitcnt lgkmcnt(0)
	v_mul_f64 v[97:98], v[97:98], v[101:102]
	buffer_store_dword v97, off, s[0:3], 0 offset:8
	buffer_store_dword v98, off, s[0:3], 0 offset:12
.LBB45_15:
	s_or_b32 exec_lo, exec_lo, s5
	s_waitcnt_vscnt null, 0x0
	s_barrier
	buffer_gl0_inv
	s_clause 0x1
	buffer_load_dword v97, off, s[0:3], 0 offset:16
	buffer_load_dword v98, off, s[0:3], 0 offset:20
	s_mov_b32 s5, exec_lo
	s_waitcnt vmcnt(0)
	ds_write_b64 v96, v[97:98]
	s_waitcnt lgkmcnt(0)
	s_barrier
	buffer_gl0_inv
	v_cmpx_gt_u32_e32 2, v0
	s_cbranch_execz .LBB45_19
; %bb.16:
	s_clause 0x1
	buffer_load_dword v97, v93, s[0:3], 0 offen
	buffer_load_dword v98, v93, s[0:3], 0 offen offset:4
	ds_read_b64 v[93:94], v96
	s_waitcnt vmcnt(0) lgkmcnt(0)
	v_fma_f64 v[93:94], v[97:98], v[93:94], 0
	s_and_saveexec_b32 s8, s4
	s_cbranch_execz .LBB45_18
; %bb.17:
	s_clause 0x1
	buffer_load_dword v97, off, s[0:3], 0 offset:8
	buffer_load_dword v98, off, s[0:3], 0 offset:12
	v_mov_b32_e32 v99, 0
	ds_read_b64 v[99:100], v99 offset:376
	s_waitcnt vmcnt(0) lgkmcnt(0)
	v_fma_f64 v[93:94], v[97:98], v[99:100], v[93:94]
.LBB45_18:
	s_or_b32 exec_lo, exec_lo, s8
	v_mov_b32_e32 v97, 0
	ds_read_b64 v[97:98], v97 offset:16
	s_waitcnt lgkmcnt(0)
	v_mul_f64 v[93:94], v[93:94], v[97:98]
	buffer_store_dword v94, off, s[0:3], 0 offset:20
	buffer_store_dword v93, off, s[0:3], 0 offset:16
.LBB45_19:
	s_or_b32 exec_lo, exec_lo, s5
	s_waitcnt_vscnt null, 0x0
	s_barrier
	buffer_gl0_inv
	s_clause 0x1
	buffer_load_dword v93, off, s[0:3], 0 offset:24
	buffer_load_dword v94, off, s[0:3], 0 offset:28
	v_add_nc_u32_e32 v97, -1, v0
	s_mov_b32 s4, exec_lo
	s_waitcnt vmcnt(0)
	ds_write_b64 v96, v[93:94]
	s_waitcnt lgkmcnt(0)
	s_barrier
	buffer_gl0_inv
	v_cmpx_gt_u32_e32 3, v0
	s_cbranch_execz .LBB45_23
; %bb.20:
	v_mov_b32_e32 v93, 0
	v_add_nc_u32_e32 v98, -1, v0
	v_add_nc_u32_e32 v99, 0x170, v95
	v_mov_b32_e32 v94, 0
	v_mov_b32_e32 v100, v95
	s_mov_b32 s5, 0
.LBB45_21:                              ; =>This Inner Loop Header: Depth=1
	s_clause 0x1
	buffer_load_dword v101, v100, s[0:3], 0 offen
	buffer_load_dword v102, v100, s[0:3], 0 offen offset:4
	ds_read_b64 v[103:104], v99
	v_add_nc_u32_e32 v98, 1, v98
	v_add_nc_u32_e32 v99, 8, v99
	v_add_nc_u32_e32 v100, 8, v100
	v_cmp_lt_u32_e32 vcc_lo, 1, v98
	s_or_b32 s5, vcc_lo, s5
	s_waitcnt vmcnt(0) lgkmcnt(0)
	v_fma_f64 v[93:94], v[101:102], v[103:104], v[93:94]
	s_andn2_b32 exec_lo, exec_lo, s5
	s_cbranch_execnz .LBB45_21
; %bb.22:
	s_or_b32 exec_lo, exec_lo, s5
	v_mov_b32_e32 v98, 0
	ds_read_b64 v[98:99], v98 offset:24
	s_waitcnt lgkmcnt(0)
	v_mul_f64 v[93:94], v[93:94], v[98:99]
	buffer_store_dword v94, off, s[0:3], 0 offset:28
	buffer_store_dword v93, off, s[0:3], 0 offset:24
.LBB45_23:
	s_or_b32 exec_lo, exec_lo, s4
	s_waitcnt_vscnt null, 0x0
	s_barrier
	buffer_gl0_inv
	s_clause 0x1
	buffer_load_dword v93, off, s[0:3], 0 offset:32
	buffer_load_dword v94, off, s[0:3], 0 offset:36
	s_mov_b32 s4, exec_lo
	s_waitcnt vmcnt(0)
	ds_write_b64 v96, v[93:94]
	s_waitcnt lgkmcnt(0)
	s_barrier
	buffer_gl0_inv
	v_cmpx_gt_u32_e32 4, v0
	s_cbranch_execz .LBB45_27
; %bb.24:
	v_mov_b32_e32 v93, 0
	v_add_nc_u32_e32 v98, -1, v0
	v_add_nc_u32_e32 v99, 0x170, v95
	v_mov_b32_e32 v94, 0
	v_mov_b32_e32 v100, v95
	s_mov_b32 s5, 0
.LBB45_25:                              ; =>This Inner Loop Header: Depth=1
	s_clause 0x1
	buffer_load_dword v101, v100, s[0:3], 0 offen
	buffer_load_dword v102, v100, s[0:3], 0 offen offset:4
	ds_read_b64 v[103:104], v99
	v_add_nc_u32_e32 v98, 1, v98
	v_add_nc_u32_e32 v99, 8, v99
	v_add_nc_u32_e32 v100, 8, v100
	v_cmp_lt_u32_e32 vcc_lo, 2, v98
	s_or_b32 s5, vcc_lo, s5
	s_waitcnt vmcnt(0) lgkmcnt(0)
	v_fma_f64 v[93:94], v[101:102], v[103:104], v[93:94]
	s_andn2_b32 exec_lo, exec_lo, s5
	s_cbranch_execnz .LBB45_25
; %bb.26:
	s_or_b32 exec_lo, exec_lo, s5
	v_mov_b32_e32 v98, 0
	ds_read_b64 v[98:99], v98 offset:32
	s_waitcnt lgkmcnt(0)
	v_mul_f64 v[93:94], v[93:94], v[98:99]
	buffer_store_dword v94, off, s[0:3], 0 offset:36
	buffer_store_dword v93, off, s[0:3], 0 offset:32
.LBB45_27:
	s_or_b32 exec_lo, exec_lo, s4
	s_waitcnt_vscnt null, 0x0
	s_barrier
	buffer_gl0_inv
	s_clause 0x1
	buffer_load_dword v93, off, s[0:3], 0 offset:40
	buffer_load_dword v94, off, s[0:3], 0 offset:44
	;; [unrolled: 45-line block ×20, first 2 shown]
	s_mov_b32 s4, exec_lo
	s_waitcnt vmcnt(0)
	ds_write_b64 v96, v[93:94]
	s_waitcnt lgkmcnt(0)
	s_barrier
	buffer_gl0_inv
	v_cmpx_gt_u32_e32 23, v0
	s_cbranch_execz .LBB45_103
; %bb.100:
	v_mov_b32_e32 v93, 0
	v_add_nc_u32_e32 v98, -1, v0
	v_add_nc_u32_e32 v99, 0x170, v95
	v_mov_b32_e32 v94, 0
	v_mov_b32_e32 v100, v95
	s_mov_b32 s5, 0
.LBB45_101:                             ; =>This Inner Loop Header: Depth=1
	s_clause 0x1
	buffer_load_dword v101, v100, s[0:3], 0 offen
	buffer_load_dword v102, v100, s[0:3], 0 offen offset:4
	ds_read_b64 v[103:104], v99
	v_add_nc_u32_e32 v98, 1, v98
	v_add_nc_u32_e32 v99, 8, v99
	v_add_nc_u32_e32 v100, 8, v100
	v_cmp_lt_u32_e32 vcc_lo, 21, v98
	s_or_b32 s5, vcc_lo, s5
	s_waitcnt vmcnt(0) lgkmcnt(0)
	v_fma_f64 v[93:94], v[101:102], v[103:104], v[93:94]
	s_andn2_b32 exec_lo, exec_lo, s5
	s_cbranch_execnz .LBB45_101
; %bb.102:
	s_or_b32 exec_lo, exec_lo, s5
	v_mov_b32_e32 v98, 0
	ds_read_b64 v[98:99], v98 offset:184
	s_waitcnt lgkmcnt(0)
	v_mul_f64 v[93:94], v[93:94], v[98:99]
	buffer_store_dword v94, off, s[0:3], 0 offset:188
	buffer_store_dword v93, off, s[0:3], 0 offset:184
.LBB45_103:
	s_or_b32 exec_lo, exec_lo, s4
	s_waitcnt_vscnt null, 0x0
	s_barrier
	buffer_gl0_inv
	s_clause 0x1
	buffer_load_dword v93, off, s[0:3], 0 offset:192
	buffer_load_dword v94, off, s[0:3], 0 offset:196
	s_mov_b32 s4, exec_lo
	s_waitcnt vmcnt(0)
	ds_write_b64 v96, v[93:94]
	s_waitcnt lgkmcnt(0)
	s_barrier
	buffer_gl0_inv
	v_cmpx_gt_u32_e32 24, v0
	s_cbranch_execz .LBB45_107
; %bb.104:
	v_mov_b32_e32 v93, 0
	v_add_nc_u32_e32 v98, -1, v0
	v_add_nc_u32_e32 v99, 0x170, v95
	v_mov_b32_e32 v94, 0
	v_mov_b32_e32 v100, v95
	s_mov_b32 s5, 0
.LBB45_105:                             ; =>This Inner Loop Header: Depth=1
	s_clause 0x1
	buffer_load_dword v101, v100, s[0:3], 0 offen
	buffer_load_dword v102, v100, s[0:3], 0 offen offset:4
	ds_read_b64 v[103:104], v99
	v_add_nc_u32_e32 v98, 1, v98
	v_add_nc_u32_e32 v99, 8, v99
	v_add_nc_u32_e32 v100, 8, v100
	v_cmp_lt_u32_e32 vcc_lo, 22, v98
	s_or_b32 s5, vcc_lo, s5
	s_waitcnt vmcnt(0) lgkmcnt(0)
	v_fma_f64 v[93:94], v[101:102], v[103:104], v[93:94]
	s_andn2_b32 exec_lo, exec_lo, s5
	s_cbranch_execnz .LBB45_105
; %bb.106:
	s_or_b32 exec_lo, exec_lo, s5
	v_mov_b32_e32 v98, 0
	ds_read_b64 v[98:99], v98 offset:192
	s_waitcnt lgkmcnt(0)
	v_mul_f64 v[93:94], v[93:94], v[98:99]
	buffer_store_dword v94, off, s[0:3], 0 offset:196
	buffer_store_dword v93, off, s[0:3], 0 offset:192
.LBB45_107:
	s_or_b32 exec_lo, exec_lo, s4
	s_waitcnt_vscnt null, 0x0
	s_barrier
	buffer_gl0_inv
	s_clause 0x1
	buffer_load_dword v93, off, s[0:3], 0 offset:200
	buffer_load_dword v94, off, s[0:3], 0 offset:204
	;; [unrolled: 45-line block ×22, first 2 shown]
	s_mov_b32 s4, exec_lo
	s_waitcnt vmcnt(0)
	ds_write_b64 v96, v[93:94]
	s_waitcnt lgkmcnt(0)
	s_barrier
	buffer_gl0_inv
	v_cmpx_ne_u32_e32 45, v0
	s_cbranch_execz .LBB45_191
; %bb.188:
	v_mov_b32_e32 v93, 0
	v_mov_b32_e32 v94, 0
	s_mov_b32 s5, 0
.LBB45_189:                             ; =>This Inner Loop Header: Depth=1
	s_clause 0x1
	buffer_load_dword v98, v95, s[0:3], 0 offen
	buffer_load_dword v99, v95, s[0:3], 0 offen offset:4
	ds_read_b64 v[100:101], v96
	v_add_nc_u32_e32 v97, 1, v97
	v_add_nc_u32_e32 v96, 8, v96
	;; [unrolled: 1-line block ×3, first 2 shown]
	v_cmp_lt_u32_e32 vcc_lo, 43, v97
	s_or_b32 s5, vcc_lo, s5
	s_waitcnt vmcnt(0) lgkmcnt(0)
	v_fma_f64 v[93:94], v[98:99], v[100:101], v[93:94]
	s_andn2_b32 exec_lo, exec_lo, s5
	s_cbranch_execnz .LBB45_189
; %bb.190:
	s_or_b32 exec_lo, exec_lo, s5
	v_mov_b32_e32 v95, 0
	ds_read_b64 v[95:96], v95 offset:360
	s_waitcnt lgkmcnt(0)
	v_mul_f64 v[93:94], v[93:94], v[95:96]
	buffer_store_dword v94, off, s[0:3], 0 offset:364
	buffer_store_dword v93, off, s[0:3], 0 offset:360
.LBB45_191:
	s_or_b32 exec_lo, exec_lo, s4
	s_mov_b32 s5, -1
	s_waitcnt_vscnt null, 0x0
	s_barrier
	buffer_gl0_inv
.LBB45_192:
	s_and_b32 vcc_lo, exec_lo, s5
	s_cbranch_vccz .LBB45_194
; %bb.193:
	s_lshl_b64 s[4:5], s[6:7], 2
	v_mov_b32_e32 v93, 0
	s_add_u32 s4, s10, s4
	s_addc_u32 s5, s11, s5
	global_load_dword v93, v93, s[4:5]
	s_waitcnt vmcnt(0)
	v_cmp_ne_u32_e32 vcc_lo, 0, v93
	s_cbranch_vccz .LBB45_195
.LBB45_194:
	s_endpgm
.LBB45_195:
	v_lshl_add_u32 v93, v0, 3, 0x170
	s_mov_b32 s4, exec_lo
	v_cmpx_eq_u32_e32 45, v0
	s_cbranch_execz .LBB45_197
; %bb.196:
	s_clause 0x1
	buffer_load_dword v94, off, s[0:3], 0 offset:352
	buffer_load_dword v95, off, s[0:3], 0 offset:356
	v_mov_b32_e32 v96, 0
	buffer_store_dword v96, off, s[0:3], 0 offset:352
	buffer_store_dword v96, off, s[0:3], 0 offset:356
	s_waitcnt vmcnt(0)
	ds_write_b64 v93, v[94:95]
.LBB45_197:
	s_or_b32 exec_lo, exec_lo, s4
	s_waitcnt lgkmcnt(0)
	s_waitcnt_vscnt null, 0x0
	s_barrier
	buffer_gl0_inv
	s_clause 0x3
	buffer_load_dword v95, off, s[0:3], 0 offset:360
	buffer_load_dword v96, off, s[0:3], 0 offset:364
	;; [unrolled: 1-line block ×4, first 2 shown]
	v_mov_b32_e32 v94, 0
	s_mov_b32 s4, exec_lo
	ds_read_b64 v[99:100], v94 offset:728
	s_waitcnt vmcnt(2) lgkmcnt(0)
	v_fma_f64 v[95:96], v[95:96], v[99:100], 0
	s_waitcnt vmcnt(0)
	v_add_f64 v[95:96], v[97:98], -v[95:96]
	buffer_store_dword v95, off, s[0:3], 0 offset:352
	buffer_store_dword v96, off, s[0:3], 0 offset:356
	v_cmpx_lt_u32_e32 43, v0
	s_cbranch_execz .LBB45_199
; %bb.198:
	s_clause 0x1
	buffer_load_dword v95, off, s[0:3], 0 offset:344
	buffer_load_dword v96, off, s[0:3], 0 offset:348
	buffer_store_dword v94, off, s[0:3], 0 offset:344
	buffer_store_dword v94, off, s[0:3], 0 offset:348
	s_waitcnt vmcnt(0)
	ds_write_b64 v93, v[95:96]
.LBB45_199:
	s_or_b32 exec_lo, exec_lo, s4
	s_waitcnt lgkmcnt(0)
	s_waitcnt_vscnt null, 0x0
	s_barrier
	buffer_gl0_inv
	s_clause 0x5
	buffer_load_dword v98, off, s[0:3], 0 offset:352
	buffer_load_dword v99, off, s[0:3], 0 offset:356
	;; [unrolled: 1-line block ×6, first 2 shown]
	ds_read_b128 v[94:97], v94 offset:720
	s_mov_b32 s4, exec_lo
	s_waitcnt vmcnt(4) lgkmcnt(0)
	v_fma_f64 v[94:95], v[98:99], v[94:95], 0
	s_waitcnt vmcnt(2)
	v_fma_f64 v[94:95], v[100:101], v[96:97], v[94:95]
	s_waitcnt vmcnt(0)
	v_add_f64 v[94:95], v[102:103], -v[94:95]
	buffer_store_dword v94, off, s[0:3], 0 offset:344
	buffer_store_dword v95, off, s[0:3], 0 offset:348
	v_cmpx_lt_u32_e32 42, v0
	s_cbranch_execz .LBB45_201
; %bb.200:
	s_clause 0x1
	buffer_load_dword v94, off, s[0:3], 0 offset:336
	buffer_load_dword v95, off, s[0:3], 0 offset:340
	v_mov_b32_e32 v96, 0
	buffer_store_dword v96, off, s[0:3], 0 offset:336
	buffer_store_dword v96, off, s[0:3], 0 offset:340
	s_waitcnt vmcnt(0)
	ds_write_b64 v93, v[94:95]
.LBB45_201:
	s_or_b32 exec_lo, exec_lo, s4
	s_waitcnt lgkmcnt(0)
	s_waitcnt_vscnt null, 0x0
	s_barrier
	buffer_gl0_inv
	s_clause 0x7
	buffer_load_dword v99, off, s[0:3], 0 offset:344
	buffer_load_dword v100, off, s[0:3], 0 offset:348
	;; [unrolled: 1-line block ×8, first 2 shown]
	v_mov_b32_e32 v94, 0
	ds_read2_b64 v[95:98], v94 offset0:89 offset1:90
	ds_read_b64 v[107:108], v94 offset:728
	s_mov_b32 s4, exec_lo
	s_waitcnt vmcnt(6) lgkmcnt(1)
	v_fma_f64 v[95:96], v[99:100], v[95:96], 0
	s_waitcnt vmcnt(4)
	v_fma_f64 v[95:96], v[101:102], v[97:98], v[95:96]
	s_waitcnt vmcnt(2) lgkmcnt(0)
	v_fma_f64 v[95:96], v[103:104], v[107:108], v[95:96]
	s_waitcnt vmcnt(0)
	v_add_f64 v[95:96], v[105:106], -v[95:96]
	buffer_store_dword v95, off, s[0:3], 0 offset:336
	buffer_store_dword v96, off, s[0:3], 0 offset:340
	v_cmpx_lt_u32_e32 41, v0
	s_cbranch_execz .LBB45_203
; %bb.202:
	s_clause 0x1
	buffer_load_dword v95, off, s[0:3], 0 offset:328
	buffer_load_dword v96, off, s[0:3], 0 offset:332
	buffer_store_dword v94, off, s[0:3], 0 offset:328
	buffer_store_dword v94, off, s[0:3], 0 offset:332
	s_waitcnt vmcnt(0)
	ds_write_b64 v93, v[95:96]
.LBB45_203:
	s_or_b32 exec_lo, exec_lo, s4
	s_waitcnt lgkmcnt(0)
	s_waitcnt_vscnt null, 0x0
	s_barrier
	buffer_gl0_inv
	s_clause 0x9
	buffer_load_dword v103, off, s[0:3], 0 offset:336
	buffer_load_dword v104, off, s[0:3], 0 offset:340
	;; [unrolled: 1-line block ×10, first 2 shown]
	ds_read_b128 v[95:98], v94 offset:704
	ds_read_b128 v[99:102], v94 offset:720
	s_mov_b32 s4, exec_lo
	s_waitcnt vmcnt(8) lgkmcnt(1)
	v_fma_f64 v[94:95], v[103:104], v[95:96], 0
	s_waitcnt vmcnt(6)
	v_fma_f64 v[94:95], v[105:106], v[97:98], v[94:95]
	s_waitcnt vmcnt(4) lgkmcnt(0)
	v_fma_f64 v[94:95], v[107:108], v[99:100], v[94:95]
	s_waitcnt vmcnt(2)
	v_fma_f64 v[94:95], v[109:110], v[101:102], v[94:95]
	s_waitcnt vmcnt(0)
	v_add_f64 v[94:95], v[111:112], -v[94:95]
	buffer_store_dword v94, off, s[0:3], 0 offset:328
	buffer_store_dword v95, off, s[0:3], 0 offset:332
	v_cmpx_lt_u32_e32 40, v0
	s_cbranch_execz .LBB45_205
; %bb.204:
	s_clause 0x1
	buffer_load_dword v94, off, s[0:3], 0 offset:320
	buffer_load_dword v95, off, s[0:3], 0 offset:324
	v_mov_b32_e32 v96, 0
	buffer_store_dword v96, off, s[0:3], 0 offset:320
	buffer_store_dword v96, off, s[0:3], 0 offset:324
	s_waitcnt vmcnt(0)
	ds_write_b64 v93, v[94:95]
.LBB45_205:
	s_or_b32 exec_lo, exec_lo, s4
	s_waitcnt lgkmcnt(0)
	s_waitcnt_vscnt null, 0x0
	s_barrier
	buffer_gl0_inv
	s_clause 0xb
	buffer_load_dword v103, off, s[0:3], 0 offset:328
	buffer_load_dword v104, off, s[0:3], 0 offset:332
	;; [unrolled: 1-line block ×12, first 2 shown]
	v_mov_b32_e32 v94, 0
	ds_read2_b64 v[95:98], v94 offset0:87 offset1:88
	ds_read2_b64 v[99:102], v94 offset0:89 offset1:90
	s_mov_b32 s4, exec_lo
	s_waitcnt vmcnt(10) lgkmcnt(1)
	v_fma_f64 v[95:96], v[103:104], v[95:96], 0
	s_waitcnt vmcnt(8)
	v_fma_f64 v[95:96], v[105:106], v[97:98], v[95:96]
	ds_read_b64 v[97:98], v94 offset:728
	s_waitcnt vmcnt(6) lgkmcnt(1)
	v_fma_f64 v[95:96], v[107:108], v[99:100], v[95:96]
	s_waitcnt vmcnt(4)
	v_fma_f64 v[95:96], v[109:110], v[101:102], v[95:96]
	s_waitcnt vmcnt(2) lgkmcnt(0)
	v_fma_f64 v[95:96], v[111:112], v[97:98], v[95:96]
	s_waitcnt vmcnt(0)
	v_add_f64 v[95:96], v[113:114], -v[95:96]
	buffer_store_dword v95, off, s[0:3], 0 offset:320
	buffer_store_dword v96, off, s[0:3], 0 offset:324
	v_cmpx_lt_u32_e32 39, v0
	s_cbranch_execz .LBB45_207
; %bb.206:
	s_clause 0x1
	buffer_load_dword v95, off, s[0:3], 0 offset:312
	buffer_load_dword v96, off, s[0:3], 0 offset:316
	buffer_store_dword v94, off, s[0:3], 0 offset:312
	buffer_store_dword v94, off, s[0:3], 0 offset:316
	s_waitcnt vmcnt(0)
	ds_write_b64 v93, v[95:96]
.LBB45_207:
	s_or_b32 exec_lo, exec_lo, s4
	s_waitcnt lgkmcnt(0)
	s_waitcnt_vscnt null, 0x0
	s_barrier
	buffer_gl0_inv
	s_clause 0xd
	buffer_load_dword v103, off, s[0:3], 0 offset:320
	buffer_load_dword v104, off, s[0:3], 0 offset:324
	;; [unrolled: 1-line block ×14, first 2 shown]
	ds_read_b128 v[95:98], v94 offset:688
	ds_read_b128 v[99:102], v94 offset:704
	s_mov_b32 s4, exec_lo
	s_waitcnt vmcnt(12) lgkmcnt(1)
	v_fma_f64 v[95:96], v[103:104], v[95:96], 0
	s_waitcnt vmcnt(10)
	v_fma_f64 v[95:96], v[105:106], v[97:98], v[95:96]
	s_waitcnt vmcnt(8) lgkmcnt(0)
	v_fma_f64 v[95:96], v[107:108], v[99:100], v[95:96]
	s_waitcnt vmcnt(6)
	v_fma_f64 v[98:99], v[109:110], v[101:102], v[95:96]
	ds_read_b128 v[94:97], v94 offset:720
	s_waitcnt vmcnt(4) lgkmcnt(0)
	v_fma_f64 v[94:95], v[111:112], v[94:95], v[98:99]
	s_waitcnt vmcnt(2)
	v_fma_f64 v[94:95], v[113:114], v[96:97], v[94:95]
	s_waitcnt vmcnt(0)
	v_add_f64 v[94:95], v[115:116], -v[94:95]
	buffer_store_dword v94, off, s[0:3], 0 offset:312
	buffer_store_dword v95, off, s[0:3], 0 offset:316
	v_cmpx_lt_u32_e32 38, v0
	s_cbranch_execz .LBB45_209
; %bb.208:
	s_clause 0x1
	buffer_load_dword v94, off, s[0:3], 0 offset:304
	buffer_load_dword v95, off, s[0:3], 0 offset:308
	v_mov_b32_e32 v96, 0
	buffer_store_dword v96, off, s[0:3], 0 offset:304
	buffer_store_dword v96, off, s[0:3], 0 offset:308
	s_waitcnt vmcnt(0)
	ds_write_b64 v93, v[94:95]
.LBB45_209:
	s_or_b32 exec_lo, exec_lo, s4
	s_waitcnt lgkmcnt(0)
	s_waitcnt_vscnt null, 0x0
	s_barrier
	buffer_gl0_inv
	s_clause 0xf
	buffer_load_dword v103, off, s[0:3], 0 offset:312
	buffer_load_dword v104, off, s[0:3], 0 offset:316
	;; [unrolled: 1-line block ×16, first 2 shown]
	v_mov_b32_e32 v94, 0
	ds_read2_b64 v[95:98], v94 offset0:85 offset1:86
	ds_read2_b64 v[99:102], v94 offset0:87 offset1:88
	s_mov_b32 s4, exec_lo
	s_waitcnt vmcnt(14) lgkmcnt(1)
	v_fma_f64 v[95:96], v[103:104], v[95:96], 0
	s_waitcnt vmcnt(12)
	v_fma_f64 v[95:96], v[105:106], v[97:98], v[95:96]
	s_waitcnt vmcnt(10) lgkmcnt(0)
	v_fma_f64 v[95:96], v[107:108], v[99:100], v[95:96]
	s_waitcnt vmcnt(8)
	v_fma_f64 v[99:100], v[109:110], v[101:102], v[95:96]
	ds_read2_b64 v[95:98], v94 offset0:89 offset1:90
	ds_read_b64 v[101:102], v94 offset:728
	s_waitcnt vmcnt(6) lgkmcnt(1)
	v_fma_f64 v[95:96], v[111:112], v[95:96], v[99:100]
	s_waitcnt vmcnt(4)
	v_fma_f64 v[95:96], v[113:114], v[97:98], v[95:96]
	s_waitcnt vmcnt(2) lgkmcnt(0)
	v_fma_f64 v[95:96], v[115:116], v[101:102], v[95:96]
	s_waitcnt vmcnt(0)
	v_add_f64 v[95:96], v[117:118], -v[95:96]
	buffer_store_dword v95, off, s[0:3], 0 offset:304
	buffer_store_dword v96, off, s[0:3], 0 offset:308
	v_cmpx_lt_u32_e32 37, v0
	s_cbranch_execz .LBB45_211
; %bb.210:
	s_clause 0x1
	buffer_load_dword v95, off, s[0:3], 0 offset:296
	buffer_load_dword v96, off, s[0:3], 0 offset:300
	buffer_store_dword v94, off, s[0:3], 0 offset:296
	buffer_store_dword v94, off, s[0:3], 0 offset:300
	s_waitcnt vmcnt(0)
	ds_write_b64 v93, v[95:96]
.LBB45_211:
	s_or_b32 exec_lo, exec_lo, s4
	s_waitcnt lgkmcnt(0)
	s_waitcnt_vscnt null, 0x0
	s_barrier
	buffer_gl0_inv
	s_clause 0x11
	buffer_load_dword v103, off, s[0:3], 0 offset:304
	buffer_load_dword v104, off, s[0:3], 0 offset:308
	;; [unrolled: 1-line block ×18, first 2 shown]
	ds_read_b128 v[95:98], v94 offset:672
	ds_read_b128 v[99:102], v94 offset:688
	s_mov_b32 s4, exec_lo
	s_waitcnt vmcnt(16) lgkmcnt(1)
	v_fma_f64 v[95:96], v[103:104], v[95:96], 0
	s_waitcnt vmcnt(14)
	v_fma_f64 v[95:96], v[105:106], v[97:98], v[95:96]
	s_waitcnt vmcnt(12) lgkmcnt(0)
	v_fma_f64 v[95:96], v[107:108], v[99:100], v[95:96]
	s_waitcnt vmcnt(10)
	v_fma_f64 v[103:104], v[109:110], v[101:102], v[95:96]
	ds_read_b128 v[95:98], v94 offset:704
	ds_read_b128 v[99:102], v94 offset:720
	s_waitcnt vmcnt(8) lgkmcnt(1)
	v_fma_f64 v[94:95], v[111:112], v[95:96], v[103:104]
	s_waitcnt vmcnt(6)
	v_fma_f64 v[94:95], v[113:114], v[97:98], v[94:95]
	s_waitcnt vmcnt(4) lgkmcnt(0)
	v_fma_f64 v[94:95], v[115:116], v[99:100], v[94:95]
	s_waitcnt vmcnt(2)
	v_fma_f64 v[94:95], v[117:118], v[101:102], v[94:95]
	s_waitcnt vmcnt(0)
	v_add_f64 v[94:95], v[119:120], -v[94:95]
	buffer_store_dword v94, off, s[0:3], 0 offset:296
	buffer_store_dword v95, off, s[0:3], 0 offset:300
	v_cmpx_lt_u32_e32 36, v0
	s_cbranch_execz .LBB45_213
; %bb.212:
	s_clause 0x1
	buffer_load_dword v94, off, s[0:3], 0 offset:288
	buffer_load_dword v95, off, s[0:3], 0 offset:292
	v_mov_b32_e32 v96, 0
	buffer_store_dword v96, off, s[0:3], 0 offset:288
	buffer_store_dword v96, off, s[0:3], 0 offset:292
	s_waitcnt vmcnt(0)
	ds_write_b64 v93, v[94:95]
.LBB45_213:
	s_or_b32 exec_lo, exec_lo, s4
	s_waitcnt lgkmcnt(0)
	s_waitcnt_vscnt null, 0x0
	s_barrier
	buffer_gl0_inv
	s_clause 0x13
	buffer_load_dword v103, off, s[0:3], 0 offset:296
	buffer_load_dword v104, off, s[0:3], 0 offset:300
	buffer_load_dword v105, off, s[0:3], 0 offset:304
	buffer_load_dword v106, off, s[0:3], 0 offset:308
	buffer_load_dword v107, off, s[0:3], 0 offset:312
	buffer_load_dword v108, off, s[0:3], 0 offset:316
	buffer_load_dword v109, off, s[0:3], 0 offset:320
	buffer_load_dword v110, off, s[0:3], 0 offset:324
	buffer_load_dword v111, off, s[0:3], 0 offset:328
	buffer_load_dword v112, off, s[0:3], 0 offset:332
	buffer_load_dword v113, off, s[0:3], 0 offset:336
	buffer_load_dword v114, off, s[0:3], 0 offset:340
	buffer_load_dword v115, off, s[0:3], 0 offset:344
	buffer_load_dword v116, off, s[0:3], 0 offset:348
	buffer_load_dword v118, off, s[0:3], 0 offset:356
	buffer_load_dword v119, off, s[0:3], 0 offset:360
	buffer_load_dword v117, off, s[0:3], 0 offset:352
	buffer_load_dword v120, off, s[0:3], 0 offset:364
	buffer_load_dword v121, off, s[0:3], 0 offset:288
	buffer_load_dword v122, off, s[0:3], 0 offset:292
	v_mov_b32_e32 v94, 0
	ds_read2_b64 v[95:98], v94 offset0:83 offset1:84
	ds_read2_b64 v[99:102], v94 offset0:85 offset1:86
	s_mov_b32 s4, exec_lo
	s_waitcnt vmcnt(18) lgkmcnt(1)
	v_fma_f64 v[95:96], v[103:104], v[95:96], 0
	s_waitcnt vmcnt(16)
	v_fma_f64 v[95:96], v[105:106], v[97:98], v[95:96]
	s_waitcnt vmcnt(14) lgkmcnt(0)
	v_fma_f64 v[95:96], v[107:108], v[99:100], v[95:96]
	s_waitcnt vmcnt(12)
	v_fma_f64 v[103:104], v[109:110], v[101:102], v[95:96]
	ds_read2_b64 v[95:98], v94 offset0:87 offset1:88
	ds_read2_b64 v[99:102], v94 offset0:89 offset1:90
	s_waitcnt vmcnt(10) lgkmcnt(1)
	v_fma_f64 v[95:96], v[111:112], v[95:96], v[103:104]
	s_waitcnt vmcnt(8)
	v_fma_f64 v[95:96], v[113:114], v[97:98], v[95:96]
	ds_read_b64 v[97:98], v94 offset:728
	s_waitcnt vmcnt(6) lgkmcnt(1)
	v_fma_f64 v[95:96], v[115:116], v[99:100], v[95:96]
	s_waitcnt vmcnt(3)
	v_fma_f64 v[95:96], v[117:118], v[101:102], v[95:96]
	s_waitcnt vmcnt(2) lgkmcnt(0)
	v_fma_f64 v[95:96], v[119:120], v[97:98], v[95:96]
	s_waitcnt vmcnt(0)
	v_add_f64 v[95:96], v[121:122], -v[95:96]
	buffer_store_dword v95, off, s[0:3], 0 offset:288
	buffer_store_dword v96, off, s[0:3], 0 offset:292
	v_cmpx_lt_u32_e32 35, v0
	s_cbranch_execz .LBB45_215
; %bb.214:
	s_clause 0x1
	buffer_load_dword v95, off, s[0:3], 0 offset:280
	buffer_load_dword v96, off, s[0:3], 0 offset:284
	buffer_store_dword v94, off, s[0:3], 0 offset:280
	buffer_store_dword v94, off, s[0:3], 0 offset:284
	s_waitcnt vmcnt(0)
	ds_write_b64 v93, v[95:96]
.LBB45_215:
	s_or_b32 exec_lo, exec_lo, s4
	s_waitcnt lgkmcnt(0)
	s_waitcnt_vscnt null, 0x0
	s_barrier
	buffer_gl0_inv
	s_clause 0x15
	buffer_load_dword v103, off, s[0:3], 0 offset:288
	buffer_load_dword v104, off, s[0:3], 0 offset:292
	;; [unrolled: 1-line block ×22, first 2 shown]
	ds_read_b128 v[95:98], v94 offset:656
	ds_read_b128 v[99:102], v94 offset:672
	s_mov_b32 s4, exec_lo
	s_waitcnt vmcnt(20) lgkmcnt(1)
	v_fma_f64 v[95:96], v[103:104], v[95:96], 0
	s_waitcnt vmcnt(18)
	v_fma_f64 v[95:96], v[105:106], v[97:98], v[95:96]
	s_waitcnt vmcnt(16) lgkmcnt(0)
	v_fma_f64 v[95:96], v[107:108], v[99:100], v[95:96]
	s_waitcnt vmcnt(14)
	v_fma_f64 v[103:104], v[109:110], v[101:102], v[95:96]
	ds_read_b128 v[95:98], v94 offset:688
	ds_read_b128 v[99:102], v94 offset:704
	s_waitcnt vmcnt(12) lgkmcnt(1)
	v_fma_f64 v[95:96], v[111:112], v[95:96], v[103:104]
	s_waitcnt vmcnt(10)
	v_fma_f64 v[95:96], v[113:114], v[97:98], v[95:96]
	s_waitcnt vmcnt(8) lgkmcnt(0)
	v_fma_f64 v[95:96], v[115:116], v[99:100], v[95:96]
	s_waitcnt vmcnt(4)
	v_fma_f64 v[98:99], v[117:118], v[101:102], v[95:96]
	ds_read_b128 v[94:97], v94 offset:720
	s_waitcnt vmcnt(3) lgkmcnt(0)
	v_fma_f64 v[94:95], v[121:122], v[94:95], v[98:99]
	s_waitcnt vmcnt(2)
	v_fma_f64 v[94:95], v[119:120], v[96:97], v[94:95]
	s_waitcnt vmcnt(0)
	v_add_f64 v[94:95], v[123:124], -v[94:95]
	buffer_store_dword v94, off, s[0:3], 0 offset:280
	buffer_store_dword v95, off, s[0:3], 0 offset:284
	v_cmpx_lt_u32_e32 34, v0
	s_cbranch_execz .LBB45_217
; %bb.216:
	s_clause 0x1
	buffer_load_dword v94, off, s[0:3], 0 offset:272
	buffer_load_dword v95, off, s[0:3], 0 offset:276
	v_mov_b32_e32 v96, 0
	buffer_store_dword v96, off, s[0:3], 0 offset:272
	buffer_store_dword v96, off, s[0:3], 0 offset:276
	s_waitcnt vmcnt(0)
	ds_write_b64 v93, v[94:95]
.LBB45_217:
	s_or_b32 exec_lo, exec_lo, s4
	s_waitcnt lgkmcnt(0)
	s_waitcnt_vscnt null, 0x0
	s_barrier
	buffer_gl0_inv
	s_clause 0x17
	buffer_load_dword v99, off, s[0:3], 0 offset:280
	buffer_load_dword v100, off, s[0:3], 0 offset:284
	;; [unrolled: 1-line block ×24, first 2 shown]
	v_mov_b32_e32 v94, 0
	s_mov_b32 s4, exec_lo
	ds_read2_b64 v[95:98], v94 offset0:81 offset1:82
	s_waitcnt vmcnt(22) lgkmcnt(0)
	v_fma_f64 v[95:96], v[99:100], v[95:96], 0
	s_waitcnt vmcnt(20)
	v_fma_f64 v[99:100], v[101:102], v[97:98], v[95:96]
	ds_read2_b64 v[95:98], v94 offset0:83 offset1:84
	s_waitcnt vmcnt(18) lgkmcnt(0)
	v_fma_f64 v[95:96], v[103:104], v[95:96], v[99:100]
	s_waitcnt vmcnt(16)
	v_fma_f64 v[99:100], v[105:106], v[97:98], v[95:96]
	;; [unrolled: 5-line block ×5, first 2 shown]
	ds_read_b64 v[97:98], v94 offset:728
	s_waitcnt vmcnt(2) lgkmcnt(0)
	v_fma_f64 v[95:96], v[119:120], v[97:98], v[95:96]
	s_waitcnt vmcnt(0)
	v_add_f64 v[95:96], v[121:122], -v[95:96]
	buffer_store_dword v96, off, s[0:3], 0 offset:276
	buffer_store_dword v95, off, s[0:3], 0 offset:272
	v_cmpx_lt_u32_e32 33, v0
	s_cbranch_execz .LBB45_219
; %bb.218:
	s_clause 0x1
	buffer_load_dword v95, off, s[0:3], 0 offset:264
	buffer_load_dword v96, off, s[0:3], 0 offset:268
	buffer_store_dword v94, off, s[0:3], 0 offset:264
	buffer_store_dword v94, off, s[0:3], 0 offset:268
	s_waitcnt vmcnt(0)
	ds_write_b64 v93, v[95:96]
.LBB45_219:
	s_or_b32 exec_lo, exec_lo, s4
	s_waitcnt lgkmcnt(0)
	s_waitcnt_vscnt null, 0x0
	s_barrier
	buffer_gl0_inv
	s_clause 0x19
	buffer_load_dword v99, off, s[0:3], 0 offset:272
	buffer_load_dword v100, off, s[0:3], 0 offset:276
	;; [unrolled: 1-line block ×26, first 2 shown]
	ds_read_b128 v[95:98], v94 offset:640
	s_mov_b32 s4, exec_lo
	s_waitcnt vmcnt(24) lgkmcnt(0)
	v_fma_f64 v[95:96], v[99:100], v[95:96], 0
	s_waitcnt vmcnt(22)
	v_fma_f64 v[99:100], v[101:102], v[97:98], v[95:96]
	ds_read_b128 v[95:98], v94 offset:656
	s_waitcnt vmcnt(20) lgkmcnt(0)
	v_fma_f64 v[95:96], v[103:104], v[95:96], v[99:100]
	s_waitcnt vmcnt(18)
	v_fma_f64 v[99:100], v[105:106], v[97:98], v[95:96]
	ds_read_b128 v[95:98], v94 offset:672
	;; [unrolled: 5-line block ×5, first 2 shown]
	s_waitcnt vmcnt(4) lgkmcnt(0)
	v_fma_f64 v[94:95], v[119:120], v[94:95], v[98:99]
	s_waitcnt vmcnt(2)
	v_fma_f64 v[94:95], v[121:122], v[96:97], v[94:95]
	s_waitcnt vmcnt(0)
	v_add_f64 v[94:95], v[123:124], -v[94:95]
	buffer_store_dword v95, off, s[0:3], 0 offset:268
	buffer_store_dword v94, off, s[0:3], 0 offset:264
	v_cmpx_lt_u32_e32 32, v0
	s_cbranch_execz .LBB45_221
; %bb.220:
	s_clause 0x1
	buffer_load_dword v94, off, s[0:3], 0 offset:256
	buffer_load_dword v95, off, s[0:3], 0 offset:260
	v_mov_b32_e32 v96, 0
	buffer_store_dword v96, off, s[0:3], 0 offset:256
	buffer_store_dword v96, off, s[0:3], 0 offset:260
	s_waitcnt vmcnt(0)
	ds_write_b64 v93, v[94:95]
.LBB45_221:
	s_or_b32 exec_lo, exec_lo, s4
	s_waitcnt lgkmcnt(0)
	s_waitcnt_vscnt null, 0x0
	s_barrier
	buffer_gl0_inv
	s_clause 0x1b
	buffer_load_dword v99, off, s[0:3], 0 offset:264
	buffer_load_dword v100, off, s[0:3], 0 offset:268
	;; [unrolled: 1-line block ×28, first 2 shown]
	v_mov_b32_e32 v94, 0
	s_mov_b32 s4, exec_lo
	ds_read2_b64 v[95:98], v94 offset0:79 offset1:80
	s_waitcnt vmcnt(26) lgkmcnt(0)
	v_fma_f64 v[95:96], v[99:100], v[95:96], 0
	s_waitcnt vmcnt(24)
	v_fma_f64 v[99:100], v[101:102], v[97:98], v[95:96]
	ds_read2_b64 v[95:98], v94 offset0:81 offset1:82
	s_waitcnt vmcnt(22) lgkmcnt(0)
	v_fma_f64 v[95:96], v[103:104], v[95:96], v[99:100]
	s_waitcnt vmcnt(20)
	v_fma_f64 v[99:100], v[105:106], v[97:98], v[95:96]
	;; [unrolled: 5-line block ×6, first 2 shown]
	ds_read_b64 v[97:98], v94 offset:728
	s_waitcnt vmcnt(2) lgkmcnt(0)
	v_fma_f64 v[95:96], v[123:124], v[97:98], v[95:96]
	s_waitcnt vmcnt(0)
	v_add_f64 v[95:96], v[125:126], -v[95:96]
	buffer_store_dword v96, off, s[0:3], 0 offset:260
	buffer_store_dword v95, off, s[0:3], 0 offset:256
	v_cmpx_lt_u32_e32 31, v0
	s_cbranch_execz .LBB45_223
; %bb.222:
	s_clause 0x1
	buffer_load_dword v95, off, s[0:3], 0 offset:248
	buffer_load_dword v96, off, s[0:3], 0 offset:252
	buffer_store_dword v94, off, s[0:3], 0 offset:248
	buffer_store_dword v94, off, s[0:3], 0 offset:252
	s_waitcnt vmcnt(0)
	ds_write_b64 v93, v[95:96]
.LBB45_223:
	s_or_b32 exec_lo, exec_lo, s4
	s_waitcnt lgkmcnt(0)
	s_waitcnt_vscnt null, 0x0
	s_barrier
	buffer_gl0_inv
	s_clause 0x1b
	buffer_load_dword v103, off, s[0:3], 0 offset:256
	buffer_load_dword v104, off, s[0:3], 0 offset:260
	;; [unrolled: 1-line block ×28, first 2 shown]
	ds_read_b128 v[95:98], v94 offset:624
	s_clause 0x1
	buffer_load_dword v131, off, s[0:3], 0 offset:248
	buffer_load_dword v132, off, s[0:3], 0 offset:252
	ds_read_b128 v[99:102], v94 offset:640
	s_mov_b32 s4, exec_lo
	s_waitcnt vmcnt(28) lgkmcnt(1)
	v_fma_f64 v[95:96], v[103:104], v[95:96], 0
	s_waitcnt vmcnt(26)
	v_fma_f64 v[95:96], v[105:106], v[97:98], v[95:96]
	s_waitcnt vmcnt(24) lgkmcnt(0)
	v_fma_f64 v[95:96], v[107:108], v[99:100], v[95:96]
	s_waitcnt vmcnt(22)
	v_fma_f64 v[103:104], v[109:110], v[101:102], v[95:96]
	ds_read_b128 v[95:98], v94 offset:656
	ds_read_b128 v[99:102], v94 offset:672
	s_waitcnt vmcnt(20) lgkmcnt(1)
	v_fma_f64 v[95:96], v[111:112], v[95:96], v[103:104]
	s_waitcnt vmcnt(18)
	v_fma_f64 v[95:96], v[113:114], v[97:98], v[95:96]
	s_waitcnt vmcnt(16) lgkmcnt(0)
	v_fma_f64 v[95:96], v[115:116], v[99:100], v[95:96]
	s_waitcnt vmcnt(11)
	v_fma_f64 v[103:104], v[117:118], v[101:102], v[95:96]
	ds_read_b128 v[95:98], v94 offset:688
	ds_read_b128 v[99:102], v94 offset:704
	s_waitcnt vmcnt(10) lgkmcnt(1)
	v_fma_f64 v[95:96], v[123:124], v[95:96], v[103:104]
	s_waitcnt vmcnt(9)
	v_fma_f64 v[95:96], v[121:122], v[97:98], v[95:96]
	s_waitcnt vmcnt(8) lgkmcnt(0)
	v_fma_f64 v[95:96], v[119:120], v[99:100], v[95:96]
	s_waitcnt vmcnt(4)
	v_fma_f64 v[98:99], v[125:126], v[101:102], v[95:96]
	ds_read_b128 v[94:97], v94 offset:720
	s_waitcnt vmcnt(3) lgkmcnt(0)
	v_fma_f64 v[94:95], v[129:130], v[94:95], v[98:99]
	s_waitcnt vmcnt(2)
	v_fma_f64 v[94:95], v[127:128], v[96:97], v[94:95]
	s_waitcnt vmcnt(0)
	v_add_f64 v[94:95], v[131:132], -v[94:95]
	buffer_store_dword v95, off, s[0:3], 0 offset:252
	buffer_store_dword v94, off, s[0:3], 0 offset:248
	v_cmpx_lt_u32_e32 30, v0
	s_cbranch_execz .LBB45_225
; %bb.224:
	s_clause 0x1
	buffer_load_dword v94, off, s[0:3], 0 offset:240
	buffer_load_dword v95, off, s[0:3], 0 offset:244
	v_mov_b32_e32 v96, 0
	buffer_store_dword v96, off, s[0:3], 0 offset:240
	buffer_store_dword v96, off, s[0:3], 0 offset:244
	s_waitcnt vmcnt(0)
	ds_write_b64 v93, v[94:95]
.LBB45_225:
	s_or_b32 exec_lo, exec_lo, s4
	s_waitcnt lgkmcnt(0)
	s_waitcnt_vscnt null, 0x0
	s_barrier
	buffer_gl0_inv
	s_clause 0x1c
	buffer_load_dword v103, off, s[0:3], 0 offset:248
	buffer_load_dword v104, off, s[0:3], 0 offset:252
	;; [unrolled: 1-line block ×29, first 2 shown]
	v_mov_b32_e32 v94, 0
	buffer_load_dword v128, off, s[0:3], 0 offset:364
	s_mov_b32 s4, exec_lo
	ds_read2_b64 v[95:98], v94 offset0:77 offset1:78
	ds_read2_b64 v[99:102], v94 offset0:79 offset1:80
	s_waitcnt vmcnt(28) lgkmcnt(1)
	v_fma_f64 v[95:96], v[103:104], v[95:96], 0
	s_clause 0x1
	buffer_load_dword v103, off, s[0:3], 0 offset:240
	buffer_load_dword v104, off, s[0:3], 0 offset:244
	s_waitcnt vmcnt(28)
	v_fma_f64 v[95:96], v[105:106], v[97:98], v[95:96]
	s_waitcnt vmcnt(26) lgkmcnt(0)
	v_fma_f64 v[95:96], v[107:108], v[99:100], v[95:96]
	s_waitcnt vmcnt(24)
	v_fma_f64 v[105:106], v[109:110], v[101:102], v[95:96]
	ds_read2_b64 v[95:98], v94 offset0:81 offset1:82
	ds_read2_b64 v[99:102], v94 offset0:83 offset1:84
	s_waitcnt vmcnt(22) lgkmcnt(1)
	v_fma_f64 v[95:96], v[111:112], v[95:96], v[105:106]
	s_waitcnt vmcnt(20)
	v_fma_f64 v[95:96], v[113:114], v[97:98], v[95:96]
	s_waitcnt vmcnt(18) lgkmcnt(0)
	v_fma_f64 v[95:96], v[115:116], v[99:100], v[95:96]
	s_waitcnt vmcnt(13)
	v_fma_f64 v[105:106], v[117:118], v[101:102], v[95:96]
	ds_read2_b64 v[95:98], v94 offset0:85 offset1:86
	ds_read2_b64 v[99:102], v94 offset0:87 offset1:88
	s_waitcnt vmcnt(12) lgkmcnt(1)
	v_fma_f64 v[95:96], v[123:124], v[95:96], v[105:106]
	s_waitcnt vmcnt(11)
	v_fma_f64 v[95:96], v[121:122], v[97:98], v[95:96]
	s_waitcnt vmcnt(10) lgkmcnt(0)
	v_fma_f64 v[95:96], v[119:120], v[99:100], v[95:96]
	s_waitcnt vmcnt(5)
	v_fma_f64 v[99:100], v[125:126], v[101:102], v[95:96]
	ds_read2_b64 v[95:98], v94 offset0:89 offset1:90
	ds_read_b64 v[101:102], v94 offset:728
	s_waitcnt vmcnt(4) lgkmcnt(1)
	v_fma_f64 v[95:96], v[131:132], v[95:96], v[99:100]
	s_waitcnt vmcnt(3)
	v_fma_f64 v[95:96], v[129:130], v[97:98], v[95:96]
	s_waitcnt vmcnt(2) lgkmcnt(0)
	v_fma_f64 v[95:96], v[127:128], v[101:102], v[95:96]
	s_waitcnt vmcnt(0)
	v_add_f64 v[95:96], v[103:104], -v[95:96]
	buffer_store_dword v96, off, s[0:3], 0 offset:244
	buffer_store_dword v95, off, s[0:3], 0 offset:240
	v_cmpx_lt_u32_e32 29, v0
	s_cbranch_execz .LBB45_227
; %bb.226:
	s_clause 0x1
	buffer_load_dword v95, off, s[0:3], 0 offset:232
	buffer_load_dword v96, off, s[0:3], 0 offset:236
	buffer_store_dword v94, off, s[0:3], 0 offset:232
	buffer_store_dword v94, off, s[0:3], 0 offset:236
	s_waitcnt vmcnt(0)
	ds_write_b64 v93, v[95:96]
.LBB45_227:
	s_or_b32 exec_lo, exec_lo, s4
	s_waitcnt lgkmcnt(0)
	s_waitcnt_vscnt null, 0x0
	s_barrier
	buffer_gl0_inv
	s_clause 0x1c
	buffer_load_dword v103, off, s[0:3], 0 offset:240
	buffer_load_dword v104, off, s[0:3], 0 offset:244
	;; [unrolled: 1-line block ×29, first 2 shown]
	ds_read_b128 v[95:98], v94 offset:608
	ds_read_b128 v[99:102], v94 offset:624
	buffer_load_dword v128, off, s[0:3], 0 offset:356
	s_mov_b32 s4, exec_lo
	s_waitcnt vmcnt(28) lgkmcnt(1)
	v_fma_f64 v[95:96], v[103:104], v[95:96], 0
	s_clause 0x1
	buffer_load_dword v104, off, s[0:3], 0 offset:364
	buffer_load_dword v103, off, s[0:3], 0 offset:360
	s_waitcnt vmcnt(28)
	v_fma_f64 v[95:96], v[105:106], v[97:98], v[95:96]
	s_clause 0x1
	buffer_load_dword v105, off, s[0:3], 0 offset:232
	buffer_load_dword v106, off, s[0:3], 0 offset:236
	s_waitcnt vmcnt(28) lgkmcnt(0)
	v_fma_f64 v[95:96], v[107:108], v[99:100], v[95:96]
	s_waitcnt vmcnt(26)
	v_fma_f64 v[107:108], v[109:110], v[101:102], v[95:96]
	ds_read_b128 v[95:98], v94 offset:640
	ds_read_b128 v[99:102], v94 offset:656
	s_waitcnt vmcnt(24) lgkmcnt(1)
	v_fma_f64 v[95:96], v[111:112], v[95:96], v[107:108]
	s_waitcnt vmcnt(22)
	v_fma_f64 v[95:96], v[113:114], v[97:98], v[95:96]
	s_waitcnt vmcnt(20) lgkmcnt(0)
	v_fma_f64 v[95:96], v[115:116], v[99:100], v[95:96]
	s_waitcnt vmcnt(15)
	v_fma_f64 v[107:108], v[117:118], v[101:102], v[95:96]
	ds_read_b128 v[95:98], v94 offset:672
	ds_read_b128 v[99:102], v94 offset:688
	s_waitcnt vmcnt(14) lgkmcnt(1)
	v_fma_f64 v[95:96], v[123:124], v[95:96], v[107:108]
	s_waitcnt vmcnt(13)
	v_fma_f64 v[95:96], v[121:122], v[97:98], v[95:96]
	;; [unrolled: 10-line block ×3, first 2 shown]
	s_waitcnt vmcnt(4) lgkmcnt(0)
	v_fma_f64 v[94:95], v[127:128], v[99:100], v[94:95]
	s_waitcnt vmcnt(2)
	v_fma_f64 v[94:95], v[103:104], v[101:102], v[94:95]
	s_waitcnt vmcnt(0)
	v_add_f64 v[94:95], v[105:106], -v[94:95]
	buffer_store_dword v95, off, s[0:3], 0 offset:236
	buffer_store_dword v94, off, s[0:3], 0 offset:232
	v_cmpx_lt_u32_e32 28, v0
	s_cbranch_execz .LBB45_229
; %bb.228:
	s_clause 0x1
	buffer_load_dword v94, off, s[0:3], 0 offset:224
	buffer_load_dword v95, off, s[0:3], 0 offset:228
	v_mov_b32_e32 v96, 0
	buffer_store_dword v96, off, s[0:3], 0 offset:224
	buffer_store_dword v96, off, s[0:3], 0 offset:228
	s_waitcnt vmcnt(0)
	ds_write_b64 v93, v[94:95]
.LBB45_229:
	s_or_b32 exec_lo, exec_lo, s4
	s_waitcnt lgkmcnt(0)
	s_waitcnt_vscnt null, 0x0
	s_barrier
	buffer_gl0_inv
	s_clause 0x1c
	buffer_load_dword v103, off, s[0:3], 0 offset:232
	buffer_load_dword v104, off, s[0:3], 0 offset:236
	;; [unrolled: 1-line block ×29, first 2 shown]
	v_mov_b32_e32 v94, 0
	buffer_load_dword v128, off, s[0:3], 0 offset:348
	s_mov_b32 s4, exec_lo
	ds_read2_b64 v[95:98], v94 offset0:75 offset1:76
	ds_read2_b64 v[99:102], v94 offset0:77 offset1:78
	s_waitcnt vmcnt(28) lgkmcnt(1)
	v_fma_f64 v[95:96], v[103:104], v[95:96], 0
	s_clause 0x3
	buffer_load_dword v104, off, s[0:3], 0 offset:356
	buffer_load_dword v133, off, s[0:3], 0 offset:360
	;; [unrolled: 1-line block ×4, first 2 shown]
	s_waitcnt vmcnt(30)
	v_fma_f64 v[95:96], v[105:106], v[97:98], v[95:96]
	s_clause 0x1
	buffer_load_dword v105, off, s[0:3], 0 offset:224
	buffer_load_dword v106, off, s[0:3], 0 offset:228
	s_waitcnt vmcnt(30) lgkmcnt(0)
	v_fma_f64 v[95:96], v[107:108], v[99:100], v[95:96]
	s_waitcnt vmcnt(28)
	v_fma_f64 v[107:108], v[109:110], v[101:102], v[95:96]
	ds_read2_b64 v[95:98], v94 offset0:79 offset1:80
	ds_read2_b64 v[99:102], v94 offset0:81 offset1:82
	s_waitcnt vmcnt(26) lgkmcnt(1)
	v_fma_f64 v[95:96], v[111:112], v[95:96], v[107:108]
	s_waitcnt vmcnt(24)
	v_fma_f64 v[95:96], v[113:114], v[97:98], v[95:96]
	s_waitcnt vmcnt(22) lgkmcnt(0)
	v_fma_f64 v[95:96], v[115:116], v[99:100], v[95:96]
	s_waitcnt vmcnt(17)
	v_fma_f64 v[107:108], v[117:118], v[101:102], v[95:96]
	ds_read2_b64 v[95:98], v94 offset0:83 offset1:84
	ds_read2_b64 v[99:102], v94 offset0:85 offset1:86
	s_waitcnt vmcnt(16) lgkmcnt(1)
	v_fma_f64 v[95:96], v[123:124], v[95:96], v[107:108]
	s_waitcnt vmcnt(15)
	v_fma_f64 v[95:96], v[121:122], v[97:98], v[95:96]
	;; [unrolled: 10-line block ×3, first 2 shown]
	ds_read_b64 v[97:98], v94 offset:728
	s_waitcnt vmcnt(6) lgkmcnt(1)
	v_fma_f64 v[95:96], v[127:128], v[99:100], v[95:96]
	s_waitcnt vmcnt(3)
	v_fma_f64 v[95:96], v[103:104], v[101:102], v[95:96]
	s_waitcnt vmcnt(2) lgkmcnt(0)
	v_fma_f64 v[95:96], v[133:134], v[97:98], v[95:96]
	s_waitcnt vmcnt(0)
	v_add_f64 v[95:96], v[105:106], -v[95:96]
	buffer_store_dword v96, off, s[0:3], 0 offset:228
	buffer_store_dword v95, off, s[0:3], 0 offset:224
	v_cmpx_lt_u32_e32 27, v0
	s_cbranch_execz .LBB45_231
; %bb.230:
	s_clause 0x1
	buffer_load_dword v95, off, s[0:3], 0 offset:216
	buffer_load_dword v96, off, s[0:3], 0 offset:220
	buffer_store_dword v94, off, s[0:3], 0 offset:216
	buffer_store_dword v94, off, s[0:3], 0 offset:220
	s_waitcnt vmcnt(0)
	ds_write_b64 v93, v[95:96]
.LBB45_231:
	s_or_b32 exec_lo, exec_lo, s4
	s_waitcnt lgkmcnt(0)
	s_waitcnt_vscnt null, 0x0
	s_barrier
	buffer_gl0_inv
	s_clause 0x1c
	buffer_load_dword v103, off, s[0:3], 0 offset:224
	buffer_load_dword v104, off, s[0:3], 0 offset:228
	;; [unrolled: 1-line block ×29, first 2 shown]
	ds_read_b128 v[95:98], v94 offset:592
	ds_read_b128 v[99:102], v94 offset:608
	buffer_load_dword v128, off, s[0:3], 0 offset:340
	s_mov_b32 s4, exec_lo
	s_waitcnt vmcnt(28) lgkmcnt(1)
	v_fma_f64 v[95:96], v[103:104], v[95:96], 0
	s_clause 0x5
	buffer_load_dword v104, off, s[0:3], 0 offset:348
	buffer_load_dword v133, off, s[0:3], 0 offset:360
	;; [unrolled: 1-line block ×6, first 2 shown]
	s_waitcnt vmcnt(32)
	v_fma_f64 v[95:96], v[105:106], v[97:98], v[95:96]
	s_waitcnt vmcnt(30) lgkmcnt(0)
	v_fma_f64 v[95:96], v[107:108], v[99:100], v[95:96]
	s_waitcnt vmcnt(28)
	v_fma_f64 v[105:106], v[109:110], v[101:102], v[95:96]
	ds_read_b128 v[95:98], v94 offset:624
	s_clause 0x1
	buffer_load_dword v107, off, s[0:3], 0 offset:216
	buffer_load_dword v108, off, s[0:3], 0 offset:220
	ds_read_b128 v[99:102], v94 offset:640
	s_waitcnt vmcnt(28) lgkmcnt(1)
	v_fma_f64 v[95:96], v[111:112], v[95:96], v[105:106]
	s_waitcnt vmcnt(26)
	v_fma_f64 v[95:96], v[113:114], v[97:98], v[95:96]
	s_waitcnt vmcnt(24) lgkmcnt(0)
	v_fma_f64 v[95:96], v[115:116], v[99:100], v[95:96]
	s_waitcnt vmcnt(19)
	v_fma_f64 v[105:106], v[117:118], v[101:102], v[95:96]
	ds_read_b128 v[95:98], v94 offset:656
	ds_read_b128 v[99:102], v94 offset:672
	s_waitcnt vmcnt(18) lgkmcnt(1)
	v_fma_f64 v[95:96], v[123:124], v[95:96], v[105:106]
	s_waitcnt vmcnt(17)
	v_fma_f64 v[95:96], v[121:122], v[97:98], v[95:96]
	s_waitcnt vmcnt(16) lgkmcnt(0)
	v_fma_f64 v[95:96], v[119:120], v[99:100], v[95:96]
	s_waitcnt vmcnt(11)
	v_fma_f64 v[105:106], v[125:126], v[101:102], v[95:96]
	ds_read_b128 v[95:98], v94 offset:688
	;; [unrolled: 10-line block ×3, first 2 shown]
	s_waitcnt vmcnt(3) lgkmcnt(0)
	v_fma_f64 v[94:95], v[135:136], v[94:95], v[98:99]
	s_waitcnt vmcnt(2)
	v_fma_f64 v[94:95], v[133:134], v[96:97], v[94:95]
	s_waitcnt vmcnt(0)
	v_add_f64 v[94:95], v[107:108], -v[94:95]
	buffer_store_dword v95, off, s[0:3], 0 offset:220
	buffer_store_dword v94, off, s[0:3], 0 offset:216
	v_cmpx_lt_u32_e32 26, v0
	s_cbranch_execz .LBB45_233
; %bb.232:
	s_clause 0x1
	buffer_load_dword v94, off, s[0:3], 0 offset:208
	buffer_load_dword v95, off, s[0:3], 0 offset:212
	v_mov_b32_e32 v96, 0
	buffer_store_dword v96, off, s[0:3], 0 offset:208
	buffer_store_dword v96, off, s[0:3], 0 offset:212
	s_waitcnt vmcnt(0)
	ds_write_b64 v93, v[94:95]
.LBB45_233:
	s_or_b32 exec_lo, exec_lo, s4
	s_waitcnt lgkmcnt(0)
	s_waitcnt_vscnt null, 0x0
	s_barrier
	buffer_gl0_inv
	s_clause 0x1c
	buffer_load_dword v103, off, s[0:3], 0 offset:216
	buffer_load_dword v104, off, s[0:3], 0 offset:220
	buffer_load_dword v105, off, s[0:3], 0 offset:224
	buffer_load_dword v106, off, s[0:3], 0 offset:228
	buffer_load_dword v107, off, s[0:3], 0 offset:232
	buffer_load_dword v108, off, s[0:3], 0 offset:236
	buffer_load_dword v109, off, s[0:3], 0 offset:240
	buffer_load_dword v110, off, s[0:3], 0 offset:244
	buffer_load_dword v111, off, s[0:3], 0 offset:248
	buffer_load_dword v112, off, s[0:3], 0 offset:252
	buffer_load_dword v113, off, s[0:3], 0 offset:256
	buffer_load_dword v114, off, s[0:3], 0 offset:260
	buffer_load_dword v115, off, s[0:3], 0 offset:264
	buffer_load_dword v116, off, s[0:3], 0 offset:268
	buffer_load_dword v118, off, s[0:3], 0 offset:276
	buffer_load_dword v119, off, s[0:3], 0 offset:296
	buffer_load_dword v121, off, s[0:3], 0 offset:288
	buffer_load_dword v123, off, s[0:3], 0 offset:280
	buffer_load_dword v117, off, s[0:3], 0 offset:272
	buffer_load_dword v124, off, s[0:3], 0 offset:284
	buffer_load_dword v122, off, s[0:3], 0 offset:292
	buffer_load_dword v120, off, s[0:3], 0 offset:300
	buffer_load_dword v126, off, s[0:3], 0 offset:308
	buffer_load_dword v127, off, s[0:3], 0 offset:328
	buffer_load_dword v129, off, s[0:3], 0 offset:320
	buffer_load_dword v131, off, s[0:3], 0 offset:312
	buffer_load_dword v125, off, s[0:3], 0 offset:304
	buffer_load_dword v132, off, s[0:3], 0 offset:316
	buffer_load_dword v130, off, s[0:3], 0 offset:324
	v_mov_b32_e32 v94, 0
	buffer_load_dword v128, off, s[0:3], 0 offset:332
	s_mov_b32 s4, exec_lo
	ds_read2_b64 v[95:98], v94 offset0:73 offset1:74
	ds_read2_b64 v[99:102], v94 offset0:75 offset1:76
	s_waitcnt vmcnt(28) lgkmcnt(1)
	v_fma_f64 v[95:96], v[103:104], v[95:96], 0
	s_clause 0x7
	buffer_load_dword v104, off, s[0:3], 0 offset:340
	buffer_load_dword v133, off, s[0:3], 0 offset:360
	buffer_load_dword v135, off, s[0:3], 0 offset:352
	buffer_load_dword v137, off, s[0:3], 0 offset:344
	buffer_load_dword v103, off, s[0:3], 0 offset:336
	buffer_load_dword v138, off, s[0:3], 0 offset:348
	buffer_load_dword v136, off, s[0:3], 0 offset:356
	buffer_load_dword v134, off, s[0:3], 0 offset:364
	s_waitcnt vmcnt(34)
	v_fma_f64 v[95:96], v[105:106], v[97:98], v[95:96]
	s_waitcnt vmcnt(32) lgkmcnt(0)
	v_fma_f64 v[95:96], v[107:108], v[99:100], v[95:96]
	s_waitcnt vmcnt(30)
	v_fma_f64 v[105:106], v[109:110], v[101:102], v[95:96]
	ds_read2_b64 v[95:98], v94 offset0:77 offset1:78
	ds_read2_b64 v[99:102], v94 offset0:79 offset1:80
	s_waitcnt vmcnt(28) lgkmcnt(1)
	v_fma_f64 v[95:96], v[111:112], v[95:96], v[105:106]
	s_clause 0x1
	buffer_load_dword v105, off, s[0:3], 0 offset:208
	buffer_load_dword v106, off, s[0:3], 0 offset:212
	s_waitcnt vmcnt(28)
	v_fma_f64 v[95:96], v[113:114], v[97:98], v[95:96]
	s_waitcnt vmcnt(26) lgkmcnt(0)
	v_fma_f64 v[95:96], v[115:116], v[99:100], v[95:96]
	s_waitcnt vmcnt(21)
	v_fma_f64 v[107:108], v[117:118], v[101:102], v[95:96]
	ds_read2_b64 v[95:98], v94 offset0:81 offset1:82
	ds_read2_b64 v[99:102], v94 offset0:83 offset1:84
	s_waitcnt vmcnt(20) lgkmcnt(1)
	v_fma_f64 v[95:96], v[123:124], v[95:96], v[107:108]
	s_waitcnt vmcnt(19)
	v_fma_f64 v[95:96], v[121:122], v[97:98], v[95:96]
	s_waitcnt vmcnt(18) lgkmcnt(0)
	v_fma_f64 v[95:96], v[119:120], v[99:100], v[95:96]
	s_waitcnt vmcnt(13)
	v_fma_f64 v[107:108], v[125:126], v[101:102], v[95:96]
	ds_read2_b64 v[95:98], v94 offset0:85 offset1:86
	ds_read2_b64 v[99:102], v94 offset0:87 offset1:88
	s_waitcnt vmcnt(12) lgkmcnt(1)
	v_fma_f64 v[95:96], v[131:132], v[95:96], v[107:108]
	s_waitcnt vmcnt(11)
	v_fma_f64 v[95:96], v[129:130], v[97:98], v[95:96]
	s_waitcnt vmcnt(10) lgkmcnt(0)
	v_fma_f64 v[95:96], v[127:128], v[99:100], v[95:96]
	s_waitcnt vmcnt(5)
	v_fma_f64 v[99:100], v[103:104], v[101:102], v[95:96]
	ds_read2_b64 v[95:98], v94 offset0:89 offset1:90
	ds_read_b64 v[101:102], v94 offset:728
	s_waitcnt vmcnt(4) lgkmcnt(1)
	v_fma_f64 v[95:96], v[137:138], v[95:96], v[99:100]
	s_waitcnt vmcnt(3)
	v_fma_f64 v[95:96], v[135:136], v[97:98], v[95:96]
	s_waitcnt vmcnt(2) lgkmcnt(0)
	v_fma_f64 v[95:96], v[133:134], v[101:102], v[95:96]
	s_waitcnt vmcnt(0)
	v_add_f64 v[95:96], v[105:106], -v[95:96]
	buffer_store_dword v96, off, s[0:3], 0 offset:212
	buffer_store_dword v95, off, s[0:3], 0 offset:208
	v_cmpx_lt_u32_e32 25, v0
	s_cbranch_execz .LBB45_235
; %bb.234:
	s_clause 0x1
	buffer_load_dword v95, off, s[0:3], 0 offset:200
	buffer_load_dword v96, off, s[0:3], 0 offset:204
	buffer_store_dword v94, off, s[0:3], 0 offset:200
	buffer_store_dword v94, off, s[0:3], 0 offset:204
	s_waitcnt vmcnt(0)
	ds_write_b64 v93, v[95:96]
.LBB45_235:
	s_or_b32 exec_lo, exec_lo, s4
	s_waitcnt lgkmcnt(0)
	s_waitcnt_vscnt null, 0x0
	s_barrier
	buffer_gl0_inv
	s_clause 0x1c
	buffer_load_dword v103, off, s[0:3], 0 offset:208
	buffer_load_dword v104, off, s[0:3], 0 offset:212
	;; [unrolled: 1-line block ×29, first 2 shown]
	ds_read_b128 v[95:98], v94 offset:576
	ds_read_b128 v[99:102], v94 offset:592
	buffer_load_dword v128, off, s[0:3], 0 offset:324
	s_mov_b32 s4, exec_lo
	s_waitcnt vmcnt(28) lgkmcnt(1)
	v_fma_f64 v[95:96], v[103:104], v[95:96], 0
	s_clause 0x7
	buffer_load_dword v104, off, s[0:3], 0 offset:332
	buffer_load_dword v133, off, s[0:3], 0 offset:352
	;; [unrolled: 1-line block ×8, first 2 shown]
	s_waitcnt vmcnt(34)
	v_fma_f64 v[95:96], v[105:106], v[97:98], v[95:96]
	s_waitcnt vmcnt(32) lgkmcnt(0)
	v_fma_f64 v[95:96], v[107:108], v[99:100], v[95:96]
	s_waitcnt vmcnt(30)
	v_fma_f64 v[105:106], v[109:110], v[101:102], v[95:96]
	ds_read_b128 v[95:98], v94 offset:608
	ds_read_b128 v[99:102], v94 offset:624
	s_waitcnt vmcnt(28) lgkmcnt(1)
	v_fma_f64 v[95:96], v[111:112], v[95:96], v[105:106]
	s_clause 0x3
	buffer_load_dword v106, off, s[0:3], 0 offset:364
	buffer_load_dword v105, off, s[0:3], 0 offset:360
	;; [unrolled: 1-line block ×4, first 2 shown]
	s_waitcnt vmcnt(30)
	v_fma_f64 v[95:96], v[113:114], v[97:98], v[95:96]
	s_waitcnt vmcnt(28) lgkmcnt(0)
	v_fma_f64 v[95:96], v[115:116], v[99:100], v[95:96]
	s_waitcnt vmcnt(23)
	v_fma_f64 v[109:110], v[117:118], v[101:102], v[95:96]
	ds_read_b128 v[95:98], v94 offset:640
	ds_read_b128 v[99:102], v94 offset:656
	s_waitcnt vmcnt(22) lgkmcnt(1)
	v_fma_f64 v[95:96], v[123:124], v[95:96], v[109:110]
	s_waitcnt vmcnt(21)
	v_fma_f64 v[95:96], v[121:122], v[97:98], v[95:96]
	s_waitcnt vmcnt(20) lgkmcnt(0)
	v_fma_f64 v[95:96], v[119:120], v[99:100], v[95:96]
	s_waitcnt vmcnt(15)
	v_fma_f64 v[109:110], v[125:126], v[101:102], v[95:96]
	ds_read_b128 v[95:98], v94 offset:672
	ds_read_b128 v[99:102], v94 offset:688
	s_waitcnt vmcnt(14) lgkmcnt(1)
	v_fma_f64 v[95:96], v[131:132], v[95:96], v[109:110]
	;; [unrolled: 10-line block ×3, first 2 shown]
	s_waitcnt vmcnt(5)
	v_fma_f64 v[94:95], v[135:136], v[97:98], v[94:95]
	s_waitcnt vmcnt(4) lgkmcnt(0)
	v_fma_f64 v[94:95], v[133:134], v[99:100], v[94:95]
	s_waitcnt vmcnt(2)
	v_fma_f64 v[94:95], v[105:106], v[101:102], v[94:95]
	s_waitcnt vmcnt(0)
	v_add_f64 v[94:95], v[107:108], -v[94:95]
	buffer_store_dword v95, off, s[0:3], 0 offset:204
	buffer_store_dword v94, off, s[0:3], 0 offset:200
	v_cmpx_lt_u32_e32 24, v0
	s_cbranch_execz .LBB45_237
; %bb.236:
	s_clause 0x1
	buffer_load_dword v94, off, s[0:3], 0 offset:192
	buffer_load_dword v95, off, s[0:3], 0 offset:196
	v_mov_b32_e32 v96, 0
	buffer_store_dword v96, off, s[0:3], 0 offset:192
	buffer_store_dword v96, off, s[0:3], 0 offset:196
	s_waitcnt vmcnt(0)
	ds_write_b64 v93, v[94:95]
.LBB45_237:
	s_or_b32 exec_lo, exec_lo, s4
	s_waitcnt lgkmcnt(0)
	s_waitcnt_vscnt null, 0x0
	s_barrier
	buffer_gl0_inv
	s_clause 0x1c
	buffer_load_dword v103, off, s[0:3], 0 offset:200
	buffer_load_dword v104, off, s[0:3], 0 offset:204
	;; [unrolled: 1-line block ×29, first 2 shown]
	v_mov_b32_e32 v94, 0
	buffer_load_dword v128, off, s[0:3], 0 offset:316
	s_mov_b32 s4, exec_lo
	ds_read2_b64 v[95:98], v94 offset0:71 offset1:72
	ds_read2_b64 v[99:102], v94 offset0:73 offset1:74
	s_waitcnt vmcnt(28) lgkmcnt(1)
	v_fma_f64 v[95:96], v[103:104], v[95:96], 0
	s_clause 0x7
	buffer_load_dword v104, off, s[0:3], 0 offset:324
	buffer_load_dword v133, off, s[0:3], 0 offset:344
	;; [unrolled: 1-line block ×8, first 2 shown]
	s_waitcnt vmcnt(34)
	v_fma_f64 v[95:96], v[105:106], v[97:98], v[95:96]
	s_waitcnt vmcnt(32) lgkmcnt(0)
	v_fma_f64 v[95:96], v[107:108], v[99:100], v[95:96]
	s_waitcnt vmcnt(30)
	v_fma_f64 v[105:106], v[109:110], v[101:102], v[95:96]
	ds_read2_b64 v[95:98], v94 offset0:75 offset1:76
	ds_read2_b64 v[99:102], v94 offset0:77 offset1:78
	s_waitcnt vmcnt(28) lgkmcnt(1)
	v_fma_f64 v[95:96], v[111:112], v[95:96], v[105:106]
	s_clause 0x5
	buffer_load_dword v106, off, s[0:3], 0 offset:356
	buffer_load_dword v107, off, s[0:3], 0 offset:360
	;; [unrolled: 1-line block ×6, first 2 shown]
	s_waitcnt vmcnt(32)
	v_fma_f64 v[95:96], v[113:114], v[97:98], v[95:96]
	s_waitcnt vmcnt(30) lgkmcnt(0)
	v_fma_f64 v[95:96], v[115:116], v[99:100], v[95:96]
	s_waitcnt vmcnt(25)
	v_fma_f64 v[111:112], v[117:118], v[101:102], v[95:96]
	ds_read2_b64 v[95:98], v94 offset0:79 offset1:80
	ds_read2_b64 v[99:102], v94 offset0:81 offset1:82
	s_waitcnt vmcnt(24) lgkmcnt(1)
	v_fma_f64 v[95:96], v[123:124], v[95:96], v[111:112]
	s_waitcnt vmcnt(23)
	v_fma_f64 v[95:96], v[121:122], v[97:98], v[95:96]
	s_waitcnt vmcnt(22) lgkmcnt(0)
	v_fma_f64 v[95:96], v[119:120], v[99:100], v[95:96]
	s_waitcnt vmcnt(17)
	v_fma_f64 v[111:112], v[125:126], v[101:102], v[95:96]
	ds_read2_b64 v[95:98], v94 offset0:83 offset1:84
	ds_read2_b64 v[99:102], v94 offset0:85 offset1:86
	s_waitcnt vmcnt(16) lgkmcnt(1)
	v_fma_f64 v[95:96], v[131:132], v[95:96], v[111:112]
	;; [unrolled: 10-line block ×3, first 2 shown]
	s_waitcnt vmcnt(7)
	v_fma_f64 v[95:96], v[135:136], v[97:98], v[95:96]
	ds_read_b64 v[97:98], v94 offset:728
	s_waitcnt vmcnt(6) lgkmcnt(1)
	v_fma_f64 v[95:96], v[133:134], v[99:100], v[95:96]
	s_waitcnt vmcnt(3)
	v_fma_f64 v[95:96], v[105:106], v[101:102], v[95:96]
	s_waitcnt vmcnt(2) lgkmcnt(0)
	v_fma_f64 v[95:96], v[107:108], v[97:98], v[95:96]
	s_waitcnt vmcnt(0)
	v_add_f64 v[95:96], v[109:110], -v[95:96]
	buffer_store_dword v96, off, s[0:3], 0 offset:196
	buffer_store_dword v95, off, s[0:3], 0 offset:192
	v_cmpx_lt_u32_e32 23, v0
	s_cbranch_execz .LBB45_239
; %bb.238:
	s_clause 0x1
	buffer_load_dword v95, off, s[0:3], 0 offset:184
	buffer_load_dword v96, off, s[0:3], 0 offset:188
	buffer_store_dword v94, off, s[0:3], 0 offset:184
	buffer_store_dword v94, off, s[0:3], 0 offset:188
	s_waitcnt vmcnt(0)
	ds_write_b64 v93, v[95:96]
.LBB45_239:
	s_or_b32 exec_lo, exec_lo, s4
	s_waitcnt lgkmcnt(0)
	s_waitcnt_vscnt null, 0x0
	s_barrier
	buffer_gl0_inv
	s_clause 0x1c
	buffer_load_dword v103, off, s[0:3], 0 offset:192
	buffer_load_dword v104, off, s[0:3], 0 offset:196
	;; [unrolled: 1-line block ×29, first 2 shown]
	ds_read_b128 v[95:98], v94 offset:560
	ds_read_b128 v[99:102], v94 offset:576
	buffer_load_dword v128, off, s[0:3], 0 offset:308
	s_mov_b32 s4, exec_lo
	s_waitcnt vmcnt(28) lgkmcnt(1)
	v_fma_f64 v[95:96], v[103:104], v[95:96], 0
	s_clause 0x7
	buffer_load_dword v104, off, s[0:3], 0 offset:316
	buffer_load_dword v133, off, s[0:3], 0 offset:336
	buffer_load_dword v135, off, s[0:3], 0 offset:328
	buffer_load_dword v137, off, s[0:3], 0 offset:320
	buffer_load_dword v103, off, s[0:3], 0 offset:312
	buffer_load_dword v138, off, s[0:3], 0 offset:324
	buffer_load_dword v136, off, s[0:3], 0 offset:332
	buffer_load_dword v134, off, s[0:3], 0 offset:340
	s_waitcnt vmcnt(34)
	v_fma_f64 v[95:96], v[105:106], v[97:98], v[95:96]
	s_waitcnt vmcnt(32) lgkmcnt(0)
	v_fma_f64 v[95:96], v[107:108], v[99:100], v[95:96]
	s_waitcnt vmcnt(30)
	v_fma_f64 v[105:106], v[109:110], v[101:102], v[95:96]
	ds_read_b128 v[95:98], v94 offset:592
	ds_read_b128 v[99:102], v94 offset:608
	s_waitcnt vmcnt(28) lgkmcnt(1)
	v_fma_f64 v[95:96], v[111:112], v[95:96], v[105:106]
	s_clause 0x5
	buffer_load_dword v106, off, s[0:3], 0 offset:348
	buffer_load_dword v107, off, s[0:3], 0 offset:360
	;; [unrolled: 1-line block ×6, first 2 shown]
	s_waitcnt vmcnt(32)
	v_fma_f64 v[95:96], v[113:114], v[97:98], v[95:96]
	s_waitcnt vmcnt(30) lgkmcnt(0)
	v_fma_f64 v[95:96], v[115:116], v[99:100], v[95:96]
	s_waitcnt vmcnt(25)
	v_fma_f64 v[111:112], v[117:118], v[101:102], v[95:96]
	ds_read_b128 v[95:98], v94 offset:624
	s_clause 0x1
	buffer_load_dword v113, off, s[0:3], 0 offset:184
	buffer_load_dword v114, off, s[0:3], 0 offset:188
	ds_read_b128 v[99:102], v94 offset:640
	s_waitcnt vmcnt(26) lgkmcnt(1)
	v_fma_f64 v[95:96], v[123:124], v[95:96], v[111:112]
	s_waitcnt vmcnt(25)
	v_fma_f64 v[95:96], v[121:122], v[97:98], v[95:96]
	s_waitcnt vmcnt(24) lgkmcnt(0)
	v_fma_f64 v[95:96], v[119:120], v[99:100], v[95:96]
	s_waitcnt vmcnt(19)
	v_fma_f64 v[111:112], v[125:126], v[101:102], v[95:96]
	ds_read_b128 v[95:98], v94 offset:656
	ds_read_b128 v[99:102], v94 offset:672
	s_waitcnt vmcnt(18) lgkmcnt(1)
	v_fma_f64 v[95:96], v[131:132], v[95:96], v[111:112]
	s_waitcnt vmcnt(17)
	v_fma_f64 v[95:96], v[129:130], v[97:98], v[95:96]
	s_waitcnt vmcnt(16) lgkmcnt(0)
	v_fma_f64 v[95:96], v[127:128], v[99:100], v[95:96]
	s_waitcnt vmcnt(11)
	v_fma_f64 v[103:104], v[103:104], v[101:102], v[95:96]
	ds_read_b128 v[95:98], v94 offset:688
	;; [unrolled: 10-line block ×3, first 2 shown]
	s_waitcnt vmcnt(3) lgkmcnt(0)
	v_fma_f64 v[94:95], v[109:110], v[94:95], v[98:99]
	s_waitcnt vmcnt(2)
	v_fma_f64 v[94:95], v[107:108], v[96:97], v[94:95]
	s_waitcnt vmcnt(0)
	v_add_f64 v[94:95], v[113:114], -v[94:95]
	buffer_store_dword v95, off, s[0:3], 0 offset:188
	buffer_store_dword v94, off, s[0:3], 0 offset:184
	v_cmpx_lt_u32_e32 22, v0
	s_cbranch_execz .LBB45_241
; %bb.240:
	s_clause 0x1
	buffer_load_dword v94, off, s[0:3], 0 offset:176
	buffer_load_dword v95, off, s[0:3], 0 offset:180
	v_mov_b32_e32 v96, 0
	buffer_store_dword v96, off, s[0:3], 0 offset:176
	buffer_store_dword v96, off, s[0:3], 0 offset:180
	s_waitcnt vmcnt(0)
	ds_write_b64 v93, v[94:95]
.LBB45_241:
	s_or_b32 exec_lo, exec_lo, s4
	s_waitcnt lgkmcnt(0)
	s_waitcnt_vscnt null, 0x0
	s_barrier
	buffer_gl0_inv
	s_clause 0x1c
	buffer_load_dword v103, off, s[0:3], 0 offset:184
	buffer_load_dword v104, off, s[0:3], 0 offset:188
	buffer_load_dword v105, off, s[0:3], 0 offset:192
	buffer_load_dword v106, off, s[0:3], 0 offset:196
	buffer_load_dword v107, off, s[0:3], 0 offset:200
	buffer_load_dword v108, off, s[0:3], 0 offset:204
	buffer_load_dword v109, off, s[0:3], 0 offset:208
	buffer_load_dword v110, off, s[0:3], 0 offset:212
	buffer_load_dword v111, off, s[0:3], 0 offset:216
	buffer_load_dword v112, off, s[0:3], 0 offset:220
	buffer_load_dword v113, off, s[0:3], 0 offset:224
	buffer_load_dword v114, off, s[0:3], 0 offset:228
	buffer_load_dword v115, off, s[0:3], 0 offset:232
	buffer_load_dword v116, off, s[0:3], 0 offset:236
	buffer_load_dword v118, off, s[0:3], 0 offset:244
	buffer_load_dword v119, off, s[0:3], 0 offset:264
	buffer_load_dword v121, off, s[0:3], 0 offset:256
	buffer_load_dword v123, off, s[0:3], 0 offset:248
	buffer_load_dword v117, off, s[0:3], 0 offset:240
	buffer_load_dword v124, off, s[0:3], 0 offset:252
	buffer_load_dword v122, off, s[0:3], 0 offset:260
	buffer_load_dword v120, off, s[0:3], 0 offset:268
	buffer_load_dword v126, off, s[0:3], 0 offset:276
	buffer_load_dword v127, off, s[0:3], 0 offset:296
	buffer_load_dword v129, off, s[0:3], 0 offset:288
	buffer_load_dword v131, off, s[0:3], 0 offset:280
	buffer_load_dword v125, off, s[0:3], 0 offset:272
	buffer_load_dword v132, off, s[0:3], 0 offset:284
	buffer_load_dword v130, off, s[0:3], 0 offset:292
	v_mov_b32_e32 v94, 0
	buffer_load_dword v128, off, s[0:3], 0 offset:300
	s_mov_b32 s4, exec_lo
	ds_read2_b64 v[95:98], v94 offset0:69 offset1:70
	ds_read2_b64 v[99:102], v94 offset0:71 offset1:72
	s_waitcnt vmcnt(28) lgkmcnt(1)
	v_fma_f64 v[95:96], v[103:104], v[95:96], 0
	s_clause 0x7
	buffer_load_dword v104, off, s[0:3], 0 offset:308
	buffer_load_dword v133, off, s[0:3], 0 offset:328
	;; [unrolled: 1-line block ×8, first 2 shown]
	s_waitcnt vmcnt(34)
	v_fma_f64 v[95:96], v[105:106], v[97:98], v[95:96]
	s_waitcnt vmcnt(32) lgkmcnt(0)
	v_fma_f64 v[95:96], v[107:108], v[99:100], v[95:96]
	s_waitcnt vmcnt(30)
	v_fma_f64 v[105:106], v[109:110], v[101:102], v[95:96]
	ds_read2_b64 v[95:98], v94 offset0:73 offset1:74
	ds_read2_b64 v[99:102], v94 offset0:75 offset1:76
	s_waitcnt vmcnt(28) lgkmcnt(1)
	v_fma_f64 v[95:96], v[111:112], v[95:96], v[105:106]
	s_clause 0x7
	buffer_load_dword v106, off, s[0:3], 0 offset:340
	buffer_load_dword v107, off, s[0:3], 0 offset:360
	;; [unrolled: 1-line block ×8, first 2 shown]
	s_waitcnt vmcnt(34)
	v_fma_f64 v[95:96], v[113:114], v[97:98], v[95:96]
	s_waitcnt vmcnt(32) lgkmcnt(0)
	v_fma_f64 v[95:96], v[115:116], v[99:100], v[95:96]
	s_waitcnt vmcnt(27)
	v_fma_f64 v[113:114], v[117:118], v[101:102], v[95:96]
	ds_read2_b64 v[95:98], v94 offset0:77 offset1:78
	ds_read2_b64 v[99:102], v94 offset0:79 offset1:80
	s_waitcnt vmcnt(26) lgkmcnt(1)
	v_fma_f64 v[95:96], v[123:124], v[95:96], v[113:114]
	s_clause 0x1
	buffer_load_dword v113, off, s[0:3], 0 offset:176
	buffer_load_dword v114, off, s[0:3], 0 offset:180
	s_waitcnt vmcnt(27)
	v_fma_f64 v[95:96], v[121:122], v[97:98], v[95:96]
	s_waitcnt vmcnt(26) lgkmcnt(0)
	v_fma_f64 v[95:96], v[119:120], v[99:100], v[95:96]
	s_waitcnt vmcnt(21)
	v_fma_f64 v[115:116], v[125:126], v[101:102], v[95:96]
	ds_read2_b64 v[95:98], v94 offset0:81 offset1:82
	ds_read2_b64 v[99:102], v94 offset0:83 offset1:84
	s_waitcnt vmcnt(20) lgkmcnt(1)
	v_fma_f64 v[95:96], v[131:132], v[95:96], v[115:116]
	s_waitcnt vmcnt(19)
	v_fma_f64 v[95:96], v[129:130], v[97:98], v[95:96]
	s_waitcnt vmcnt(18) lgkmcnt(0)
	v_fma_f64 v[95:96], v[127:128], v[99:100], v[95:96]
	s_waitcnt vmcnt(13)
	v_fma_f64 v[103:104], v[103:104], v[101:102], v[95:96]
	ds_read2_b64 v[95:98], v94 offset0:85 offset1:86
	ds_read2_b64 v[99:102], v94 offset0:87 offset1:88
	s_waitcnt vmcnt(12) lgkmcnt(1)
	v_fma_f64 v[95:96], v[137:138], v[95:96], v[103:104]
	s_waitcnt vmcnt(11)
	v_fma_f64 v[95:96], v[135:136], v[97:98], v[95:96]
	s_waitcnt vmcnt(10) lgkmcnt(0)
	v_fma_f64 v[95:96], v[133:134], v[99:100], v[95:96]
	s_waitcnt vmcnt(5)
	v_fma_f64 v[99:100], v[105:106], v[101:102], v[95:96]
	ds_read2_b64 v[95:98], v94 offset0:89 offset1:90
	ds_read_b64 v[101:102], v94 offset:728
	s_waitcnt vmcnt(4) lgkmcnt(1)
	v_fma_f64 v[95:96], v[111:112], v[95:96], v[99:100]
	s_waitcnt vmcnt(3)
	v_fma_f64 v[95:96], v[109:110], v[97:98], v[95:96]
	s_waitcnt vmcnt(2) lgkmcnt(0)
	v_fma_f64 v[95:96], v[107:108], v[101:102], v[95:96]
	s_waitcnt vmcnt(0)
	v_add_f64 v[95:96], v[113:114], -v[95:96]
	buffer_store_dword v96, off, s[0:3], 0 offset:180
	buffer_store_dword v95, off, s[0:3], 0 offset:176
	v_cmpx_lt_u32_e32 21, v0
	s_cbranch_execz .LBB45_243
; %bb.242:
	s_clause 0x1
	buffer_load_dword v95, off, s[0:3], 0 offset:168
	buffer_load_dword v96, off, s[0:3], 0 offset:172
	buffer_store_dword v94, off, s[0:3], 0 offset:168
	buffer_store_dword v94, off, s[0:3], 0 offset:172
	s_waitcnt vmcnt(0)
	ds_write_b64 v93, v[95:96]
.LBB45_243:
	s_or_b32 exec_lo, exec_lo, s4
	s_waitcnt lgkmcnt(0)
	s_waitcnt_vscnt null, 0x0
	s_barrier
	buffer_gl0_inv
	s_clause 0x1c
	buffer_load_dword v103, off, s[0:3], 0 offset:176
	buffer_load_dword v104, off, s[0:3], 0 offset:180
	;; [unrolled: 1-line block ×29, first 2 shown]
	ds_read_b128 v[95:98], v94 offset:544
	ds_read_b128 v[99:102], v94 offset:560
	buffer_load_dword v128, off, s[0:3], 0 offset:292
	s_mov_b32 s4, exec_lo
	s_waitcnt vmcnt(28) lgkmcnt(1)
	v_fma_f64 v[95:96], v[103:104], v[95:96], 0
	s_clause 0x7
	buffer_load_dword v104, off, s[0:3], 0 offset:300
	buffer_load_dword v133, off, s[0:3], 0 offset:320
	;; [unrolled: 1-line block ×8, first 2 shown]
	s_waitcnt vmcnt(34)
	v_fma_f64 v[95:96], v[105:106], v[97:98], v[95:96]
	s_waitcnt vmcnt(32) lgkmcnt(0)
	v_fma_f64 v[95:96], v[107:108], v[99:100], v[95:96]
	s_waitcnt vmcnt(30)
	v_fma_f64 v[105:106], v[109:110], v[101:102], v[95:96]
	ds_read_b128 v[95:98], v94 offset:576
	ds_read_b128 v[99:102], v94 offset:592
	s_waitcnt vmcnt(28) lgkmcnt(1)
	v_fma_f64 v[95:96], v[111:112], v[95:96], v[105:106]
	s_clause 0x7
	buffer_load_dword v106, off, s[0:3], 0 offset:332
	buffer_load_dword v107, off, s[0:3], 0 offset:352
	;; [unrolled: 1-line block ×8, first 2 shown]
	s_waitcnt vmcnt(34)
	v_fma_f64 v[95:96], v[113:114], v[97:98], v[95:96]
	s_waitcnt vmcnt(32) lgkmcnt(0)
	v_fma_f64 v[95:96], v[115:116], v[99:100], v[95:96]
	s_waitcnt vmcnt(27)
	v_fma_f64 v[113:114], v[117:118], v[101:102], v[95:96]
	ds_read_b128 v[95:98], v94 offset:608
	ds_read_b128 v[99:102], v94 offset:624
	s_waitcnt vmcnt(26) lgkmcnt(1)
	v_fma_f64 v[95:96], v[123:124], v[95:96], v[113:114]
	s_clause 0x3
	buffer_load_dword v114, off, s[0:3], 0 offset:364
	buffer_load_dword v113, off, s[0:3], 0 offset:360
	;; [unrolled: 1-line block ×4, first 2 shown]
	s_waitcnt vmcnt(29)
	v_fma_f64 v[95:96], v[121:122], v[97:98], v[95:96]
	s_waitcnt vmcnt(28) lgkmcnt(0)
	v_fma_f64 v[95:96], v[119:120], v[99:100], v[95:96]
	s_waitcnt vmcnt(23)
	v_fma_f64 v[117:118], v[125:126], v[101:102], v[95:96]
	ds_read_b128 v[95:98], v94 offset:640
	ds_read_b128 v[99:102], v94 offset:656
	s_waitcnt vmcnt(22) lgkmcnt(1)
	v_fma_f64 v[95:96], v[131:132], v[95:96], v[117:118]
	s_waitcnt vmcnt(21)
	v_fma_f64 v[95:96], v[129:130], v[97:98], v[95:96]
	s_waitcnt vmcnt(20) lgkmcnt(0)
	v_fma_f64 v[95:96], v[127:128], v[99:100], v[95:96]
	s_waitcnt vmcnt(15)
	v_fma_f64 v[103:104], v[103:104], v[101:102], v[95:96]
	ds_read_b128 v[95:98], v94 offset:672
	ds_read_b128 v[99:102], v94 offset:688
	s_waitcnt vmcnt(14) lgkmcnt(1)
	v_fma_f64 v[95:96], v[137:138], v[95:96], v[103:104]
	;; [unrolled: 10-line block ×3, first 2 shown]
	s_waitcnt vmcnt(5)
	v_fma_f64 v[94:95], v[109:110], v[97:98], v[94:95]
	s_waitcnt vmcnt(4) lgkmcnt(0)
	v_fma_f64 v[94:95], v[107:108], v[99:100], v[94:95]
	s_waitcnt vmcnt(2)
	v_fma_f64 v[94:95], v[113:114], v[101:102], v[94:95]
	s_waitcnt vmcnt(0)
	v_add_f64 v[94:95], v[115:116], -v[94:95]
	buffer_store_dword v95, off, s[0:3], 0 offset:172
	buffer_store_dword v94, off, s[0:3], 0 offset:168
	v_cmpx_lt_u32_e32 20, v0
	s_cbranch_execz .LBB45_245
; %bb.244:
	s_clause 0x1
	buffer_load_dword v94, off, s[0:3], 0 offset:160
	buffer_load_dword v95, off, s[0:3], 0 offset:164
	v_mov_b32_e32 v96, 0
	buffer_store_dword v96, off, s[0:3], 0 offset:160
	buffer_store_dword v96, off, s[0:3], 0 offset:164
	s_waitcnt vmcnt(0)
	ds_write_b64 v93, v[94:95]
.LBB45_245:
	s_or_b32 exec_lo, exec_lo, s4
	s_waitcnt lgkmcnt(0)
	s_waitcnt_vscnt null, 0x0
	s_barrier
	buffer_gl0_inv
	s_clause 0x1c
	buffer_load_dword v103, off, s[0:3], 0 offset:168
	buffer_load_dword v104, off, s[0:3], 0 offset:172
	;; [unrolled: 1-line block ×29, first 2 shown]
	v_mov_b32_e32 v94, 0
	buffer_load_dword v128, off, s[0:3], 0 offset:284
	s_mov_b32 s4, exec_lo
	ds_read2_b64 v[95:98], v94 offset0:67 offset1:68
	ds_read2_b64 v[99:102], v94 offset0:69 offset1:70
	s_waitcnt vmcnt(28) lgkmcnt(1)
	v_fma_f64 v[95:96], v[103:104], v[95:96], 0
	s_clause 0x7
	buffer_load_dword v104, off, s[0:3], 0 offset:292
	buffer_load_dword v133, off, s[0:3], 0 offset:312
	;; [unrolled: 1-line block ×8, first 2 shown]
	s_waitcnt vmcnt(34)
	v_fma_f64 v[95:96], v[105:106], v[97:98], v[95:96]
	s_waitcnt vmcnt(32) lgkmcnt(0)
	v_fma_f64 v[95:96], v[107:108], v[99:100], v[95:96]
	s_waitcnt vmcnt(30)
	v_fma_f64 v[105:106], v[109:110], v[101:102], v[95:96]
	ds_read2_b64 v[95:98], v94 offset0:71 offset1:72
	ds_read2_b64 v[99:102], v94 offset0:73 offset1:74
	s_waitcnt vmcnt(28) lgkmcnt(1)
	v_fma_f64 v[95:96], v[111:112], v[95:96], v[105:106]
	s_clause 0x7
	buffer_load_dword v106, off, s[0:3], 0 offset:324
	buffer_load_dword v107, off, s[0:3], 0 offset:344
	;; [unrolled: 1-line block ×8, first 2 shown]
	s_waitcnt vmcnt(34)
	v_fma_f64 v[95:96], v[113:114], v[97:98], v[95:96]
	s_waitcnt vmcnt(32) lgkmcnt(0)
	v_fma_f64 v[95:96], v[115:116], v[99:100], v[95:96]
	s_waitcnt vmcnt(27)
	v_fma_f64 v[113:114], v[117:118], v[101:102], v[95:96]
	ds_read2_b64 v[95:98], v94 offset0:75 offset1:76
	ds_read2_b64 v[99:102], v94 offset0:77 offset1:78
	s_waitcnt vmcnt(26) lgkmcnt(1)
	v_fma_f64 v[95:96], v[123:124], v[95:96], v[113:114]
	s_clause 0x5
	buffer_load_dword v114, off, s[0:3], 0 offset:356
	buffer_load_dword v115, off, s[0:3], 0 offset:360
	;; [unrolled: 1-line block ×6, first 2 shown]
	s_waitcnt vmcnt(31)
	v_fma_f64 v[95:96], v[121:122], v[97:98], v[95:96]
	s_waitcnt vmcnt(30) lgkmcnt(0)
	v_fma_f64 v[95:96], v[119:120], v[99:100], v[95:96]
	s_waitcnt vmcnt(25)
	v_fma_f64 v[119:120], v[125:126], v[101:102], v[95:96]
	ds_read2_b64 v[95:98], v94 offset0:79 offset1:80
	ds_read2_b64 v[99:102], v94 offset0:81 offset1:82
	s_waitcnt vmcnt(24) lgkmcnt(1)
	v_fma_f64 v[95:96], v[131:132], v[95:96], v[119:120]
	s_waitcnt vmcnt(23)
	v_fma_f64 v[95:96], v[129:130], v[97:98], v[95:96]
	s_waitcnt vmcnt(22) lgkmcnt(0)
	v_fma_f64 v[95:96], v[127:128], v[99:100], v[95:96]
	s_waitcnt vmcnt(17)
	v_fma_f64 v[103:104], v[103:104], v[101:102], v[95:96]
	ds_read2_b64 v[95:98], v94 offset0:83 offset1:84
	ds_read2_b64 v[99:102], v94 offset0:85 offset1:86
	s_waitcnt vmcnt(16) lgkmcnt(1)
	v_fma_f64 v[95:96], v[137:138], v[95:96], v[103:104]
	;; [unrolled: 10-line block ×3, first 2 shown]
	s_waitcnt vmcnt(7)
	v_fma_f64 v[95:96], v[109:110], v[97:98], v[95:96]
	ds_read_b64 v[97:98], v94 offset:728
	s_waitcnt vmcnt(6) lgkmcnt(1)
	v_fma_f64 v[95:96], v[107:108], v[99:100], v[95:96]
	s_waitcnt vmcnt(3)
	v_fma_f64 v[95:96], v[113:114], v[101:102], v[95:96]
	s_waitcnt vmcnt(2) lgkmcnt(0)
	v_fma_f64 v[95:96], v[115:116], v[97:98], v[95:96]
	s_waitcnt vmcnt(0)
	v_add_f64 v[95:96], v[117:118], -v[95:96]
	buffer_store_dword v96, off, s[0:3], 0 offset:164
	buffer_store_dword v95, off, s[0:3], 0 offset:160
	v_cmpx_lt_u32_e32 19, v0
	s_cbranch_execz .LBB45_247
; %bb.246:
	s_clause 0x1
	buffer_load_dword v95, off, s[0:3], 0 offset:152
	buffer_load_dword v96, off, s[0:3], 0 offset:156
	buffer_store_dword v94, off, s[0:3], 0 offset:152
	buffer_store_dword v94, off, s[0:3], 0 offset:156
	s_waitcnt vmcnt(0)
	ds_write_b64 v93, v[95:96]
.LBB45_247:
	s_or_b32 exec_lo, exec_lo, s4
	s_waitcnt lgkmcnt(0)
	s_waitcnt_vscnt null, 0x0
	s_barrier
	buffer_gl0_inv
	s_clause 0x1c
	buffer_load_dword v103, off, s[0:3], 0 offset:160
	buffer_load_dword v104, off, s[0:3], 0 offset:164
	buffer_load_dword v105, off, s[0:3], 0 offset:168
	buffer_load_dword v106, off, s[0:3], 0 offset:172
	buffer_load_dword v107, off, s[0:3], 0 offset:176
	buffer_load_dword v108, off, s[0:3], 0 offset:180
	buffer_load_dword v109, off, s[0:3], 0 offset:184
	buffer_load_dword v110, off, s[0:3], 0 offset:188
	buffer_load_dword v111, off, s[0:3], 0 offset:192
	buffer_load_dword v112, off, s[0:3], 0 offset:196
	buffer_load_dword v113, off, s[0:3], 0 offset:200
	buffer_load_dword v114, off, s[0:3], 0 offset:204
	buffer_load_dword v115, off, s[0:3], 0 offset:208
	buffer_load_dword v116, off, s[0:3], 0 offset:212
	buffer_load_dword v118, off, s[0:3], 0 offset:220
	buffer_load_dword v119, off, s[0:3], 0 offset:240
	buffer_load_dword v121, off, s[0:3], 0 offset:232
	buffer_load_dword v123, off, s[0:3], 0 offset:224
	buffer_load_dword v117, off, s[0:3], 0 offset:216
	buffer_load_dword v124, off, s[0:3], 0 offset:228
	buffer_load_dword v122, off, s[0:3], 0 offset:236
	buffer_load_dword v120, off, s[0:3], 0 offset:244
	buffer_load_dword v126, off, s[0:3], 0 offset:252
	buffer_load_dword v127, off, s[0:3], 0 offset:272
	buffer_load_dword v129, off, s[0:3], 0 offset:264
	buffer_load_dword v131, off, s[0:3], 0 offset:256
	buffer_load_dword v125, off, s[0:3], 0 offset:248
	buffer_load_dword v132, off, s[0:3], 0 offset:260
	buffer_load_dword v130, off, s[0:3], 0 offset:268
	ds_read_b128 v[95:98], v94 offset:528
	ds_read_b128 v[99:102], v94 offset:544
	buffer_load_dword v128, off, s[0:3], 0 offset:276
	s_mov_b32 s4, exec_lo
	s_waitcnt vmcnt(28) lgkmcnt(1)
	v_fma_f64 v[95:96], v[103:104], v[95:96], 0
	s_clause 0x7
	buffer_load_dword v104, off, s[0:3], 0 offset:284
	buffer_load_dword v133, off, s[0:3], 0 offset:304
	;; [unrolled: 1-line block ×8, first 2 shown]
	s_waitcnt vmcnt(34)
	v_fma_f64 v[95:96], v[105:106], v[97:98], v[95:96]
	s_waitcnt vmcnt(32) lgkmcnt(0)
	v_fma_f64 v[95:96], v[107:108], v[99:100], v[95:96]
	s_waitcnt vmcnt(30)
	v_fma_f64 v[105:106], v[109:110], v[101:102], v[95:96]
	ds_read_b128 v[95:98], v94 offset:560
	ds_read_b128 v[99:102], v94 offset:576
	s_waitcnt vmcnt(28) lgkmcnt(1)
	v_fma_f64 v[95:96], v[111:112], v[95:96], v[105:106]
	s_clause 0x7
	buffer_load_dword v106, off, s[0:3], 0 offset:316
	buffer_load_dword v107, off, s[0:3], 0 offset:336
	;; [unrolled: 1-line block ×8, first 2 shown]
	s_waitcnt vmcnt(34)
	v_fma_f64 v[95:96], v[113:114], v[97:98], v[95:96]
	s_waitcnt vmcnt(32) lgkmcnt(0)
	v_fma_f64 v[95:96], v[115:116], v[99:100], v[95:96]
	s_waitcnt vmcnt(27)
	v_fma_f64 v[113:114], v[117:118], v[101:102], v[95:96]
	ds_read_b128 v[95:98], v94 offset:592
	ds_read_b128 v[99:102], v94 offset:608
	s_waitcnt vmcnt(26) lgkmcnt(1)
	v_fma_f64 v[95:96], v[123:124], v[95:96], v[113:114]
	s_clause 0x5
	buffer_load_dword v114, off, s[0:3], 0 offset:348
	buffer_load_dword v115, off, s[0:3], 0 offset:360
	;; [unrolled: 1-line block ×6, first 2 shown]
	s_waitcnt vmcnt(31)
	v_fma_f64 v[95:96], v[121:122], v[97:98], v[95:96]
	s_waitcnt vmcnt(30) lgkmcnt(0)
	v_fma_f64 v[95:96], v[119:120], v[99:100], v[95:96]
	s_waitcnt vmcnt(25)
	v_fma_f64 v[119:120], v[125:126], v[101:102], v[95:96]
	ds_read_b128 v[95:98], v94 offset:624
	s_clause 0x1
	buffer_load_dword v121, off, s[0:3], 0 offset:152
	buffer_load_dword v122, off, s[0:3], 0 offset:156
	ds_read_b128 v[99:102], v94 offset:640
	s_waitcnt vmcnt(26) lgkmcnt(1)
	v_fma_f64 v[95:96], v[131:132], v[95:96], v[119:120]
	s_waitcnt vmcnt(25)
	v_fma_f64 v[95:96], v[129:130], v[97:98], v[95:96]
	s_waitcnt vmcnt(24) lgkmcnt(0)
	v_fma_f64 v[95:96], v[127:128], v[99:100], v[95:96]
	s_waitcnt vmcnt(19)
	v_fma_f64 v[103:104], v[103:104], v[101:102], v[95:96]
	ds_read_b128 v[95:98], v94 offset:656
	ds_read_b128 v[99:102], v94 offset:672
	s_waitcnt vmcnt(18) lgkmcnt(1)
	v_fma_f64 v[95:96], v[137:138], v[95:96], v[103:104]
	s_waitcnt vmcnt(17)
	v_fma_f64 v[95:96], v[135:136], v[97:98], v[95:96]
	s_waitcnt vmcnt(16) lgkmcnt(0)
	v_fma_f64 v[95:96], v[133:134], v[99:100], v[95:96]
	s_waitcnt vmcnt(11)
	v_fma_f64 v[103:104], v[105:106], v[101:102], v[95:96]
	ds_read_b128 v[95:98], v94 offset:688
	;; [unrolled: 10-line block ×3, first 2 shown]
	s_waitcnt vmcnt(3) lgkmcnt(0)
	v_fma_f64 v[94:95], v[117:118], v[94:95], v[98:99]
	s_waitcnt vmcnt(2)
	v_fma_f64 v[94:95], v[115:116], v[96:97], v[94:95]
	s_waitcnt vmcnt(0)
	v_add_f64 v[94:95], v[121:122], -v[94:95]
	buffer_store_dword v95, off, s[0:3], 0 offset:156
	buffer_store_dword v94, off, s[0:3], 0 offset:152
	v_cmpx_lt_u32_e32 18, v0
	s_cbranch_execz .LBB45_249
; %bb.248:
	s_clause 0x1
	buffer_load_dword v94, off, s[0:3], 0 offset:144
	buffer_load_dword v95, off, s[0:3], 0 offset:148
	v_mov_b32_e32 v96, 0
	buffer_store_dword v96, off, s[0:3], 0 offset:144
	buffer_store_dword v96, off, s[0:3], 0 offset:148
	s_waitcnt vmcnt(0)
	ds_write_b64 v93, v[94:95]
.LBB45_249:
	s_or_b32 exec_lo, exec_lo, s4
	s_waitcnt lgkmcnt(0)
	s_waitcnt_vscnt null, 0x0
	s_barrier
	buffer_gl0_inv
	s_clause 0x1c
	buffer_load_dword v103, off, s[0:3], 0 offset:152
	buffer_load_dword v104, off, s[0:3], 0 offset:156
	;; [unrolled: 1-line block ×29, first 2 shown]
	v_mov_b32_e32 v94, 0
	buffer_load_dword v128, off, s[0:3], 0 offset:268
	s_mov_b32 s4, exec_lo
	ds_read2_b64 v[95:98], v94 offset0:65 offset1:66
	ds_read2_b64 v[99:102], v94 offset0:67 offset1:68
	s_waitcnt vmcnt(28) lgkmcnt(1)
	v_fma_f64 v[95:96], v[103:104], v[95:96], 0
	s_clause 0x7
	buffer_load_dword v104, off, s[0:3], 0 offset:276
	buffer_load_dword v133, off, s[0:3], 0 offset:296
	buffer_load_dword v135, off, s[0:3], 0 offset:288
	buffer_load_dword v137, off, s[0:3], 0 offset:280
	buffer_load_dword v103, off, s[0:3], 0 offset:272
	buffer_load_dword v138, off, s[0:3], 0 offset:284
	buffer_load_dword v136, off, s[0:3], 0 offset:292
	buffer_load_dword v134, off, s[0:3], 0 offset:300
	s_waitcnt vmcnt(34)
	v_fma_f64 v[95:96], v[105:106], v[97:98], v[95:96]
	s_waitcnt vmcnt(32) lgkmcnt(0)
	v_fma_f64 v[95:96], v[107:108], v[99:100], v[95:96]
	s_waitcnt vmcnt(30)
	v_fma_f64 v[105:106], v[109:110], v[101:102], v[95:96]
	ds_read2_b64 v[95:98], v94 offset0:69 offset1:70
	ds_read2_b64 v[99:102], v94 offset0:71 offset1:72
	s_waitcnt vmcnt(28) lgkmcnt(1)
	v_fma_f64 v[95:96], v[111:112], v[95:96], v[105:106]
	s_clause 0x7
	buffer_load_dword v106, off, s[0:3], 0 offset:308
	buffer_load_dword v107, off, s[0:3], 0 offset:328
	buffer_load_dword v109, off, s[0:3], 0 offset:320
	buffer_load_dword v111, off, s[0:3], 0 offset:312
	buffer_load_dword v105, off, s[0:3], 0 offset:304
	buffer_load_dword v112, off, s[0:3], 0 offset:316
	buffer_load_dword v110, off, s[0:3], 0 offset:324
	buffer_load_dword v108, off, s[0:3], 0 offset:332
	s_waitcnt vmcnt(34)
	v_fma_f64 v[95:96], v[113:114], v[97:98], v[95:96]
	s_waitcnt vmcnt(32) lgkmcnt(0)
	v_fma_f64 v[95:96], v[115:116], v[99:100], v[95:96]
	s_waitcnt vmcnt(27)
	v_fma_f64 v[113:114], v[117:118], v[101:102], v[95:96]
	;; [unrolled: 19-line block ×3, first 2 shown]
	ds_read2_b64 v[95:98], v94 offset0:77 offset1:78
	ds_read2_b64 v[99:102], v94 offset0:79 offset1:80
	s_waitcnt vmcnt(26) lgkmcnt(1)
	v_fma_f64 v[95:96], v[131:132], v[95:96], v[119:120]
	s_clause 0x1
	buffer_load_dword v119, off, s[0:3], 0 offset:144
	buffer_load_dword v120, off, s[0:3], 0 offset:148
	s_waitcnt vmcnt(27)
	v_fma_f64 v[95:96], v[129:130], v[97:98], v[95:96]
	s_waitcnt vmcnt(26) lgkmcnt(0)
	v_fma_f64 v[95:96], v[127:128], v[99:100], v[95:96]
	s_waitcnt vmcnt(21)
	v_fma_f64 v[103:104], v[103:104], v[101:102], v[95:96]
	ds_read2_b64 v[95:98], v94 offset0:81 offset1:82
	ds_read2_b64 v[99:102], v94 offset0:83 offset1:84
	s_waitcnt vmcnt(20) lgkmcnt(1)
	v_fma_f64 v[95:96], v[137:138], v[95:96], v[103:104]
	s_waitcnt vmcnt(19)
	v_fma_f64 v[95:96], v[135:136], v[97:98], v[95:96]
	s_waitcnt vmcnt(18) lgkmcnt(0)
	v_fma_f64 v[95:96], v[133:134], v[99:100], v[95:96]
	s_waitcnt vmcnt(13)
	v_fma_f64 v[103:104], v[105:106], v[101:102], v[95:96]
	ds_read2_b64 v[95:98], v94 offset0:85 offset1:86
	ds_read2_b64 v[99:102], v94 offset0:87 offset1:88
	s_waitcnt vmcnt(12) lgkmcnt(1)
	v_fma_f64 v[95:96], v[111:112], v[95:96], v[103:104]
	s_waitcnt vmcnt(11)
	v_fma_f64 v[95:96], v[109:110], v[97:98], v[95:96]
	s_waitcnt vmcnt(10) lgkmcnt(0)
	v_fma_f64 v[95:96], v[107:108], v[99:100], v[95:96]
	s_waitcnt vmcnt(5)
	v_fma_f64 v[99:100], v[113:114], v[101:102], v[95:96]
	ds_read2_b64 v[95:98], v94 offset0:89 offset1:90
	ds_read_b64 v[101:102], v94 offset:728
	s_waitcnt vmcnt(4) lgkmcnt(1)
	v_fma_f64 v[95:96], v[123:124], v[95:96], v[99:100]
	s_waitcnt vmcnt(3)
	v_fma_f64 v[95:96], v[117:118], v[97:98], v[95:96]
	s_waitcnt vmcnt(2) lgkmcnt(0)
	v_fma_f64 v[95:96], v[115:116], v[101:102], v[95:96]
	s_waitcnt vmcnt(0)
	v_add_f64 v[95:96], v[119:120], -v[95:96]
	buffer_store_dword v96, off, s[0:3], 0 offset:148
	buffer_store_dword v95, off, s[0:3], 0 offset:144
	v_cmpx_lt_u32_e32 17, v0
	s_cbranch_execz .LBB45_251
; %bb.250:
	s_clause 0x1
	buffer_load_dword v95, off, s[0:3], 0 offset:136
	buffer_load_dword v96, off, s[0:3], 0 offset:140
	buffer_store_dword v94, off, s[0:3], 0 offset:136
	buffer_store_dword v94, off, s[0:3], 0 offset:140
	s_waitcnt vmcnt(0)
	ds_write_b64 v93, v[95:96]
.LBB45_251:
	s_or_b32 exec_lo, exec_lo, s4
	s_waitcnt lgkmcnt(0)
	s_waitcnt_vscnt null, 0x0
	s_barrier
	buffer_gl0_inv
	s_clause 0x1c
	buffer_load_dword v103, off, s[0:3], 0 offset:144
	buffer_load_dword v104, off, s[0:3], 0 offset:148
	;; [unrolled: 1-line block ×29, first 2 shown]
	ds_read_b128 v[95:98], v94 offset:512
	ds_read_b128 v[99:102], v94 offset:528
	buffer_load_dword v128, off, s[0:3], 0 offset:260
	s_mov_b32 s4, exec_lo
	s_waitcnt vmcnt(28) lgkmcnt(1)
	v_fma_f64 v[95:96], v[103:104], v[95:96], 0
	s_clause 0x7
	buffer_load_dword v104, off, s[0:3], 0 offset:268
	buffer_load_dword v133, off, s[0:3], 0 offset:288
	buffer_load_dword v135, off, s[0:3], 0 offset:280
	buffer_load_dword v137, off, s[0:3], 0 offset:272
	buffer_load_dword v103, off, s[0:3], 0 offset:264
	buffer_load_dword v138, off, s[0:3], 0 offset:276
	buffer_load_dword v136, off, s[0:3], 0 offset:284
	buffer_load_dword v134, off, s[0:3], 0 offset:292
	s_waitcnt vmcnt(34)
	v_fma_f64 v[95:96], v[105:106], v[97:98], v[95:96]
	s_waitcnt vmcnt(32) lgkmcnt(0)
	v_fma_f64 v[95:96], v[107:108], v[99:100], v[95:96]
	s_waitcnt vmcnt(30)
	v_fma_f64 v[105:106], v[109:110], v[101:102], v[95:96]
	ds_read_b128 v[95:98], v94 offset:544
	ds_read_b128 v[99:102], v94 offset:560
	s_waitcnt vmcnt(28) lgkmcnt(1)
	v_fma_f64 v[95:96], v[111:112], v[95:96], v[105:106]
	s_clause 0x7
	buffer_load_dword v106, off, s[0:3], 0 offset:300
	buffer_load_dword v107, off, s[0:3], 0 offset:320
	buffer_load_dword v109, off, s[0:3], 0 offset:312
	buffer_load_dword v111, off, s[0:3], 0 offset:304
	buffer_load_dword v105, off, s[0:3], 0 offset:296
	buffer_load_dword v112, off, s[0:3], 0 offset:308
	buffer_load_dword v110, off, s[0:3], 0 offset:316
	buffer_load_dword v108, off, s[0:3], 0 offset:324
	s_waitcnt vmcnt(34)
	v_fma_f64 v[95:96], v[113:114], v[97:98], v[95:96]
	s_waitcnt vmcnt(32) lgkmcnt(0)
	v_fma_f64 v[95:96], v[115:116], v[99:100], v[95:96]
	s_waitcnt vmcnt(27)
	v_fma_f64 v[113:114], v[117:118], v[101:102], v[95:96]
	ds_read_b128 v[95:98], v94 offset:576
	ds_read_b128 v[99:102], v94 offset:592
	;; [unrolled: 19-line block ×3, first 2 shown]
	s_waitcnt vmcnt(26) lgkmcnt(1)
	v_fma_f64 v[95:96], v[131:132], v[95:96], v[119:120]
	s_clause 0x3
	buffer_load_dword v120, off, s[0:3], 0 offset:364
	buffer_load_dword v119, off, s[0:3], 0 offset:360
	;; [unrolled: 1-line block ×4, first 2 shown]
	s_waitcnt vmcnt(29)
	v_fma_f64 v[95:96], v[129:130], v[97:98], v[95:96]
	s_waitcnt vmcnt(28) lgkmcnt(0)
	v_fma_f64 v[95:96], v[127:128], v[99:100], v[95:96]
	s_waitcnt vmcnt(23)
	v_fma_f64 v[103:104], v[103:104], v[101:102], v[95:96]
	ds_read_b128 v[95:98], v94 offset:640
	ds_read_b128 v[99:102], v94 offset:656
	s_waitcnt vmcnt(22) lgkmcnt(1)
	v_fma_f64 v[95:96], v[137:138], v[95:96], v[103:104]
	s_waitcnt vmcnt(21)
	v_fma_f64 v[95:96], v[135:136], v[97:98], v[95:96]
	s_waitcnt vmcnt(20) lgkmcnt(0)
	v_fma_f64 v[95:96], v[133:134], v[99:100], v[95:96]
	s_waitcnt vmcnt(15)
	v_fma_f64 v[103:104], v[105:106], v[101:102], v[95:96]
	ds_read_b128 v[95:98], v94 offset:672
	ds_read_b128 v[99:102], v94 offset:688
	s_waitcnt vmcnt(14) lgkmcnt(1)
	v_fma_f64 v[95:96], v[111:112], v[95:96], v[103:104]
	;; [unrolled: 10-line block ×3, first 2 shown]
	s_waitcnt vmcnt(5)
	v_fma_f64 v[94:95], v[117:118], v[97:98], v[94:95]
	s_waitcnt vmcnt(4) lgkmcnt(0)
	v_fma_f64 v[94:95], v[115:116], v[99:100], v[94:95]
	s_waitcnt vmcnt(2)
	v_fma_f64 v[94:95], v[119:120], v[101:102], v[94:95]
	s_waitcnt vmcnt(0)
	v_add_f64 v[94:95], v[121:122], -v[94:95]
	buffer_store_dword v95, off, s[0:3], 0 offset:140
	buffer_store_dword v94, off, s[0:3], 0 offset:136
	v_cmpx_lt_u32_e32 16, v0
	s_cbranch_execz .LBB45_253
; %bb.252:
	s_clause 0x1
	buffer_load_dword v94, off, s[0:3], 0 offset:128
	buffer_load_dword v95, off, s[0:3], 0 offset:132
	v_mov_b32_e32 v96, 0
	buffer_store_dword v96, off, s[0:3], 0 offset:128
	buffer_store_dword v96, off, s[0:3], 0 offset:132
	s_waitcnt vmcnt(0)
	ds_write_b64 v93, v[94:95]
.LBB45_253:
	s_or_b32 exec_lo, exec_lo, s4
	s_waitcnt lgkmcnt(0)
	s_waitcnt_vscnt null, 0x0
	s_barrier
	buffer_gl0_inv
	s_clause 0x1c
	buffer_load_dword v103, off, s[0:3], 0 offset:136
	buffer_load_dword v104, off, s[0:3], 0 offset:140
	;; [unrolled: 1-line block ×29, first 2 shown]
	v_mov_b32_e32 v94, 0
	buffer_load_dword v128, off, s[0:3], 0 offset:252
	s_mov_b32 s4, exec_lo
	ds_read2_b64 v[95:98], v94 offset0:63 offset1:64
	ds_read2_b64 v[99:102], v94 offset0:65 offset1:66
	s_waitcnt vmcnt(28) lgkmcnt(1)
	v_fma_f64 v[95:96], v[103:104], v[95:96], 0
	s_clause 0x7
	buffer_load_dword v104, off, s[0:3], 0 offset:260
	buffer_load_dword v133, off, s[0:3], 0 offset:280
	buffer_load_dword v135, off, s[0:3], 0 offset:272
	buffer_load_dword v137, off, s[0:3], 0 offset:264
	buffer_load_dword v103, off, s[0:3], 0 offset:256
	buffer_load_dword v138, off, s[0:3], 0 offset:268
	buffer_load_dword v136, off, s[0:3], 0 offset:276
	buffer_load_dword v134, off, s[0:3], 0 offset:284
	s_waitcnt vmcnt(34)
	v_fma_f64 v[95:96], v[105:106], v[97:98], v[95:96]
	s_waitcnt vmcnt(32) lgkmcnt(0)
	v_fma_f64 v[95:96], v[107:108], v[99:100], v[95:96]
	s_waitcnt vmcnt(30)
	v_fma_f64 v[105:106], v[109:110], v[101:102], v[95:96]
	ds_read2_b64 v[95:98], v94 offset0:67 offset1:68
	ds_read2_b64 v[99:102], v94 offset0:69 offset1:70
	s_waitcnt vmcnt(28) lgkmcnt(1)
	v_fma_f64 v[95:96], v[111:112], v[95:96], v[105:106]
	s_clause 0x7
	buffer_load_dword v106, off, s[0:3], 0 offset:292
	buffer_load_dword v107, off, s[0:3], 0 offset:312
	buffer_load_dword v109, off, s[0:3], 0 offset:304
	buffer_load_dword v111, off, s[0:3], 0 offset:296
	buffer_load_dword v105, off, s[0:3], 0 offset:288
	buffer_load_dword v112, off, s[0:3], 0 offset:300
	buffer_load_dword v110, off, s[0:3], 0 offset:308
	buffer_load_dword v108, off, s[0:3], 0 offset:316
	s_waitcnt vmcnt(34)
	v_fma_f64 v[95:96], v[113:114], v[97:98], v[95:96]
	s_waitcnt vmcnt(32) lgkmcnt(0)
	v_fma_f64 v[95:96], v[115:116], v[99:100], v[95:96]
	s_waitcnt vmcnt(27)
	v_fma_f64 v[113:114], v[117:118], v[101:102], v[95:96]
	;; [unrolled: 19-line block ×3, first 2 shown]
	ds_read2_b64 v[95:98], v94 offset0:75 offset1:76
	ds_read2_b64 v[99:102], v94 offset0:77 offset1:78
	s_waitcnt vmcnt(26) lgkmcnt(1)
	v_fma_f64 v[95:96], v[131:132], v[95:96], v[119:120]
	s_clause 0x5
	buffer_load_dword v120, off, s[0:3], 0 offset:356
	buffer_load_dword v121, off, s[0:3], 0 offset:360
	;; [unrolled: 1-line block ×6, first 2 shown]
	s_waitcnt vmcnt(31)
	v_fma_f64 v[95:96], v[129:130], v[97:98], v[95:96]
	s_waitcnt vmcnt(30) lgkmcnt(0)
	v_fma_f64 v[95:96], v[127:128], v[99:100], v[95:96]
	s_waitcnt vmcnt(25)
	v_fma_f64 v[103:104], v[103:104], v[101:102], v[95:96]
	ds_read2_b64 v[95:98], v94 offset0:79 offset1:80
	ds_read2_b64 v[99:102], v94 offset0:81 offset1:82
	s_waitcnt vmcnt(24) lgkmcnt(1)
	v_fma_f64 v[95:96], v[137:138], v[95:96], v[103:104]
	s_waitcnt vmcnt(23)
	v_fma_f64 v[95:96], v[135:136], v[97:98], v[95:96]
	s_waitcnt vmcnt(22) lgkmcnt(0)
	v_fma_f64 v[95:96], v[133:134], v[99:100], v[95:96]
	s_waitcnt vmcnt(17)
	v_fma_f64 v[103:104], v[105:106], v[101:102], v[95:96]
	ds_read2_b64 v[95:98], v94 offset0:83 offset1:84
	ds_read2_b64 v[99:102], v94 offset0:85 offset1:86
	s_waitcnt vmcnt(16) lgkmcnt(1)
	v_fma_f64 v[95:96], v[111:112], v[95:96], v[103:104]
	;; [unrolled: 10-line block ×3, first 2 shown]
	s_waitcnt vmcnt(7)
	v_fma_f64 v[95:96], v[117:118], v[97:98], v[95:96]
	ds_read_b64 v[97:98], v94 offset:728
	s_waitcnt vmcnt(6) lgkmcnt(1)
	v_fma_f64 v[95:96], v[115:116], v[99:100], v[95:96]
	s_waitcnt vmcnt(3)
	v_fma_f64 v[95:96], v[119:120], v[101:102], v[95:96]
	s_waitcnt vmcnt(2) lgkmcnt(0)
	v_fma_f64 v[95:96], v[121:122], v[97:98], v[95:96]
	s_waitcnt vmcnt(0)
	v_add_f64 v[95:96], v[125:126], -v[95:96]
	buffer_store_dword v96, off, s[0:3], 0 offset:132
	buffer_store_dword v95, off, s[0:3], 0 offset:128
	v_cmpx_lt_u32_e32 15, v0
	s_cbranch_execz .LBB45_255
; %bb.254:
	s_clause 0x1
	buffer_load_dword v95, off, s[0:3], 0 offset:120
	buffer_load_dword v96, off, s[0:3], 0 offset:124
	buffer_store_dword v94, off, s[0:3], 0 offset:120
	buffer_store_dword v94, off, s[0:3], 0 offset:124
	s_waitcnt vmcnt(0)
	ds_write_b64 v93, v[95:96]
.LBB45_255:
	s_or_b32 exec_lo, exec_lo, s4
	s_waitcnt lgkmcnt(0)
	s_waitcnt_vscnt null, 0x0
	s_barrier
	buffer_gl0_inv
	s_clause 0x1c
	buffer_load_dword v103, off, s[0:3], 0 offset:128
	buffer_load_dword v104, off, s[0:3], 0 offset:132
	;; [unrolled: 1-line block ×29, first 2 shown]
	ds_read_b128 v[95:98], v94 offset:496
	ds_read_b128 v[99:102], v94 offset:512
	buffer_load_dword v128, off, s[0:3], 0 offset:244
	s_mov_b32 s4, exec_lo
	s_waitcnt vmcnt(28) lgkmcnt(1)
	v_fma_f64 v[95:96], v[103:104], v[95:96], 0
	s_clause 0x7
	buffer_load_dword v104, off, s[0:3], 0 offset:252
	buffer_load_dword v133, off, s[0:3], 0 offset:272
	buffer_load_dword v135, off, s[0:3], 0 offset:264
	buffer_load_dword v137, off, s[0:3], 0 offset:256
	buffer_load_dword v103, off, s[0:3], 0 offset:248
	buffer_load_dword v138, off, s[0:3], 0 offset:260
	buffer_load_dword v136, off, s[0:3], 0 offset:268
	buffer_load_dword v134, off, s[0:3], 0 offset:276
	s_waitcnt vmcnt(34)
	v_fma_f64 v[95:96], v[105:106], v[97:98], v[95:96]
	s_waitcnt vmcnt(32) lgkmcnt(0)
	v_fma_f64 v[95:96], v[107:108], v[99:100], v[95:96]
	s_waitcnt vmcnt(30)
	v_fma_f64 v[105:106], v[109:110], v[101:102], v[95:96]
	ds_read_b128 v[95:98], v94 offset:528
	ds_read_b128 v[99:102], v94 offset:544
	s_waitcnt vmcnt(28) lgkmcnt(1)
	v_fma_f64 v[95:96], v[111:112], v[95:96], v[105:106]
	s_clause 0x7
	buffer_load_dword v106, off, s[0:3], 0 offset:284
	buffer_load_dword v107, off, s[0:3], 0 offset:304
	buffer_load_dword v109, off, s[0:3], 0 offset:296
	buffer_load_dword v111, off, s[0:3], 0 offset:288
	buffer_load_dword v105, off, s[0:3], 0 offset:280
	buffer_load_dword v112, off, s[0:3], 0 offset:292
	buffer_load_dword v110, off, s[0:3], 0 offset:300
	buffer_load_dword v108, off, s[0:3], 0 offset:308
	s_waitcnt vmcnt(34)
	v_fma_f64 v[95:96], v[113:114], v[97:98], v[95:96]
	s_waitcnt vmcnt(32) lgkmcnt(0)
	v_fma_f64 v[95:96], v[115:116], v[99:100], v[95:96]
	s_waitcnt vmcnt(27)
	v_fma_f64 v[113:114], v[117:118], v[101:102], v[95:96]
	ds_read_b128 v[95:98], v94 offset:560
	ds_read_b128 v[99:102], v94 offset:576
	;; [unrolled: 19-line block ×3, first 2 shown]
	s_waitcnt vmcnt(26) lgkmcnt(1)
	v_fma_f64 v[95:96], v[131:132], v[95:96], v[119:120]
	s_clause 0x5
	buffer_load_dword v120, off, s[0:3], 0 offset:348
	buffer_load_dword v121, off, s[0:3], 0 offset:360
	;; [unrolled: 1-line block ×6, first 2 shown]
	s_waitcnt vmcnt(31)
	v_fma_f64 v[95:96], v[129:130], v[97:98], v[95:96]
	s_waitcnt vmcnt(30) lgkmcnt(0)
	v_fma_f64 v[95:96], v[127:128], v[99:100], v[95:96]
	s_waitcnt vmcnt(25)
	v_fma_f64 v[103:104], v[103:104], v[101:102], v[95:96]
	ds_read_b128 v[95:98], v94 offset:624
	s_clause 0x1
	buffer_load_dword v127, off, s[0:3], 0 offset:120
	buffer_load_dword v128, off, s[0:3], 0 offset:124
	ds_read_b128 v[99:102], v94 offset:640
	s_waitcnt vmcnt(26) lgkmcnt(1)
	v_fma_f64 v[95:96], v[137:138], v[95:96], v[103:104]
	s_waitcnt vmcnt(25)
	v_fma_f64 v[95:96], v[135:136], v[97:98], v[95:96]
	s_waitcnt vmcnt(24) lgkmcnt(0)
	v_fma_f64 v[95:96], v[133:134], v[99:100], v[95:96]
	s_waitcnt vmcnt(19)
	v_fma_f64 v[103:104], v[105:106], v[101:102], v[95:96]
	ds_read_b128 v[95:98], v94 offset:656
	ds_read_b128 v[99:102], v94 offset:672
	s_waitcnt vmcnt(18) lgkmcnt(1)
	v_fma_f64 v[95:96], v[111:112], v[95:96], v[103:104]
	s_waitcnt vmcnt(17)
	v_fma_f64 v[95:96], v[109:110], v[97:98], v[95:96]
	s_waitcnt vmcnt(16) lgkmcnt(0)
	v_fma_f64 v[95:96], v[107:108], v[99:100], v[95:96]
	s_waitcnt vmcnt(11)
	v_fma_f64 v[103:104], v[113:114], v[101:102], v[95:96]
	ds_read_b128 v[95:98], v94 offset:688
	;; [unrolled: 10-line block ×3, first 2 shown]
	s_waitcnt vmcnt(3) lgkmcnt(0)
	v_fma_f64 v[94:95], v[125:126], v[94:95], v[98:99]
	s_waitcnt vmcnt(2)
	v_fma_f64 v[94:95], v[121:122], v[96:97], v[94:95]
	s_waitcnt vmcnt(0)
	v_add_f64 v[94:95], v[127:128], -v[94:95]
	buffer_store_dword v95, off, s[0:3], 0 offset:124
	buffer_store_dword v94, off, s[0:3], 0 offset:120
	v_cmpx_lt_u32_e32 14, v0
	s_cbranch_execz .LBB45_257
; %bb.256:
	s_clause 0x1
	buffer_load_dword v94, off, s[0:3], 0 offset:112
	buffer_load_dword v95, off, s[0:3], 0 offset:116
	v_mov_b32_e32 v96, 0
	buffer_store_dword v96, off, s[0:3], 0 offset:112
	buffer_store_dword v96, off, s[0:3], 0 offset:116
	s_waitcnt vmcnt(0)
	ds_write_b64 v93, v[94:95]
.LBB45_257:
	s_or_b32 exec_lo, exec_lo, s4
	s_waitcnt lgkmcnt(0)
	s_waitcnt_vscnt null, 0x0
	s_barrier
	buffer_gl0_inv
	s_clause 0x1c
	buffer_load_dword v103, off, s[0:3], 0 offset:120
	buffer_load_dword v104, off, s[0:3], 0 offset:124
	;; [unrolled: 1-line block ×29, first 2 shown]
	v_mov_b32_e32 v94, 0
	buffer_load_dword v128, off, s[0:3], 0 offset:236
	s_mov_b32 s4, exec_lo
	ds_read2_b64 v[95:98], v94 offset0:61 offset1:62
	ds_read2_b64 v[99:102], v94 offset0:63 offset1:64
	s_waitcnt vmcnt(28) lgkmcnt(1)
	v_fma_f64 v[95:96], v[103:104], v[95:96], 0
	s_clause 0x7
	buffer_load_dword v104, off, s[0:3], 0 offset:244
	buffer_load_dword v133, off, s[0:3], 0 offset:264
	buffer_load_dword v135, off, s[0:3], 0 offset:256
	buffer_load_dword v137, off, s[0:3], 0 offset:248
	buffer_load_dword v103, off, s[0:3], 0 offset:240
	buffer_load_dword v138, off, s[0:3], 0 offset:252
	buffer_load_dword v136, off, s[0:3], 0 offset:260
	buffer_load_dword v134, off, s[0:3], 0 offset:268
	s_waitcnt vmcnt(34)
	v_fma_f64 v[95:96], v[105:106], v[97:98], v[95:96]
	s_waitcnt vmcnt(32) lgkmcnt(0)
	v_fma_f64 v[95:96], v[107:108], v[99:100], v[95:96]
	s_waitcnt vmcnt(30)
	v_fma_f64 v[105:106], v[109:110], v[101:102], v[95:96]
	ds_read2_b64 v[95:98], v94 offset0:65 offset1:66
	ds_read2_b64 v[99:102], v94 offset0:67 offset1:68
	s_waitcnt vmcnt(28) lgkmcnt(1)
	v_fma_f64 v[95:96], v[111:112], v[95:96], v[105:106]
	s_clause 0x7
	buffer_load_dword v106, off, s[0:3], 0 offset:276
	buffer_load_dword v107, off, s[0:3], 0 offset:296
	buffer_load_dword v109, off, s[0:3], 0 offset:288
	buffer_load_dword v111, off, s[0:3], 0 offset:280
	buffer_load_dword v105, off, s[0:3], 0 offset:272
	buffer_load_dword v112, off, s[0:3], 0 offset:284
	buffer_load_dword v110, off, s[0:3], 0 offset:292
	buffer_load_dword v108, off, s[0:3], 0 offset:300
	s_waitcnt vmcnt(34)
	v_fma_f64 v[95:96], v[113:114], v[97:98], v[95:96]
	s_waitcnt vmcnt(32) lgkmcnt(0)
	v_fma_f64 v[95:96], v[115:116], v[99:100], v[95:96]
	s_waitcnt vmcnt(27)
	v_fma_f64 v[113:114], v[117:118], v[101:102], v[95:96]
	;; [unrolled: 19-line block ×4, first 2 shown]
	ds_read2_b64 v[95:98], v94 offset0:77 offset1:78
	ds_read2_b64 v[99:102], v94 offset0:79 offset1:80
	s_waitcnt vmcnt(26) lgkmcnt(1)
	v_fma_f64 v[95:96], v[137:138], v[95:96], v[103:104]
	s_clause 0x1
	buffer_load_dword v103, off, s[0:3], 0 offset:112
	buffer_load_dword v104, off, s[0:3], 0 offset:116
	s_waitcnt vmcnt(27)
	v_fma_f64 v[95:96], v[135:136], v[97:98], v[95:96]
	s_waitcnt vmcnt(26) lgkmcnt(0)
	v_fma_f64 v[95:96], v[133:134], v[99:100], v[95:96]
	s_waitcnt vmcnt(21)
	v_fma_f64 v[105:106], v[105:106], v[101:102], v[95:96]
	ds_read2_b64 v[95:98], v94 offset0:81 offset1:82
	ds_read2_b64 v[99:102], v94 offset0:83 offset1:84
	s_waitcnt vmcnt(20) lgkmcnt(1)
	v_fma_f64 v[95:96], v[111:112], v[95:96], v[105:106]
	s_waitcnt vmcnt(19)
	v_fma_f64 v[95:96], v[109:110], v[97:98], v[95:96]
	s_waitcnt vmcnt(18) lgkmcnt(0)
	v_fma_f64 v[95:96], v[107:108], v[99:100], v[95:96]
	s_waitcnt vmcnt(13)
	v_fma_f64 v[105:106], v[113:114], v[101:102], v[95:96]
	ds_read2_b64 v[95:98], v94 offset0:85 offset1:86
	ds_read2_b64 v[99:102], v94 offset0:87 offset1:88
	s_waitcnt vmcnt(12) lgkmcnt(1)
	v_fma_f64 v[95:96], v[123:124], v[95:96], v[105:106]
	s_waitcnt vmcnt(11)
	v_fma_f64 v[95:96], v[117:118], v[97:98], v[95:96]
	s_waitcnt vmcnt(10) lgkmcnt(0)
	v_fma_f64 v[95:96], v[115:116], v[99:100], v[95:96]
	s_waitcnt vmcnt(5)
	v_fma_f64 v[99:100], v[119:120], v[101:102], v[95:96]
	ds_read2_b64 v[95:98], v94 offset0:89 offset1:90
	ds_read_b64 v[101:102], v94 offset:728
	s_waitcnt vmcnt(4) lgkmcnt(1)
	v_fma_f64 v[95:96], v[131:132], v[95:96], v[99:100]
	s_waitcnt vmcnt(3)
	v_fma_f64 v[95:96], v[125:126], v[97:98], v[95:96]
	s_waitcnt vmcnt(2) lgkmcnt(0)
	v_fma_f64 v[95:96], v[121:122], v[101:102], v[95:96]
	s_waitcnt vmcnt(0)
	v_add_f64 v[95:96], v[103:104], -v[95:96]
	buffer_store_dword v96, off, s[0:3], 0 offset:116
	buffer_store_dword v95, off, s[0:3], 0 offset:112
	v_cmpx_lt_u32_e32 13, v0
	s_cbranch_execz .LBB45_259
; %bb.258:
	s_clause 0x1
	buffer_load_dword v95, off, s[0:3], 0 offset:104
	buffer_load_dword v96, off, s[0:3], 0 offset:108
	buffer_store_dword v94, off, s[0:3], 0 offset:104
	buffer_store_dword v94, off, s[0:3], 0 offset:108
	s_waitcnt vmcnt(0)
	ds_write_b64 v93, v[95:96]
.LBB45_259:
	s_or_b32 exec_lo, exec_lo, s4
	s_waitcnt lgkmcnt(0)
	s_waitcnt_vscnt null, 0x0
	s_barrier
	buffer_gl0_inv
	s_clause 0x1c
	buffer_load_dword v103, off, s[0:3], 0 offset:112
	buffer_load_dword v104, off, s[0:3], 0 offset:116
	buffer_load_dword v105, off, s[0:3], 0 offset:120
	buffer_load_dword v106, off, s[0:3], 0 offset:124
	buffer_load_dword v107, off, s[0:3], 0 offset:128
	buffer_load_dword v108, off, s[0:3], 0 offset:132
	buffer_load_dword v109, off, s[0:3], 0 offset:136
	buffer_load_dword v110, off, s[0:3], 0 offset:140
	buffer_load_dword v111, off, s[0:3], 0 offset:144
	buffer_load_dword v112, off, s[0:3], 0 offset:148
	buffer_load_dword v113, off, s[0:3], 0 offset:152
	buffer_load_dword v114, off, s[0:3], 0 offset:156
	buffer_load_dword v115, off, s[0:3], 0 offset:160
	buffer_load_dword v116, off, s[0:3], 0 offset:164
	buffer_load_dword v118, off, s[0:3], 0 offset:172
	buffer_load_dword v119, off, s[0:3], 0 offset:192
	buffer_load_dword v121, off, s[0:3], 0 offset:184
	buffer_load_dword v123, off, s[0:3], 0 offset:176
	buffer_load_dword v117, off, s[0:3], 0 offset:168
	buffer_load_dword v124, off, s[0:3], 0 offset:180
	buffer_load_dword v122, off, s[0:3], 0 offset:188
	buffer_load_dword v120, off, s[0:3], 0 offset:196
	buffer_load_dword v126, off, s[0:3], 0 offset:204
	buffer_load_dword v127, off, s[0:3], 0 offset:224
	buffer_load_dword v129, off, s[0:3], 0 offset:216
	buffer_load_dword v131, off, s[0:3], 0 offset:208
	buffer_load_dword v125, off, s[0:3], 0 offset:200
	buffer_load_dword v132, off, s[0:3], 0 offset:212
	buffer_load_dword v130, off, s[0:3], 0 offset:220
	ds_read_b128 v[95:98], v94 offset:480
	ds_read_b128 v[99:102], v94 offset:496
	buffer_load_dword v128, off, s[0:3], 0 offset:228
	s_mov_b32 s4, exec_lo
	s_waitcnt vmcnt(28) lgkmcnt(1)
	v_fma_f64 v[95:96], v[103:104], v[95:96], 0
	s_clause 0x7
	buffer_load_dword v104, off, s[0:3], 0 offset:236
	buffer_load_dword v133, off, s[0:3], 0 offset:256
	buffer_load_dword v135, off, s[0:3], 0 offset:248
	buffer_load_dword v137, off, s[0:3], 0 offset:240
	buffer_load_dword v103, off, s[0:3], 0 offset:232
	buffer_load_dword v138, off, s[0:3], 0 offset:244
	buffer_load_dword v136, off, s[0:3], 0 offset:252
	buffer_load_dword v134, off, s[0:3], 0 offset:260
	s_waitcnt vmcnt(34)
	v_fma_f64 v[95:96], v[105:106], v[97:98], v[95:96]
	s_waitcnt vmcnt(32) lgkmcnt(0)
	v_fma_f64 v[95:96], v[107:108], v[99:100], v[95:96]
	s_waitcnt vmcnt(30)
	v_fma_f64 v[105:106], v[109:110], v[101:102], v[95:96]
	ds_read_b128 v[95:98], v94 offset:512
	ds_read_b128 v[99:102], v94 offset:528
	s_waitcnt vmcnt(28) lgkmcnt(1)
	v_fma_f64 v[95:96], v[111:112], v[95:96], v[105:106]
	s_clause 0x7
	buffer_load_dword v106, off, s[0:3], 0 offset:268
	buffer_load_dword v107, off, s[0:3], 0 offset:288
	buffer_load_dword v109, off, s[0:3], 0 offset:280
	buffer_load_dword v111, off, s[0:3], 0 offset:272
	buffer_load_dword v105, off, s[0:3], 0 offset:264
	buffer_load_dword v112, off, s[0:3], 0 offset:276
	buffer_load_dword v110, off, s[0:3], 0 offset:284
	buffer_load_dword v108, off, s[0:3], 0 offset:292
	s_waitcnt vmcnt(34)
	v_fma_f64 v[95:96], v[113:114], v[97:98], v[95:96]
	s_waitcnt vmcnt(32) lgkmcnt(0)
	v_fma_f64 v[95:96], v[115:116], v[99:100], v[95:96]
	s_waitcnt vmcnt(27)
	v_fma_f64 v[113:114], v[117:118], v[101:102], v[95:96]
	ds_read_b128 v[95:98], v94 offset:544
	ds_read_b128 v[99:102], v94 offset:560
	;; [unrolled: 19-line block ×4, first 2 shown]
	s_waitcnt vmcnt(26) lgkmcnt(1)
	v_fma_f64 v[95:96], v[137:138], v[95:96], v[103:104]
	s_clause 0x3
	buffer_load_dword v104, off, s[0:3], 0 offset:364
	buffer_load_dword v103, off, s[0:3], 0 offset:360
	;; [unrolled: 1-line block ×4, first 2 shown]
	s_waitcnt vmcnt(29)
	v_fma_f64 v[95:96], v[135:136], v[97:98], v[95:96]
	s_waitcnt vmcnt(28) lgkmcnt(0)
	v_fma_f64 v[95:96], v[133:134], v[99:100], v[95:96]
	s_waitcnt vmcnt(23)
	v_fma_f64 v[105:106], v[105:106], v[101:102], v[95:96]
	ds_read_b128 v[95:98], v94 offset:640
	ds_read_b128 v[99:102], v94 offset:656
	s_waitcnt vmcnt(22) lgkmcnt(1)
	v_fma_f64 v[95:96], v[111:112], v[95:96], v[105:106]
	s_waitcnt vmcnt(21)
	v_fma_f64 v[95:96], v[109:110], v[97:98], v[95:96]
	s_waitcnt vmcnt(20) lgkmcnt(0)
	v_fma_f64 v[95:96], v[107:108], v[99:100], v[95:96]
	s_waitcnt vmcnt(15)
	v_fma_f64 v[105:106], v[113:114], v[101:102], v[95:96]
	ds_read_b128 v[95:98], v94 offset:672
	ds_read_b128 v[99:102], v94 offset:688
	s_waitcnt vmcnt(14) lgkmcnt(1)
	v_fma_f64 v[95:96], v[123:124], v[95:96], v[105:106]
	;; [unrolled: 10-line block ×3, first 2 shown]
	s_waitcnt vmcnt(5)
	v_fma_f64 v[94:95], v[125:126], v[97:98], v[94:95]
	s_waitcnt vmcnt(4) lgkmcnt(0)
	v_fma_f64 v[94:95], v[121:122], v[99:100], v[94:95]
	s_waitcnt vmcnt(2)
	v_fma_f64 v[94:95], v[103:104], v[101:102], v[94:95]
	s_waitcnt vmcnt(0)
	v_add_f64 v[94:95], v[127:128], -v[94:95]
	buffer_store_dword v95, off, s[0:3], 0 offset:108
	buffer_store_dword v94, off, s[0:3], 0 offset:104
	v_cmpx_lt_u32_e32 12, v0
	s_cbranch_execz .LBB45_261
; %bb.260:
	s_clause 0x1
	buffer_load_dword v94, off, s[0:3], 0 offset:96
	buffer_load_dword v95, off, s[0:3], 0 offset:100
	v_mov_b32_e32 v96, 0
	buffer_store_dword v96, off, s[0:3], 0 offset:96
	buffer_store_dword v96, off, s[0:3], 0 offset:100
	s_waitcnt vmcnt(0)
	ds_write_b64 v93, v[94:95]
.LBB45_261:
	s_or_b32 exec_lo, exec_lo, s4
	s_waitcnt lgkmcnt(0)
	s_waitcnt_vscnt null, 0x0
	s_barrier
	buffer_gl0_inv
	s_clause 0x1c
	buffer_load_dword v103, off, s[0:3], 0 offset:104
	buffer_load_dword v104, off, s[0:3], 0 offset:108
	;; [unrolled: 1-line block ×29, first 2 shown]
	v_mov_b32_e32 v94, 0
	buffer_load_dword v128, off, s[0:3], 0 offset:220
	s_mov_b32 s4, exec_lo
	ds_read2_b64 v[95:98], v94 offset0:59 offset1:60
	ds_read2_b64 v[99:102], v94 offset0:61 offset1:62
	s_waitcnt vmcnt(28) lgkmcnt(1)
	v_fma_f64 v[95:96], v[103:104], v[95:96], 0
	s_clause 0x7
	buffer_load_dword v104, off, s[0:3], 0 offset:228
	buffer_load_dword v133, off, s[0:3], 0 offset:248
	buffer_load_dword v135, off, s[0:3], 0 offset:240
	buffer_load_dword v137, off, s[0:3], 0 offset:232
	buffer_load_dword v103, off, s[0:3], 0 offset:224
	buffer_load_dword v138, off, s[0:3], 0 offset:236
	buffer_load_dword v136, off, s[0:3], 0 offset:244
	buffer_load_dword v134, off, s[0:3], 0 offset:252
	s_waitcnt vmcnt(34)
	v_fma_f64 v[95:96], v[105:106], v[97:98], v[95:96]
	s_waitcnt vmcnt(32) lgkmcnt(0)
	v_fma_f64 v[95:96], v[107:108], v[99:100], v[95:96]
	s_waitcnt vmcnt(30)
	v_fma_f64 v[105:106], v[109:110], v[101:102], v[95:96]
	ds_read2_b64 v[95:98], v94 offset0:63 offset1:64
	ds_read2_b64 v[99:102], v94 offset0:65 offset1:66
	s_waitcnt vmcnt(28) lgkmcnt(1)
	v_fma_f64 v[95:96], v[111:112], v[95:96], v[105:106]
	s_clause 0x7
	buffer_load_dword v106, off, s[0:3], 0 offset:260
	buffer_load_dword v107, off, s[0:3], 0 offset:280
	buffer_load_dword v109, off, s[0:3], 0 offset:272
	buffer_load_dword v111, off, s[0:3], 0 offset:264
	buffer_load_dword v105, off, s[0:3], 0 offset:256
	buffer_load_dword v112, off, s[0:3], 0 offset:268
	buffer_load_dword v110, off, s[0:3], 0 offset:276
	buffer_load_dword v108, off, s[0:3], 0 offset:284
	s_waitcnt vmcnt(34)
	v_fma_f64 v[95:96], v[113:114], v[97:98], v[95:96]
	s_waitcnt vmcnt(32) lgkmcnt(0)
	v_fma_f64 v[95:96], v[115:116], v[99:100], v[95:96]
	s_waitcnt vmcnt(27)
	v_fma_f64 v[113:114], v[117:118], v[101:102], v[95:96]
	;; [unrolled: 19-line block ×4, first 2 shown]
	ds_read2_b64 v[95:98], v94 offset0:75 offset1:76
	ds_read2_b64 v[99:102], v94 offset0:77 offset1:78
	s_waitcnt vmcnt(26) lgkmcnt(1)
	v_fma_f64 v[95:96], v[137:138], v[95:96], v[103:104]
	s_clause 0x5
	buffer_load_dword v104, off, s[0:3], 0 offset:356
	buffer_load_dword v127, off, s[0:3], 0 offset:360
	;; [unrolled: 1-line block ×6, first 2 shown]
	s_waitcnt vmcnt(31)
	v_fma_f64 v[95:96], v[135:136], v[97:98], v[95:96]
	s_waitcnt vmcnt(30) lgkmcnt(0)
	v_fma_f64 v[95:96], v[133:134], v[99:100], v[95:96]
	s_waitcnt vmcnt(25)
	v_fma_f64 v[105:106], v[105:106], v[101:102], v[95:96]
	ds_read2_b64 v[95:98], v94 offset0:79 offset1:80
	ds_read2_b64 v[99:102], v94 offset0:81 offset1:82
	s_waitcnt vmcnt(24) lgkmcnt(1)
	v_fma_f64 v[95:96], v[111:112], v[95:96], v[105:106]
	s_waitcnt vmcnt(23)
	v_fma_f64 v[95:96], v[109:110], v[97:98], v[95:96]
	s_waitcnt vmcnt(22) lgkmcnt(0)
	v_fma_f64 v[95:96], v[107:108], v[99:100], v[95:96]
	s_waitcnt vmcnt(17)
	v_fma_f64 v[105:106], v[113:114], v[101:102], v[95:96]
	ds_read2_b64 v[95:98], v94 offset0:83 offset1:84
	ds_read2_b64 v[99:102], v94 offset0:85 offset1:86
	s_waitcnt vmcnt(16) lgkmcnt(1)
	v_fma_f64 v[95:96], v[123:124], v[95:96], v[105:106]
	;; [unrolled: 10-line block ×3, first 2 shown]
	s_waitcnt vmcnt(7)
	v_fma_f64 v[95:96], v[125:126], v[97:98], v[95:96]
	ds_read_b64 v[97:98], v94 offset:728
	s_waitcnt vmcnt(6) lgkmcnt(1)
	v_fma_f64 v[95:96], v[121:122], v[99:100], v[95:96]
	s_waitcnt vmcnt(3)
	v_fma_f64 v[95:96], v[103:104], v[101:102], v[95:96]
	s_waitcnt vmcnt(2) lgkmcnt(0)
	v_fma_f64 v[95:96], v[127:128], v[97:98], v[95:96]
	s_waitcnt vmcnt(0)
	v_add_f64 v[95:96], v[129:130], -v[95:96]
	buffer_store_dword v96, off, s[0:3], 0 offset:100
	buffer_store_dword v95, off, s[0:3], 0 offset:96
	v_cmpx_lt_u32_e32 11, v0
	s_cbranch_execz .LBB45_263
; %bb.262:
	s_clause 0x1
	buffer_load_dword v95, off, s[0:3], 0 offset:88
	buffer_load_dword v96, off, s[0:3], 0 offset:92
	buffer_store_dword v94, off, s[0:3], 0 offset:88
	buffer_store_dword v94, off, s[0:3], 0 offset:92
	s_waitcnt vmcnt(0)
	ds_write_b64 v93, v[95:96]
.LBB45_263:
	s_or_b32 exec_lo, exec_lo, s4
	s_waitcnt lgkmcnt(0)
	s_waitcnt_vscnt null, 0x0
	s_barrier
	buffer_gl0_inv
	s_clause 0x1c
	buffer_load_dword v103, off, s[0:3], 0 offset:96
	buffer_load_dword v104, off, s[0:3], 0 offset:100
	;; [unrolled: 1-line block ×29, first 2 shown]
	ds_read_b128 v[95:98], v94 offset:464
	ds_read_b128 v[99:102], v94 offset:480
	buffer_load_dword v128, off, s[0:3], 0 offset:212
	s_mov_b32 s4, exec_lo
	s_waitcnt vmcnt(28) lgkmcnt(1)
	v_fma_f64 v[95:96], v[103:104], v[95:96], 0
	s_clause 0x7
	buffer_load_dword v104, off, s[0:3], 0 offset:220
	buffer_load_dword v133, off, s[0:3], 0 offset:240
	buffer_load_dword v135, off, s[0:3], 0 offset:232
	buffer_load_dword v137, off, s[0:3], 0 offset:224
	buffer_load_dword v103, off, s[0:3], 0 offset:216
	buffer_load_dword v138, off, s[0:3], 0 offset:228
	buffer_load_dword v136, off, s[0:3], 0 offset:236
	buffer_load_dword v134, off, s[0:3], 0 offset:244
	s_waitcnt vmcnt(34)
	v_fma_f64 v[95:96], v[105:106], v[97:98], v[95:96]
	s_waitcnt vmcnt(32) lgkmcnt(0)
	v_fma_f64 v[95:96], v[107:108], v[99:100], v[95:96]
	s_waitcnt vmcnt(30)
	v_fma_f64 v[105:106], v[109:110], v[101:102], v[95:96]
	ds_read_b128 v[95:98], v94 offset:496
	ds_read_b128 v[99:102], v94 offset:512
	s_waitcnt vmcnt(28) lgkmcnt(1)
	v_fma_f64 v[95:96], v[111:112], v[95:96], v[105:106]
	s_clause 0x7
	buffer_load_dword v106, off, s[0:3], 0 offset:252
	buffer_load_dword v107, off, s[0:3], 0 offset:272
	buffer_load_dword v109, off, s[0:3], 0 offset:264
	buffer_load_dword v111, off, s[0:3], 0 offset:256
	buffer_load_dword v105, off, s[0:3], 0 offset:248
	buffer_load_dword v112, off, s[0:3], 0 offset:260
	buffer_load_dword v110, off, s[0:3], 0 offset:268
	buffer_load_dword v108, off, s[0:3], 0 offset:276
	s_waitcnt vmcnt(34)
	v_fma_f64 v[95:96], v[113:114], v[97:98], v[95:96]
	s_waitcnt vmcnt(32) lgkmcnt(0)
	v_fma_f64 v[95:96], v[115:116], v[99:100], v[95:96]
	s_waitcnt vmcnt(27)
	v_fma_f64 v[113:114], v[117:118], v[101:102], v[95:96]
	ds_read_b128 v[95:98], v94 offset:528
	ds_read_b128 v[99:102], v94 offset:544
	;; [unrolled: 19-line block ×4, first 2 shown]
	s_waitcnt vmcnt(26) lgkmcnt(1)
	v_fma_f64 v[95:96], v[137:138], v[95:96], v[103:104]
	s_clause 0x5
	buffer_load_dword v104, off, s[0:3], 0 offset:348
	buffer_load_dword v127, off, s[0:3], 0 offset:360
	;; [unrolled: 1-line block ×6, first 2 shown]
	s_waitcnt vmcnt(31)
	v_fma_f64 v[95:96], v[135:136], v[97:98], v[95:96]
	s_waitcnt vmcnt(30) lgkmcnt(0)
	v_fma_f64 v[95:96], v[133:134], v[99:100], v[95:96]
	s_waitcnt vmcnt(25)
	v_fma_f64 v[105:106], v[105:106], v[101:102], v[95:96]
	ds_read_b128 v[95:98], v94 offset:624
	s_clause 0x1
	buffer_load_dword v133, off, s[0:3], 0 offset:88
	buffer_load_dword v134, off, s[0:3], 0 offset:92
	ds_read_b128 v[99:102], v94 offset:640
	s_waitcnt vmcnt(26) lgkmcnt(1)
	v_fma_f64 v[95:96], v[111:112], v[95:96], v[105:106]
	s_waitcnt vmcnt(25)
	v_fma_f64 v[95:96], v[109:110], v[97:98], v[95:96]
	s_waitcnt vmcnt(24) lgkmcnt(0)
	v_fma_f64 v[95:96], v[107:108], v[99:100], v[95:96]
	s_waitcnt vmcnt(19)
	v_fma_f64 v[105:106], v[113:114], v[101:102], v[95:96]
	ds_read_b128 v[95:98], v94 offset:656
	ds_read_b128 v[99:102], v94 offset:672
	s_waitcnt vmcnt(18) lgkmcnt(1)
	v_fma_f64 v[95:96], v[123:124], v[95:96], v[105:106]
	s_waitcnt vmcnt(17)
	v_fma_f64 v[95:96], v[117:118], v[97:98], v[95:96]
	s_waitcnt vmcnt(16) lgkmcnt(0)
	v_fma_f64 v[95:96], v[115:116], v[99:100], v[95:96]
	s_waitcnt vmcnt(11)
	v_fma_f64 v[105:106], v[119:120], v[101:102], v[95:96]
	ds_read_b128 v[95:98], v94 offset:688
	;; [unrolled: 10-line block ×3, first 2 shown]
	s_waitcnt vmcnt(3) lgkmcnt(0)
	v_fma_f64 v[94:95], v[129:130], v[94:95], v[98:99]
	s_waitcnt vmcnt(2)
	v_fma_f64 v[94:95], v[127:128], v[96:97], v[94:95]
	s_waitcnt vmcnt(0)
	v_add_f64 v[94:95], v[133:134], -v[94:95]
	buffer_store_dword v95, off, s[0:3], 0 offset:92
	buffer_store_dword v94, off, s[0:3], 0 offset:88
	v_cmpx_lt_u32_e32 10, v0
	s_cbranch_execz .LBB45_265
; %bb.264:
	s_clause 0x1
	buffer_load_dword v94, off, s[0:3], 0 offset:80
	buffer_load_dword v95, off, s[0:3], 0 offset:84
	v_mov_b32_e32 v96, 0
	buffer_store_dword v96, off, s[0:3], 0 offset:80
	buffer_store_dword v96, off, s[0:3], 0 offset:84
	s_waitcnt vmcnt(0)
	ds_write_b64 v93, v[94:95]
.LBB45_265:
	s_or_b32 exec_lo, exec_lo, s4
	s_waitcnt lgkmcnt(0)
	s_waitcnt_vscnt null, 0x0
	s_barrier
	buffer_gl0_inv
	s_clause 0x1c
	buffer_load_dword v103, off, s[0:3], 0 offset:88
	buffer_load_dword v104, off, s[0:3], 0 offset:92
	buffer_load_dword v105, off, s[0:3], 0 offset:96
	buffer_load_dword v106, off, s[0:3], 0 offset:100
	buffer_load_dword v107, off, s[0:3], 0 offset:104
	buffer_load_dword v108, off, s[0:3], 0 offset:108
	buffer_load_dword v109, off, s[0:3], 0 offset:112
	buffer_load_dword v110, off, s[0:3], 0 offset:116
	buffer_load_dword v111, off, s[0:3], 0 offset:120
	buffer_load_dword v112, off, s[0:3], 0 offset:124
	buffer_load_dword v113, off, s[0:3], 0 offset:128
	buffer_load_dword v114, off, s[0:3], 0 offset:132
	buffer_load_dword v115, off, s[0:3], 0 offset:136
	buffer_load_dword v116, off, s[0:3], 0 offset:140
	buffer_load_dword v118, off, s[0:3], 0 offset:148
	buffer_load_dword v119, off, s[0:3], 0 offset:168
	buffer_load_dword v121, off, s[0:3], 0 offset:160
	buffer_load_dword v123, off, s[0:3], 0 offset:152
	buffer_load_dword v117, off, s[0:3], 0 offset:144
	buffer_load_dword v124, off, s[0:3], 0 offset:156
	buffer_load_dword v122, off, s[0:3], 0 offset:164
	buffer_load_dword v120, off, s[0:3], 0 offset:172
	buffer_load_dword v126, off, s[0:3], 0 offset:180
	buffer_load_dword v127, off, s[0:3], 0 offset:200
	buffer_load_dword v129, off, s[0:3], 0 offset:192
	buffer_load_dword v131, off, s[0:3], 0 offset:184
	buffer_load_dword v125, off, s[0:3], 0 offset:176
	buffer_load_dword v132, off, s[0:3], 0 offset:188
	buffer_load_dword v130, off, s[0:3], 0 offset:196
	v_mov_b32_e32 v94, 0
	buffer_load_dword v128, off, s[0:3], 0 offset:204
	s_mov_b32 s4, exec_lo
	ds_read2_b64 v[95:98], v94 offset0:57 offset1:58
	ds_read2_b64 v[99:102], v94 offset0:59 offset1:60
	s_waitcnt vmcnt(28) lgkmcnt(1)
	v_fma_f64 v[95:96], v[103:104], v[95:96], 0
	s_clause 0x7
	buffer_load_dword v104, off, s[0:3], 0 offset:212
	buffer_load_dword v133, off, s[0:3], 0 offset:232
	buffer_load_dword v135, off, s[0:3], 0 offset:224
	buffer_load_dword v137, off, s[0:3], 0 offset:216
	buffer_load_dword v103, off, s[0:3], 0 offset:208
	buffer_load_dword v138, off, s[0:3], 0 offset:220
	buffer_load_dword v136, off, s[0:3], 0 offset:228
	buffer_load_dword v134, off, s[0:3], 0 offset:236
	s_waitcnt vmcnt(34)
	v_fma_f64 v[95:96], v[105:106], v[97:98], v[95:96]
	s_waitcnt vmcnt(32) lgkmcnt(0)
	v_fma_f64 v[95:96], v[107:108], v[99:100], v[95:96]
	s_waitcnt vmcnt(30)
	v_fma_f64 v[105:106], v[109:110], v[101:102], v[95:96]
	ds_read2_b64 v[95:98], v94 offset0:61 offset1:62
	ds_read2_b64 v[99:102], v94 offset0:63 offset1:64
	s_waitcnt vmcnt(28) lgkmcnt(1)
	v_fma_f64 v[95:96], v[111:112], v[95:96], v[105:106]
	s_clause 0x7
	buffer_load_dword v106, off, s[0:3], 0 offset:244
	buffer_load_dword v107, off, s[0:3], 0 offset:264
	buffer_load_dword v109, off, s[0:3], 0 offset:256
	buffer_load_dword v111, off, s[0:3], 0 offset:248
	buffer_load_dword v105, off, s[0:3], 0 offset:240
	buffer_load_dword v112, off, s[0:3], 0 offset:252
	buffer_load_dword v110, off, s[0:3], 0 offset:260
	buffer_load_dword v108, off, s[0:3], 0 offset:268
	s_waitcnt vmcnt(34)
	v_fma_f64 v[95:96], v[113:114], v[97:98], v[95:96]
	s_waitcnt vmcnt(32) lgkmcnt(0)
	v_fma_f64 v[95:96], v[115:116], v[99:100], v[95:96]
	s_waitcnt vmcnt(27)
	v_fma_f64 v[113:114], v[117:118], v[101:102], v[95:96]
	ds_read2_b64 v[95:98], v94 offset0:65 offset1:66
	ds_read2_b64 v[99:102], v94 offset0:67 offset1:68
	s_waitcnt vmcnt(26) lgkmcnt(1)
	v_fma_f64 v[95:96], v[123:124], v[95:96], v[113:114]
	s_clause 0x7
	buffer_load_dword v114, off, s[0:3], 0 offset:276
	buffer_load_dword v115, off, s[0:3], 0 offset:296
	buffer_load_dword v117, off, s[0:3], 0 offset:288
	buffer_load_dword v123, off, s[0:3], 0 offset:280
	buffer_load_dword v113, off, s[0:3], 0 offset:272
	buffer_load_dword v124, off, s[0:3], 0 offset:284
	buffer_load_dword v118, off, s[0:3], 0 offset:292
	buffer_load_dword v116, off, s[0:3], 0 offset:300
	s_waitcnt vmcnt(33)
	v_fma_f64 v[95:96], v[121:122], v[97:98], v[95:96]
	s_waitcnt vmcnt(32) lgkmcnt(0)
	v_fma_f64 v[95:96], v[119:120], v[99:100], v[95:96]
	s_waitcnt vmcnt(27)
	v_fma_f64 v[119:120], v[125:126], v[101:102], v[95:96]
	ds_read2_b64 v[95:98], v94 offset0:69 offset1:70
	ds_read2_b64 v[99:102], v94 offset0:71 offset1:72
	s_waitcnt vmcnt(26) lgkmcnt(1)
	v_fma_f64 v[95:96], v[131:132], v[95:96], v[119:120]
	s_clause 0x7
	buffer_load_dword v120, off, s[0:3], 0 offset:308
	buffer_load_dword v121, off, s[0:3], 0 offset:328
	buffer_load_dword v125, off, s[0:3], 0 offset:320
	buffer_load_dword v131, off, s[0:3], 0 offset:312
	buffer_load_dword v119, off, s[0:3], 0 offset:304
	buffer_load_dword v132, off, s[0:3], 0 offset:316
	buffer_load_dword v126, off, s[0:3], 0 offset:324
	buffer_load_dword v122, off, s[0:3], 0 offset:332
	s_waitcnt vmcnt(33)
	v_fma_f64 v[95:96], v[129:130], v[97:98], v[95:96]
	s_waitcnt vmcnt(32) lgkmcnt(0)
	v_fma_f64 v[95:96], v[127:128], v[99:100], v[95:96]
	s_waitcnt vmcnt(27)
	v_fma_f64 v[103:104], v[103:104], v[101:102], v[95:96]
	ds_read2_b64 v[95:98], v94 offset0:73 offset1:74
	ds_read2_b64 v[99:102], v94 offset0:75 offset1:76
	s_waitcnt vmcnt(26) lgkmcnt(1)
	v_fma_f64 v[95:96], v[137:138], v[95:96], v[103:104]
	s_clause 0x7
	buffer_load_dword v104, off, s[0:3], 0 offset:340
	buffer_load_dword v127, off, s[0:3], 0 offset:360
	buffer_load_dword v129, off, s[0:3], 0 offset:352
	buffer_load_dword v137, off, s[0:3], 0 offset:344
	buffer_load_dword v103, off, s[0:3], 0 offset:336
	buffer_load_dword v138, off, s[0:3], 0 offset:348
	buffer_load_dword v130, off, s[0:3], 0 offset:356
	buffer_load_dword v128, off, s[0:3], 0 offset:364
	s_waitcnt vmcnt(33)
	v_fma_f64 v[95:96], v[135:136], v[97:98], v[95:96]
	s_waitcnt vmcnt(32) lgkmcnt(0)
	v_fma_f64 v[95:96], v[133:134], v[99:100], v[95:96]
	s_waitcnt vmcnt(27)
	v_fma_f64 v[105:106], v[105:106], v[101:102], v[95:96]
	ds_read2_b64 v[95:98], v94 offset0:77 offset1:78
	ds_read2_b64 v[99:102], v94 offset0:79 offset1:80
	s_waitcnt vmcnt(26) lgkmcnt(1)
	v_fma_f64 v[95:96], v[111:112], v[95:96], v[105:106]
	s_clause 0x1
	buffer_load_dword v105, off, s[0:3], 0 offset:80
	buffer_load_dword v106, off, s[0:3], 0 offset:84
	s_waitcnt vmcnt(27)
	v_fma_f64 v[95:96], v[109:110], v[97:98], v[95:96]
	s_waitcnt vmcnt(26) lgkmcnt(0)
	v_fma_f64 v[95:96], v[107:108], v[99:100], v[95:96]
	s_waitcnt vmcnt(21)
	v_fma_f64 v[107:108], v[113:114], v[101:102], v[95:96]
	ds_read2_b64 v[95:98], v94 offset0:81 offset1:82
	ds_read2_b64 v[99:102], v94 offset0:83 offset1:84
	s_waitcnt vmcnt(20) lgkmcnt(1)
	v_fma_f64 v[95:96], v[123:124], v[95:96], v[107:108]
	s_waitcnt vmcnt(19)
	v_fma_f64 v[95:96], v[117:118], v[97:98], v[95:96]
	s_waitcnt vmcnt(18) lgkmcnt(0)
	v_fma_f64 v[95:96], v[115:116], v[99:100], v[95:96]
	s_waitcnt vmcnt(13)
	v_fma_f64 v[107:108], v[119:120], v[101:102], v[95:96]
	ds_read2_b64 v[95:98], v94 offset0:85 offset1:86
	ds_read2_b64 v[99:102], v94 offset0:87 offset1:88
	s_waitcnt vmcnt(12) lgkmcnt(1)
	v_fma_f64 v[95:96], v[131:132], v[95:96], v[107:108]
	s_waitcnt vmcnt(11)
	v_fma_f64 v[95:96], v[125:126], v[97:98], v[95:96]
	s_waitcnt vmcnt(10) lgkmcnt(0)
	v_fma_f64 v[95:96], v[121:122], v[99:100], v[95:96]
	s_waitcnt vmcnt(5)
	v_fma_f64 v[99:100], v[103:104], v[101:102], v[95:96]
	ds_read2_b64 v[95:98], v94 offset0:89 offset1:90
	ds_read_b64 v[101:102], v94 offset:728
	s_waitcnt vmcnt(4) lgkmcnt(1)
	v_fma_f64 v[95:96], v[137:138], v[95:96], v[99:100]
	s_waitcnt vmcnt(3)
	v_fma_f64 v[95:96], v[129:130], v[97:98], v[95:96]
	s_waitcnt vmcnt(2) lgkmcnt(0)
	v_fma_f64 v[95:96], v[127:128], v[101:102], v[95:96]
	s_waitcnt vmcnt(0)
	v_add_f64 v[95:96], v[105:106], -v[95:96]
	buffer_store_dword v96, off, s[0:3], 0 offset:84
	buffer_store_dword v95, off, s[0:3], 0 offset:80
	v_cmpx_lt_u32_e32 9, v0
	s_cbranch_execz .LBB45_267
; %bb.266:
	s_clause 0x1
	buffer_load_dword v95, off, s[0:3], 0 offset:72
	buffer_load_dword v96, off, s[0:3], 0 offset:76
	buffer_store_dword v94, off, s[0:3], 0 offset:72
	buffer_store_dword v94, off, s[0:3], 0 offset:76
	s_waitcnt vmcnt(0)
	ds_write_b64 v93, v[95:96]
.LBB45_267:
	s_or_b32 exec_lo, exec_lo, s4
	s_waitcnt lgkmcnt(0)
	s_waitcnt_vscnt null, 0x0
	s_barrier
	buffer_gl0_inv
	s_clause 0x1c
	buffer_load_dword v103, off, s[0:3], 0 offset:80
	buffer_load_dword v104, off, s[0:3], 0 offset:84
	;; [unrolled: 1-line block ×29, first 2 shown]
	ds_read_b128 v[95:98], v94 offset:448
	ds_read_b128 v[99:102], v94 offset:464
	buffer_load_dword v128, off, s[0:3], 0 offset:196
	s_mov_b32 s4, exec_lo
	s_waitcnt vmcnt(28) lgkmcnt(1)
	v_fma_f64 v[95:96], v[103:104], v[95:96], 0
	s_clause 0x7
	buffer_load_dword v104, off, s[0:3], 0 offset:204
	buffer_load_dword v133, off, s[0:3], 0 offset:224
	buffer_load_dword v135, off, s[0:3], 0 offset:216
	buffer_load_dword v137, off, s[0:3], 0 offset:208
	buffer_load_dword v103, off, s[0:3], 0 offset:200
	buffer_load_dword v138, off, s[0:3], 0 offset:212
	buffer_load_dword v136, off, s[0:3], 0 offset:220
	buffer_load_dword v134, off, s[0:3], 0 offset:228
	s_waitcnt vmcnt(34)
	v_fma_f64 v[95:96], v[105:106], v[97:98], v[95:96]
	s_waitcnt vmcnt(32) lgkmcnt(0)
	v_fma_f64 v[95:96], v[107:108], v[99:100], v[95:96]
	s_waitcnt vmcnt(30)
	v_fma_f64 v[105:106], v[109:110], v[101:102], v[95:96]
	ds_read_b128 v[95:98], v94 offset:480
	ds_read_b128 v[99:102], v94 offset:496
	s_waitcnt vmcnt(28) lgkmcnt(1)
	v_fma_f64 v[95:96], v[111:112], v[95:96], v[105:106]
	s_clause 0x7
	buffer_load_dword v106, off, s[0:3], 0 offset:236
	buffer_load_dword v107, off, s[0:3], 0 offset:256
	buffer_load_dword v109, off, s[0:3], 0 offset:248
	buffer_load_dword v111, off, s[0:3], 0 offset:240
	buffer_load_dword v105, off, s[0:3], 0 offset:232
	buffer_load_dword v112, off, s[0:3], 0 offset:244
	buffer_load_dword v110, off, s[0:3], 0 offset:252
	buffer_load_dword v108, off, s[0:3], 0 offset:260
	s_waitcnt vmcnt(34)
	v_fma_f64 v[95:96], v[113:114], v[97:98], v[95:96]
	s_waitcnt vmcnt(32) lgkmcnt(0)
	v_fma_f64 v[95:96], v[115:116], v[99:100], v[95:96]
	s_waitcnt vmcnt(27)
	v_fma_f64 v[113:114], v[117:118], v[101:102], v[95:96]
	ds_read_b128 v[95:98], v94 offset:512
	ds_read_b128 v[99:102], v94 offset:528
	;; [unrolled: 19-line block ×5, first 2 shown]
	s_waitcnt vmcnt(26) lgkmcnt(1)
	v_fma_f64 v[95:96], v[111:112], v[95:96], v[105:106]
	s_clause 0x1
	buffer_load_dword v106, off, s[0:3], 0 offset:364
	buffer_load_dword v105, off, s[0:3], 0 offset:360
	s_waitcnt vmcnt(27)
	v_fma_f64 v[95:96], v[109:110], v[97:98], v[95:96]
	s_clause 0x1
	buffer_load_dword v109, off, s[0:3], 0 offset:72
	buffer_load_dword v110, off, s[0:3], 0 offset:76
	s_waitcnt vmcnt(28) lgkmcnt(0)
	v_fma_f64 v[95:96], v[107:108], v[99:100], v[95:96]
	s_waitcnt vmcnt(23)
	v_fma_f64 v[107:108], v[113:114], v[101:102], v[95:96]
	ds_read_b128 v[95:98], v94 offset:640
	ds_read_b128 v[99:102], v94 offset:656
	s_waitcnt vmcnt(22) lgkmcnt(1)
	v_fma_f64 v[95:96], v[123:124], v[95:96], v[107:108]
	s_waitcnt vmcnt(21)
	v_fma_f64 v[95:96], v[117:118], v[97:98], v[95:96]
	s_waitcnt vmcnt(20) lgkmcnt(0)
	v_fma_f64 v[95:96], v[115:116], v[99:100], v[95:96]
	s_waitcnt vmcnt(15)
	v_fma_f64 v[107:108], v[119:120], v[101:102], v[95:96]
	ds_read_b128 v[95:98], v94 offset:672
	ds_read_b128 v[99:102], v94 offset:688
	s_waitcnt vmcnt(14) lgkmcnt(1)
	v_fma_f64 v[95:96], v[131:132], v[95:96], v[107:108]
	s_waitcnt vmcnt(13)
	v_fma_f64 v[95:96], v[125:126], v[97:98], v[95:96]
	;; [unrolled: 10-line block ×3, first 2 shown]
	s_waitcnt vmcnt(4) lgkmcnt(0)
	v_fma_f64 v[94:95], v[127:128], v[99:100], v[94:95]
	s_waitcnt vmcnt(2)
	v_fma_f64 v[94:95], v[105:106], v[101:102], v[94:95]
	s_waitcnt vmcnt(0)
	v_add_f64 v[94:95], v[109:110], -v[94:95]
	buffer_store_dword v95, off, s[0:3], 0 offset:76
	buffer_store_dword v94, off, s[0:3], 0 offset:72
	v_cmpx_lt_u32_e32 8, v0
	s_cbranch_execz .LBB45_269
; %bb.268:
	s_clause 0x1
	buffer_load_dword v94, off, s[0:3], 0 offset:64
	buffer_load_dword v95, off, s[0:3], 0 offset:68
	v_mov_b32_e32 v96, 0
	buffer_store_dword v96, off, s[0:3], 0 offset:64
	buffer_store_dword v96, off, s[0:3], 0 offset:68
	s_waitcnt vmcnt(0)
	ds_write_b64 v93, v[94:95]
.LBB45_269:
	s_or_b32 exec_lo, exec_lo, s4
	s_waitcnt lgkmcnt(0)
	s_waitcnt_vscnt null, 0x0
	s_barrier
	buffer_gl0_inv
	s_clause 0x1c
	buffer_load_dword v103, off, s[0:3], 0 offset:72
	buffer_load_dword v104, off, s[0:3], 0 offset:76
	;; [unrolled: 1-line block ×29, first 2 shown]
	v_mov_b32_e32 v94, 0
	buffer_load_dword v128, off, s[0:3], 0 offset:188
	s_mov_b32 s4, exec_lo
	ds_read2_b64 v[95:98], v94 offset0:55 offset1:56
	ds_read2_b64 v[99:102], v94 offset0:57 offset1:58
	s_waitcnt vmcnt(28) lgkmcnt(1)
	v_fma_f64 v[95:96], v[103:104], v[95:96], 0
	s_clause 0x7
	buffer_load_dword v104, off, s[0:3], 0 offset:196
	buffer_load_dword v133, off, s[0:3], 0 offset:216
	buffer_load_dword v135, off, s[0:3], 0 offset:208
	buffer_load_dword v137, off, s[0:3], 0 offset:200
	buffer_load_dword v103, off, s[0:3], 0 offset:192
	buffer_load_dword v138, off, s[0:3], 0 offset:204
	buffer_load_dword v136, off, s[0:3], 0 offset:212
	buffer_load_dword v134, off, s[0:3], 0 offset:220
	s_waitcnt vmcnt(34)
	v_fma_f64 v[95:96], v[105:106], v[97:98], v[95:96]
	s_waitcnt vmcnt(32) lgkmcnt(0)
	v_fma_f64 v[95:96], v[107:108], v[99:100], v[95:96]
	s_waitcnt vmcnt(30)
	v_fma_f64 v[105:106], v[109:110], v[101:102], v[95:96]
	ds_read2_b64 v[95:98], v94 offset0:59 offset1:60
	ds_read2_b64 v[99:102], v94 offset0:61 offset1:62
	s_waitcnt vmcnt(28) lgkmcnt(1)
	v_fma_f64 v[95:96], v[111:112], v[95:96], v[105:106]
	s_clause 0x7
	buffer_load_dword v106, off, s[0:3], 0 offset:228
	buffer_load_dword v107, off, s[0:3], 0 offset:248
	buffer_load_dword v109, off, s[0:3], 0 offset:240
	buffer_load_dword v111, off, s[0:3], 0 offset:232
	buffer_load_dword v105, off, s[0:3], 0 offset:224
	buffer_load_dword v112, off, s[0:3], 0 offset:236
	buffer_load_dword v110, off, s[0:3], 0 offset:244
	buffer_load_dword v108, off, s[0:3], 0 offset:252
	s_waitcnt vmcnt(34)
	v_fma_f64 v[95:96], v[113:114], v[97:98], v[95:96]
	s_waitcnt vmcnt(32) lgkmcnt(0)
	v_fma_f64 v[95:96], v[115:116], v[99:100], v[95:96]
	s_waitcnt vmcnt(27)
	v_fma_f64 v[113:114], v[117:118], v[101:102], v[95:96]
	;; [unrolled: 19-line block ×5, first 2 shown]
	ds_read2_b64 v[95:98], v94 offset0:75 offset1:76
	ds_read2_b64 v[99:102], v94 offset0:77 offset1:78
	s_waitcnt vmcnt(26) lgkmcnt(1)
	v_fma_f64 v[95:96], v[111:112], v[95:96], v[105:106]
	s_clause 0x3
	buffer_load_dword v106, off, s[0:3], 0 offset:356
	buffer_load_dword v111, off, s[0:3], 0 offset:360
	;; [unrolled: 1-line block ×4, first 2 shown]
	s_waitcnt vmcnt(29)
	v_fma_f64 v[95:96], v[109:110], v[97:98], v[95:96]
	s_waitcnt vmcnt(28) lgkmcnt(0)
	v_fma_f64 v[95:96], v[107:108], v[99:100], v[95:96]
	s_clause 0x1
	buffer_load_dword v107, off, s[0:3], 0 offset:64
	buffer_load_dword v108, off, s[0:3], 0 offset:68
	s_waitcnt vmcnt(25)
	v_fma_f64 v[109:110], v[113:114], v[101:102], v[95:96]
	ds_read2_b64 v[95:98], v94 offset0:79 offset1:80
	ds_read2_b64 v[99:102], v94 offset0:81 offset1:82
	s_waitcnt vmcnt(24) lgkmcnt(1)
	v_fma_f64 v[95:96], v[123:124], v[95:96], v[109:110]
	s_waitcnt vmcnt(23)
	v_fma_f64 v[95:96], v[117:118], v[97:98], v[95:96]
	s_waitcnt vmcnt(22) lgkmcnt(0)
	v_fma_f64 v[95:96], v[115:116], v[99:100], v[95:96]
	s_waitcnt vmcnt(17)
	v_fma_f64 v[109:110], v[119:120], v[101:102], v[95:96]
	ds_read2_b64 v[95:98], v94 offset0:83 offset1:84
	ds_read2_b64 v[99:102], v94 offset0:85 offset1:86
	s_waitcnt vmcnt(16) lgkmcnt(1)
	v_fma_f64 v[95:96], v[131:132], v[95:96], v[109:110]
	s_waitcnt vmcnt(15)
	v_fma_f64 v[95:96], v[125:126], v[97:98], v[95:96]
	s_waitcnt vmcnt(14) lgkmcnt(0)
	v_fma_f64 v[95:96], v[121:122], v[99:100], v[95:96]
	s_waitcnt vmcnt(9)
	v_fma_f64 v[103:104], v[103:104], v[101:102], v[95:96]
	ds_read2_b64 v[95:98], v94 offset0:87 offset1:88
	ds_read2_b64 v[99:102], v94 offset0:89 offset1:90
	s_waitcnt vmcnt(8) lgkmcnt(1)
	v_fma_f64 v[95:96], v[137:138], v[95:96], v[103:104]
	s_waitcnt vmcnt(7)
	v_fma_f64 v[95:96], v[129:130], v[97:98], v[95:96]
	ds_read_b64 v[97:98], v94 offset:728
	s_waitcnt vmcnt(6) lgkmcnt(1)
	v_fma_f64 v[95:96], v[127:128], v[99:100], v[95:96]
	s_waitcnt vmcnt(3)
	v_fma_f64 v[95:96], v[105:106], v[101:102], v[95:96]
	s_waitcnt vmcnt(2) lgkmcnt(0)
	v_fma_f64 v[95:96], v[111:112], v[97:98], v[95:96]
	s_waitcnt vmcnt(0)
	v_add_f64 v[95:96], v[107:108], -v[95:96]
	buffer_store_dword v96, off, s[0:3], 0 offset:68
	buffer_store_dword v95, off, s[0:3], 0 offset:64
	v_cmpx_lt_u32_e32 7, v0
	s_cbranch_execz .LBB45_271
; %bb.270:
	s_clause 0x1
	buffer_load_dword v95, off, s[0:3], 0 offset:56
	buffer_load_dword v96, off, s[0:3], 0 offset:60
	buffer_store_dword v94, off, s[0:3], 0 offset:56
	buffer_store_dword v94, off, s[0:3], 0 offset:60
	s_waitcnt vmcnt(0)
	ds_write_b64 v93, v[95:96]
.LBB45_271:
	s_or_b32 exec_lo, exec_lo, s4
	s_waitcnt lgkmcnt(0)
	s_waitcnt_vscnt null, 0x0
	s_barrier
	buffer_gl0_inv
	s_clause 0x1c
	buffer_load_dword v103, off, s[0:3], 0 offset:64
	buffer_load_dword v104, off, s[0:3], 0 offset:68
	;; [unrolled: 1-line block ×29, first 2 shown]
	ds_read_b128 v[95:98], v94 offset:432
	ds_read_b128 v[99:102], v94 offset:448
	buffer_load_dword v128, off, s[0:3], 0 offset:180
	s_mov_b32 s4, exec_lo
	s_waitcnt vmcnt(28) lgkmcnt(1)
	v_fma_f64 v[95:96], v[103:104], v[95:96], 0
	s_clause 0x7
	buffer_load_dword v104, off, s[0:3], 0 offset:188
	buffer_load_dword v133, off, s[0:3], 0 offset:208
	buffer_load_dword v135, off, s[0:3], 0 offset:200
	buffer_load_dword v137, off, s[0:3], 0 offset:192
	buffer_load_dword v103, off, s[0:3], 0 offset:184
	buffer_load_dword v138, off, s[0:3], 0 offset:196
	buffer_load_dword v136, off, s[0:3], 0 offset:204
	buffer_load_dword v134, off, s[0:3], 0 offset:212
	s_waitcnt vmcnt(34)
	v_fma_f64 v[95:96], v[105:106], v[97:98], v[95:96]
	s_waitcnt vmcnt(32) lgkmcnt(0)
	v_fma_f64 v[95:96], v[107:108], v[99:100], v[95:96]
	s_waitcnt vmcnt(30)
	v_fma_f64 v[105:106], v[109:110], v[101:102], v[95:96]
	ds_read_b128 v[95:98], v94 offset:464
	ds_read_b128 v[99:102], v94 offset:480
	s_waitcnt vmcnt(28) lgkmcnt(1)
	v_fma_f64 v[95:96], v[111:112], v[95:96], v[105:106]
	s_clause 0x7
	buffer_load_dword v106, off, s[0:3], 0 offset:220
	buffer_load_dword v107, off, s[0:3], 0 offset:240
	buffer_load_dword v109, off, s[0:3], 0 offset:232
	buffer_load_dword v111, off, s[0:3], 0 offset:224
	buffer_load_dword v105, off, s[0:3], 0 offset:216
	buffer_load_dword v112, off, s[0:3], 0 offset:228
	buffer_load_dword v110, off, s[0:3], 0 offset:236
	buffer_load_dword v108, off, s[0:3], 0 offset:244
	s_waitcnt vmcnt(34)
	v_fma_f64 v[95:96], v[113:114], v[97:98], v[95:96]
	s_waitcnt vmcnt(32) lgkmcnt(0)
	v_fma_f64 v[95:96], v[115:116], v[99:100], v[95:96]
	s_waitcnt vmcnt(27)
	v_fma_f64 v[113:114], v[117:118], v[101:102], v[95:96]
	ds_read_b128 v[95:98], v94 offset:496
	ds_read_b128 v[99:102], v94 offset:512
	;; [unrolled: 19-line block ×5, first 2 shown]
	s_waitcnt vmcnt(26) lgkmcnt(1)
	v_fma_f64 v[95:96], v[111:112], v[95:96], v[105:106]
	s_clause 0x5
	buffer_load_dword v106, off, s[0:3], 0 offset:348
	buffer_load_dword v111, off, s[0:3], 0 offset:360
	;; [unrolled: 1-line block ×6, first 2 shown]
	s_waitcnt vmcnt(31)
	v_fma_f64 v[95:96], v[109:110], v[97:98], v[95:96]
	s_waitcnt vmcnt(30) lgkmcnt(0)
	v_fma_f64 v[95:96], v[107:108], v[99:100], v[95:96]
	s_waitcnt vmcnt(25)
	v_fma_f64 v[107:108], v[113:114], v[101:102], v[95:96]
	ds_read_b128 v[95:98], v94 offset:624
	s_clause 0x1
	buffer_load_dword v109, off, s[0:3], 0 offset:56
	buffer_load_dword v110, off, s[0:3], 0 offset:60
	ds_read_b128 v[99:102], v94 offset:640
	s_waitcnt vmcnt(26) lgkmcnt(1)
	v_fma_f64 v[95:96], v[123:124], v[95:96], v[107:108]
	s_waitcnt vmcnt(25)
	v_fma_f64 v[95:96], v[117:118], v[97:98], v[95:96]
	s_waitcnt vmcnt(24) lgkmcnt(0)
	v_fma_f64 v[95:96], v[115:116], v[99:100], v[95:96]
	s_waitcnt vmcnt(19)
	v_fma_f64 v[107:108], v[119:120], v[101:102], v[95:96]
	ds_read_b128 v[95:98], v94 offset:656
	ds_read_b128 v[99:102], v94 offset:672
	s_waitcnt vmcnt(18) lgkmcnt(1)
	v_fma_f64 v[95:96], v[131:132], v[95:96], v[107:108]
	s_waitcnt vmcnt(17)
	v_fma_f64 v[95:96], v[125:126], v[97:98], v[95:96]
	s_waitcnt vmcnt(16) lgkmcnt(0)
	v_fma_f64 v[95:96], v[121:122], v[99:100], v[95:96]
	s_waitcnt vmcnt(11)
	v_fma_f64 v[103:104], v[103:104], v[101:102], v[95:96]
	ds_read_b128 v[95:98], v94 offset:688
	;; [unrolled: 10-line block ×3, first 2 shown]
	s_waitcnt vmcnt(3) lgkmcnt(0)
	v_fma_f64 v[94:95], v[133:134], v[94:95], v[98:99]
	s_waitcnt vmcnt(2)
	v_fma_f64 v[94:95], v[111:112], v[96:97], v[94:95]
	s_waitcnt vmcnt(0)
	v_add_f64 v[94:95], v[109:110], -v[94:95]
	buffer_store_dword v95, off, s[0:3], 0 offset:60
	buffer_store_dword v94, off, s[0:3], 0 offset:56
	v_cmpx_lt_u32_e32 6, v0
	s_cbranch_execz .LBB45_273
; %bb.272:
	s_clause 0x1
	buffer_load_dword v94, off, s[0:3], 0 offset:48
	buffer_load_dword v95, off, s[0:3], 0 offset:52
	v_mov_b32_e32 v96, 0
	buffer_store_dword v96, off, s[0:3], 0 offset:48
	buffer_store_dword v96, off, s[0:3], 0 offset:52
	s_waitcnt vmcnt(0)
	ds_write_b64 v93, v[94:95]
.LBB45_273:
	s_or_b32 exec_lo, exec_lo, s4
	s_waitcnt lgkmcnt(0)
	s_waitcnt_vscnt null, 0x0
	s_barrier
	buffer_gl0_inv
	s_clause 0x1c
	buffer_load_dword v103, off, s[0:3], 0 offset:56
	buffer_load_dword v104, off, s[0:3], 0 offset:60
	;; [unrolled: 1-line block ×29, first 2 shown]
	v_mov_b32_e32 v94, 0
	buffer_load_dword v128, off, s[0:3], 0 offset:172
	s_mov_b32 s4, exec_lo
	ds_read2_b64 v[95:98], v94 offset0:53 offset1:54
	ds_read2_b64 v[99:102], v94 offset0:55 offset1:56
	s_waitcnt vmcnt(28) lgkmcnt(1)
	v_fma_f64 v[95:96], v[103:104], v[95:96], 0
	s_clause 0x7
	buffer_load_dword v104, off, s[0:3], 0 offset:180
	buffer_load_dword v133, off, s[0:3], 0 offset:200
	buffer_load_dword v135, off, s[0:3], 0 offset:192
	buffer_load_dword v137, off, s[0:3], 0 offset:184
	buffer_load_dword v103, off, s[0:3], 0 offset:176
	buffer_load_dword v138, off, s[0:3], 0 offset:188
	buffer_load_dword v136, off, s[0:3], 0 offset:196
	buffer_load_dword v134, off, s[0:3], 0 offset:204
	s_waitcnt vmcnt(34)
	v_fma_f64 v[95:96], v[105:106], v[97:98], v[95:96]
	s_waitcnt vmcnt(32) lgkmcnt(0)
	v_fma_f64 v[95:96], v[107:108], v[99:100], v[95:96]
	s_waitcnt vmcnt(30)
	v_fma_f64 v[105:106], v[109:110], v[101:102], v[95:96]
	ds_read2_b64 v[95:98], v94 offset0:57 offset1:58
	ds_read2_b64 v[99:102], v94 offset0:59 offset1:60
	s_waitcnt vmcnt(28) lgkmcnt(1)
	v_fma_f64 v[95:96], v[111:112], v[95:96], v[105:106]
	s_clause 0x7
	buffer_load_dword v106, off, s[0:3], 0 offset:212
	buffer_load_dword v107, off, s[0:3], 0 offset:232
	buffer_load_dword v109, off, s[0:3], 0 offset:224
	buffer_load_dword v111, off, s[0:3], 0 offset:216
	buffer_load_dword v105, off, s[0:3], 0 offset:208
	buffer_load_dword v112, off, s[0:3], 0 offset:220
	buffer_load_dword v110, off, s[0:3], 0 offset:228
	buffer_load_dword v108, off, s[0:3], 0 offset:236
	s_waitcnt vmcnt(34)
	v_fma_f64 v[95:96], v[113:114], v[97:98], v[95:96]
	s_waitcnt vmcnt(32) lgkmcnt(0)
	v_fma_f64 v[95:96], v[115:116], v[99:100], v[95:96]
	s_waitcnt vmcnt(27)
	v_fma_f64 v[113:114], v[117:118], v[101:102], v[95:96]
	ds_read2_b64 v[95:98], v94 offset0:61 offset1:62
	ds_read2_b64 v[99:102], v94 offset0:63 offset1:64
	s_waitcnt vmcnt(26) lgkmcnt(1)
	v_fma_f64 v[95:96], v[123:124], v[95:96], v[113:114]
	s_clause 0x7
	buffer_load_dword v114, off, s[0:3], 0 offset:244
	buffer_load_dword v115, off, s[0:3], 0 offset:264
	buffer_load_dword v117, off, s[0:3], 0 offset:256
	buffer_load_dword v123, off, s[0:3], 0 offset:248
	buffer_load_dword v113, off, s[0:3], 0 offset:240
	buffer_load_dword v124, off, s[0:3], 0 offset:252
	buffer_load_dword v118, off, s[0:3], 0 offset:260
	buffer_load_dword v116, off, s[0:3], 0 offset:268
	s_waitcnt vmcnt(33)
	v_fma_f64 v[95:96], v[121:122], v[97:98], v[95:96]
	s_waitcnt vmcnt(32) lgkmcnt(0)
	v_fma_f64 v[95:96], v[119:120], v[99:100], v[95:96]
	s_waitcnt vmcnt(27)
	v_fma_f64 v[119:120], v[125:126], v[101:102], v[95:96]
	ds_read2_b64 v[95:98], v94 offset0:65 offset1:66
	ds_read2_b64 v[99:102], v94 offset0:67 offset1:68
	s_waitcnt vmcnt(26) lgkmcnt(1)
	v_fma_f64 v[95:96], v[131:132], v[95:96], v[119:120]
	s_clause 0x7
	buffer_load_dword v120, off, s[0:3], 0 offset:276
	buffer_load_dword v121, off, s[0:3], 0 offset:296
	buffer_load_dword v125, off, s[0:3], 0 offset:288
	buffer_load_dword v131, off, s[0:3], 0 offset:280
	buffer_load_dword v119, off, s[0:3], 0 offset:272
	buffer_load_dword v132, off, s[0:3], 0 offset:284
	buffer_load_dword v126, off, s[0:3], 0 offset:292
	buffer_load_dword v122, off, s[0:3], 0 offset:300
	s_waitcnt vmcnt(33)
	v_fma_f64 v[95:96], v[129:130], v[97:98], v[95:96]
	s_waitcnt vmcnt(32) lgkmcnt(0)
	v_fma_f64 v[95:96], v[127:128], v[99:100], v[95:96]
	s_waitcnt vmcnt(27)
	v_fma_f64 v[103:104], v[103:104], v[101:102], v[95:96]
	ds_read2_b64 v[95:98], v94 offset0:69 offset1:70
	ds_read2_b64 v[99:102], v94 offset0:71 offset1:72
	s_waitcnt vmcnt(26) lgkmcnt(1)
	v_fma_f64 v[95:96], v[137:138], v[95:96], v[103:104]
	s_clause 0x7
	buffer_load_dword v104, off, s[0:3], 0 offset:308
	buffer_load_dword v127, off, s[0:3], 0 offset:328
	buffer_load_dword v129, off, s[0:3], 0 offset:320
	buffer_load_dword v137, off, s[0:3], 0 offset:312
	buffer_load_dword v103, off, s[0:3], 0 offset:304
	buffer_load_dword v138, off, s[0:3], 0 offset:316
	buffer_load_dword v130, off, s[0:3], 0 offset:324
	buffer_load_dword v128, off, s[0:3], 0 offset:332
	s_waitcnt vmcnt(33)
	v_fma_f64 v[95:96], v[135:136], v[97:98], v[95:96]
	s_waitcnt vmcnt(32) lgkmcnt(0)
	v_fma_f64 v[95:96], v[133:134], v[99:100], v[95:96]
	s_waitcnt vmcnt(27)
	v_fma_f64 v[105:106], v[105:106], v[101:102], v[95:96]
	ds_read2_b64 v[95:98], v94 offset0:73 offset1:74
	ds_read2_b64 v[99:102], v94 offset0:75 offset1:76
	s_waitcnt vmcnt(26) lgkmcnt(1)
	v_fma_f64 v[95:96], v[111:112], v[95:96], v[105:106]
	s_clause 0x7
	buffer_load_dword v106, off, s[0:3], 0 offset:340
	buffer_load_dword v111, off, s[0:3], 0 offset:360
	buffer_load_dword v133, off, s[0:3], 0 offset:352
	buffer_load_dword v135, off, s[0:3], 0 offset:344
	buffer_load_dword v105, off, s[0:3], 0 offset:336
	buffer_load_dword v136, off, s[0:3], 0 offset:348
	buffer_load_dword v134, off, s[0:3], 0 offset:356
	buffer_load_dword v112, off, s[0:3], 0 offset:364
	s_waitcnt vmcnt(33)
	v_fma_f64 v[95:96], v[109:110], v[97:98], v[95:96]
	s_waitcnt vmcnt(32) lgkmcnt(0)
	v_fma_f64 v[95:96], v[107:108], v[99:100], v[95:96]
	s_waitcnt vmcnt(27)
	v_fma_f64 v[107:108], v[113:114], v[101:102], v[95:96]
	ds_read2_b64 v[95:98], v94 offset0:77 offset1:78
	ds_read2_b64 v[99:102], v94 offset0:79 offset1:80
	s_waitcnt vmcnt(26) lgkmcnt(1)
	v_fma_f64 v[95:96], v[123:124], v[95:96], v[107:108]
	s_clause 0x1
	buffer_load_dword v107, off, s[0:3], 0 offset:48
	buffer_load_dword v108, off, s[0:3], 0 offset:52
	s_waitcnt vmcnt(27)
	v_fma_f64 v[95:96], v[117:118], v[97:98], v[95:96]
	s_waitcnt vmcnt(26) lgkmcnt(0)
	v_fma_f64 v[95:96], v[115:116], v[99:100], v[95:96]
	s_waitcnt vmcnt(21)
	v_fma_f64 v[109:110], v[119:120], v[101:102], v[95:96]
	ds_read2_b64 v[95:98], v94 offset0:81 offset1:82
	ds_read2_b64 v[99:102], v94 offset0:83 offset1:84
	s_waitcnt vmcnt(20) lgkmcnt(1)
	v_fma_f64 v[95:96], v[131:132], v[95:96], v[109:110]
	s_waitcnt vmcnt(19)
	v_fma_f64 v[95:96], v[125:126], v[97:98], v[95:96]
	s_waitcnt vmcnt(18) lgkmcnt(0)
	v_fma_f64 v[95:96], v[121:122], v[99:100], v[95:96]
	s_waitcnt vmcnt(13)
	v_fma_f64 v[103:104], v[103:104], v[101:102], v[95:96]
	ds_read2_b64 v[95:98], v94 offset0:85 offset1:86
	ds_read2_b64 v[99:102], v94 offset0:87 offset1:88
	s_waitcnt vmcnt(12) lgkmcnt(1)
	v_fma_f64 v[95:96], v[137:138], v[95:96], v[103:104]
	s_waitcnt vmcnt(11)
	v_fma_f64 v[95:96], v[129:130], v[97:98], v[95:96]
	s_waitcnt vmcnt(10) lgkmcnt(0)
	v_fma_f64 v[95:96], v[127:128], v[99:100], v[95:96]
	s_waitcnt vmcnt(5)
	v_fma_f64 v[99:100], v[105:106], v[101:102], v[95:96]
	ds_read2_b64 v[95:98], v94 offset0:89 offset1:90
	ds_read_b64 v[101:102], v94 offset:728
	s_waitcnt vmcnt(4) lgkmcnt(1)
	v_fma_f64 v[95:96], v[135:136], v[95:96], v[99:100]
	s_waitcnt vmcnt(3)
	v_fma_f64 v[95:96], v[133:134], v[97:98], v[95:96]
	s_waitcnt vmcnt(2) lgkmcnt(0)
	v_fma_f64 v[95:96], v[111:112], v[101:102], v[95:96]
	s_waitcnt vmcnt(0)
	v_add_f64 v[95:96], v[107:108], -v[95:96]
	buffer_store_dword v96, off, s[0:3], 0 offset:52
	buffer_store_dword v95, off, s[0:3], 0 offset:48
	v_cmpx_lt_u32_e32 5, v0
	s_cbranch_execz .LBB45_275
; %bb.274:
	s_clause 0x1
	buffer_load_dword v95, off, s[0:3], 0 offset:40
	buffer_load_dword v96, off, s[0:3], 0 offset:44
	buffer_store_dword v94, off, s[0:3], 0 offset:40
	buffer_store_dword v94, off, s[0:3], 0 offset:44
	s_waitcnt vmcnt(0)
	ds_write_b64 v93, v[95:96]
.LBB45_275:
	s_or_b32 exec_lo, exec_lo, s4
	s_waitcnt lgkmcnt(0)
	s_waitcnt_vscnt null, 0x0
	s_barrier
	buffer_gl0_inv
	s_clause 0x1c
	buffer_load_dword v103, off, s[0:3], 0 offset:48
	buffer_load_dword v104, off, s[0:3], 0 offset:52
	;; [unrolled: 1-line block ×29, first 2 shown]
	ds_read_b128 v[95:98], v94 offset:416
	ds_read_b128 v[99:102], v94 offset:432
	buffer_load_dword v128, off, s[0:3], 0 offset:164
	s_mov_b32 s4, exec_lo
	s_waitcnt vmcnt(28) lgkmcnt(1)
	v_fma_f64 v[95:96], v[103:104], v[95:96], 0
	s_clause 0x7
	buffer_load_dword v104, off, s[0:3], 0 offset:172
	buffer_load_dword v133, off, s[0:3], 0 offset:192
	buffer_load_dword v135, off, s[0:3], 0 offset:184
	buffer_load_dword v137, off, s[0:3], 0 offset:176
	buffer_load_dword v103, off, s[0:3], 0 offset:168
	buffer_load_dword v138, off, s[0:3], 0 offset:180
	buffer_load_dword v136, off, s[0:3], 0 offset:188
	buffer_load_dword v134, off, s[0:3], 0 offset:196
	s_waitcnt vmcnt(34)
	v_fma_f64 v[95:96], v[105:106], v[97:98], v[95:96]
	s_waitcnt vmcnt(32) lgkmcnt(0)
	v_fma_f64 v[95:96], v[107:108], v[99:100], v[95:96]
	s_waitcnt vmcnt(30)
	v_fma_f64 v[105:106], v[109:110], v[101:102], v[95:96]
	ds_read_b128 v[95:98], v94 offset:448
	ds_read_b128 v[99:102], v94 offset:464
	s_waitcnt vmcnt(28) lgkmcnt(1)
	v_fma_f64 v[95:96], v[111:112], v[95:96], v[105:106]
	s_clause 0x7
	buffer_load_dword v106, off, s[0:3], 0 offset:204
	buffer_load_dword v107, off, s[0:3], 0 offset:224
	buffer_load_dword v109, off, s[0:3], 0 offset:216
	buffer_load_dword v111, off, s[0:3], 0 offset:208
	buffer_load_dword v105, off, s[0:3], 0 offset:200
	buffer_load_dword v112, off, s[0:3], 0 offset:212
	buffer_load_dword v110, off, s[0:3], 0 offset:220
	buffer_load_dword v108, off, s[0:3], 0 offset:228
	s_waitcnt vmcnt(34)
	v_fma_f64 v[95:96], v[113:114], v[97:98], v[95:96]
	s_waitcnt vmcnt(32) lgkmcnt(0)
	v_fma_f64 v[95:96], v[115:116], v[99:100], v[95:96]
	s_waitcnt vmcnt(27)
	v_fma_f64 v[113:114], v[117:118], v[101:102], v[95:96]
	ds_read_b128 v[95:98], v94 offset:480
	ds_read_b128 v[99:102], v94 offset:496
	;; [unrolled: 19-line block ×6, first 2 shown]
	s_waitcnt vmcnt(26) lgkmcnt(1)
	v_fma_f64 v[95:96], v[123:124], v[95:96], v[107:108]
	s_clause 0x3
	buffer_load_dword v108, off, s[0:3], 0 offset:364
	buffer_load_dword v107, off, s[0:3], 0 offset:360
	;; [unrolled: 1-line block ×4, first 2 shown]
	s_waitcnt vmcnt(29)
	v_fma_f64 v[95:96], v[117:118], v[97:98], v[95:96]
	s_waitcnt vmcnt(28) lgkmcnt(0)
	v_fma_f64 v[95:96], v[115:116], v[99:100], v[95:96]
	s_waitcnt vmcnt(23)
	v_fma_f64 v[113:114], v[119:120], v[101:102], v[95:96]
	ds_read_b128 v[95:98], v94 offset:640
	ds_read_b128 v[99:102], v94 offset:656
	s_waitcnt vmcnt(22) lgkmcnt(1)
	v_fma_f64 v[95:96], v[131:132], v[95:96], v[113:114]
	s_waitcnt vmcnt(21)
	v_fma_f64 v[95:96], v[125:126], v[97:98], v[95:96]
	s_waitcnt vmcnt(20) lgkmcnt(0)
	v_fma_f64 v[95:96], v[121:122], v[99:100], v[95:96]
	s_waitcnt vmcnt(15)
	v_fma_f64 v[103:104], v[103:104], v[101:102], v[95:96]
	ds_read_b128 v[95:98], v94 offset:672
	ds_read_b128 v[99:102], v94 offset:688
	s_waitcnt vmcnt(14) lgkmcnt(1)
	v_fma_f64 v[95:96], v[137:138], v[95:96], v[103:104]
	;; [unrolled: 10-line block ×3, first 2 shown]
	s_waitcnt vmcnt(5)
	v_fma_f64 v[94:95], v[133:134], v[97:98], v[94:95]
	s_waitcnt vmcnt(4) lgkmcnt(0)
	v_fma_f64 v[94:95], v[111:112], v[99:100], v[94:95]
	s_waitcnt vmcnt(2)
	v_fma_f64 v[94:95], v[107:108], v[101:102], v[94:95]
	s_waitcnt vmcnt(0)
	v_add_f64 v[94:95], v[109:110], -v[94:95]
	buffer_store_dword v95, off, s[0:3], 0 offset:44
	buffer_store_dword v94, off, s[0:3], 0 offset:40
	v_cmpx_lt_u32_e32 4, v0
	s_cbranch_execz .LBB45_277
; %bb.276:
	s_clause 0x1
	buffer_load_dword v94, off, s[0:3], 0 offset:32
	buffer_load_dword v95, off, s[0:3], 0 offset:36
	v_mov_b32_e32 v96, 0
	buffer_store_dword v96, off, s[0:3], 0 offset:32
	buffer_store_dword v96, off, s[0:3], 0 offset:36
	s_waitcnt vmcnt(0)
	ds_write_b64 v93, v[94:95]
.LBB45_277:
	s_or_b32 exec_lo, exec_lo, s4
	s_waitcnt lgkmcnt(0)
	s_waitcnt_vscnt null, 0x0
	s_barrier
	buffer_gl0_inv
	s_clause 0x1c
	buffer_load_dword v103, off, s[0:3], 0 offset:40
	buffer_load_dword v104, off, s[0:3], 0 offset:44
	;; [unrolled: 1-line block ×29, first 2 shown]
	v_mov_b32_e32 v94, 0
	buffer_load_dword v128, off, s[0:3], 0 offset:156
	s_mov_b32 s4, exec_lo
	ds_read2_b64 v[95:98], v94 offset0:51 offset1:52
	ds_read2_b64 v[99:102], v94 offset0:53 offset1:54
	s_waitcnt vmcnt(28) lgkmcnt(1)
	v_fma_f64 v[95:96], v[103:104], v[95:96], 0
	s_clause 0x7
	buffer_load_dword v104, off, s[0:3], 0 offset:164
	buffer_load_dword v133, off, s[0:3], 0 offset:184
	buffer_load_dword v135, off, s[0:3], 0 offset:176
	buffer_load_dword v137, off, s[0:3], 0 offset:168
	buffer_load_dword v103, off, s[0:3], 0 offset:160
	buffer_load_dword v138, off, s[0:3], 0 offset:172
	buffer_load_dword v136, off, s[0:3], 0 offset:180
	buffer_load_dword v134, off, s[0:3], 0 offset:188
	s_waitcnt vmcnt(34)
	v_fma_f64 v[95:96], v[105:106], v[97:98], v[95:96]
	s_waitcnt vmcnt(32) lgkmcnt(0)
	v_fma_f64 v[95:96], v[107:108], v[99:100], v[95:96]
	s_waitcnt vmcnt(30)
	v_fma_f64 v[105:106], v[109:110], v[101:102], v[95:96]
	ds_read2_b64 v[95:98], v94 offset0:55 offset1:56
	ds_read2_b64 v[99:102], v94 offset0:57 offset1:58
	s_waitcnt vmcnt(28) lgkmcnt(1)
	v_fma_f64 v[95:96], v[111:112], v[95:96], v[105:106]
	s_clause 0x7
	buffer_load_dword v106, off, s[0:3], 0 offset:196
	buffer_load_dword v107, off, s[0:3], 0 offset:216
	buffer_load_dword v109, off, s[0:3], 0 offset:208
	buffer_load_dword v111, off, s[0:3], 0 offset:200
	buffer_load_dword v105, off, s[0:3], 0 offset:192
	buffer_load_dword v112, off, s[0:3], 0 offset:204
	buffer_load_dword v110, off, s[0:3], 0 offset:212
	buffer_load_dword v108, off, s[0:3], 0 offset:220
	s_waitcnt vmcnt(34)
	v_fma_f64 v[95:96], v[113:114], v[97:98], v[95:96]
	s_waitcnt vmcnt(32) lgkmcnt(0)
	v_fma_f64 v[95:96], v[115:116], v[99:100], v[95:96]
	s_waitcnt vmcnt(27)
	v_fma_f64 v[113:114], v[117:118], v[101:102], v[95:96]
	ds_read2_b64 v[95:98], v94 offset0:59 offset1:60
	ds_read2_b64 v[99:102], v94 offset0:61 offset1:62
	s_waitcnt vmcnt(26) lgkmcnt(1)
	v_fma_f64 v[95:96], v[123:124], v[95:96], v[113:114]
	s_clause 0x7
	buffer_load_dword v114, off, s[0:3], 0 offset:228
	buffer_load_dword v115, off, s[0:3], 0 offset:248
	buffer_load_dword v117, off, s[0:3], 0 offset:240
	buffer_load_dword v123, off, s[0:3], 0 offset:232
	buffer_load_dword v113, off, s[0:3], 0 offset:224
	buffer_load_dword v124, off, s[0:3], 0 offset:236
	buffer_load_dword v118, off, s[0:3], 0 offset:244
	buffer_load_dword v116, off, s[0:3], 0 offset:252
	s_waitcnt vmcnt(33)
	v_fma_f64 v[95:96], v[121:122], v[97:98], v[95:96]
	s_waitcnt vmcnt(32) lgkmcnt(0)
	v_fma_f64 v[95:96], v[119:120], v[99:100], v[95:96]
	s_waitcnt vmcnt(27)
	v_fma_f64 v[119:120], v[125:126], v[101:102], v[95:96]
	ds_read2_b64 v[95:98], v94 offset0:63 offset1:64
	ds_read2_b64 v[99:102], v94 offset0:65 offset1:66
	s_waitcnt vmcnt(26) lgkmcnt(1)
	v_fma_f64 v[95:96], v[131:132], v[95:96], v[119:120]
	s_clause 0x7
	buffer_load_dword v120, off, s[0:3], 0 offset:260
	buffer_load_dword v121, off, s[0:3], 0 offset:280
	buffer_load_dword v125, off, s[0:3], 0 offset:272
	buffer_load_dword v131, off, s[0:3], 0 offset:264
	buffer_load_dword v119, off, s[0:3], 0 offset:256
	buffer_load_dword v132, off, s[0:3], 0 offset:268
	buffer_load_dword v126, off, s[0:3], 0 offset:276
	buffer_load_dword v122, off, s[0:3], 0 offset:284
	s_waitcnt vmcnt(33)
	v_fma_f64 v[95:96], v[129:130], v[97:98], v[95:96]
	s_waitcnt vmcnt(32) lgkmcnt(0)
	v_fma_f64 v[95:96], v[127:128], v[99:100], v[95:96]
	s_waitcnt vmcnt(27)
	v_fma_f64 v[103:104], v[103:104], v[101:102], v[95:96]
	ds_read2_b64 v[95:98], v94 offset0:67 offset1:68
	ds_read2_b64 v[99:102], v94 offset0:69 offset1:70
	s_waitcnt vmcnt(26) lgkmcnt(1)
	v_fma_f64 v[95:96], v[137:138], v[95:96], v[103:104]
	s_clause 0x7
	buffer_load_dword v104, off, s[0:3], 0 offset:292
	buffer_load_dword v127, off, s[0:3], 0 offset:312
	buffer_load_dword v129, off, s[0:3], 0 offset:304
	buffer_load_dword v137, off, s[0:3], 0 offset:296
	buffer_load_dword v103, off, s[0:3], 0 offset:288
	buffer_load_dword v138, off, s[0:3], 0 offset:300
	buffer_load_dword v130, off, s[0:3], 0 offset:308
	buffer_load_dword v128, off, s[0:3], 0 offset:316
	s_waitcnt vmcnt(33)
	v_fma_f64 v[95:96], v[135:136], v[97:98], v[95:96]
	s_waitcnt vmcnt(32) lgkmcnt(0)
	v_fma_f64 v[95:96], v[133:134], v[99:100], v[95:96]
	s_waitcnt vmcnt(27)
	v_fma_f64 v[105:106], v[105:106], v[101:102], v[95:96]
	ds_read2_b64 v[95:98], v94 offset0:71 offset1:72
	ds_read2_b64 v[99:102], v94 offset0:73 offset1:74
	s_waitcnt vmcnt(26) lgkmcnt(1)
	v_fma_f64 v[95:96], v[111:112], v[95:96], v[105:106]
	s_clause 0x7
	buffer_load_dword v106, off, s[0:3], 0 offset:324
	buffer_load_dword v111, off, s[0:3], 0 offset:344
	buffer_load_dword v133, off, s[0:3], 0 offset:336
	buffer_load_dword v135, off, s[0:3], 0 offset:328
	buffer_load_dword v105, off, s[0:3], 0 offset:320
	buffer_load_dword v136, off, s[0:3], 0 offset:332
	buffer_load_dword v134, off, s[0:3], 0 offset:340
	buffer_load_dword v112, off, s[0:3], 0 offset:348
	s_waitcnt vmcnt(33)
	v_fma_f64 v[95:96], v[109:110], v[97:98], v[95:96]
	s_waitcnt vmcnt(32) lgkmcnt(0)
	v_fma_f64 v[95:96], v[107:108], v[99:100], v[95:96]
	s_waitcnt vmcnt(27)
	v_fma_f64 v[107:108], v[113:114], v[101:102], v[95:96]
	ds_read2_b64 v[95:98], v94 offset0:75 offset1:76
	ds_read2_b64 v[99:102], v94 offset0:77 offset1:78
	s_waitcnt vmcnt(26) lgkmcnt(1)
	v_fma_f64 v[95:96], v[123:124], v[95:96], v[107:108]
	s_clause 0x5
	buffer_load_dword v108, off, s[0:3], 0 offset:356
	buffer_load_dword v109, off, s[0:3], 0 offset:360
	;; [unrolled: 1-line block ×6, first 2 shown]
	s_waitcnt vmcnt(31)
	v_fma_f64 v[95:96], v[117:118], v[97:98], v[95:96]
	s_waitcnt vmcnt(30) lgkmcnt(0)
	v_fma_f64 v[95:96], v[115:116], v[99:100], v[95:96]
	s_waitcnt vmcnt(25)
	v_fma_f64 v[115:116], v[119:120], v[101:102], v[95:96]
	ds_read2_b64 v[95:98], v94 offset0:79 offset1:80
	ds_read2_b64 v[99:102], v94 offset0:81 offset1:82
	s_waitcnt vmcnt(24) lgkmcnt(1)
	v_fma_f64 v[95:96], v[131:132], v[95:96], v[115:116]
	s_waitcnt vmcnt(23)
	v_fma_f64 v[95:96], v[125:126], v[97:98], v[95:96]
	s_waitcnt vmcnt(22) lgkmcnt(0)
	v_fma_f64 v[95:96], v[121:122], v[99:100], v[95:96]
	s_waitcnt vmcnt(17)
	v_fma_f64 v[103:104], v[103:104], v[101:102], v[95:96]
	ds_read2_b64 v[95:98], v94 offset0:83 offset1:84
	ds_read2_b64 v[99:102], v94 offset0:85 offset1:86
	s_waitcnt vmcnt(16) lgkmcnt(1)
	v_fma_f64 v[95:96], v[137:138], v[95:96], v[103:104]
	;; [unrolled: 10-line block ×3, first 2 shown]
	s_waitcnt vmcnt(7)
	v_fma_f64 v[95:96], v[133:134], v[97:98], v[95:96]
	ds_read_b64 v[97:98], v94 offset:728
	s_waitcnt vmcnt(6) lgkmcnt(1)
	v_fma_f64 v[95:96], v[111:112], v[99:100], v[95:96]
	s_waitcnt vmcnt(3)
	v_fma_f64 v[95:96], v[107:108], v[101:102], v[95:96]
	s_waitcnt vmcnt(2) lgkmcnt(0)
	v_fma_f64 v[95:96], v[109:110], v[97:98], v[95:96]
	s_waitcnt vmcnt(0)
	v_add_f64 v[95:96], v[113:114], -v[95:96]
	buffer_store_dword v96, off, s[0:3], 0 offset:36
	buffer_store_dword v95, off, s[0:3], 0 offset:32
	v_cmpx_lt_u32_e32 3, v0
	s_cbranch_execz .LBB45_279
; %bb.278:
	s_clause 0x1
	buffer_load_dword v95, off, s[0:3], 0 offset:24
	buffer_load_dword v96, off, s[0:3], 0 offset:28
	buffer_store_dword v94, off, s[0:3], 0 offset:24
	buffer_store_dword v94, off, s[0:3], 0 offset:28
	s_waitcnt vmcnt(0)
	ds_write_b64 v93, v[95:96]
.LBB45_279:
	s_or_b32 exec_lo, exec_lo, s4
	s_waitcnt lgkmcnt(0)
	s_waitcnt_vscnt null, 0x0
	s_barrier
	buffer_gl0_inv
	s_clause 0x1c
	buffer_load_dword v103, off, s[0:3], 0 offset:32
	buffer_load_dword v104, off, s[0:3], 0 offset:36
	;; [unrolled: 1-line block ×29, first 2 shown]
	ds_read_b128 v[95:98], v94 offset:400
	ds_read_b128 v[99:102], v94 offset:416
	buffer_load_dword v128, off, s[0:3], 0 offset:148
	s_mov_b32 s4, exec_lo
	s_waitcnt vmcnt(28) lgkmcnt(1)
	v_fma_f64 v[95:96], v[103:104], v[95:96], 0
	s_clause 0x7
	buffer_load_dword v104, off, s[0:3], 0 offset:156
	buffer_load_dword v133, off, s[0:3], 0 offset:176
	buffer_load_dword v135, off, s[0:3], 0 offset:168
	buffer_load_dword v137, off, s[0:3], 0 offset:160
	buffer_load_dword v103, off, s[0:3], 0 offset:152
	buffer_load_dword v138, off, s[0:3], 0 offset:164
	buffer_load_dword v136, off, s[0:3], 0 offset:172
	buffer_load_dword v134, off, s[0:3], 0 offset:180
	s_waitcnt vmcnt(34)
	v_fma_f64 v[95:96], v[105:106], v[97:98], v[95:96]
	s_waitcnt vmcnt(32) lgkmcnt(0)
	v_fma_f64 v[95:96], v[107:108], v[99:100], v[95:96]
	s_waitcnt vmcnt(30)
	v_fma_f64 v[105:106], v[109:110], v[101:102], v[95:96]
	ds_read_b128 v[95:98], v94 offset:432
	ds_read_b128 v[99:102], v94 offset:448
	s_waitcnt vmcnt(28) lgkmcnt(1)
	v_fma_f64 v[95:96], v[111:112], v[95:96], v[105:106]
	s_clause 0x7
	buffer_load_dword v106, off, s[0:3], 0 offset:188
	buffer_load_dword v107, off, s[0:3], 0 offset:208
	buffer_load_dword v109, off, s[0:3], 0 offset:200
	buffer_load_dword v111, off, s[0:3], 0 offset:192
	buffer_load_dword v105, off, s[0:3], 0 offset:184
	buffer_load_dword v112, off, s[0:3], 0 offset:196
	buffer_load_dword v110, off, s[0:3], 0 offset:204
	buffer_load_dword v108, off, s[0:3], 0 offset:212
	s_waitcnt vmcnt(34)
	v_fma_f64 v[95:96], v[113:114], v[97:98], v[95:96]
	s_waitcnt vmcnt(32) lgkmcnt(0)
	v_fma_f64 v[95:96], v[115:116], v[99:100], v[95:96]
	s_waitcnt vmcnt(27)
	v_fma_f64 v[113:114], v[117:118], v[101:102], v[95:96]
	ds_read_b128 v[95:98], v94 offset:464
	ds_read_b128 v[99:102], v94 offset:480
	s_waitcnt vmcnt(26) lgkmcnt(1)
	v_fma_f64 v[95:96], v[123:124], v[95:96], v[113:114]
	s_clause 0x7
	buffer_load_dword v114, off, s[0:3], 0 offset:220
	buffer_load_dword v115, off, s[0:3], 0 offset:240
	buffer_load_dword v117, off, s[0:3], 0 offset:232
	buffer_load_dword v123, off, s[0:3], 0 offset:224
	buffer_load_dword v113, off, s[0:3], 0 offset:216
	buffer_load_dword v124, off, s[0:3], 0 offset:228
	buffer_load_dword v118, off, s[0:3], 0 offset:236
	buffer_load_dword v116, off, s[0:3], 0 offset:244
	s_waitcnt vmcnt(33)
	v_fma_f64 v[95:96], v[121:122], v[97:98], v[95:96]
	s_waitcnt vmcnt(32) lgkmcnt(0)
	v_fma_f64 v[95:96], v[119:120], v[99:100], v[95:96]
	s_waitcnt vmcnt(27)
	v_fma_f64 v[119:120], v[125:126], v[101:102], v[95:96]
	ds_read_b128 v[95:98], v94 offset:496
	ds_read_b128 v[99:102], v94 offset:512
	s_waitcnt vmcnt(26) lgkmcnt(1)
	v_fma_f64 v[95:96], v[131:132], v[95:96], v[119:120]
	s_clause 0x7
	buffer_load_dword v120, off, s[0:3], 0 offset:252
	buffer_load_dword v121, off, s[0:3], 0 offset:272
	buffer_load_dword v125, off, s[0:3], 0 offset:264
	buffer_load_dword v131, off, s[0:3], 0 offset:256
	buffer_load_dword v119, off, s[0:3], 0 offset:248
	buffer_load_dword v132, off, s[0:3], 0 offset:260
	buffer_load_dword v126, off, s[0:3], 0 offset:268
	buffer_load_dword v122, off, s[0:3], 0 offset:276
	s_waitcnt vmcnt(33)
	v_fma_f64 v[95:96], v[129:130], v[97:98], v[95:96]
	s_waitcnt vmcnt(32) lgkmcnt(0)
	v_fma_f64 v[95:96], v[127:128], v[99:100], v[95:96]
	s_waitcnt vmcnt(27)
	v_fma_f64 v[103:104], v[103:104], v[101:102], v[95:96]
	ds_read_b128 v[95:98], v94 offset:528
	ds_read_b128 v[99:102], v94 offset:544
	s_waitcnt vmcnt(26) lgkmcnt(1)
	v_fma_f64 v[95:96], v[137:138], v[95:96], v[103:104]
	s_clause 0x7
	buffer_load_dword v104, off, s[0:3], 0 offset:284
	buffer_load_dword v127, off, s[0:3], 0 offset:304
	buffer_load_dword v129, off, s[0:3], 0 offset:296
	buffer_load_dword v137, off, s[0:3], 0 offset:288
	buffer_load_dword v103, off, s[0:3], 0 offset:280
	buffer_load_dword v138, off, s[0:3], 0 offset:292
	buffer_load_dword v130, off, s[0:3], 0 offset:300
	buffer_load_dword v128, off, s[0:3], 0 offset:308
	s_waitcnt vmcnt(33)
	v_fma_f64 v[95:96], v[135:136], v[97:98], v[95:96]
	s_waitcnt vmcnt(32) lgkmcnt(0)
	v_fma_f64 v[95:96], v[133:134], v[99:100], v[95:96]
	s_waitcnt vmcnt(27)
	v_fma_f64 v[105:106], v[105:106], v[101:102], v[95:96]
	ds_read_b128 v[95:98], v94 offset:560
	ds_read_b128 v[99:102], v94 offset:576
	s_waitcnt vmcnt(26) lgkmcnt(1)
	v_fma_f64 v[95:96], v[111:112], v[95:96], v[105:106]
	s_clause 0x7
	buffer_load_dword v106, off, s[0:3], 0 offset:316
	buffer_load_dword v111, off, s[0:3], 0 offset:336
	buffer_load_dword v133, off, s[0:3], 0 offset:328
	buffer_load_dword v135, off, s[0:3], 0 offset:320
	buffer_load_dword v105, off, s[0:3], 0 offset:312
	buffer_load_dword v136, off, s[0:3], 0 offset:324
	buffer_load_dword v134, off, s[0:3], 0 offset:332
	buffer_load_dword v112, off, s[0:3], 0 offset:340
	s_waitcnt vmcnt(33)
	v_fma_f64 v[95:96], v[109:110], v[97:98], v[95:96]
	s_waitcnt vmcnt(32) lgkmcnt(0)
	v_fma_f64 v[95:96], v[107:108], v[99:100], v[95:96]
	s_waitcnt vmcnt(27)
	v_fma_f64 v[107:108], v[113:114], v[101:102], v[95:96]
	ds_read_b128 v[95:98], v94 offset:592
	ds_read_b128 v[99:102], v94 offset:608
	s_waitcnt vmcnt(26) lgkmcnt(1)
	v_fma_f64 v[95:96], v[123:124], v[95:96], v[107:108]
	s_clause 0x5
	buffer_load_dword v108, off, s[0:3], 0 offset:348
	buffer_load_dword v109, off, s[0:3], 0 offset:360
	;; [unrolled: 1-line block ×6, first 2 shown]
	s_waitcnt vmcnt(31)
	v_fma_f64 v[95:96], v[117:118], v[97:98], v[95:96]
	s_waitcnt vmcnt(30) lgkmcnt(0)
	v_fma_f64 v[95:96], v[115:116], v[99:100], v[95:96]
	s_waitcnt vmcnt(25)
	v_fma_f64 v[115:116], v[119:120], v[101:102], v[95:96]
	ds_read_b128 v[95:98], v94 offset:624
	s_clause 0x1
	buffer_load_dword v117, off, s[0:3], 0 offset:24
	buffer_load_dword v118, off, s[0:3], 0 offset:28
	ds_read_b128 v[99:102], v94 offset:640
	s_waitcnt vmcnt(26) lgkmcnt(1)
	v_fma_f64 v[95:96], v[131:132], v[95:96], v[115:116]
	s_waitcnt vmcnt(25)
	v_fma_f64 v[95:96], v[125:126], v[97:98], v[95:96]
	s_waitcnt vmcnt(24) lgkmcnt(0)
	v_fma_f64 v[95:96], v[121:122], v[99:100], v[95:96]
	s_waitcnt vmcnt(19)
	v_fma_f64 v[103:104], v[103:104], v[101:102], v[95:96]
	ds_read_b128 v[95:98], v94 offset:656
	ds_read_b128 v[99:102], v94 offset:672
	s_waitcnt vmcnt(18) lgkmcnt(1)
	v_fma_f64 v[95:96], v[137:138], v[95:96], v[103:104]
	s_waitcnt vmcnt(17)
	v_fma_f64 v[95:96], v[129:130], v[97:98], v[95:96]
	s_waitcnt vmcnt(16) lgkmcnt(0)
	v_fma_f64 v[95:96], v[127:128], v[99:100], v[95:96]
	s_waitcnt vmcnt(11)
	v_fma_f64 v[103:104], v[105:106], v[101:102], v[95:96]
	ds_read_b128 v[95:98], v94 offset:688
	;; [unrolled: 10-line block ×3, first 2 shown]
	s_waitcnt vmcnt(3) lgkmcnt(0)
	v_fma_f64 v[94:95], v[113:114], v[94:95], v[98:99]
	s_waitcnt vmcnt(2)
	v_fma_f64 v[94:95], v[109:110], v[96:97], v[94:95]
	s_waitcnt vmcnt(0)
	v_add_f64 v[94:95], v[117:118], -v[94:95]
	buffer_store_dword v95, off, s[0:3], 0 offset:28
	buffer_store_dword v94, off, s[0:3], 0 offset:24
	v_cmpx_lt_u32_e32 2, v0
	s_cbranch_execz .LBB45_281
; %bb.280:
	s_clause 0x1
	buffer_load_dword v94, off, s[0:3], 0 offset:16
	buffer_load_dword v95, off, s[0:3], 0 offset:20
	v_mov_b32_e32 v96, 0
	buffer_store_dword v96, off, s[0:3], 0 offset:16
	buffer_store_dword v96, off, s[0:3], 0 offset:20
	s_waitcnt vmcnt(0)
	ds_write_b64 v93, v[94:95]
.LBB45_281:
	s_or_b32 exec_lo, exec_lo, s4
	s_waitcnt lgkmcnt(0)
	s_waitcnt_vscnt null, 0x0
	s_barrier
	buffer_gl0_inv
	s_clause 0x1c
	buffer_load_dword v103, off, s[0:3], 0 offset:24
	buffer_load_dword v104, off, s[0:3], 0 offset:28
	;; [unrolled: 1-line block ×29, first 2 shown]
	v_mov_b32_e32 v94, 0
	buffer_load_dword v128, off, s[0:3], 0 offset:140
	s_mov_b32 s4, exec_lo
	ds_read2_b64 v[95:98], v94 offset0:49 offset1:50
	ds_read2_b64 v[99:102], v94 offset0:51 offset1:52
	s_waitcnt vmcnt(28) lgkmcnt(1)
	v_fma_f64 v[95:96], v[103:104], v[95:96], 0
	s_clause 0x7
	buffer_load_dword v104, off, s[0:3], 0 offset:148
	buffer_load_dword v133, off, s[0:3], 0 offset:168
	buffer_load_dword v135, off, s[0:3], 0 offset:160
	buffer_load_dword v137, off, s[0:3], 0 offset:152
	buffer_load_dword v103, off, s[0:3], 0 offset:144
	buffer_load_dword v138, off, s[0:3], 0 offset:156
	buffer_load_dword v136, off, s[0:3], 0 offset:164
	buffer_load_dword v134, off, s[0:3], 0 offset:172
	s_waitcnt vmcnt(34)
	v_fma_f64 v[95:96], v[105:106], v[97:98], v[95:96]
	s_waitcnt vmcnt(32) lgkmcnt(0)
	v_fma_f64 v[95:96], v[107:108], v[99:100], v[95:96]
	s_waitcnt vmcnt(30)
	v_fma_f64 v[105:106], v[109:110], v[101:102], v[95:96]
	ds_read2_b64 v[95:98], v94 offset0:53 offset1:54
	ds_read2_b64 v[99:102], v94 offset0:55 offset1:56
	s_waitcnt vmcnt(28) lgkmcnt(1)
	v_fma_f64 v[95:96], v[111:112], v[95:96], v[105:106]
	s_clause 0x7
	buffer_load_dword v106, off, s[0:3], 0 offset:180
	buffer_load_dword v107, off, s[0:3], 0 offset:200
	buffer_load_dword v109, off, s[0:3], 0 offset:192
	buffer_load_dword v111, off, s[0:3], 0 offset:184
	buffer_load_dword v105, off, s[0:3], 0 offset:176
	buffer_load_dword v112, off, s[0:3], 0 offset:188
	buffer_load_dword v110, off, s[0:3], 0 offset:196
	buffer_load_dword v108, off, s[0:3], 0 offset:204
	s_waitcnt vmcnt(34)
	v_fma_f64 v[95:96], v[113:114], v[97:98], v[95:96]
	s_waitcnt vmcnt(32) lgkmcnt(0)
	v_fma_f64 v[95:96], v[115:116], v[99:100], v[95:96]
	s_waitcnt vmcnt(27)
	v_fma_f64 v[113:114], v[117:118], v[101:102], v[95:96]
	;; [unrolled: 19-line block ×7, first 2 shown]
	ds_read2_b64 v[95:98], v94 offset0:77 offset1:78
	ds_read2_b64 v[99:102], v94 offset0:79 offset1:80
	s_waitcnt vmcnt(26) lgkmcnt(1)
	v_fma_f64 v[95:96], v[131:132], v[95:96], v[115:116]
	s_clause 0x1
	buffer_load_dword v115, off, s[0:3], 0 offset:16
	buffer_load_dword v116, off, s[0:3], 0 offset:20
	s_waitcnt vmcnt(27)
	v_fma_f64 v[95:96], v[125:126], v[97:98], v[95:96]
	s_waitcnt vmcnt(26) lgkmcnt(0)
	v_fma_f64 v[95:96], v[121:122], v[99:100], v[95:96]
	s_waitcnt vmcnt(21)
	v_fma_f64 v[103:104], v[103:104], v[101:102], v[95:96]
	ds_read2_b64 v[95:98], v94 offset0:81 offset1:82
	ds_read2_b64 v[99:102], v94 offset0:83 offset1:84
	s_waitcnt vmcnt(20) lgkmcnt(1)
	v_fma_f64 v[95:96], v[137:138], v[95:96], v[103:104]
	s_waitcnt vmcnt(19)
	v_fma_f64 v[95:96], v[129:130], v[97:98], v[95:96]
	s_waitcnt vmcnt(18) lgkmcnt(0)
	v_fma_f64 v[95:96], v[127:128], v[99:100], v[95:96]
	s_waitcnt vmcnt(13)
	v_fma_f64 v[103:104], v[105:106], v[101:102], v[95:96]
	ds_read2_b64 v[95:98], v94 offset0:85 offset1:86
	ds_read2_b64 v[99:102], v94 offset0:87 offset1:88
	s_waitcnt vmcnt(12) lgkmcnt(1)
	v_fma_f64 v[95:96], v[135:136], v[95:96], v[103:104]
	s_waitcnt vmcnt(11)
	v_fma_f64 v[95:96], v[133:134], v[97:98], v[95:96]
	s_waitcnt vmcnt(10) lgkmcnt(0)
	v_fma_f64 v[95:96], v[111:112], v[99:100], v[95:96]
	s_waitcnt vmcnt(5)
	v_fma_f64 v[99:100], v[107:108], v[101:102], v[95:96]
	ds_read2_b64 v[95:98], v94 offset0:89 offset1:90
	ds_read_b64 v[101:102], v94 offset:728
	s_waitcnt vmcnt(4) lgkmcnt(1)
	v_fma_f64 v[95:96], v[123:124], v[95:96], v[99:100]
	s_waitcnt vmcnt(3)
	v_fma_f64 v[95:96], v[113:114], v[97:98], v[95:96]
	s_waitcnt vmcnt(2) lgkmcnt(0)
	v_fma_f64 v[95:96], v[109:110], v[101:102], v[95:96]
	s_waitcnt vmcnt(0)
	v_add_f64 v[95:96], v[115:116], -v[95:96]
	buffer_store_dword v96, off, s[0:3], 0 offset:20
	buffer_store_dword v95, off, s[0:3], 0 offset:16
	v_cmpx_lt_u32_e32 1, v0
	s_cbranch_execz .LBB45_283
; %bb.282:
	s_clause 0x1
	buffer_load_dword v95, off, s[0:3], 0 offset:8
	buffer_load_dword v96, off, s[0:3], 0 offset:12
	buffer_store_dword v94, off, s[0:3], 0 offset:8
	buffer_store_dword v94, off, s[0:3], 0 offset:12
	s_waitcnt vmcnt(0)
	ds_write_b64 v93, v[95:96]
.LBB45_283:
	s_or_b32 exec_lo, exec_lo, s4
	s_waitcnt lgkmcnt(0)
	s_waitcnt_vscnt null, 0x0
	s_barrier
	buffer_gl0_inv
	s_clause 0x1c
	buffer_load_dword v103, off, s[0:3], 0 offset:16
	buffer_load_dword v104, off, s[0:3], 0 offset:20
	;; [unrolled: 1-line block ×29, first 2 shown]
	ds_read_b128 v[95:98], v94 offset:384
	ds_read_b128 v[99:102], v94 offset:400
	buffer_load_dword v128, off, s[0:3], 0 offset:132
	s_mov_b32 s4, exec_lo
	s_waitcnt vmcnt(28) lgkmcnt(1)
	v_fma_f64 v[95:96], v[103:104], v[95:96], 0
	s_clause 0x7
	buffer_load_dword v104, off, s[0:3], 0 offset:140
	buffer_load_dword v133, off, s[0:3], 0 offset:160
	buffer_load_dword v135, off, s[0:3], 0 offset:152
	buffer_load_dword v137, off, s[0:3], 0 offset:144
	buffer_load_dword v103, off, s[0:3], 0 offset:136
	buffer_load_dword v138, off, s[0:3], 0 offset:148
	buffer_load_dword v136, off, s[0:3], 0 offset:156
	buffer_load_dword v134, off, s[0:3], 0 offset:164
	s_waitcnt vmcnt(34)
	v_fma_f64 v[95:96], v[105:106], v[97:98], v[95:96]
	s_waitcnt vmcnt(32) lgkmcnt(0)
	v_fma_f64 v[95:96], v[107:108], v[99:100], v[95:96]
	s_waitcnt vmcnt(30)
	v_fma_f64 v[105:106], v[109:110], v[101:102], v[95:96]
	ds_read_b128 v[95:98], v94 offset:416
	ds_read_b128 v[99:102], v94 offset:432
	s_waitcnt vmcnt(28) lgkmcnt(1)
	v_fma_f64 v[95:96], v[111:112], v[95:96], v[105:106]
	s_clause 0x7
	buffer_load_dword v106, off, s[0:3], 0 offset:172
	buffer_load_dword v107, off, s[0:3], 0 offset:192
	buffer_load_dword v109, off, s[0:3], 0 offset:184
	buffer_load_dword v111, off, s[0:3], 0 offset:176
	buffer_load_dword v105, off, s[0:3], 0 offset:168
	buffer_load_dword v112, off, s[0:3], 0 offset:180
	buffer_load_dword v110, off, s[0:3], 0 offset:188
	buffer_load_dword v108, off, s[0:3], 0 offset:196
	s_waitcnt vmcnt(34)
	v_fma_f64 v[95:96], v[113:114], v[97:98], v[95:96]
	s_waitcnt vmcnt(32) lgkmcnt(0)
	v_fma_f64 v[95:96], v[115:116], v[99:100], v[95:96]
	s_waitcnt vmcnt(27)
	v_fma_f64 v[113:114], v[117:118], v[101:102], v[95:96]
	ds_read_b128 v[95:98], v94 offset:448
	ds_read_b128 v[99:102], v94 offset:464
	;; [unrolled: 19-line block ×7, first 2 shown]
	s_waitcnt vmcnt(26) lgkmcnt(1)
	v_fma_f64 v[95:96], v[131:132], v[95:96], v[115:116]
	s_clause 0x3
	buffer_load_dword v116, off, s[0:3], 0 offset:364
	buffer_load_dword v115, off, s[0:3], 0 offset:360
	;; [unrolled: 1-line block ×4, first 2 shown]
	s_waitcnt vmcnt(29)
	v_fma_f64 v[95:96], v[125:126], v[97:98], v[95:96]
	s_waitcnt vmcnt(28) lgkmcnt(0)
	v_fma_f64 v[95:96], v[121:122], v[99:100], v[95:96]
	s_waitcnt vmcnt(23)
	v_fma_f64 v[103:104], v[103:104], v[101:102], v[95:96]
	ds_read_b128 v[95:98], v94 offset:640
	ds_read_b128 v[99:102], v94 offset:656
	s_waitcnt vmcnt(22) lgkmcnt(1)
	v_fma_f64 v[95:96], v[137:138], v[95:96], v[103:104]
	s_waitcnt vmcnt(21)
	v_fma_f64 v[95:96], v[129:130], v[97:98], v[95:96]
	s_waitcnt vmcnt(20) lgkmcnt(0)
	v_fma_f64 v[95:96], v[127:128], v[99:100], v[95:96]
	s_waitcnt vmcnt(15)
	v_fma_f64 v[103:104], v[105:106], v[101:102], v[95:96]
	ds_read_b128 v[95:98], v94 offset:672
	ds_read_b128 v[99:102], v94 offset:688
	s_waitcnt vmcnt(14) lgkmcnt(1)
	v_fma_f64 v[95:96], v[135:136], v[95:96], v[103:104]
	s_waitcnt vmcnt(13)
	v_fma_f64 v[95:96], v[133:134], v[97:98], v[95:96]
	s_waitcnt vmcnt(12) lgkmcnt(0)
	v_fma_f64 v[95:96], v[111:112], v[99:100], v[95:96]
	s_waitcnt vmcnt(7)
	v_fma_f64 v[103:104], v[107:108], v[101:102], v[95:96]
	ds_read_b128 v[95:98], v94 offset:704
	ds_read_b128 v[99:102], v94 offset:720
	s_waitcnt vmcnt(6) lgkmcnt(1)
	v_fma_f64 v[94:95], v[123:124], v[95:96], v[103:104]
	s_waitcnt vmcnt(5)
	v_fma_f64 v[94:95], v[113:114], v[97:98], v[94:95]
	s_waitcnt vmcnt(4) lgkmcnt(0)
	v_fma_f64 v[94:95], v[109:110], v[99:100], v[94:95]
	s_waitcnt vmcnt(2)
	v_fma_f64 v[94:95], v[115:116], v[101:102], v[94:95]
	s_waitcnt vmcnt(0)
	v_add_f64 v[94:95], v[117:118], -v[94:95]
	buffer_store_dword v95, off, s[0:3], 0 offset:12
	buffer_store_dword v94, off, s[0:3], 0 offset:8
	v_cmpx_ne_u32_e32 0, v0
	s_cbranch_execz .LBB45_285
; %bb.284:
	s_clause 0x1
	buffer_load_dword v94, off, s[0:3], 0
	buffer_load_dword v95, off, s[0:3], 0 offset:4
	v_mov_b32_e32 v0, 0
	buffer_store_dword v0, off, s[0:3], 0
	buffer_store_dword v0, off, s[0:3], 0 offset:4
	s_waitcnt vmcnt(0)
	ds_write_b64 v93, v[94:95]
.LBB45_285:
	s_or_b32 exec_lo, exec_lo, s4
	s_waitcnt lgkmcnt(0)
	s_waitcnt_vscnt null, 0x0
	s_barrier
	buffer_gl0_inv
	s_clause 0x1c
	buffer_load_dword v101, off, s[0:3], 0 offset:8
	buffer_load_dword v102, off, s[0:3], 0 offset:12
	;; [unrolled: 1-line block ×29, first 2 shown]
	v_mov_b32_e32 v0, 0
	buffer_load_dword v126, off, s[0:3], 0 offset:124
	s_and_b32 vcc_lo, exec_lo, s22
	ds_read2_b64 v[93:96], v0 offset0:47 offset1:48
	ds_read2_b64 v[97:100], v0 offset0:49 offset1:50
	s_waitcnt vmcnt(28) lgkmcnt(1)
	v_fma_f64 v[93:94], v[101:102], v[93:94], 0
	s_clause 0x7
	buffer_load_dword v102, off, s[0:3], 0 offset:132
	buffer_load_dword v131, off, s[0:3], 0 offset:152
	buffer_load_dword v133, off, s[0:3], 0 offset:144
	buffer_load_dword v135, off, s[0:3], 0 offset:136
	buffer_load_dword v101, off, s[0:3], 0 offset:128
	buffer_load_dword v136, off, s[0:3], 0 offset:140
	buffer_load_dword v134, off, s[0:3], 0 offset:148
	buffer_load_dword v132, off, s[0:3], 0 offset:156
	s_waitcnt vmcnt(34)
	v_fma_f64 v[93:94], v[103:104], v[95:96], v[93:94]
	s_waitcnt vmcnt(32) lgkmcnt(0)
	v_fma_f64 v[93:94], v[105:106], v[97:98], v[93:94]
	s_waitcnt vmcnt(30)
	v_fma_f64 v[103:104], v[107:108], v[99:100], v[93:94]
	ds_read2_b64 v[93:96], v0 offset0:51 offset1:52
	ds_read2_b64 v[97:100], v0 offset0:53 offset1:54
	s_waitcnt vmcnt(28) lgkmcnt(1)
	v_fma_f64 v[93:94], v[109:110], v[93:94], v[103:104]
	s_clause 0x7
	buffer_load_dword v104, off, s[0:3], 0 offset:164
	buffer_load_dword v105, off, s[0:3], 0 offset:184
	buffer_load_dword v107, off, s[0:3], 0 offset:176
	buffer_load_dword v109, off, s[0:3], 0 offset:168
	buffer_load_dword v103, off, s[0:3], 0 offset:160
	buffer_load_dword v110, off, s[0:3], 0 offset:172
	buffer_load_dword v108, off, s[0:3], 0 offset:180
	buffer_load_dword v106, off, s[0:3], 0 offset:188
	s_waitcnt vmcnt(34)
	v_fma_f64 v[93:94], v[111:112], v[95:96], v[93:94]
	s_waitcnt vmcnt(32) lgkmcnt(0)
	v_fma_f64 v[93:94], v[113:114], v[97:98], v[93:94]
	s_waitcnt vmcnt(27)
	v_fma_f64 v[111:112], v[115:116], v[99:100], v[93:94]
	;; [unrolled: 19-line block ×6, first 2 shown]
	ds_read2_b64 v[93:96], v0 offset0:71 offset1:72
	ds_read2_b64 v[97:100], v0 offset0:73 offset1:74
	s_waitcnt vmcnt(26) lgkmcnt(1)
	v_fma_f64 v[93:94], v[121:122], v[93:94], v[101:102]
	s_clause 0x7
	buffer_load_dword v106, off, s[0:3], 0 offset:324
	buffer_load_dword v107, off, s[0:3], 0 offset:344
	buffer_load_dword v111, off, s[0:3], 0 offset:336
	buffer_load_dword v121, off, s[0:3], 0 offset:328
	buffer_load_dword v105, off, s[0:3], 0 offset:320
	buffer_load_dword v122, off, s[0:3], 0 offset:332
	buffer_load_dword v112, off, s[0:3], 0 offset:340
	buffer_load_dword v108, off, s[0:3], 0 offset:348
	s_waitcnt vmcnt(33)
	v_fma_f64 v[93:94], v[115:116], v[95:96], v[93:94]
	s_waitcnt vmcnt(32) lgkmcnt(0)
	v_fma_f64 v[93:94], v[113:114], v[97:98], v[93:94]
	ds_read2_b64 v[95:98], v0 offset0:75 offset1:76
	s_waitcnt vmcnt(27)
	v_fma_f64 v[93:94], v[117:118], v[99:100], v[93:94]
	ds_read2_b64 v[99:102], v0 offset0:77 offset1:78
	s_waitcnt vmcnt(26) lgkmcnt(1)
	v_fma_f64 v[93:94], v[129:130], v[95:96], v[93:94]
	s_clause 0x5
	buffer_load_dword v96, off, s[0:3], 0 offset:356
	buffer_load_dword v113, off, s[0:3], 0 offset:360
	buffer_load_dword v95, off, s[0:3], 0 offset:352
	buffer_load_dword v114, off, s[0:3], 0 offset:364
	buffer_load_dword v115, off, s[0:3], 0
	buffer_load_dword v116, off, s[0:3], 0 offset:4
	s_waitcnt vmcnt(31)
	v_fma_f64 v[93:94], v[123:124], v[97:98], v[93:94]
	s_waitcnt vmcnt(30) lgkmcnt(0)
	v_fma_f64 v[93:94], v[119:120], v[99:100], v[93:94]
	s_waitcnt vmcnt(25)
	v_fma_f64 v[93:94], v[125:126], v[101:102], v[93:94]
	ds_read2_b64 v[97:100], v0 offset0:79 offset1:80
	ds_read2_b64 v[101:104], v0 offset0:81 offset1:82
	s_waitcnt vmcnt(24) lgkmcnt(1)
	v_fma_f64 v[93:94], v[137:138], v[97:98], v[93:94]
	s_waitcnt vmcnt(23)
	v_fma_f64 v[93:94], v[135:136], v[99:100], v[93:94]
	s_waitcnt vmcnt(22) lgkmcnt(0)
	v_fma_f64 v[93:94], v[127:128], v[101:102], v[93:94]
	s_waitcnt vmcnt(17)
	v_fma_f64 v[93:94], v[109:110], v[103:104], v[93:94]
	ds_read2_b64 v[97:100], v0 offset0:83 offset1:84
	ds_read2_b64 v[101:104], v0 offset0:85 offset1:86
	s_waitcnt vmcnt(16) lgkmcnt(1)
	v_fma_f64 v[93:94], v[139:140], v[97:98], v[93:94]
	;; [unrolled: 10-line block ×3, first 2 shown]
	ds_read_b64 v[97:98], v0 offset:728
	s_waitcnt vmcnt(7)
	v_fma_f64 v[93:94], v[111:112], v[99:100], v[93:94]
	s_waitcnt vmcnt(6) lgkmcnt(1)
	v_fma_f64 v[93:94], v[107:108], v[101:102], v[93:94]
	s_waitcnt vmcnt(3)
	v_fma_f64 v[93:94], v[95:96], v[103:104], v[93:94]
	s_waitcnt vmcnt(2) lgkmcnt(0)
	v_fma_f64 v[93:94], v[113:114], v[97:98], v[93:94]
	s_waitcnt vmcnt(0)
	v_add_f64 v[93:94], v[115:116], -v[93:94]
	buffer_store_dword v94, off, s[0:3], 0 offset:4
	buffer_store_dword v93, off, s[0:3], 0
	s_cbranch_vccz .LBB45_376
; %bb.286:
	global_load_dword v0, v0, s[20:21] offset:176
	s_waitcnt vmcnt(0)
	v_add_nc_u32_e32 v0, -1, v0
	v_cmp_ne_u32_e32 vcc_lo, 44, v0
	s_cbranch_vccz .LBB45_288
; %bb.287:
	v_lshlrev_b32_e32 v0, 3, v0
	s_clause 0x1
	buffer_load_dword v93, v0, s[0:3], 0 offen offset:4
	buffer_load_dword v94, v0, s[0:3], 0 offen
	s_waitcnt vmcnt(1)
	buffer_store_dword v93, off, s[0:3], 0 offset:356
	s_waitcnt vmcnt(0)
	buffer_store_dword v94, off, s[0:3], 0 offset:352
	buffer_store_dword v96, v0, s[0:3], 0 offen offset:4
	buffer_store_dword v95, v0, s[0:3], 0 offen
.LBB45_288:
	v_mov_b32_e32 v0, 0
	global_load_dword v93, v0, s[20:21] offset:172
	s_waitcnt vmcnt(0)
	v_add_nc_u32_e32 v93, -1, v93
	v_cmp_eq_u32_e32 vcc_lo, 43, v93
	s_cbranch_vccnz .LBB45_290
; %bb.289:
	v_lshlrev_b32_e32 v93, 3, v93
	s_clause 0x3
	buffer_load_dword v94, v93, s[0:3], 0 offen
	buffer_load_dword v95, v93, s[0:3], 0 offen offset:4
	buffer_load_dword v96, off, s[0:3], 0 offset:344
	buffer_load_dword v97, off, s[0:3], 0 offset:348
	s_waitcnt vmcnt(3)
	buffer_store_dword v94, off, s[0:3], 0 offset:344
	s_waitcnt vmcnt(2)
	buffer_store_dword v95, off, s[0:3], 0 offset:348
	s_waitcnt vmcnt(1)
	buffer_store_dword v96, v93, s[0:3], 0 offen
	s_waitcnt vmcnt(0)
	buffer_store_dword v97, v93, s[0:3], 0 offen offset:4
.LBB45_290:
	global_load_dword v0, v0, s[20:21] offset:168
	s_waitcnt vmcnt(0)
	v_add_nc_u32_e32 v0, -1, v0
	v_cmp_eq_u32_e32 vcc_lo, 42, v0
	s_cbranch_vccnz .LBB45_292
; %bb.291:
	v_lshlrev_b32_e32 v0, 3, v0
	s_clause 0x3
	buffer_load_dword v93, v0, s[0:3], 0 offen
	buffer_load_dword v94, v0, s[0:3], 0 offen offset:4
	buffer_load_dword v95, off, s[0:3], 0 offset:340
	buffer_load_dword v96, off, s[0:3], 0 offset:336
	s_waitcnt vmcnt(3)
	buffer_store_dword v93, off, s[0:3], 0 offset:336
	s_waitcnt vmcnt(2)
	buffer_store_dword v94, off, s[0:3], 0 offset:340
	s_waitcnt vmcnt(1)
	buffer_store_dword v95, v0, s[0:3], 0 offen offset:4
	s_waitcnt vmcnt(0)
	buffer_store_dword v96, v0, s[0:3], 0 offen
.LBB45_292:
	v_mov_b32_e32 v0, 0
	global_load_dword v93, v0, s[20:21] offset:164
	s_waitcnt vmcnt(0)
	v_add_nc_u32_e32 v93, -1, v93
	v_cmp_eq_u32_e32 vcc_lo, 41, v93
	s_cbranch_vccnz .LBB45_294
; %bb.293:
	v_lshlrev_b32_e32 v93, 3, v93
	s_clause 0x3
	buffer_load_dword v94, v93, s[0:3], 0 offen
	buffer_load_dword v95, v93, s[0:3], 0 offen offset:4
	buffer_load_dword v96, off, s[0:3], 0 offset:328
	buffer_load_dword v97, off, s[0:3], 0 offset:332
	s_waitcnt vmcnt(3)
	buffer_store_dword v94, off, s[0:3], 0 offset:328
	s_waitcnt vmcnt(2)
	buffer_store_dword v95, off, s[0:3], 0 offset:332
	s_waitcnt vmcnt(1)
	buffer_store_dword v96, v93, s[0:3], 0 offen
	s_waitcnt vmcnt(0)
	buffer_store_dword v97, v93, s[0:3], 0 offen offset:4
.LBB45_294:
	global_load_dword v0, v0, s[20:21] offset:160
	s_waitcnt vmcnt(0)
	v_add_nc_u32_e32 v0, -1, v0
	v_cmp_eq_u32_e32 vcc_lo, 40, v0
	s_cbranch_vccnz .LBB45_296
; %bb.295:
	v_lshlrev_b32_e32 v0, 3, v0
	s_clause 0x3
	buffer_load_dword v93, v0, s[0:3], 0 offen
	buffer_load_dword v94, v0, s[0:3], 0 offen offset:4
	buffer_load_dword v95, off, s[0:3], 0 offset:324
	buffer_load_dword v96, off, s[0:3], 0 offset:320
	s_waitcnt vmcnt(3)
	buffer_store_dword v93, off, s[0:3], 0 offset:320
	s_waitcnt vmcnt(2)
	buffer_store_dword v94, off, s[0:3], 0 offset:324
	s_waitcnt vmcnt(1)
	buffer_store_dword v95, v0, s[0:3], 0 offen offset:4
	s_waitcnt vmcnt(0)
	buffer_store_dword v96, v0, s[0:3], 0 offen
.LBB45_296:
	;; [unrolled: 43-line block ×21, first 2 shown]
	v_mov_b32_e32 v0, 0
	global_load_dword v93, v0, s[20:21] offset:4
	s_waitcnt vmcnt(0)
	v_add_nc_u32_e32 v93, -1, v93
	v_cmp_eq_u32_e32 vcc_lo, 1, v93
	s_cbranch_vccnz .LBB45_374
; %bb.373:
	v_lshlrev_b32_e32 v93, 3, v93
	s_clause 0x3
	buffer_load_dword v94, v93, s[0:3], 0 offen
	buffer_load_dword v95, v93, s[0:3], 0 offen offset:4
	buffer_load_dword v96, off, s[0:3], 0 offset:8
	buffer_load_dword v97, off, s[0:3], 0 offset:12
	s_waitcnt vmcnt(3)
	buffer_store_dword v94, off, s[0:3], 0 offset:8
	s_waitcnt vmcnt(2)
	buffer_store_dword v95, off, s[0:3], 0 offset:12
	s_waitcnt vmcnt(1)
	buffer_store_dword v96, v93, s[0:3], 0 offen
	s_waitcnt vmcnt(0)
	buffer_store_dword v97, v93, s[0:3], 0 offen offset:4
.LBB45_374:
	global_load_dword v0, v0, s[20:21]
	s_clause 0x1
	buffer_load_dword v93, off, s[0:3], 0
	buffer_load_dword v94, off, s[0:3], 0 offset:4
	s_waitcnt vmcnt(2)
	v_add_nc_u32_e32 v0, -1, v0
	v_cmp_eq_u32_e32 vcc_lo, 0, v0
	s_cbranch_vccnz .LBB45_376
; %bb.375:
	v_lshlrev_b32_e32 v0, 3, v0
	s_clause 0x1
	buffer_load_dword v95, v0, s[0:3], 0 offen offset:4
	buffer_load_dword v96, v0, s[0:3], 0 offen
	s_waitcnt vmcnt(1)
	buffer_store_dword v95, off, s[0:3], 0 offset:4
	s_waitcnt vmcnt(0)
	buffer_store_dword v96, off, s[0:3], 0
	buffer_store_dword v94, v0, s[0:3], 0 offen offset:4
	buffer_store_dword v93, v0, s[0:3], 0 offen
	s_clause 0x1
	buffer_load_dword v93, off, s[0:3], 0
	buffer_load_dword v94, off, s[0:3], 0 offset:4
.LBB45_376:
	s_clause 0x13
	buffer_load_dword v95, off, s[0:3], 0 offset:8
	buffer_load_dword v96, off, s[0:3], 0 offset:12
	;; [unrolled: 1-line block ×20, first 2 shown]
	s_waitcnt vmcnt(20)
	global_store_dwordx2 v[91:92], v[93:94], off
	s_clause 0x1b
	buffer_load_dword v91, off, s[0:3], 0 offset:88
	buffer_load_dword v92, off, s[0:3], 0 offset:92
	;; [unrolled: 1-line block ×28, first 2 shown]
	s_waitcnt vmcnt(46)
	global_store_dwordx2 v[89:90], v[95:96], off
	s_waitcnt vmcnt(44)
	global_store_dwordx2 v[3:4], v[97:98], off
	s_clause 0x7
	buffer_load_dword v3, off, s[0:3], 0 offset:200
	buffer_load_dword v4, off, s[0:3], 0 offset:204
	buffer_load_dword v89, off, s[0:3], 0 offset:208
	buffer_load_dword v90, off, s[0:3], 0 offset:212
	buffer_load_dword v95, off, s[0:3], 0 offset:216
	buffer_load_dword v96, off, s[0:3], 0 offset:220
	buffer_load_dword v97, off, s[0:3], 0 offset:224
	buffer_load_dword v98, off, s[0:3], 0 offset:228
	s_waitcnt vmcnt(50)
	global_store_dwordx2 v[1:2], v[99:100], off
	s_waitcnt vmcnt(48)
	global_store_dwordx2 v[7:8], v[101:102], off
	s_clause 0x7
	buffer_load_dword v0, off, s[0:3], 0 offset:232
	buffer_load_dword v1, off, s[0:3], 0 offset:236
	buffer_load_dword v7, off, s[0:3], 0 offset:240
	buffer_load_dword v8, off, s[0:3], 0 offset:244
	buffer_load_dword v99, off, s[0:3], 0 offset:248
	buffer_load_dword v100, off, s[0:3], 0 offset:252
	buffer_load_dword v101, off, s[0:3], 0 offset:256
	buffer_load_dword v102, off, s[0:3], 0 offset:260
	;; [unrolled: 13-line block ×5, first 2 shown]
	buffer_load_dword v139, off, s[0:3], 0 offset:360
	buffer_load_dword v140, off, s[0:3], 0 offset:364
	s_waitcnt vmcnt(62)
	global_store_dwordx2 v[15:16], v[91:92], off
	global_store_dwordx2 v[21:22], v[93:94], off
	;; [unrolled: 1-line block ×4, first 2 shown]
	s_waitcnt vmcnt(60)
	global_store_dwordx2 v[27:28], v[119:120], off
	s_waitcnt vmcnt(58)
	global_store_dwordx2 v[29:30], v[121:122], off
	;; [unrolled: 2-line block ×31, first 2 shown]
	s_endpgm
	.section	.rodata,"a",@progbits
	.p2align	6, 0x0
	.amdhsa_kernel _ZN9rocsolver6v33100L18getri_kernel_smallILi46EdPdEEvT1_iilPiilS4_bb
		.amdhsa_group_segment_fixed_size 744
		.amdhsa_private_segment_fixed_size 384
		.amdhsa_kernarg_size 60
		.amdhsa_user_sgpr_count 6
		.amdhsa_user_sgpr_private_segment_buffer 1
		.amdhsa_user_sgpr_dispatch_ptr 0
		.amdhsa_user_sgpr_queue_ptr 0
		.amdhsa_user_sgpr_kernarg_segment_ptr 1
		.amdhsa_user_sgpr_dispatch_id 0
		.amdhsa_user_sgpr_flat_scratch_init 0
		.amdhsa_user_sgpr_private_segment_size 0
		.amdhsa_wavefront_size32 1
		.amdhsa_uses_dynamic_stack 0
		.amdhsa_system_sgpr_private_segment_wavefront_offset 1
		.amdhsa_system_sgpr_workgroup_id_x 1
		.amdhsa_system_sgpr_workgroup_id_y 0
		.amdhsa_system_sgpr_workgroup_id_z 0
		.amdhsa_system_sgpr_workgroup_info 0
		.amdhsa_system_vgpr_workitem_id 0
		.amdhsa_next_free_vgpr 141
		.amdhsa_next_free_sgpr 23
		.amdhsa_reserve_vcc 1
		.amdhsa_reserve_flat_scratch 0
		.amdhsa_float_round_mode_32 0
		.amdhsa_float_round_mode_16_64 0
		.amdhsa_float_denorm_mode_32 3
		.amdhsa_float_denorm_mode_16_64 3
		.amdhsa_dx10_clamp 1
		.amdhsa_ieee_mode 1
		.amdhsa_fp16_overflow 0
		.amdhsa_workgroup_processor_mode 1
		.amdhsa_memory_ordered 1
		.amdhsa_forward_progress 1
		.amdhsa_shared_vgpr_count 0
		.amdhsa_exception_fp_ieee_invalid_op 0
		.amdhsa_exception_fp_denorm_src 0
		.amdhsa_exception_fp_ieee_div_zero 0
		.amdhsa_exception_fp_ieee_overflow 0
		.amdhsa_exception_fp_ieee_underflow 0
		.amdhsa_exception_fp_ieee_inexact 0
		.amdhsa_exception_int_div_zero 0
	.end_amdhsa_kernel
	.section	.text._ZN9rocsolver6v33100L18getri_kernel_smallILi46EdPdEEvT1_iilPiilS4_bb,"axG",@progbits,_ZN9rocsolver6v33100L18getri_kernel_smallILi46EdPdEEvT1_iilPiilS4_bb,comdat
.Lfunc_end45:
	.size	_ZN9rocsolver6v33100L18getri_kernel_smallILi46EdPdEEvT1_iilPiilS4_bb, .Lfunc_end45-_ZN9rocsolver6v33100L18getri_kernel_smallILi46EdPdEEvT1_iilPiilS4_bb
                                        ; -- End function
	.set _ZN9rocsolver6v33100L18getri_kernel_smallILi46EdPdEEvT1_iilPiilS4_bb.num_vgpr, 141
	.set _ZN9rocsolver6v33100L18getri_kernel_smallILi46EdPdEEvT1_iilPiilS4_bb.num_agpr, 0
	.set _ZN9rocsolver6v33100L18getri_kernel_smallILi46EdPdEEvT1_iilPiilS4_bb.numbered_sgpr, 23
	.set _ZN9rocsolver6v33100L18getri_kernel_smallILi46EdPdEEvT1_iilPiilS4_bb.num_named_barrier, 0
	.set _ZN9rocsolver6v33100L18getri_kernel_smallILi46EdPdEEvT1_iilPiilS4_bb.private_seg_size, 384
	.set _ZN9rocsolver6v33100L18getri_kernel_smallILi46EdPdEEvT1_iilPiilS4_bb.uses_vcc, 1
	.set _ZN9rocsolver6v33100L18getri_kernel_smallILi46EdPdEEvT1_iilPiilS4_bb.uses_flat_scratch, 0
	.set _ZN9rocsolver6v33100L18getri_kernel_smallILi46EdPdEEvT1_iilPiilS4_bb.has_dyn_sized_stack, 0
	.set _ZN9rocsolver6v33100L18getri_kernel_smallILi46EdPdEEvT1_iilPiilS4_bb.has_recursion, 0
	.set _ZN9rocsolver6v33100L18getri_kernel_smallILi46EdPdEEvT1_iilPiilS4_bb.has_indirect_call, 0
	.section	.AMDGPU.csdata,"",@progbits
; Kernel info:
; codeLenInByte = 59644
; TotalNumSgprs: 25
; NumVgprs: 141
; ScratchSize: 384
; MemoryBound: 1
; FloatMode: 240
; IeeeMode: 1
; LDSByteSize: 744 bytes/workgroup (compile time only)
; SGPRBlocks: 0
; VGPRBlocks: 17
; NumSGPRsForWavesPerEU: 25
; NumVGPRsForWavesPerEU: 141
; Occupancy: 7
; WaveLimiterHint : 1
; COMPUTE_PGM_RSRC2:SCRATCH_EN: 1
; COMPUTE_PGM_RSRC2:USER_SGPR: 6
; COMPUTE_PGM_RSRC2:TRAP_HANDLER: 0
; COMPUTE_PGM_RSRC2:TGID_X_EN: 1
; COMPUTE_PGM_RSRC2:TGID_Y_EN: 0
; COMPUTE_PGM_RSRC2:TGID_Z_EN: 0
; COMPUTE_PGM_RSRC2:TIDIG_COMP_CNT: 0
	.section	.text._ZN9rocsolver6v33100L18getri_kernel_smallILi47EdPdEEvT1_iilPiilS4_bb,"axG",@progbits,_ZN9rocsolver6v33100L18getri_kernel_smallILi47EdPdEEvT1_iilPiilS4_bb,comdat
	.globl	_ZN9rocsolver6v33100L18getri_kernel_smallILi47EdPdEEvT1_iilPiilS4_bb ; -- Begin function _ZN9rocsolver6v33100L18getri_kernel_smallILi47EdPdEEvT1_iilPiilS4_bb
	.p2align	8
	.type	_ZN9rocsolver6v33100L18getri_kernel_smallILi47EdPdEEvT1_iilPiilS4_bb,@function
_ZN9rocsolver6v33100L18getri_kernel_smallILi47EdPdEEvT1_iilPiilS4_bb: ; @_ZN9rocsolver6v33100L18getri_kernel_smallILi47EdPdEEvT1_iilPiilS4_bb
; %bb.0:
	s_add_u32 s0, s0, s7
	s_addc_u32 s1, s1, 0
	s_mov_b32 s7, exec_lo
	v_cmpx_gt_u32_e32 47, v0
	s_cbranch_execz .LBB46_198
; %bb.1:
	s_clause 0x2
	s_load_dword s7, s[4:5], 0x38
	s_load_dwordx4 s[16:19], s[4:5], 0x10
	s_load_dwordx4 s[8:11], s[4:5], 0x28
                                        ; implicit-def: $sgpr20_sgpr21
	s_waitcnt lgkmcnt(0)
	s_bitcmp1_b32 s7, 8
	s_cselect_b32 s22, -1, 0
	s_bfe_u32 s12, s7, 0x10008
	s_ashr_i32 s7, s6, 31
	s_cmp_eq_u32 s12, 0
	s_cbranch_scc1 .LBB46_3
; %bb.2:
	s_load_dword s12, s[4:5], 0x20
	s_mul_i32 s13, s8, s7
	s_mul_hi_u32 s14, s8, s6
	s_mul_i32 s9, s9, s6
	s_add_i32 s13, s14, s13
	s_mul_i32 s8, s8, s6
	s_add_i32 s9, s13, s9
	s_lshl_b64 s[8:9], s[8:9], 2
	s_waitcnt lgkmcnt(0)
	s_ashr_i32 s13, s12, 31
	s_add_u32 s14, s18, s8
	s_addc_u32 s15, s19, s9
	s_lshl_b64 s[8:9], s[12:13], 2
	s_add_u32 s20, s14, s8
	s_addc_u32 s21, s15, s9
.LBB46_3:
	s_clause 0x1
	s_load_dwordx4 s[12:15], s[4:5], 0x0
	s_load_dword s8, s[4:5], 0x38
	s_mul_i32 s4, s16, s7
	s_mul_hi_u32 s5, s16, s6
	s_mul_i32 s9, s17, s6
	s_add_i32 s5, s5, s4
	s_mul_i32 s4, s16, s6
	s_add_i32 s5, s5, s9
	v_lshlrev_b32_e32 v97, 3, v0
	s_lshl_b64 s[4:5], s[4:5], 3
	s_waitcnt lgkmcnt(0)
	s_ashr_i32 s17, s14, 31
	s_mov_b32 s16, s14
	s_add_u32 s9, s12, s4
	s_addc_u32 s13, s13, s5
	s_lshl_b64 s[4:5], s[16:17], 3
	v_add3_u32 v1, s15, s15, v0
	s_add_u32 s4, s9, s4
	s_addc_u32 s5, s13, s5
	v_add_co_u32 v83, s9, s4, v97
	global_load_dwordx2 v[95:96], v97, s[4:5]
	v_ashrrev_i32_e32 v2, 31, v1
	v_add_nc_u32_e32 v3, s15, v1
	s_mov_b32 s12, s15
	s_ashr_i32 s13, s15, 31
	v_add_co_ci_u32_e64 v84, null, s5, 0, s9
	v_lshlrev_b64 v[1:2], 3, v[1:2]
	s_lshl_b64 s[12:13], s[12:13], 3
	v_add_nc_u32_e32 v5, s15, v3
	v_ashrrev_i32_e32 v4, 31, v3
	s_bitcmp0_b32 s8, 0
	v_add_co_u32 v53, vcc_lo, s4, v1
	v_add_co_ci_u32_e64 v54, null, s5, v2, vcc_lo
	v_add_co_u32 v57, vcc_lo, v83, s12
	v_add_co_ci_u32_e64 v58, null, s13, v84, vcc_lo
	global_load_dwordx2 v[100:101], v[53:54], off
	v_ashrrev_i32_e32 v6, 31, v5
	v_add_nc_u32_e32 v7, s15, v5
	global_load_dwordx2 v[98:99], v[57:58], off
	v_lshlrev_b64 v[3:4], 3, v[3:4]
	v_lshlrev_b64 v[1:2], 3, v[5:6]
	v_ashrrev_i32_e32 v8, 31, v7
	v_add_nc_u32_e32 v5, s15, v7
	v_add_co_u32 v41, vcc_lo, s4, v3
	v_add_co_ci_u32_e64 v42, null, s5, v4, vcc_lo
	v_lshlrev_b64 v[3:4], 3, v[7:8]
	v_ashrrev_i32_e32 v6, 31, v5
	v_add_nc_u32_e32 v7, s15, v5
	v_add_co_u32 v47, vcc_lo, s4, v1
	v_add_co_ci_u32_e64 v48, null, s5, v2, vcc_lo
	;; [unrolled: 5-line block ×7, first 2 shown]
	v_lshlrev_b64 v[3:4], 3, v[7:8]
	v_add_nc_u32_e32 v7, s15, v5
	v_ashrrev_i32_e32 v6, 31, v5
	v_add_co_u32 v17, vcc_lo, s4, v1
	v_add_co_ci_u32_e64 v18, null, s5, v2, vcc_lo
	v_ashrrev_i32_e32 v8, 31, v7
	v_add_nc_u32_e32 v9, s15, v7
	v_lshlrev_b64 v[1:2], 3, v[5:6]
	v_add_co_u32 v5, vcc_lo, s4, v3
	v_add_co_ci_u32_e64 v6, null, s5, v4, vcc_lo
	v_lshlrev_b64 v[3:4], 3, v[7:8]
	v_add_nc_u32_e32 v7, s15, v9
	v_ashrrev_i32_e32 v10, 31, v9
	v_add_co_u32 v1, vcc_lo, s4, v1
	v_add_co_ci_u32_e64 v2, null, s5, v2, vcc_lo
	v_add_nc_u32_e32 v11, s15, v7
	v_ashrrev_i32_e32 v8, 31, v7
	v_lshlrev_b64 v[9:10], 3, v[9:10]
	v_add_co_u32 v3, vcc_lo, s4, v3
	v_add_nc_u32_e32 v19, s15, v11
	v_lshlrev_b64 v[15:16], 3, v[7:8]
	v_add_co_ci_u32_e64 v4, null, s5, v4, vcc_lo
	v_add_co_u32 v7, vcc_lo, s4, v9
	v_ashrrev_i32_e32 v20, 31, v19
	v_add_nc_u32_e32 v21, s15, v19
	v_add_co_ci_u32_e64 v8, null, s5, v10, vcc_lo
	v_add_co_u32 v9, vcc_lo, s4, v15
	v_add_co_ci_u32_e64 v10, null, s5, v16, vcc_lo
	v_lshlrev_b64 v[15:16], 3, v[19:20]
	v_add_nc_u32_e32 v19, s15, v21
	v_ashrrev_i32_e32 v12, 31, v11
	v_ashrrev_i32_e32 v22, 31, v21
	s_clause 0x5
	global_load_dwordx2 v[102:103], v[41:42], off
	global_load_dwordx2 v[104:105], v[47:48], off
	;; [unrolled: 1-line block ×6, first 2 shown]
	v_add_nc_u32_e32 v25, s15, v19
	v_lshlrev_b64 v[11:12], 3, v[11:12]
	v_ashrrev_i32_e32 v20, 31, v19
	v_lshlrev_b64 v[21:22], 3, v[21:22]
	s_clause 0x3
	global_load_dwordx2 v[118:119], v[5:6], off
	global_load_dwordx2 v[120:121], v[1:2], off
	;; [unrolled: 1-line block ×4, first 2 shown]
	v_add_nc_u32_e32 v31, s15, v25
	v_add_co_u32 v11, vcc_lo, s4, v11
	v_lshlrev_b64 v[29:30], 3, v[19:20]
	v_add_co_ci_u32_e64 v12, null, s5, v12, vcc_lo
	v_add_co_u32 v15, vcc_lo, s4, v15
	v_add_nc_u32_e32 v35, s15, v31
	v_ashrrev_i32_e32 v26, 31, v25
	v_ashrrev_i32_e32 v32, 31, v31
	v_add_co_ci_u32_e64 v16, null, s5, v16, vcc_lo
	v_add_co_u32 v19, vcc_lo, s4, v21
	v_add_co_ci_u32_e64 v20, null, s5, v22, vcc_lo
	v_add_co_u32 v21, vcc_lo, s4, v29
	v_ashrrev_i32_e32 v36, 31, v35
	v_lshlrev_b64 v[25:26], 3, v[25:26]
	v_add_co_ci_u32_e64 v22, null, s5, v30, vcc_lo
	v_lshlrev_b64 v[29:30], 3, v[31:32]
	v_add_nc_u32_e32 v31, s15, v35
	v_lshlrev_b64 v[35:36], 3, v[35:36]
	v_add_co_u32 v25, vcc_lo, s4, v25
	v_add_co_ci_u32_e64 v26, null, s5, v26, vcc_lo
	v_ashrrev_i32_e32 v32, 31, v31
	v_add_co_u32 v29, vcc_lo, s4, v29
	v_add_nc_u32_e32 v39, s15, v31
	v_add_co_ci_u32_e64 v30, null, s5, v30, vcc_lo
	v_lshlrev_b64 v[43:44], 3, v[31:32]
	v_add_co_u32 v31, vcc_lo, s4, v35
	s_clause 0x5
	global_load_dwordx2 v[114:115], v[13:14], off
	global_load_dwordx2 v[116:117], v[17:18], off
	;; [unrolled: 1-line block ×6, first 2 shown]
	v_add_co_ci_u32_e64 v32, null, s5, v36, vcc_lo
	s_clause 0x2
	global_load_dwordx2 v[134:135], v[21:22], off
	global_load_dwordx2 v[136:137], v[25:26], off
	;; [unrolled: 1-line block ×3, first 2 shown]
	v_ashrrev_i32_e32 v40, 31, v39
	v_add_nc_u32_e32 v45, s15, v39
	v_add_co_u32 v35, vcc_lo, s4, v43
	v_add_co_ci_u32_e64 v36, null, s5, v44, vcc_lo
	v_lshlrev_b64 v[39:40], 3, v[39:40]
	v_ashrrev_i32_e32 v46, 31, v45
	v_add_nc_u32_e32 v49, s15, v45
	v_add_co_u32 v39, vcc_lo, s4, v39
	v_add_co_ci_u32_e64 v40, null, s5, v40, vcc_lo
	v_lshlrev_b64 v[43:44], 3, v[45:46]
	v_add_nc_u32_e32 v45, s15, v49
	v_ashrrev_i32_e32 v50, 31, v49
	v_add_nc_u32_e32 v51, s15, v45
	v_ashrrev_i32_e32 v46, 31, v45
	v_lshlrev_b64 v[49:50], 3, v[49:50]
	v_add_co_u32 v43, vcc_lo, s4, v43
	v_add_nc_u32_e32 v59, s15, v51
	v_lshlrev_b64 v[55:56], 3, v[45:46]
	v_add_co_ci_u32_e64 v44, null, s5, v44, vcc_lo
	v_add_co_u32 v45, vcc_lo, s4, v49
	v_ashrrev_i32_e32 v60, 31, v59
	v_add_nc_u32_e32 v61, s15, v59
	v_add_co_ci_u32_e64 v46, null, s5, v50, vcc_lo
	v_add_co_u32 v49, vcc_lo, s4, v55
	v_add_co_ci_u32_e64 v50, null, s5, v56, vcc_lo
	v_lshlrev_b64 v[55:56], 3, v[59:60]
	v_add_nc_u32_e32 v59, s15, v61
	v_ashrrev_i32_e32 v52, 31, v51
	v_ashrrev_i32_e32 v62, 31, v61
	v_add_nc_u32_e32 v63, s15, v59
	v_lshlrev_b64 v[51:52], 3, v[51:52]
	v_ashrrev_i32_e32 v60, 31, v59
	v_lshlrev_b64 v[61:62], 3, v[61:62]
	v_add_nc_u32_e32 v67, s15, v63
	v_ashrrev_i32_e32 v64, 31, v63
	v_add_co_u32 v51, vcc_lo, s4, v51
	v_lshlrev_b64 v[65:66], 3, v[59:60]
	v_add_co_ci_u32_e64 v52, null, s5, v52, vcc_lo
	v_add_co_u32 v55, vcc_lo, s4, v55
	v_ashrrev_i32_e32 v68, 31, v67
	v_add_nc_u32_e32 v69, s15, v67
	v_add_co_ci_u32_e64 v56, null, s5, v56, vcc_lo
	v_add_co_u32 v59, vcc_lo, s4, v61
	v_add_co_ci_u32_e64 v60, null, s5, v62, vcc_lo
	v_add_co_u32 v61, vcc_lo, s4, v65
	v_add_co_ci_u32_e64 v62, null, s5, v66, vcc_lo
	v_lshlrev_b64 v[65:66], 3, v[67:68]
	v_add_nc_u32_e32 v67, s15, v69
	v_ashrrev_i32_e32 v70, 31, v69
	v_lshlrev_b64 v[63:64], 3, v[63:64]
	v_add_nc_u32_e32 v71, s15, v67
	v_ashrrev_i32_e32 v68, 31, v67
	v_lshlrev_b64 v[69:70], 3, v[69:70]
	v_add_co_u32 v63, vcc_lo, s4, v63
	v_add_nc_u32_e32 v75, s15, v71
	v_lshlrev_b64 v[73:74], 3, v[67:68]
	v_add_co_ci_u32_e64 v64, null, s5, v64, vcc_lo
	v_add_co_u32 v65, vcc_lo, s4, v65
	v_ashrrev_i32_e32 v76, 31, v75
	v_add_nc_u32_e32 v77, s15, v75
	v_add_co_ci_u32_e64 v66, null, s5, v66, vcc_lo
	v_add_co_u32 v67, vcc_lo, s4, v69
	v_add_co_ci_u32_e64 v68, null, s5, v70, vcc_lo
	v_add_co_u32 v69, vcc_lo, s4, v73
	v_add_co_ci_u32_e64 v70, null, s5, v74, vcc_lo
	v_lshlrev_b64 v[73:74], 3, v[75:76]
	v_add_nc_u32_e32 v75, s15, v77
	v_ashrrev_i32_e32 v72, 31, v71
	v_ashrrev_i32_e32 v78, 31, v77
	v_add_nc_u32_e32 v79, s15, v75
	v_lshlrev_b64 v[71:72], 3, v[71:72]
	v_ashrrev_i32_e32 v76, 31, v75
	v_lshlrev_b64 v[77:78], 3, v[77:78]
	v_add_nc_u32_e32 v87, s15, v79
	v_ashrrev_i32_e32 v80, 31, v79
	v_add_co_u32 v71, vcc_lo, s4, v71
	v_lshlrev_b64 v[81:82], 3, v[75:76]
	v_add_co_ci_u32_e64 v72, null, s5, v72, vcc_lo
	v_add_co_u32 v73, vcc_lo, s4, v73
	v_ashrrev_i32_e32 v88, 31, v87
	v_add_nc_u32_e32 v89, s15, v87
	v_add_co_ci_u32_e64 v74, null, s5, v74, vcc_lo
	v_add_co_u32 v75, vcc_lo, s4, v77
	v_lshlrev_b64 v[85:86], 3, v[79:80]
	v_add_co_ci_u32_e64 v76, null, s5, v78, vcc_lo
	v_add_co_u32 v77, vcc_lo, s4, v81
	v_add_co_ci_u32_e64 v78, null, s5, v82, vcc_lo
	v_lshlrev_b64 v[81:82], 3, v[87:88]
	v_ashrrev_i32_e32 v90, 31, v89
	s_waitcnt vmcnt(21)
	buffer_store_dword v96, off, s[0:3], 0 offset:4
	buffer_store_dword v95, off, s[0:3], 0
	global_load_dwordx2 v[95:96], v[31:32], off
	v_add_nc_u32_e32 v87, s15, v89
	v_add_co_u32 v79, vcc_lo, s4, v85
	v_add_co_ci_u32_e64 v80, null, s5, v86, vcc_lo
	v_lshlrev_b64 v[85:86], 3, v[89:90]
	v_add_nc_u32_e32 v89, s15, v87
	v_ashrrev_i32_e32 v88, 31, v87
	v_add_co_u32 v81, vcc_lo, s4, v81
	v_add_co_ci_u32_e64 v82, null, s5, v82, vcc_lo
	s_waitcnt vmcnt(20)
	buffer_store_dword v99, off, s[0:3], 0 offset:12
	buffer_store_dword v98, off, s[0:3], 0 offset:8
	global_load_dwordx2 v[98:99], v[35:36], off
	buffer_store_dword v101, off, s[0:3], 0 offset:20
	buffer_store_dword v100, off, s[0:3], 0 offset:16
	global_load_dwordx2 v[100:101], v[39:40], off
	v_ashrrev_i32_e32 v90, 31, v89
	v_lshlrev_b64 v[87:88], 3, v[87:88]
	v_add_nc_u32_e32 v91, s15, v89
	v_add_co_u32 v85, vcc_lo, s4, v85
	v_lshlrev_b64 v[89:90], 3, v[89:90]
	v_add_co_ci_u32_e64 v86, null, s5, v86, vcc_lo
	v_add_co_u32 v87, vcc_lo, s4, v87
	s_waitcnt vmcnt(21)
	buffer_store_dword v103, off, s[0:3], 0 offset:28
	buffer_store_dword v102, off, s[0:3], 0 offset:24
	s_waitcnt vmcnt(20)
	buffer_store_dword v105, off, s[0:3], 0 offset:36
	buffer_store_dword v104, off, s[0:3], 0 offset:32
	;; [unrolled: 3-line block ×4, first 2 shown]
	v_add_co_ci_u32_e64 v88, null, s5, v88, vcc_lo
	v_add_co_u32 v89, vcc_lo, s4, v89
	s_clause 0x3
	global_load_dwordx2 v[102:103], v[43:44], off
	global_load_dwordx2 v[104:105], v[45:46], off
	;; [unrolled: 1-line block ×4, first 2 shown]
	buffer_store_dword v111, off, s[0:3], 0 offset:60
	buffer_store_dword v110, off, s[0:3], 0 offset:56
	s_waitcnt vmcnt(20)
	buffer_store_dword v113, off, s[0:3], 0 offset:68
	buffer_store_dword v112, off, s[0:3], 0 offset:64
	s_waitcnt vmcnt(15)
	;; [unrolled: 3-line block ×3, first 2 shown]
	buffer_store_dword v116, off, s[0:3], 0 offset:80
	buffer_store_dword v117, off, s[0:3], 0 offset:84
	s_clause 0x3
	global_load_dwordx2 v[110:111], v[55:56], off
	global_load_dwordx2 v[112:113], v[59:60], off
	;; [unrolled: 1-line block ×4, first 2 shown]
	buffer_store_dword v118, off, s[0:3], 0 offset:88
	buffer_store_dword v119, off, s[0:3], 0 offset:92
	;; [unrolled: 1-line block ×8, first 2 shown]
	v_add_co_ci_u32_e64 v90, null, s5, v90, vcc_lo
	s_clause 0x3
	global_load_dwordx2 v[118:119], v[65:66], off
	global_load_dwordx2 v[120:121], v[67:68], off
	;; [unrolled: 1-line block ×4, first 2 shown]
	s_waitcnt vmcnt(21)
	buffer_store_dword v126, off, s[0:3], 0 offset:120
	buffer_store_dword v127, off, s[0:3], 0 offset:124
	s_waitcnt vmcnt(20)
	buffer_store_dword v128, off, s[0:3], 0 offset:128
	buffer_store_dword v129, off, s[0:3], 0 offset:132
	s_waitcnt vmcnt(19)
	buffer_store_dword v130, off, s[0:3], 0 offset:136
	buffer_store_dword v131, off, s[0:3], 0 offset:140
	s_waitcnt vmcnt(18)
	buffer_store_dword v132, off, s[0:3], 0 offset:144
	buffer_store_dword v133, off, s[0:3], 0 offset:148
	s_clause 0x3
	global_load_dwordx2 v[126:127], v[73:74], off
	global_load_dwordx2 v[128:129], v[75:76], off
	;; [unrolled: 1-line block ×4, first 2 shown]
	s_waitcnt vmcnt(21)
	buffer_store_dword v135, off, s[0:3], 0 offset:156
	buffer_store_dword v134, off, s[0:3], 0 offset:152
	global_load_dwordx2 v[134:135], v[81:82], off
	v_add_nc_u32_e32 v93, s15, v91
	v_ashrrev_i32_e32 v92, 31, v91
	s_waitcnt vmcnt(21)
	buffer_store_dword v137, off, s[0:3], 0 offset:164
	buffer_store_dword v136, off, s[0:3], 0 offset:160
	s_waitcnt vmcnt(20)
	buffer_store_dword v138, off, s[0:3], 0 offset:168
	buffer_store_dword v139, off, s[0:3], 0 offset:172
	;; [unrolled: 3-line block ×3, first 2 shown]
	s_clause 0x2
	global_load_dwordx2 v[95:96], v[85:86], off
	global_load_dwordx2 v[136:137], v[87:88], off
	;; [unrolled: 1-line block ×3, first 2 shown]
	v_ashrrev_i32_e32 v94, 31, v93
	v_lshlrev_b64 v[91:92], 3, v[91:92]
	s_waitcnt vmcnt(21)
	buffer_store_dword v98, off, s[0:3], 0 offset:184
	buffer_store_dword v99, off, s[0:3], 0 offset:188
	v_lshlrev_b64 v[93:94], 3, v[93:94]
	v_add_co_u32 v91, vcc_lo, s4, v91
	v_add_co_ci_u32_e64 v92, null, s5, v92, vcc_lo
	v_add_co_u32 v93, vcc_lo, s4, v93
	v_add_co_ci_u32_e64 v94, null, s5, v94, vcc_lo
	global_load_dwordx2 v[98:99], v[91:92], off
	s_waitcnt vmcnt(21)
	buffer_store_dword v100, off, s[0:3], 0 offset:192
	buffer_store_dword v101, off, s[0:3], 0 offset:196
	s_mov_b32 s5, -1
	global_load_dwordx2 v[100:101], v[93:94], off
	s_waitcnt vmcnt(21)
	buffer_store_dword v103, off, s[0:3], 0 offset:204
	buffer_store_dword v102, off, s[0:3], 0 offset:200
	s_waitcnt vmcnt(20)
	buffer_store_dword v105, off, s[0:3], 0 offset:212
	buffer_store_dword v104, off, s[0:3], 0 offset:208
	;; [unrolled: 3-line block ×22, first 2 shown]
	s_cbranch_scc1 .LBB46_196
; %bb.4:
	v_cmp_eq_u32_e64 s4, 0, v0
	s_and_saveexec_b32 s5, s4
; %bb.5:
	v_mov_b32_e32 v95, 0
	ds_write_b32 v95, v95 offset:376
; %bb.6:
	s_or_b32 exec_lo, exec_lo, s5
	v_lshl_add_u32 v95, v0, 3, 0
	s_waitcnt lgkmcnt(0)
	s_waitcnt_vscnt null, 0x0
	s_barrier
	buffer_gl0_inv
	s_mov_b32 s8, exec_lo
	s_clause 0x1
	buffer_load_dword v98, v95, s[0:3], 0 offen
	buffer_load_dword v99, v95, s[0:3], 0 offen offset:4
	s_waitcnt vmcnt(0)
	v_cmpx_eq_f64_e32 0, v[98:99]
	s_cbranch_execz .LBB46_10
; %bb.7:
	v_mov_b32_e32 v96, 0
	s_mov_b32 s9, 0
	ds_read_b32 v98, v96 offset:376
	s_waitcnt lgkmcnt(0)
	v_readfirstlane_b32 s5, v98
	v_add_nc_u32_e32 v98, 1, v0
	s_cmp_eq_u32 s5, 0
	v_cmp_gt_i32_e32 vcc_lo, s5, v98
	s_cselect_b32 s12, -1, 0
	s_or_b32 s12, s12, vcc_lo
	s_and_b32 exec_lo, exec_lo, s12
	s_cbranch_execz .LBB46_10
; %bb.8:
	v_mov_b32_e32 v99, s5
.LBB46_9:                               ; =>This Inner Loop Header: Depth=1
	ds_cmpst_rtn_b32 v99, v96, v99, v98 offset:376
	s_waitcnt lgkmcnt(0)
	v_cmp_ne_u32_e32 vcc_lo, 0, v99
	v_cmp_le_i32_e64 s5, v99, v98
	s_and_b32 s5, vcc_lo, s5
	s_and_b32 s5, exec_lo, s5
	s_or_b32 s9, s5, s9
	s_andn2_b32 exec_lo, exec_lo, s9
	s_cbranch_execnz .LBB46_9
.LBB46_10:
	s_or_b32 exec_lo, exec_lo, s8
	v_mov_b32_e32 v96, 0
	s_barrier
	buffer_gl0_inv
	ds_read_b32 v98, v96 offset:376
	s_and_saveexec_b32 s5, s4
	s_cbranch_execz .LBB46_12
; %bb.11:
	s_lshl_b64 s[8:9], s[6:7], 2
	s_add_u32 s8, s10, s8
	s_addc_u32 s9, s11, s9
	s_waitcnt lgkmcnt(0)
	global_store_dword v96, v98, s[8:9]
.LBB46_12:
	s_or_b32 exec_lo, exec_lo, s5
	s_waitcnt lgkmcnt(0)
	v_cmp_ne_u32_e32 vcc_lo, 0, v98
	s_mov_b32 s5, 0
	s_cbranch_vccnz .LBB46_196
; %bb.13:
	s_clause 0x1
	buffer_load_dword v98, v95, s[0:3], 0 offen
	buffer_load_dword v99, v95, s[0:3], 0 offen offset:4
	s_waitcnt vmcnt(0)
	v_div_scale_f64 v[100:101], null, v[98:99], v[98:99], 1.0
	v_div_scale_f64 v[106:107], vcc_lo, 1.0, v[98:99], 1.0
	v_rcp_f64_e32 v[102:103], v[100:101]
	v_fma_f64 v[104:105], -v[100:101], v[102:103], 1.0
	v_fma_f64 v[102:103], v[102:103], v[104:105], v[102:103]
	v_fma_f64 v[104:105], -v[100:101], v[102:103], 1.0
	v_fma_f64 v[102:103], v[102:103], v[104:105], v[102:103]
	v_mul_f64 v[104:105], v[106:107], v[102:103]
	v_fma_f64 v[100:101], -v[100:101], v[104:105], v[106:107]
	v_div_fmas_f64 v[100:101], v[100:101], v[102:103], v[104:105]
	v_div_fixup_f64 v[99:100], v[100:101], v[98:99], 1.0
	v_add_nc_u32_e32 v98, 0x180, v97
	buffer_store_dword v100, v95, s[0:3], 0 offen offset:4
	buffer_store_dword v99, v95, s[0:3], 0 offen
	s_clause 0x1
	buffer_load_dword v102, off, s[0:3], 0 offset:12
	buffer_load_dword v101, off, s[0:3], 0 offset:8
	v_xor_b32_e32 v100, 0x80000000, v100
	s_waitcnt vmcnt(0)
	ds_write2_b64 v97, v[99:100], v[101:102] offset1:48
	s_waitcnt lgkmcnt(0)
	s_waitcnt_vscnt null, 0x0
	s_barrier
	buffer_gl0_inv
	s_and_saveexec_b32 s5, s4
	s_cbranch_execz .LBB46_15
; %bb.14:
	s_clause 0x1
	buffer_load_dword v99, v95, s[0:3], 0 offen
	buffer_load_dword v100, v95, s[0:3], 0 offen offset:4
	ds_read_b64 v[101:102], v98
	v_mov_b32_e32 v96, 0
	ds_read_b64 v[103:104], v96 offset:8
	s_waitcnt vmcnt(0) lgkmcnt(1)
	v_fma_f64 v[99:100], v[99:100], v[101:102], 0
	s_waitcnt lgkmcnt(0)
	v_mul_f64 v[99:100], v[99:100], v[103:104]
	buffer_store_dword v99, off, s[0:3], 0 offset:8
	buffer_store_dword v100, off, s[0:3], 0 offset:12
.LBB46_15:
	s_or_b32 exec_lo, exec_lo, s5
	s_waitcnt_vscnt null, 0x0
	s_barrier
	buffer_gl0_inv
	s_clause 0x1
	buffer_load_dword v99, off, s[0:3], 0 offset:16
	buffer_load_dword v100, off, s[0:3], 0 offset:20
	s_mov_b32 s5, exec_lo
	s_waitcnt vmcnt(0)
	ds_write_b64 v98, v[99:100]
	s_waitcnt lgkmcnt(0)
	s_barrier
	buffer_gl0_inv
	v_cmpx_gt_u32_e32 2, v0
	s_cbranch_execz .LBB46_19
; %bb.16:
	s_clause 0x1
	buffer_load_dword v99, v95, s[0:3], 0 offen
	buffer_load_dword v100, v95, s[0:3], 0 offen offset:4
	ds_read_b64 v[95:96], v98
	s_waitcnt vmcnt(0) lgkmcnt(0)
	v_fma_f64 v[95:96], v[99:100], v[95:96], 0
	s_and_saveexec_b32 s8, s4
	s_cbranch_execz .LBB46_18
; %bb.17:
	s_clause 0x1
	buffer_load_dword v99, off, s[0:3], 0 offset:8
	buffer_load_dword v100, off, s[0:3], 0 offset:12
	v_mov_b32_e32 v101, 0
	ds_read_b64 v[101:102], v101 offset:392
	s_waitcnt vmcnt(0) lgkmcnt(0)
	v_fma_f64 v[95:96], v[99:100], v[101:102], v[95:96]
.LBB46_18:
	s_or_b32 exec_lo, exec_lo, s8
	v_mov_b32_e32 v99, 0
	ds_read_b64 v[99:100], v99 offset:16
	s_waitcnt lgkmcnt(0)
	v_mul_f64 v[95:96], v[95:96], v[99:100]
	buffer_store_dword v96, off, s[0:3], 0 offset:20
	buffer_store_dword v95, off, s[0:3], 0 offset:16
.LBB46_19:
	s_or_b32 exec_lo, exec_lo, s5
	s_waitcnt_vscnt null, 0x0
	s_barrier
	buffer_gl0_inv
	s_clause 0x1
	buffer_load_dword v95, off, s[0:3], 0 offset:24
	buffer_load_dword v96, off, s[0:3], 0 offset:28
	v_add_nc_u32_e32 v99, -1, v0
	s_mov_b32 s4, exec_lo
	s_waitcnt vmcnt(0)
	ds_write_b64 v98, v[95:96]
	s_waitcnt lgkmcnt(0)
	s_barrier
	buffer_gl0_inv
	v_cmpx_gt_u32_e32 3, v0
	s_cbranch_execz .LBB46_23
; %bb.20:
	v_mov_b32_e32 v95, 0
	v_add_nc_u32_e32 v100, -1, v0
	v_add_nc_u32_e32 v101, 0x180, v97
	v_mov_b32_e32 v96, 0
	v_mov_b32_e32 v102, v97
	s_mov_b32 s5, 0
.LBB46_21:                              ; =>This Inner Loop Header: Depth=1
	s_clause 0x1
	buffer_load_dword v103, v102, s[0:3], 0 offen
	buffer_load_dword v104, v102, s[0:3], 0 offen offset:4
	ds_read_b64 v[105:106], v101
	v_add_nc_u32_e32 v100, 1, v100
	v_add_nc_u32_e32 v101, 8, v101
	v_add_nc_u32_e32 v102, 8, v102
	v_cmp_lt_u32_e32 vcc_lo, 1, v100
	s_or_b32 s5, vcc_lo, s5
	s_waitcnt vmcnt(0) lgkmcnt(0)
	v_fma_f64 v[95:96], v[103:104], v[105:106], v[95:96]
	s_andn2_b32 exec_lo, exec_lo, s5
	s_cbranch_execnz .LBB46_21
; %bb.22:
	s_or_b32 exec_lo, exec_lo, s5
	v_mov_b32_e32 v100, 0
	ds_read_b64 v[100:101], v100 offset:24
	s_waitcnt lgkmcnt(0)
	v_mul_f64 v[95:96], v[95:96], v[100:101]
	buffer_store_dword v96, off, s[0:3], 0 offset:28
	buffer_store_dword v95, off, s[0:3], 0 offset:24
.LBB46_23:
	s_or_b32 exec_lo, exec_lo, s4
	s_waitcnt_vscnt null, 0x0
	s_barrier
	buffer_gl0_inv
	s_clause 0x1
	buffer_load_dword v95, off, s[0:3], 0 offset:32
	buffer_load_dword v96, off, s[0:3], 0 offset:36
	s_mov_b32 s4, exec_lo
	s_waitcnt vmcnt(0)
	ds_write_b64 v98, v[95:96]
	s_waitcnt lgkmcnt(0)
	s_barrier
	buffer_gl0_inv
	v_cmpx_gt_u32_e32 4, v0
	s_cbranch_execz .LBB46_27
; %bb.24:
	v_mov_b32_e32 v95, 0
	v_add_nc_u32_e32 v100, -1, v0
	v_add_nc_u32_e32 v101, 0x180, v97
	v_mov_b32_e32 v96, 0
	v_mov_b32_e32 v102, v97
	s_mov_b32 s5, 0
.LBB46_25:                              ; =>This Inner Loop Header: Depth=1
	s_clause 0x1
	buffer_load_dword v103, v102, s[0:3], 0 offen
	buffer_load_dword v104, v102, s[0:3], 0 offen offset:4
	ds_read_b64 v[105:106], v101
	v_add_nc_u32_e32 v100, 1, v100
	v_add_nc_u32_e32 v101, 8, v101
	v_add_nc_u32_e32 v102, 8, v102
	v_cmp_lt_u32_e32 vcc_lo, 2, v100
	s_or_b32 s5, vcc_lo, s5
	s_waitcnt vmcnt(0) lgkmcnt(0)
	v_fma_f64 v[95:96], v[103:104], v[105:106], v[95:96]
	s_andn2_b32 exec_lo, exec_lo, s5
	s_cbranch_execnz .LBB46_25
; %bb.26:
	s_or_b32 exec_lo, exec_lo, s5
	v_mov_b32_e32 v100, 0
	ds_read_b64 v[100:101], v100 offset:32
	s_waitcnt lgkmcnt(0)
	v_mul_f64 v[95:96], v[95:96], v[100:101]
	buffer_store_dword v96, off, s[0:3], 0 offset:36
	buffer_store_dword v95, off, s[0:3], 0 offset:32
.LBB46_27:
	s_or_b32 exec_lo, exec_lo, s4
	s_waitcnt_vscnt null, 0x0
	s_barrier
	buffer_gl0_inv
	s_clause 0x1
	buffer_load_dword v95, off, s[0:3], 0 offset:40
	buffer_load_dword v96, off, s[0:3], 0 offset:44
	;; [unrolled: 45-line block ×20, first 2 shown]
	s_mov_b32 s4, exec_lo
	s_waitcnt vmcnt(0)
	ds_write_b64 v98, v[95:96]
	s_waitcnt lgkmcnt(0)
	s_barrier
	buffer_gl0_inv
	v_cmpx_gt_u32_e32 23, v0
	s_cbranch_execz .LBB46_103
; %bb.100:
	v_mov_b32_e32 v95, 0
	v_add_nc_u32_e32 v100, -1, v0
	v_add_nc_u32_e32 v101, 0x180, v97
	v_mov_b32_e32 v96, 0
	v_mov_b32_e32 v102, v97
	s_mov_b32 s5, 0
.LBB46_101:                             ; =>This Inner Loop Header: Depth=1
	s_clause 0x1
	buffer_load_dword v103, v102, s[0:3], 0 offen
	buffer_load_dword v104, v102, s[0:3], 0 offen offset:4
	ds_read_b64 v[105:106], v101
	v_add_nc_u32_e32 v100, 1, v100
	v_add_nc_u32_e32 v101, 8, v101
	v_add_nc_u32_e32 v102, 8, v102
	v_cmp_lt_u32_e32 vcc_lo, 21, v100
	s_or_b32 s5, vcc_lo, s5
	s_waitcnt vmcnt(0) lgkmcnt(0)
	v_fma_f64 v[95:96], v[103:104], v[105:106], v[95:96]
	s_andn2_b32 exec_lo, exec_lo, s5
	s_cbranch_execnz .LBB46_101
; %bb.102:
	s_or_b32 exec_lo, exec_lo, s5
	v_mov_b32_e32 v100, 0
	ds_read_b64 v[100:101], v100 offset:184
	s_waitcnt lgkmcnt(0)
	v_mul_f64 v[95:96], v[95:96], v[100:101]
	buffer_store_dword v96, off, s[0:3], 0 offset:188
	buffer_store_dword v95, off, s[0:3], 0 offset:184
.LBB46_103:
	s_or_b32 exec_lo, exec_lo, s4
	s_waitcnt_vscnt null, 0x0
	s_barrier
	buffer_gl0_inv
	s_clause 0x1
	buffer_load_dword v95, off, s[0:3], 0 offset:192
	buffer_load_dword v96, off, s[0:3], 0 offset:196
	s_mov_b32 s4, exec_lo
	s_waitcnt vmcnt(0)
	ds_write_b64 v98, v[95:96]
	s_waitcnt lgkmcnt(0)
	s_barrier
	buffer_gl0_inv
	v_cmpx_gt_u32_e32 24, v0
	s_cbranch_execz .LBB46_107
; %bb.104:
	v_mov_b32_e32 v95, 0
	v_add_nc_u32_e32 v100, -1, v0
	v_add_nc_u32_e32 v101, 0x180, v97
	v_mov_b32_e32 v96, 0
	v_mov_b32_e32 v102, v97
	s_mov_b32 s5, 0
.LBB46_105:                             ; =>This Inner Loop Header: Depth=1
	s_clause 0x1
	buffer_load_dword v103, v102, s[0:3], 0 offen
	buffer_load_dword v104, v102, s[0:3], 0 offen offset:4
	ds_read_b64 v[105:106], v101
	v_add_nc_u32_e32 v100, 1, v100
	v_add_nc_u32_e32 v101, 8, v101
	v_add_nc_u32_e32 v102, 8, v102
	v_cmp_lt_u32_e32 vcc_lo, 22, v100
	s_or_b32 s5, vcc_lo, s5
	s_waitcnt vmcnt(0) lgkmcnt(0)
	v_fma_f64 v[95:96], v[103:104], v[105:106], v[95:96]
	s_andn2_b32 exec_lo, exec_lo, s5
	s_cbranch_execnz .LBB46_105
; %bb.106:
	s_or_b32 exec_lo, exec_lo, s5
	v_mov_b32_e32 v100, 0
	ds_read_b64 v[100:101], v100 offset:192
	s_waitcnt lgkmcnt(0)
	v_mul_f64 v[95:96], v[95:96], v[100:101]
	buffer_store_dword v96, off, s[0:3], 0 offset:196
	buffer_store_dword v95, off, s[0:3], 0 offset:192
.LBB46_107:
	s_or_b32 exec_lo, exec_lo, s4
	s_waitcnt_vscnt null, 0x0
	s_barrier
	buffer_gl0_inv
	s_clause 0x1
	buffer_load_dword v95, off, s[0:3], 0 offset:200
	buffer_load_dword v96, off, s[0:3], 0 offset:204
	;; [unrolled: 45-line block ×23, first 2 shown]
	s_mov_b32 s4, exec_lo
	s_waitcnt vmcnt(0)
	ds_write_b64 v98, v[95:96]
	s_waitcnt lgkmcnt(0)
	s_barrier
	buffer_gl0_inv
	v_cmpx_ne_u32_e32 46, v0
	s_cbranch_execz .LBB46_195
; %bb.192:
	v_mov_b32_e32 v95, 0
	v_mov_b32_e32 v96, 0
	s_mov_b32 s5, 0
.LBB46_193:                             ; =>This Inner Loop Header: Depth=1
	s_clause 0x1
	buffer_load_dword v100, v97, s[0:3], 0 offen
	buffer_load_dword v101, v97, s[0:3], 0 offen offset:4
	ds_read_b64 v[102:103], v98
	v_add_nc_u32_e32 v99, 1, v99
	v_add_nc_u32_e32 v98, 8, v98
	;; [unrolled: 1-line block ×3, first 2 shown]
	v_cmp_lt_u32_e32 vcc_lo, 44, v99
	s_or_b32 s5, vcc_lo, s5
	s_waitcnt vmcnt(0) lgkmcnt(0)
	v_fma_f64 v[95:96], v[100:101], v[102:103], v[95:96]
	s_andn2_b32 exec_lo, exec_lo, s5
	s_cbranch_execnz .LBB46_193
; %bb.194:
	s_or_b32 exec_lo, exec_lo, s5
	v_mov_b32_e32 v97, 0
	ds_read_b64 v[97:98], v97 offset:368
	s_waitcnt lgkmcnt(0)
	v_mul_f64 v[95:96], v[95:96], v[97:98]
	buffer_store_dword v96, off, s[0:3], 0 offset:372
	buffer_store_dword v95, off, s[0:3], 0 offset:368
.LBB46_195:
	s_or_b32 exec_lo, exec_lo, s4
	s_mov_b32 s5, -1
	s_waitcnt_vscnt null, 0x0
	s_barrier
	buffer_gl0_inv
.LBB46_196:
	s_and_b32 vcc_lo, exec_lo, s5
	s_cbranch_vccz .LBB46_198
; %bb.197:
	s_lshl_b64 s[4:5], s[6:7], 2
	v_mov_b32_e32 v95, 0
	s_add_u32 s4, s10, s4
	s_addc_u32 s5, s11, s5
	global_load_dword v95, v95, s[4:5]
	s_waitcnt vmcnt(0)
	v_cmp_ne_u32_e32 vcc_lo, 0, v95
	s_cbranch_vccz .LBB46_199
.LBB46_198:
	s_endpgm
.LBB46_199:
	v_lshl_add_u32 v95, v0, 3, 0x180
	s_mov_b32 s4, exec_lo
	v_cmpx_eq_u32_e32 46, v0
	s_cbranch_execz .LBB46_201
; %bb.200:
	s_clause 0x1
	buffer_load_dword v96, off, s[0:3], 0 offset:360
	buffer_load_dword v97, off, s[0:3], 0 offset:364
	v_mov_b32_e32 v98, 0
	buffer_store_dword v98, off, s[0:3], 0 offset:360
	buffer_store_dword v98, off, s[0:3], 0 offset:364
	s_waitcnt vmcnt(0)
	ds_write_b64 v95, v[96:97]
.LBB46_201:
	s_or_b32 exec_lo, exec_lo, s4
	s_waitcnt lgkmcnt(0)
	s_waitcnt_vscnt null, 0x0
	s_barrier
	buffer_gl0_inv
	s_clause 0x3
	buffer_load_dword v97, off, s[0:3], 0 offset:368
	buffer_load_dword v98, off, s[0:3], 0 offset:372
	;; [unrolled: 1-line block ×4, first 2 shown]
	v_mov_b32_e32 v96, 0
	s_mov_b32 s4, exec_lo
	ds_read_b64 v[101:102], v96 offset:752
	s_waitcnt vmcnt(2) lgkmcnt(0)
	v_fma_f64 v[97:98], v[97:98], v[101:102], 0
	s_waitcnt vmcnt(0)
	v_add_f64 v[97:98], v[99:100], -v[97:98]
	buffer_store_dword v97, off, s[0:3], 0 offset:360
	buffer_store_dword v98, off, s[0:3], 0 offset:364
	v_cmpx_lt_u32_e32 44, v0
	s_cbranch_execz .LBB46_203
; %bb.202:
	s_clause 0x1
	buffer_load_dword v97, off, s[0:3], 0 offset:352
	buffer_load_dword v98, off, s[0:3], 0 offset:356
	buffer_store_dword v96, off, s[0:3], 0 offset:352
	buffer_store_dword v96, off, s[0:3], 0 offset:356
	s_waitcnt vmcnt(0)
	ds_write_b64 v95, v[97:98]
.LBB46_203:
	s_or_b32 exec_lo, exec_lo, s4
	s_waitcnt lgkmcnt(0)
	s_waitcnt_vscnt null, 0x0
	s_barrier
	buffer_gl0_inv
	s_clause 0x5
	buffer_load_dword v100, off, s[0:3], 0 offset:360
	buffer_load_dword v101, off, s[0:3], 0 offset:364
	;; [unrolled: 1-line block ×6, first 2 shown]
	ds_read2_b64 v[96:99], v96 offset0:93 offset1:94
	s_mov_b32 s4, exec_lo
	s_waitcnt vmcnt(4) lgkmcnt(0)
	v_fma_f64 v[96:97], v[100:101], v[96:97], 0
	s_waitcnt vmcnt(2)
	v_fma_f64 v[96:97], v[102:103], v[98:99], v[96:97]
	s_waitcnt vmcnt(0)
	v_add_f64 v[96:97], v[104:105], -v[96:97]
	buffer_store_dword v96, off, s[0:3], 0 offset:352
	buffer_store_dword v97, off, s[0:3], 0 offset:356
	v_cmpx_lt_u32_e32 43, v0
	s_cbranch_execz .LBB46_205
; %bb.204:
	s_clause 0x1
	buffer_load_dword v96, off, s[0:3], 0 offset:344
	buffer_load_dword v97, off, s[0:3], 0 offset:348
	v_mov_b32_e32 v98, 0
	buffer_store_dword v98, off, s[0:3], 0 offset:344
	buffer_store_dword v98, off, s[0:3], 0 offset:348
	s_waitcnt vmcnt(0)
	ds_write_b64 v95, v[96:97]
.LBB46_205:
	s_or_b32 exec_lo, exec_lo, s4
	s_waitcnt lgkmcnt(0)
	s_waitcnt_vscnt null, 0x0
	s_barrier
	buffer_gl0_inv
	s_clause 0x7
	buffer_load_dword v101, off, s[0:3], 0 offset:352
	buffer_load_dword v102, off, s[0:3], 0 offset:356
	;; [unrolled: 1-line block ×8, first 2 shown]
	v_mov_b32_e32 v96, 0
	ds_read_b128 v[97:100], v96 offset:736
	ds_read_b64 v[109:110], v96 offset:752
	s_mov_b32 s4, exec_lo
	s_waitcnt vmcnt(6) lgkmcnt(1)
	v_fma_f64 v[97:98], v[101:102], v[97:98], 0
	s_waitcnt vmcnt(4)
	v_fma_f64 v[97:98], v[103:104], v[99:100], v[97:98]
	s_waitcnt vmcnt(2) lgkmcnt(0)
	v_fma_f64 v[97:98], v[105:106], v[109:110], v[97:98]
	s_waitcnt vmcnt(0)
	v_add_f64 v[97:98], v[107:108], -v[97:98]
	buffer_store_dword v97, off, s[0:3], 0 offset:344
	buffer_store_dword v98, off, s[0:3], 0 offset:348
	v_cmpx_lt_u32_e32 42, v0
	s_cbranch_execz .LBB46_207
; %bb.206:
	s_clause 0x1
	buffer_load_dword v97, off, s[0:3], 0 offset:336
	buffer_load_dword v98, off, s[0:3], 0 offset:340
	buffer_store_dword v96, off, s[0:3], 0 offset:336
	buffer_store_dword v96, off, s[0:3], 0 offset:340
	s_waitcnt vmcnt(0)
	ds_write_b64 v95, v[97:98]
.LBB46_207:
	s_or_b32 exec_lo, exec_lo, s4
	s_waitcnt lgkmcnt(0)
	s_waitcnt_vscnt null, 0x0
	s_barrier
	buffer_gl0_inv
	s_clause 0x9
	buffer_load_dword v105, off, s[0:3], 0 offset:344
	buffer_load_dword v106, off, s[0:3], 0 offset:348
	;; [unrolled: 1-line block ×10, first 2 shown]
	ds_read2_b64 v[97:100], v96 offset0:91 offset1:92
	ds_read2_b64 v[101:104], v96 offset0:93 offset1:94
	s_mov_b32 s4, exec_lo
	s_waitcnt vmcnt(8) lgkmcnt(1)
	v_fma_f64 v[96:97], v[105:106], v[97:98], 0
	s_waitcnt vmcnt(6)
	v_fma_f64 v[96:97], v[107:108], v[99:100], v[96:97]
	s_waitcnt vmcnt(4) lgkmcnt(0)
	v_fma_f64 v[96:97], v[109:110], v[101:102], v[96:97]
	s_waitcnt vmcnt(2)
	v_fma_f64 v[96:97], v[111:112], v[103:104], v[96:97]
	s_waitcnt vmcnt(0)
	v_add_f64 v[96:97], v[113:114], -v[96:97]
	buffer_store_dword v96, off, s[0:3], 0 offset:336
	buffer_store_dword v97, off, s[0:3], 0 offset:340
	v_cmpx_lt_u32_e32 41, v0
	s_cbranch_execz .LBB46_209
; %bb.208:
	s_clause 0x1
	buffer_load_dword v96, off, s[0:3], 0 offset:328
	buffer_load_dword v97, off, s[0:3], 0 offset:332
	v_mov_b32_e32 v98, 0
	buffer_store_dword v98, off, s[0:3], 0 offset:328
	buffer_store_dword v98, off, s[0:3], 0 offset:332
	s_waitcnt vmcnt(0)
	ds_write_b64 v95, v[96:97]
.LBB46_209:
	s_or_b32 exec_lo, exec_lo, s4
	s_waitcnt lgkmcnt(0)
	s_waitcnt_vscnt null, 0x0
	s_barrier
	buffer_gl0_inv
	s_clause 0xb
	buffer_load_dword v105, off, s[0:3], 0 offset:336
	buffer_load_dword v106, off, s[0:3], 0 offset:340
	;; [unrolled: 1-line block ×12, first 2 shown]
	v_mov_b32_e32 v96, 0
	ds_read_b128 v[97:100], v96 offset:720
	ds_read_b128 v[101:104], v96 offset:736
	s_mov_b32 s4, exec_lo
	s_waitcnt vmcnt(10) lgkmcnt(1)
	v_fma_f64 v[97:98], v[105:106], v[97:98], 0
	s_waitcnt vmcnt(8)
	v_fma_f64 v[97:98], v[107:108], v[99:100], v[97:98]
	ds_read_b64 v[99:100], v96 offset:752
	s_waitcnt vmcnt(6) lgkmcnt(1)
	v_fma_f64 v[97:98], v[109:110], v[101:102], v[97:98]
	s_waitcnt vmcnt(4)
	v_fma_f64 v[97:98], v[111:112], v[103:104], v[97:98]
	s_waitcnt vmcnt(2) lgkmcnt(0)
	v_fma_f64 v[97:98], v[113:114], v[99:100], v[97:98]
	s_waitcnt vmcnt(0)
	v_add_f64 v[97:98], v[115:116], -v[97:98]
	buffer_store_dword v97, off, s[0:3], 0 offset:328
	buffer_store_dword v98, off, s[0:3], 0 offset:332
	v_cmpx_lt_u32_e32 40, v0
	s_cbranch_execz .LBB46_211
; %bb.210:
	s_clause 0x1
	buffer_load_dword v97, off, s[0:3], 0 offset:320
	buffer_load_dword v98, off, s[0:3], 0 offset:324
	buffer_store_dword v96, off, s[0:3], 0 offset:320
	buffer_store_dword v96, off, s[0:3], 0 offset:324
	s_waitcnt vmcnt(0)
	ds_write_b64 v95, v[97:98]
.LBB46_211:
	s_or_b32 exec_lo, exec_lo, s4
	s_waitcnt lgkmcnt(0)
	s_waitcnt_vscnt null, 0x0
	s_barrier
	buffer_gl0_inv
	s_clause 0xd
	buffer_load_dword v105, off, s[0:3], 0 offset:328
	buffer_load_dword v106, off, s[0:3], 0 offset:332
	;; [unrolled: 1-line block ×14, first 2 shown]
	ds_read2_b64 v[97:100], v96 offset0:89 offset1:90
	ds_read2_b64 v[101:104], v96 offset0:91 offset1:92
	s_mov_b32 s4, exec_lo
	s_waitcnt vmcnt(12) lgkmcnt(1)
	v_fma_f64 v[97:98], v[105:106], v[97:98], 0
	s_waitcnt vmcnt(10)
	v_fma_f64 v[97:98], v[107:108], v[99:100], v[97:98]
	s_waitcnt vmcnt(8) lgkmcnt(0)
	v_fma_f64 v[97:98], v[109:110], v[101:102], v[97:98]
	s_waitcnt vmcnt(6)
	v_fma_f64 v[100:101], v[111:112], v[103:104], v[97:98]
	ds_read2_b64 v[96:99], v96 offset0:93 offset1:94
	s_waitcnt vmcnt(4) lgkmcnt(0)
	v_fma_f64 v[96:97], v[113:114], v[96:97], v[100:101]
	s_waitcnt vmcnt(2)
	v_fma_f64 v[96:97], v[115:116], v[98:99], v[96:97]
	s_waitcnt vmcnt(0)
	v_add_f64 v[96:97], v[117:118], -v[96:97]
	buffer_store_dword v96, off, s[0:3], 0 offset:320
	buffer_store_dword v97, off, s[0:3], 0 offset:324
	v_cmpx_lt_u32_e32 39, v0
	s_cbranch_execz .LBB46_213
; %bb.212:
	s_clause 0x1
	buffer_load_dword v96, off, s[0:3], 0 offset:312
	buffer_load_dword v97, off, s[0:3], 0 offset:316
	v_mov_b32_e32 v98, 0
	buffer_store_dword v98, off, s[0:3], 0 offset:312
	buffer_store_dword v98, off, s[0:3], 0 offset:316
	s_waitcnt vmcnt(0)
	ds_write_b64 v95, v[96:97]
.LBB46_213:
	s_or_b32 exec_lo, exec_lo, s4
	s_waitcnt lgkmcnt(0)
	s_waitcnt_vscnt null, 0x0
	s_barrier
	buffer_gl0_inv
	s_clause 0xf
	buffer_load_dword v105, off, s[0:3], 0 offset:320
	buffer_load_dword v106, off, s[0:3], 0 offset:324
	;; [unrolled: 1-line block ×16, first 2 shown]
	v_mov_b32_e32 v96, 0
	ds_read_b128 v[97:100], v96 offset:704
	ds_read_b128 v[101:104], v96 offset:720
	s_mov_b32 s4, exec_lo
	s_waitcnt vmcnt(14) lgkmcnt(1)
	v_fma_f64 v[97:98], v[105:106], v[97:98], 0
	s_waitcnt vmcnt(12)
	v_fma_f64 v[97:98], v[107:108], v[99:100], v[97:98]
	s_waitcnt vmcnt(10) lgkmcnt(0)
	v_fma_f64 v[97:98], v[109:110], v[101:102], v[97:98]
	s_waitcnt vmcnt(8)
	v_fma_f64 v[101:102], v[111:112], v[103:104], v[97:98]
	ds_read_b128 v[97:100], v96 offset:736
	ds_read_b64 v[103:104], v96 offset:752
	s_waitcnt vmcnt(6) lgkmcnt(1)
	v_fma_f64 v[97:98], v[113:114], v[97:98], v[101:102]
	s_waitcnt vmcnt(4)
	v_fma_f64 v[97:98], v[115:116], v[99:100], v[97:98]
	s_waitcnt vmcnt(2) lgkmcnt(0)
	v_fma_f64 v[97:98], v[117:118], v[103:104], v[97:98]
	s_waitcnt vmcnt(0)
	v_add_f64 v[97:98], v[119:120], -v[97:98]
	buffer_store_dword v97, off, s[0:3], 0 offset:312
	buffer_store_dword v98, off, s[0:3], 0 offset:316
	v_cmpx_lt_u32_e32 38, v0
	s_cbranch_execz .LBB46_215
; %bb.214:
	s_clause 0x1
	buffer_load_dword v97, off, s[0:3], 0 offset:304
	buffer_load_dword v98, off, s[0:3], 0 offset:308
	buffer_store_dword v96, off, s[0:3], 0 offset:304
	buffer_store_dword v96, off, s[0:3], 0 offset:308
	s_waitcnt vmcnt(0)
	ds_write_b64 v95, v[97:98]
.LBB46_215:
	s_or_b32 exec_lo, exec_lo, s4
	s_waitcnt lgkmcnt(0)
	s_waitcnt_vscnt null, 0x0
	s_barrier
	buffer_gl0_inv
	s_clause 0x11
	buffer_load_dword v105, off, s[0:3], 0 offset:312
	buffer_load_dword v106, off, s[0:3], 0 offset:316
	;; [unrolled: 1-line block ×18, first 2 shown]
	ds_read2_b64 v[97:100], v96 offset0:87 offset1:88
	ds_read2_b64 v[101:104], v96 offset0:89 offset1:90
	s_mov_b32 s4, exec_lo
	s_waitcnt vmcnt(16) lgkmcnt(1)
	v_fma_f64 v[97:98], v[105:106], v[97:98], 0
	s_waitcnt vmcnt(14)
	v_fma_f64 v[97:98], v[107:108], v[99:100], v[97:98]
	s_waitcnt vmcnt(12) lgkmcnt(0)
	v_fma_f64 v[97:98], v[109:110], v[101:102], v[97:98]
	s_waitcnt vmcnt(10)
	v_fma_f64 v[105:106], v[111:112], v[103:104], v[97:98]
	ds_read2_b64 v[97:100], v96 offset0:91 offset1:92
	ds_read2_b64 v[101:104], v96 offset0:93 offset1:94
	s_waitcnt vmcnt(8) lgkmcnt(1)
	v_fma_f64 v[96:97], v[113:114], v[97:98], v[105:106]
	s_waitcnt vmcnt(6)
	v_fma_f64 v[96:97], v[115:116], v[99:100], v[96:97]
	s_waitcnt vmcnt(4) lgkmcnt(0)
	v_fma_f64 v[96:97], v[117:118], v[101:102], v[96:97]
	s_waitcnt vmcnt(2)
	v_fma_f64 v[96:97], v[119:120], v[103:104], v[96:97]
	s_waitcnt vmcnt(0)
	v_add_f64 v[96:97], v[121:122], -v[96:97]
	buffer_store_dword v96, off, s[0:3], 0 offset:304
	buffer_store_dword v97, off, s[0:3], 0 offset:308
	v_cmpx_lt_u32_e32 37, v0
	s_cbranch_execz .LBB46_217
; %bb.216:
	s_clause 0x1
	buffer_load_dword v96, off, s[0:3], 0 offset:296
	buffer_load_dword v97, off, s[0:3], 0 offset:300
	v_mov_b32_e32 v98, 0
	buffer_store_dword v98, off, s[0:3], 0 offset:296
	buffer_store_dword v98, off, s[0:3], 0 offset:300
	s_waitcnt vmcnt(0)
	ds_write_b64 v95, v[96:97]
.LBB46_217:
	s_or_b32 exec_lo, exec_lo, s4
	s_waitcnt lgkmcnt(0)
	s_waitcnt_vscnt null, 0x0
	s_barrier
	buffer_gl0_inv
	s_clause 0x13
	buffer_load_dword v105, off, s[0:3], 0 offset:304
	buffer_load_dword v106, off, s[0:3], 0 offset:308
	;; [unrolled: 1-line block ×20, first 2 shown]
	v_mov_b32_e32 v96, 0
	ds_read_b128 v[97:100], v96 offset:688
	ds_read_b128 v[101:104], v96 offset:704
	s_mov_b32 s4, exec_lo
	s_waitcnt vmcnt(18) lgkmcnt(1)
	v_fma_f64 v[97:98], v[105:106], v[97:98], 0
	s_waitcnt vmcnt(16)
	v_fma_f64 v[97:98], v[107:108], v[99:100], v[97:98]
	s_waitcnt vmcnt(14) lgkmcnt(0)
	v_fma_f64 v[97:98], v[109:110], v[101:102], v[97:98]
	s_waitcnt vmcnt(12)
	v_fma_f64 v[105:106], v[111:112], v[103:104], v[97:98]
	ds_read_b128 v[97:100], v96 offset:720
	ds_read_b128 v[101:104], v96 offset:736
	s_waitcnt vmcnt(10) lgkmcnt(1)
	v_fma_f64 v[97:98], v[113:114], v[97:98], v[105:106]
	s_waitcnt vmcnt(8)
	v_fma_f64 v[97:98], v[115:116], v[99:100], v[97:98]
	ds_read_b64 v[99:100], v96 offset:752
	s_waitcnt vmcnt(6) lgkmcnt(1)
	v_fma_f64 v[97:98], v[117:118], v[101:102], v[97:98]
	s_waitcnt vmcnt(3)
	v_fma_f64 v[97:98], v[119:120], v[103:104], v[97:98]
	s_waitcnt vmcnt(2) lgkmcnt(0)
	v_fma_f64 v[97:98], v[121:122], v[99:100], v[97:98]
	s_waitcnt vmcnt(0)
	v_add_f64 v[97:98], v[123:124], -v[97:98]
	buffer_store_dword v97, off, s[0:3], 0 offset:296
	buffer_store_dword v98, off, s[0:3], 0 offset:300
	v_cmpx_lt_u32_e32 36, v0
	s_cbranch_execz .LBB46_219
; %bb.218:
	s_clause 0x1
	buffer_load_dword v97, off, s[0:3], 0 offset:288
	buffer_load_dword v98, off, s[0:3], 0 offset:292
	buffer_store_dword v96, off, s[0:3], 0 offset:288
	buffer_store_dword v96, off, s[0:3], 0 offset:292
	s_waitcnt vmcnt(0)
	ds_write_b64 v95, v[97:98]
.LBB46_219:
	s_or_b32 exec_lo, exec_lo, s4
	s_waitcnt lgkmcnt(0)
	s_waitcnt_vscnt null, 0x0
	s_barrier
	buffer_gl0_inv
	s_clause 0x15
	buffer_load_dword v101, off, s[0:3], 0 offset:296
	buffer_load_dword v102, off, s[0:3], 0 offset:300
	;; [unrolled: 1-line block ×22, first 2 shown]
	ds_read2_b64 v[97:100], v96 offset0:85 offset1:86
	s_mov_b32 s4, exec_lo
	s_waitcnt vmcnt(20) lgkmcnt(0)
	v_fma_f64 v[97:98], v[101:102], v[97:98], 0
	s_waitcnt vmcnt(18)
	v_fma_f64 v[101:102], v[103:104], v[99:100], v[97:98]
	ds_read2_b64 v[97:100], v96 offset0:87 offset1:88
	s_waitcnt vmcnt(16) lgkmcnt(0)
	v_fma_f64 v[97:98], v[105:106], v[97:98], v[101:102]
	s_waitcnt vmcnt(14)
	v_fma_f64 v[101:102], v[107:108], v[99:100], v[97:98]
	ds_read2_b64 v[97:100], v96 offset0:89 offset1:90
	;; [unrolled: 5-line block ×4, first 2 shown]
	s_waitcnt vmcnt(4) lgkmcnt(0)
	v_fma_f64 v[96:97], v[117:118], v[96:97], v[100:101]
	s_waitcnt vmcnt(2)
	v_fma_f64 v[96:97], v[119:120], v[98:99], v[96:97]
	s_waitcnt vmcnt(0)
	v_add_f64 v[96:97], v[121:122], -v[96:97]
	buffer_store_dword v96, off, s[0:3], 0 offset:288
	buffer_store_dword v97, off, s[0:3], 0 offset:292
	v_cmpx_lt_u32_e32 35, v0
	s_cbranch_execz .LBB46_221
; %bb.220:
	s_clause 0x1
	buffer_load_dword v96, off, s[0:3], 0 offset:280
	buffer_load_dword v97, off, s[0:3], 0 offset:284
	v_mov_b32_e32 v98, 0
	buffer_store_dword v98, off, s[0:3], 0 offset:280
	buffer_store_dword v98, off, s[0:3], 0 offset:284
	s_waitcnt vmcnt(0)
	ds_write_b64 v95, v[96:97]
.LBB46_221:
	s_or_b32 exec_lo, exec_lo, s4
	s_waitcnt lgkmcnt(0)
	s_waitcnt_vscnt null, 0x0
	s_barrier
	buffer_gl0_inv
	s_clause 0x17
	buffer_load_dword v101, off, s[0:3], 0 offset:288
	buffer_load_dword v102, off, s[0:3], 0 offset:292
	;; [unrolled: 1-line block ×24, first 2 shown]
	v_mov_b32_e32 v96, 0
	s_mov_b32 s4, exec_lo
	ds_read_b128 v[97:100], v96 offset:672
	s_waitcnt vmcnt(22) lgkmcnt(0)
	v_fma_f64 v[97:98], v[101:102], v[97:98], 0
	s_waitcnt vmcnt(20)
	v_fma_f64 v[101:102], v[103:104], v[99:100], v[97:98]
	ds_read_b128 v[97:100], v96 offset:688
	s_waitcnt vmcnt(18) lgkmcnt(0)
	v_fma_f64 v[97:98], v[105:106], v[97:98], v[101:102]
	s_waitcnt vmcnt(16)
	v_fma_f64 v[101:102], v[107:108], v[99:100], v[97:98]
	;; [unrolled: 5-line block ×5, first 2 shown]
	ds_read_b64 v[99:100], v96 offset:752
	s_waitcnt vmcnt(2) lgkmcnt(0)
	v_fma_f64 v[97:98], v[121:122], v[99:100], v[97:98]
	s_waitcnt vmcnt(0)
	v_add_f64 v[97:98], v[123:124], -v[97:98]
	buffer_store_dword v98, off, s[0:3], 0 offset:284
	buffer_store_dword v97, off, s[0:3], 0 offset:280
	v_cmpx_lt_u32_e32 34, v0
	s_cbranch_execz .LBB46_223
; %bb.222:
	s_clause 0x1
	buffer_load_dword v97, off, s[0:3], 0 offset:272
	buffer_load_dword v98, off, s[0:3], 0 offset:276
	buffer_store_dword v96, off, s[0:3], 0 offset:272
	buffer_store_dword v96, off, s[0:3], 0 offset:276
	s_waitcnt vmcnt(0)
	ds_write_b64 v95, v[97:98]
.LBB46_223:
	s_or_b32 exec_lo, exec_lo, s4
	s_waitcnt lgkmcnt(0)
	s_waitcnt_vscnt null, 0x0
	s_barrier
	buffer_gl0_inv
	s_clause 0x19
	buffer_load_dword v101, off, s[0:3], 0 offset:280
	buffer_load_dword v102, off, s[0:3], 0 offset:284
	;; [unrolled: 1-line block ×26, first 2 shown]
	ds_read2_b64 v[97:100], v96 offset0:83 offset1:84
	s_mov_b32 s4, exec_lo
	s_waitcnt vmcnt(24) lgkmcnt(0)
	v_fma_f64 v[97:98], v[101:102], v[97:98], 0
	s_waitcnt vmcnt(22)
	v_fma_f64 v[101:102], v[103:104], v[99:100], v[97:98]
	ds_read2_b64 v[97:100], v96 offset0:85 offset1:86
	s_waitcnt vmcnt(20) lgkmcnt(0)
	v_fma_f64 v[97:98], v[105:106], v[97:98], v[101:102]
	s_waitcnt vmcnt(18)
	v_fma_f64 v[101:102], v[107:108], v[99:100], v[97:98]
	ds_read2_b64 v[97:100], v96 offset0:87 offset1:88
	;; [unrolled: 5-line block ×5, first 2 shown]
	s_waitcnt vmcnt(4) lgkmcnt(0)
	v_fma_f64 v[96:97], v[121:122], v[96:97], v[100:101]
	s_waitcnt vmcnt(2)
	v_fma_f64 v[96:97], v[123:124], v[98:99], v[96:97]
	s_waitcnt vmcnt(0)
	v_add_f64 v[96:97], v[125:126], -v[96:97]
	buffer_store_dword v97, off, s[0:3], 0 offset:276
	buffer_store_dword v96, off, s[0:3], 0 offset:272
	v_cmpx_lt_u32_e32 33, v0
	s_cbranch_execz .LBB46_225
; %bb.224:
	s_clause 0x1
	buffer_load_dword v96, off, s[0:3], 0 offset:264
	buffer_load_dword v97, off, s[0:3], 0 offset:268
	v_mov_b32_e32 v98, 0
	buffer_store_dword v98, off, s[0:3], 0 offset:264
	buffer_store_dword v98, off, s[0:3], 0 offset:268
	s_waitcnt vmcnt(0)
	ds_write_b64 v95, v[96:97]
.LBB46_225:
	s_or_b32 exec_lo, exec_lo, s4
	s_waitcnt lgkmcnt(0)
	s_waitcnt_vscnt null, 0x0
	s_barrier
	buffer_gl0_inv
	s_clause 0x1b
	buffer_load_dword v105, off, s[0:3], 0 offset:272
	buffer_load_dword v106, off, s[0:3], 0 offset:276
	;; [unrolled: 1-line block ×28, first 2 shown]
	v_mov_b32_e32 v96, 0
	ds_read_b128 v[97:100], v96 offset:656
	ds_read_b128 v[101:104], v96 offset:672
	s_mov_b32 s4, exec_lo
	s_waitcnt vmcnt(26) lgkmcnt(1)
	v_fma_f64 v[97:98], v[105:106], v[97:98], 0
	s_waitcnt vmcnt(24)
	v_fma_f64 v[97:98], v[107:108], v[99:100], v[97:98]
	s_waitcnt vmcnt(22) lgkmcnt(0)
	v_fma_f64 v[97:98], v[109:110], v[101:102], v[97:98]
	s_waitcnt vmcnt(20)
	v_fma_f64 v[105:106], v[111:112], v[103:104], v[97:98]
	ds_read_b128 v[97:100], v96 offset:688
	ds_read_b128 v[101:104], v96 offset:704
	s_waitcnt vmcnt(18) lgkmcnt(1)
	v_fma_f64 v[97:98], v[113:114], v[97:98], v[105:106]
	s_waitcnt vmcnt(16)
	v_fma_f64 v[97:98], v[115:116], v[99:100], v[97:98]
	s_waitcnt vmcnt(14) lgkmcnt(0)
	v_fma_f64 v[97:98], v[117:118], v[101:102], v[97:98]
	s_waitcnt vmcnt(9)
	v_fma_f64 v[105:106], v[119:120], v[103:104], v[97:98]
	ds_read_b128 v[97:100], v96 offset:720
	ds_read_b128 v[101:104], v96 offset:736
	s_waitcnt vmcnt(8) lgkmcnt(1)
	v_fma_f64 v[97:98], v[125:126], v[97:98], v[105:106]
	s_waitcnt vmcnt(7)
	v_fma_f64 v[97:98], v[123:124], v[99:100], v[97:98]
	ds_read_b64 v[99:100], v96 offset:752
	s_waitcnt vmcnt(6) lgkmcnt(1)
	v_fma_f64 v[97:98], v[121:122], v[101:102], v[97:98]
	s_waitcnt vmcnt(3)
	v_fma_f64 v[97:98], v[127:128], v[103:104], v[97:98]
	s_waitcnt vmcnt(2) lgkmcnt(0)
	v_fma_f64 v[97:98], v[129:130], v[99:100], v[97:98]
	s_waitcnt vmcnt(0)
	v_add_f64 v[97:98], v[131:132], -v[97:98]
	buffer_store_dword v98, off, s[0:3], 0 offset:268
	buffer_store_dword v97, off, s[0:3], 0 offset:264
	v_cmpx_lt_u32_e32 32, v0
	s_cbranch_execz .LBB46_227
; %bb.226:
	s_clause 0x1
	buffer_load_dword v97, off, s[0:3], 0 offset:256
	buffer_load_dword v98, off, s[0:3], 0 offset:260
	buffer_store_dword v96, off, s[0:3], 0 offset:256
	buffer_store_dword v96, off, s[0:3], 0 offset:260
	s_waitcnt vmcnt(0)
	ds_write_b64 v95, v[97:98]
.LBB46_227:
	s_or_b32 exec_lo, exec_lo, s4
	s_waitcnt lgkmcnt(0)
	s_waitcnt_vscnt null, 0x0
	s_barrier
	buffer_gl0_inv
	s_clause 0x1b
	buffer_load_dword v105, off, s[0:3], 0 offset:264
	buffer_load_dword v106, off, s[0:3], 0 offset:268
	;; [unrolled: 1-line block ×28, first 2 shown]
	ds_read2_b64 v[97:100], v96 offset0:81 offset1:82
	s_clause 0x1
	buffer_load_dword v133, off, s[0:3], 0 offset:256
	buffer_load_dword v134, off, s[0:3], 0 offset:260
	ds_read2_b64 v[101:104], v96 offset0:83 offset1:84
	s_mov_b32 s4, exec_lo
	s_waitcnt vmcnt(28) lgkmcnt(1)
	v_fma_f64 v[97:98], v[105:106], v[97:98], 0
	s_waitcnt vmcnt(26)
	v_fma_f64 v[97:98], v[107:108], v[99:100], v[97:98]
	s_waitcnt vmcnt(24) lgkmcnt(0)
	v_fma_f64 v[97:98], v[109:110], v[101:102], v[97:98]
	s_waitcnt vmcnt(22)
	v_fma_f64 v[105:106], v[111:112], v[103:104], v[97:98]
	ds_read2_b64 v[97:100], v96 offset0:85 offset1:86
	ds_read2_b64 v[101:104], v96 offset0:87 offset1:88
	s_waitcnt vmcnt(20) lgkmcnt(1)
	v_fma_f64 v[97:98], v[113:114], v[97:98], v[105:106]
	s_waitcnt vmcnt(18)
	v_fma_f64 v[97:98], v[115:116], v[99:100], v[97:98]
	s_waitcnt vmcnt(16) lgkmcnt(0)
	v_fma_f64 v[97:98], v[117:118], v[101:102], v[97:98]
	s_waitcnt vmcnt(11)
	v_fma_f64 v[105:106], v[119:120], v[103:104], v[97:98]
	ds_read2_b64 v[97:100], v96 offset0:89 offset1:90
	ds_read2_b64 v[101:104], v96 offset0:91 offset1:92
	s_waitcnt vmcnt(10) lgkmcnt(1)
	v_fma_f64 v[97:98], v[125:126], v[97:98], v[105:106]
	s_waitcnt vmcnt(9)
	v_fma_f64 v[97:98], v[123:124], v[99:100], v[97:98]
	s_waitcnt vmcnt(8) lgkmcnt(0)
	v_fma_f64 v[97:98], v[121:122], v[101:102], v[97:98]
	s_waitcnt vmcnt(4)
	v_fma_f64 v[100:101], v[127:128], v[103:104], v[97:98]
	ds_read2_b64 v[96:99], v96 offset0:93 offset1:94
	s_waitcnt vmcnt(3) lgkmcnt(0)
	v_fma_f64 v[96:97], v[131:132], v[96:97], v[100:101]
	s_waitcnt vmcnt(2)
	v_fma_f64 v[96:97], v[129:130], v[98:99], v[96:97]
	s_waitcnt vmcnt(0)
	v_add_f64 v[96:97], v[133:134], -v[96:97]
	buffer_store_dword v97, off, s[0:3], 0 offset:260
	buffer_store_dword v96, off, s[0:3], 0 offset:256
	v_cmpx_lt_u32_e32 31, v0
	s_cbranch_execz .LBB46_229
; %bb.228:
	s_clause 0x1
	buffer_load_dword v96, off, s[0:3], 0 offset:248
	buffer_load_dword v97, off, s[0:3], 0 offset:252
	v_mov_b32_e32 v98, 0
	buffer_store_dword v98, off, s[0:3], 0 offset:248
	buffer_store_dword v98, off, s[0:3], 0 offset:252
	s_waitcnt vmcnt(0)
	ds_write_b64 v95, v[96:97]
.LBB46_229:
	s_or_b32 exec_lo, exec_lo, s4
	s_waitcnt lgkmcnt(0)
	s_waitcnt_vscnt null, 0x0
	s_barrier
	buffer_gl0_inv
	s_clause 0x1c
	buffer_load_dword v105, off, s[0:3], 0 offset:256
	buffer_load_dword v106, off, s[0:3], 0 offset:260
	;; [unrolled: 1-line block ×29, first 2 shown]
	v_mov_b32_e32 v96, 0
	buffer_load_dword v130, off, s[0:3], 0 offset:372
	s_mov_b32 s4, exec_lo
	ds_read_b128 v[97:100], v96 offset:640
	ds_read_b128 v[101:104], v96 offset:656
	s_waitcnt vmcnt(28) lgkmcnt(1)
	v_fma_f64 v[97:98], v[105:106], v[97:98], 0
	s_clause 0x1
	buffer_load_dword v105, off, s[0:3], 0 offset:248
	buffer_load_dword v106, off, s[0:3], 0 offset:252
	s_waitcnt vmcnt(28)
	v_fma_f64 v[97:98], v[107:108], v[99:100], v[97:98]
	s_waitcnt vmcnt(26) lgkmcnt(0)
	v_fma_f64 v[97:98], v[109:110], v[101:102], v[97:98]
	s_waitcnt vmcnt(24)
	v_fma_f64 v[107:108], v[111:112], v[103:104], v[97:98]
	ds_read_b128 v[97:100], v96 offset:672
	ds_read_b128 v[101:104], v96 offset:688
	s_waitcnt vmcnt(22) lgkmcnt(1)
	v_fma_f64 v[97:98], v[113:114], v[97:98], v[107:108]
	s_waitcnt vmcnt(20)
	v_fma_f64 v[97:98], v[115:116], v[99:100], v[97:98]
	s_waitcnt vmcnt(18) lgkmcnt(0)
	v_fma_f64 v[97:98], v[117:118], v[101:102], v[97:98]
	s_waitcnt vmcnt(13)
	v_fma_f64 v[107:108], v[119:120], v[103:104], v[97:98]
	ds_read_b128 v[97:100], v96 offset:704
	ds_read_b128 v[101:104], v96 offset:720
	s_waitcnt vmcnt(12) lgkmcnt(1)
	v_fma_f64 v[97:98], v[125:126], v[97:98], v[107:108]
	s_waitcnt vmcnt(11)
	v_fma_f64 v[97:98], v[123:124], v[99:100], v[97:98]
	s_waitcnt vmcnt(10) lgkmcnt(0)
	v_fma_f64 v[97:98], v[121:122], v[101:102], v[97:98]
	s_waitcnt vmcnt(5)
	v_fma_f64 v[101:102], v[127:128], v[103:104], v[97:98]
	ds_read_b128 v[97:100], v96 offset:736
	ds_read_b64 v[103:104], v96 offset:752
	s_waitcnt vmcnt(4) lgkmcnt(1)
	v_fma_f64 v[97:98], v[133:134], v[97:98], v[101:102]
	s_waitcnt vmcnt(3)
	v_fma_f64 v[97:98], v[131:132], v[99:100], v[97:98]
	s_waitcnt vmcnt(2) lgkmcnt(0)
	v_fma_f64 v[97:98], v[129:130], v[103:104], v[97:98]
	s_waitcnt vmcnt(0)
	v_add_f64 v[97:98], v[105:106], -v[97:98]
	buffer_store_dword v98, off, s[0:3], 0 offset:252
	buffer_store_dword v97, off, s[0:3], 0 offset:248
	v_cmpx_lt_u32_e32 30, v0
	s_cbranch_execz .LBB46_231
; %bb.230:
	s_clause 0x1
	buffer_load_dword v97, off, s[0:3], 0 offset:240
	buffer_load_dword v98, off, s[0:3], 0 offset:244
	buffer_store_dword v96, off, s[0:3], 0 offset:240
	buffer_store_dword v96, off, s[0:3], 0 offset:244
	s_waitcnt vmcnt(0)
	ds_write_b64 v95, v[97:98]
.LBB46_231:
	s_or_b32 exec_lo, exec_lo, s4
	s_waitcnt lgkmcnt(0)
	s_waitcnt_vscnt null, 0x0
	s_barrier
	buffer_gl0_inv
	s_clause 0x1c
	buffer_load_dword v105, off, s[0:3], 0 offset:248
	buffer_load_dword v106, off, s[0:3], 0 offset:252
	;; [unrolled: 1-line block ×29, first 2 shown]
	ds_read2_b64 v[97:100], v96 offset0:79 offset1:80
	ds_read2_b64 v[101:104], v96 offset0:81 offset1:82
	buffer_load_dword v130, off, s[0:3], 0 offset:364
	s_mov_b32 s4, exec_lo
	s_waitcnt vmcnt(28) lgkmcnt(1)
	v_fma_f64 v[97:98], v[105:106], v[97:98], 0
	s_clause 0x1
	buffer_load_dword v106, off, s[0:3], 0 offset:372
	buffer_load_dword v105, off, s[0:3], 0 offset:368
	s_waitcnt vmcnt(28)
	v_fma_f64 v[97:98], v[107:108], v[99:100], v[97:98]
	s_clause 0x1
	buffer_load_dword v107, off, s[0:3], 0 offset:240
	buffer_load_dword v108, off, s[0:3], 0 offset:244
	s_waitcnt vmcnt(28) lgkmcnt(0)
	v_fma_f64 v[97:98], v[109:110], v[101:102], v[97:98]
	s_waitcnt vmcnt(26)
	v_fma_f64 v[109:110], v[111:112], v[103:104], v[97:98]
	ds_read2_b64 v[97:100], v96 offset0:83 offset1:84
	ds_read2_b64 v[101:104], v96 offset0:85 offset1:86
	s_waitcnt vmcnt(24) lgkmcnt(1)
	v_fma_f64 v[97:98], v[113:114], v[97:98], v[109:110]
	s_waitcnt vmcnt(22)
	v_fma_f64 v[97:98], v[115:116], v[99:100], v[97:98]
	s_waitcnt vmcnt(20) lgkmcnt(0)
	v_fma_f64 v[97:98], v[117:118], v[101:102], v[97:98]
	s_waitcnt vmcnt(15)
	v_fma_f64 v[109:110], v[119:120], v[103:104], v[97:98]
	ds_read2_b64 v[97:100], v96 offset0:87 offset1:88
	ds_read2_b64 v[101:104], v96 offset0:89 offset1:90
	s_waitcnt vmcnt(14) lgkmcnt(1)
	v_fma_f64 v[97:98], v[125:126], v[97:98], v[109:110]
	s_waitcnt vmcnt(13)
	v_fma_f64 v[97:98], v[123:124], v[99:100], v[97:98]
	;; [unrolled: 10-line block ×3, first 2 shown]
	s_waitcnt vmcnt(4) lgkmcnt(0)
	v_fma_f64 v[96:97], v[129:130], v[101:102], v[96:97]
	s_waitcnt vmcnt(2)
	v_fma_f64 v[96:97], v[105:106], v[103:104], v[96:97]
	s_waitcnt vmcnt(0)
	v_add_f64 v[96:97], v[107:108], -v[96:97]
	buffer_store_dword v97, off, s[0:3], 0 offset:244
	buffer_store_dword v96, off, s[0:3], 0 offset:240
	v_cmpx_lt_u32_e32 29, v0
	s_cbranch_execz .LBB46_233
; %bb.232:
	s_clause 0x1
	buffer_load_dword v96, off, s[0:3], 0 offset:232
	buffer_load_dword v97, off, s[0:3], 0 offset:236
	v_mov_b32_e32 v98, 0
	buffer_store_dword v98, off, s[0:3], 0 offset:232
	buffer_store_dword v98, off, s[0:3], 0 offset:236
	s_waitcnt vmcnt(0)
	ds_write_b64 v95, v[96:97]
.LBB46_233:
	s_or_b32 exec_lo, exec_lo, s4
	s_waitcnt lgkmcnt(0)
	s_waitcnt_vscnt null, 0x0
	s_barrier
	buffer_gl0_inv
	s_clause 0x1c
	buffer_load_dword v105, off, s[0:3], 0 offset:240
	buffer_load_dword v106, off, s[0:3], 0 offset:244
	;; [unrolled: 1-line block ×29, first 2 shown]
	v_mov_b32_e32 v96, 0
	buffer_load_dword v130, off, s[0:3], 0 offset:356
	s_mov_b32 s4, exec_lo
	ds_read_b128 v[97:100], v96 offset:624
	ds_read_b128 v[101:104], v96 offset:640
	s_waitcnt vmcnt(28) lgkmcnt(1)
	v_fma_f64 v[97:98], v[105:106], v[97:98], 0
	s_clause 0x3
	buffer_load_dword v106, off, s[0:3], 0 offset:364
	buffer_load_dword v135, off, s[0:3], 0 offset:368
	buffer_load_dword v105, off, s[0:3], 0 offset:360
	buffer_load_dword v136, off, s[0:3], 0 offset:372
	s_waitcnt vmcnt(30)
	v_fma_f64 v[97:98], v[107:108], v[99:100], v[97:98]
	s_clause 0x1
	buffer_load_dword v107, off, s[0:3], 0 offset:232
	buffer_load_dword v108, off, s[0:3], 0 offset:236
	s_waitcnt vmcnt(30) lgkmcnt(0)
	v_fma_f64 v[97:98], v[109:110], v[101:102], v[97:98]
	s_waitcnt vmcnt(28)
	v_fma_f64 v[109:110], v[111:112], v[103:104], v[97:98]
	ds_read_b128 v[97:100], v96 offset:656
	ds_read_b128 v[101:104], v96 offset:672
	s_waitcnt vmcnt(26) lgkmcnt(1)
	v_fma_f64 v[97:98], v[113:114], v[97:98], v[109:110]
	s_waitcnt vmcnt(24)
	v_fma_f64 v[97:98], v[115:116], v[99:100], v[97:98]
	s_waitcnt vmcnt(22) lgkmcnt(0)
	v_fma_f64 v[97:98], v[117:118], v[101:102], v[97:98]
	s_waitcnt vmcnt(17)
	v_fma_f64 v[109:110], v[119:120], v[103:104], v[97:98]
	ds_read_b128 v[97:100], v96 offset:688
	ds_read_b128 v[101:104], v96 offset:704
	s_waitcnt vmcnt(16) lgkmcnt(1)
	v_fma_f64 v[97:98], v[125:126], v[97:98], v[109:110]
	s_waitcnt vmcnt(15)
	v_fma_f64 v[97:98], v[123:124], v[99:100], v[97:98]
	;; [unrolled: 10-line block ×3, first 2 shown]
	ds_read_b64 v[99:100], v96 offset:752
	s_waitcnt vmcnt(6) lgkmcnt(1)
	v_fma_f64 v[97:98], v[129:130], v[101:102], v[97:98]
	s_waitcnt vmcnt(3)
	v_fma_f64 v[97:98], v[105:106], v[103:104], v[97:98]
	s_waitcnt vmcnt(2) lgkmcnt(0)
	v_fma_f64 v[97:98], v[135:136], v[99:100], v[97:98]
	s_waitcnt vmcnt(0)
	v_add_f64 v[97:98], v[107:108], -v[97:98]
	buffer_store_dword v98, off, s[0:3], 0 offset:236
	buffer_store_dword v97, off, s[0:3], 0 offset:232
	v_cmpx_lt_u32_e32 28, v0
	s_cbranch_execz .LBB46_235
; %bb.234:
	s_clause 0x1
	buffer_load_dword v97, off, s[0:3], 0 offset:224
	buffer_load_dword v98, off, s[0:3], 0 offset:228
	buffer_store_dword v96, off, s[0:3], 0 offset:224
	buffer_store_dword v96, off, s[0:3], 0 offset:228
	s_waitcnt vmcnt(0)
	ds_write_b64 v95, v[97:98]
.LBB46_235:
	s_or_b32 exec_lo, exec_lo, s4
	s_waitcnt lgkmcnt(0)
	s_waitcnt_vscnt null, 0x0
	s_barrier
	buffer_gl0_inv
	s_clause 0x1c
	buffer_load_dword v105, off, s[0:3], 0 offset:232
	buffer_load_dword v106, off, s[0:3], 0 offset:236
	buffer_load_dword v107, off, s[0:3], 0 offset:240
	buffer_load_dword v108, off, s[0:3], 0 offset:244
	buffer_load_dword v109, off, s[0:3], 0 offset:248
	buffer_load_dword v110, off, s[0:3], 0 offset:252
	buffer_load_dword v111, off, s[0:3], 0 offset:256
	buffer_load_dword v112, off, s[0:3], 0 offset:260
	buffer_load_dword v113, off, s[0:3], 0 offset:264
	buffer_load_dword v114, off, s[0:3], 0 offset:268
	buffer_load_dword v115, off, s[0:3], 0 offset:272
	buffer_load_dword v116, off, s[0:3], 0 offset:276
	buffer_load_dword v117, off, s[0:3], 0 offset:280
	buffer_load_dword v118, off, s[0:3], 0 offset:284
	buffer_load_dword v120, off, s[0:3], 0 offset:292
	buffer_load_dword v121, off, s[0:3], 0 offset:312
	buffer_load_dword v123, off, s[0:3], 0 offset:304
	buffer_load_dword v125, off, s[0:3], 0 offset:296
	buffer_load_dword v119, off, s[0:3], 0 offset:288
	buffer_load_dword v126, off, s[0:3], 0 offset:300
	buffer_load_dword v124, off, s[0:3], 0 offset:308
	buffer_load_dword v122, off, s[0:3], 0 offset:316
	buffer_load_dword v128, off, s[0:3], 0 offset:324
	buffer_load_dword v129, off, s[0:3], 0 offset:344
	buffer_load_dword v131, off, s[0:3], 0 offset:336
	buffer_load_dword v133, off, s[0:3], 0 offset:328
	buffer_load_dword v127, off, s[0:3], 0 offset:320
	buffer_load_dword v134, off, s[0:3], 0 offset:332
	buffer_load_dword v132, off, s[0:3], 0 offset:340
	ds_read2_b64 v[97:100], v96 offset0:77 offset1:78
	ds_read2_b64 v[101:104], v96 offset0:79 offset1:80
	buffer_load_dword v130, off, s[0:3], 0 offset:348
	s_mov_b32 s4, exec_lo
	s_waitcnt vmcnt(28) lgkmcnt(1)
	v_fma_f64 v[97:98], v[105:106], v[97:98], 0
	s_clause 0x5
	buffer_load_dword v106, off, s[0:3], 0 offset:356
	buffer_load_dword v135, off, s[0:3], 0 offset:368
	;; [unrolled: 1-line block ×6, first 2 shown]
	s_waitcnt vmcnt(32)
	v_fma_f64 v[97:98], v[107:108], v[99:100], v[97:98]
	s_waitcnt vmcnt(30) lgkmcnt(0)
	v_fma_f64 v[97:98], v[109:110], v[101:102], v[97:98]
	s_waitcnt vmcnt(28)
	v_fma_f64 v[107:108], v[111:112], v[103:104], v[97:98]
	ds_read2_b64 v[97:100], v96 offset0:81 offset1:82
	s_clause 0x1
	buffer_load_dword v109, off, s[0:3], 0 offset:224
	buffer_load_dword v110, off, s[0:3], 0 offset:228
	ds_read2_b64 v[101:104], v96 offset0:83 offset1:84
	s_waitcnt vmcnt(28) lgkmcnt(1)
	v_fma_f64 v[97:98], v[113:114], v[97:98], v[107:108]
	s_waitcnt vmcnt(26)
	v_fma_f64 v[97:98], v[115:116], v[99:100], v[97:98]
	s_waitcnt vmcnt(24) lgkmcnt(0)
	v_fma_f64 v[97:98], v[117:118], v[101:102], v[97:98]
	s_waitcnt vmcnt(19)
	v_fma_f64 v[107:108], v[119:120], v[103:104], v[97:98]
	ds_read2_b64 v[97:100], v96 offset0:85 offset1:86
	ds_read2_b64 v[101:104], v96 offset0:87 offset1:88
	s_waitcnt vmcnt(18) lgkmcnt(1)
	v_fma_f64 v[97:98], v[125:126], v[97:98], v[107:108]
	s_waitcnt vmcnt(17)
	v_fma_f64 v[97:98], v[123:124], v[99:100], v[97:98]
	s_waitcnt vmcnt(16) lgkmcnt(0)
	v_fma_f64 v[97:98], v[121:122], v[101:102], v[97:98]
	s_waitcnt vmcnt(11)
	v_fma_f64 v[107:108], v[127:128], v[103:104], v[97:98]
	ds_read2_b64 v[97:100], v96 offset0:89 offset1:90
	;; [unrolled: 10-line block ×3, first 2 shown]
	s_waitcnt vmcnt(3) lgkmcnt(0)
	v_fma_f64 v[96:97], v[137:138], v[96:97], v[100:101]
	s_waitcnt vmcnt(2)
	v_fma_f64 v[96:97], v[135:136], v[98:99], v[96:97]
	s_waitcnt vmcnt(0)
	v_add_f64 v[96:97], v[109:110], -v[96:97]
	buffer_store_dword v97, off, s[0:3], 0 offset:228
	buffer_store_dword v96, off, s[0:3], 0 offset:224
	v_cmpx_lt_u32_e32 27, v0
	s_cbranch_execz .LBB46_237
; %bb.236:
	s_clause 0x1
	buffer_load_dword v96, off, s[0:3], 0 offset:216
	buffer_load_dword v97, off, s[0:3], 0 offset:220
	v_mov_b32_e32 v98, 0
	buffer_store_dword v98, off, s[0:3], 0 offset:216
	buffer_store_dword v98, off, s[0:3], 0 offset:220
	s_waitcnt vmcnt(0)
	ds_write_b64 v95, v[96:97]
.LBB46_237:
	s_or_b32 exec_lo, exec_lo, s4
	s_waitcnt lgkmcnt(0)
	s_waitcnt_vscnt null, 0x0
	s_barrier
	buffer_gl0_inv
	s_clause 0x1c
	buffer_load_dword v105, off, s[0:3], 0 offset:224
	buffer_load_dword v106, off, s[0:3], 0 offset:228
	;; [unrolled: 1-line block ×29, first 2 shown]
	v_mov_b32_e32 v96, 0
	buffer_load_dword v130, off, s[0:3], 0 offset:340
	s_mov_b32 s4, exec_lo
	ds_read_b128 v[97:100], v96 offset:608
	ds_read_b128 v[101:104], v96 offset:624
	s_waitcnt vmcnt(28) lgkmcnt(1)
	v_fma_f64 v[97:98], v[105:106], v[97:98], 0
	s_clause 0x7
	buffer_load_dword v106, off, s[0:3], 0 offset:348
	buffer_load_dword v135, off, s[0:3], 0 offset:368
	;; [unrolled: 1-line block ×8, first 2 shown]
	s_waitcnt vmcnt(34)
	v_fma_f64 v[97:98], v[107:108], v[99:100], v[97:98]
	s_waitcnt vmcnt(32) lgkmcnt(0)
	v_fma_f64 v[97:98], v[109:110], v[101:102], v[97:98]
	s_waitcnt vmcnt(30)
	v_fma_f64 v[107:108], v[111:112], v[103:104], v[97:98]
	ds_read_b128 v[97:100], v96 offset:640
	ds_read_b128 v[101:104], v96 offset:656
	s_waitcnt vmcnt(28) lgkmcnt(1)
	v_fma_f64 v[97:98], v[113:114], v[97:98], v[107:108]
	s_clause 0x1
	buffer_load_dword v107, off, s[0:3], 0 offset:216
	buffer_load_dword v108, off, s[0:3], 0 offset:220
	s_waitcnt vmcnt(28)
	v_fma_f64 v[97:98], v[115:116], v[99:100], v[97:98]
	s_waitcnt vmcnt(26) lgkmcnt(0)
	v_fma_f64 v[97:98], v[117:118], v[101:102], v[97:98]
	s_waitcnt vmcnt(21)
	v_fma_f64 v[109:110], v[119:120], v[103:104], v[97:98]
	ds_read_b128 v[97:100], v96 offset:672
	ds_read_b128 v[101:104], v96 offset:688
	s_waitcnt vmcnt(20) lgkmcnt(1)
	v_fma_f64 v[97:98], v[125:126], v[97:98], v[109:110]
	s_waitcnt vmcnt(19)
	v_fma_f64 v[97:98], v[123:124], v[99:100], v[97:98]
	s_waitcnt vmcnt(18) lgkmcnt(0)
	v_fma_f64 v[97:98], v[121:122], v[101:102], v[97:98]
	s_waitcnt vmcnt(13)
	v_fma_f64 v[109:110], v[127:128], v[103:104], v[97:98]
	ds_read_b128 v[97:100], v96 offset:704
	ds_read_b128 v[101:104], v96 offset:720
	s_waitcnt vmcnt(12) lgkmcnt(1)
	v_fma_f64 v[97:98], v[133:134], v[97:98], v[109:110]
	s_waitcnt vmcnt(11)
	v_fma_f64 v[97:98], v[131:132], v[99:100], v[97:98]
	s_waitcnt vmcnt(10) lgkmcnt(0)
	v_fma_f64 v[97:98], v[129:130], v[101:102], v[97:98]
	s_waitcnt vmcnt(5)
	v_fma_f64 v[101:102], v[105:106], v[103:104], v[97:98]
	ds_read_b128 v[97:100], v96 offset:736
	ds_read_b64 v[103:104], v96 offset:752
	s_waitcnt vmcnt(4) lgkmcnt(1)
	v_fma_f64 v[97:98], v[139:140], v[97:98], v[101:102]
	s_waitcnt vmcnt(3)
	v_fma_f64 v[97:98], v[137:138], v[99:100], v[97:98]
	s_waitcnt vmcnt(2) lgkmcnt(0)
	v_fma_f64 v[97:98], v[135:136], v[103:104], v[97:98]
	s_waitcnt vmcnt(0)
	v_add_f64 v[97:98], v[107:108], -v[97:98]
	buffer_store_dword v98, off, s[0:3], 0 offset:220
	buffer_store_dword v97, off, s[0:3], 0 offset:216
	v_cmpx_lt_u32_e32 26, v0
	s_cbranch_execz .LBB46_239
; %bb.238:
	s_clause 0x1
	buffer_load_dword v97, off, s[0:3], 0 offset:208
	buffer_load_dword v98, off, s[0:3], 0 offset:212
	buffer_store_dword v96, off, s[0:3], 0 offset:208
	buffer_store_dword v96, off, s[0:3], 0 offset:212
	s_waitcnt vmcnt(0)
	ds_write_b64 v95, v[97:98]
.LBB46_239:
	s_or_b32 exec_lo, exec_lo, s4
	s_waitcnt lgkmcnt(0)
	s_waitcnt_vscnt null, 0x0
	s_barrier
	buffer_gl0_inv
	s_clause 0x1c
	buffer_load_dword v105, off, s[0:3], 0 offset:216
	buffer_load_dword v106, off, s[0:3], 0 offset:220
	;; [unrolled: 1-line block ×29, first 2 shown]
	ds_read2_b64 v[97:100], v96 offset0:75 offset1:76
	ds_read2_b64 v[101:104], v96 offset0:77 offset1:78
	buffer_load_dword v130, off, s[0:3], 0 offset:332
	s_mov_b32 s4, exec_lo
	s_waitcnt vmcnt(28) lgkmcnt(1)
	v_fma_f64 v[97:98], v[105:106], v[97:98], 0
	s_clause 0x7
	buffer_load_dword v106, off, s[0:3], 0 offset:340
	buffer_load_dword v135, off, s[0:3], 0 offset:360
	buffer_load_dword v137, off, s[0:3], 0 offset:352
	buffer_load_dword v139, off, s[0:3], 0 offset:344
	buffer_load_dword v105, off, s[0:3], 0 offset:336
	buffer_load_dword v140, off, s[0:3], 0 offset:348
	buffer_load_dword v138, off, s[0:3], 0 offset:356
	buffer_load_dword v136, off, s[0:3], 0 offset:364
	s_waitcnt vmcnt(34)
	v_fma_f64 v[97:98], v[107:108], v[99:100], v[97:98]
	s_waitcnt vmcnt(32) lgkmcnt(0)
	v_fma_f64 v[97:98], v[109:110], v[101:102], v[97:98]
	s_waitcnt vmcnt(30)
	v_fma_f64 v[107:108], v[111:112], v[103:104], v[97:98]
	ds_read2_b64 v[97:100], v96 offset0:79 offset1:80
	ds_read2_b64 v[101:104], v96 offset0:81 offset1:82
	s_waitcnt vmcnt(28) lgkmcnt(1)
	v_fma_f64 v[97:98], v[113:114], v[97:98], v[107:108]
	s_clause 0x3
	buffer_load_dword v108, off, s[0:3], 0 offset:372
	buffer_load_dword v107, off, s[0:3], 0 offset:368
	;; [unrolled: 1-line block ×4, first 2 shown]
	s_waitcnt vmcnt(30)
	v_fma_f64 v[97:98], v[115:116], v[99:100], v[97:98]
	s_waitcnt vmcnt(28) lgkmcnt(0)
	v_fma_f64 v[97:98], v[117:118], v[101:102], v[97:98]
	s_waitcnt vmcnt(23)
	v_fma_f64 v[111:112], v[119:120], v[103:104], v[97:98]
	ds_read2_b64 v[97:100], v96 offset0:83 offset1:84
	ds_read2_b64 v[101:104], v96 offset0:85 offset1:86
	s_waitcnt vmcnt(22) lgkmcnt(1)
	v_fma_f64 v[97:98], v[125:126], v[97:98], v[111:112]
	s_waitcnt vmcnt(21)
	v_fma_f64 v[97:98], v[123:124], v[99:100], v[97:98]
	s_waitcnt vmcnt(20) lgkmcnt(0)
	v_fma_f64 v[97:98], v[121:122], v[101:102], v[97:98]
	s_waitcnt vmcnt(15)
	v_fma_f64 v[111:112], v[127:128], v[103:104], v[97:98]
	ds_read2_b64 v[97:100], v96 offset0:87 offset1:88
	ds_read2_b64 v[101:104], v96 offset0:89 offset1:90
	s_waitcnt vmcnt(14) lgkmcnt(1)
	v_fma_f64 v[97:98], v[133:134], v[97:98], v[111:112]
	;; [unrolled: 10-line block ×3, first 2 shown]
	s_waitcnt vmcnt(5)
	v_fma_f64 v[96:97], v[137:138], v[99:100], v[96:97]
	s_waitcnt vmcnt(4) lgkmcnt(0)
	v_fma_f64 v[96:97], v[135:136], v[101:102], v[96:97]
	s_waitcnt vmcnt(2)
	v_fma_f64 v[96:97], v[107:108], v[103:104], v[96:97]
	s_waitcnt vmcnt(0)
	v_add_f64 v[96:97], v[109:110], -v[96:97]
	buffer_store_dword v97, off, s[0:3], 0 offset:212
	buffer_store_dword v96, off, s[0:3], 0 offset:208
	v_cmpx_lt_u32_e32 25, v0
	s_cbranch_execz .LBB46_241
; %bb.240:
	s_clause 0x1
	buffer_load_dword v96, off, s[0:3], 0 offset:200
	buffer_load_dword v97, off, s[0:3], 0 offset:204
	v_mov_b32_e32 v98, 0
	buffer_store_dword v98, off, s[0:3], 0 offset:200
	buffer_store_dword v98, off, s[0:3], 0 offset:204
	s_waitcnt vmcnt(0)
	ds_write_b64 v95, v[96:97]
.LBB46_241:
	s_or_b32 exec_lo, exec_lo, s4
	s_waitcnt lgkmcnt(0)
	s_waitcnt_vscnt null, 0x0
	s_barrier
	buffer_gl0_inv
	s_clause 0x1c
	buffer_load_dword v105, off, s[0:3], 0 offset:208
	buffer_load_dword v106, off, s[0:3], 0 offset:212
	;; [unrolled: 1-line block ×29, first 2 shown]
	v_mov_b32_e32 v96, 0
	buffer_load_dword v130, off, s[0:3], 0 offset:324
	s_mov_b32 s4, exec_lo
	ds_read_b128 v[97:100], v96 offset:592
	ds_read_b128 v[101:104], v96 offset:608
	s_waitcnt vmcnt(28) lgkmcnt(1)
	v_fma_f64 v[97:98], v[105:106], v[97:98], 0
	s_clause 0x7
	buffer_load_dword v106, off, s[0:3], 0 offset:332
	buffer_load_dword v135, off, s[0:3], 0 offset:352
	;; [unrolled: 1-line block ×8, first 2 shown]
	s_waitcnt vmcnt(34)
	v_fma_f64 v[97:98], v[107:108], v[99:100], v[97:98]
	s_waitcnt vmcnt(32) lgkmcnt(0)
	v_fma_f64 v[97:98], v[109:110], v[101:102], v[97:98]
	s_waitcnt vmcnt(30)
	v_fma_f64 v[107:108], v[111:112], v[103:104], v[97:98]
	ds_read_b128 v[97:100], v96 offset:624
	ds_read_b128 v[101:104], v96 offset:640
	s_waitcnt vmcnt(28) lgkmcnt(1)
	v_fma_f64 v[97:98], v[113:114], v[97:98], v[107:108]
	s_clause 0x5
	buffer_load_dword v108, off, s[0:3], 0 offset:364
	buffer_load_dword v109, off, s[0:3], 0 offset:368
	;; [unrolled: 1-line block ×6, first 2 shown]
	s_waitcnt vmcnt(32)
	v_fma_f64 v[97:98], v[115:116], v[99:100], v[97:98]
	s_waitcnt vmcnt(30) lgkmcnt(0)
	v_fma_f64 v[97:98], v[117:118], v[101:102], v[97:98]
	s_waitcnt vmcnt(25)
	v_fma_f64 v[113:114], v[119:120], v[103:104], v[97:98]
	ds_read_b128 v[97:100], v96 offset:656
	ds_read_b128 v[101:104], v96 offset:672
	s_waitcnt vmcnt(24) lgkmcnt(1)
	v_fma_f64 v[97:98], v[125:126], v[97:98], v[113:114]
	s_waitcnt vmcnt(23)
	v_fma_f64 v[97:98], v[123:124], v[99:100], v[97:98]
	s_waitcnt vmcnt(22) lgkmcnt(0)
	v_fma_f64 v[97:98], v[121:122], v[101:102], v[97:98]
	s_waitcnt vmcnt(17)
	v_fma_f64 v[113:114], v[127:128], v[103:104], v[97:98]
	ds_read_b128 v[97:100], v96 offset:688
	ds_read_b128 v[101:104], v96 offset:704
	s_waitcnt vmcnt(16) lgkmcnt(1)
	v_fma_f64 v[97:98], v[133:134], v[97:98], v[113:114]
	;; [unrolled: 10-line block ×3, first 2 shown]
	s_waitcnt vmcnt(7)
	v_fma_f64 v[97:98], v[137:138], v[99:100], v[97:98]
	ds_read_b64 v[99:100], v96 offset:752
	s_waitcnt vmcnt(6) lgkmcnt(1)
	v_fma_f64 v[97:98], v[135:136], v[101:102], v[97:98]
	s_waitcnt vmcnt(3)
	v_fma_f64 v[97:98], v[107:108], v[103:104], v[97:98]
	s_waitcnt vmcnt(2) lgkmcnt(0)
	v_fma_f64 v[97:98], v[109:110], v[99:100], v[97:98]
	s_waitcnt vmcnt(0)
	v_add_f64 v[97:98], v[111:112], -v[97:98]
	buffer_store_dword v98, off, s[0:3], 0 offset:204
	buffer_store_dword v97, off, s[0:3], 0 offset:200
	v_cmpx_lt_u32_e32 24, v0
	s_cbranch_execz .LBB46_243
; %bb.242:
	s_clause 0x1
	buffer_load_dword v97, off, s[0:3], 0 offset:192
	buffer_load_dword v98, off, s[0:3], 0 offset:196
	buffer_store_dword v96, off, s[0:3], 0 offset:192
	buffer_store_dword v96, off, s[0:3], 0 offset:196
	s_waitcnt vmcnt(0)
	ds_write_b64 v95, v[97:98]
.LBB46_243:
	s_or_b32 exec_lo, exec_lo, s4
	s_waitcnt lgkmcnt(0)
	s_waitcnt_vscnt null, 0x0
	s_barrier
	buffer_gl0_inv
	s_clause 0x1c
	buffer_load_dword v105, off, s[0:3], 0 offset:200
	buffer_load_dword v106, off, s[0:3], 0 offset:204
	;; [unrolled: 1-line block ×29, first 2 shown]
	ds_read2_b64 v[97:100], v96 offset0:73 offset1:74
	ds_read2_b64 v[101:104], v96 offset0:75 offset1:76
	buffer_load_dword v130, off, s[0:3], 0 offset:316
	s_mov_b32 s4, exec_lo
	s_waitcnt vmcnt(28) lgkmcnt(1)
	v_fma_f64 v[97:98], v[105:106], v[97:98], 0
	s_clause 0x7
	buffer_load_dword v106, off, s[0:3], 0 offset:324
	buffer_load_dword v135, off, s[0:3], 0 offset:344
	;; [unrolled: 1-line block ×8, first 2 shown]
	s_waitcnt vmcnt(34)
	v_fma_f64 v[97:98], v[107:108], v[99:100], v[97:98]
	s_waitcnt vmcnt(32) lgkmcnt(0)
	v_fma_f64 v[97:98], v[109:110], v[101:102], v[97:98]
	s_waitcnt vmcnt(30)
	v_fma_f64 v[107:108], v[111:112], v[103:104], v[97:98]
	ds_read2_b64 v[97:100], v96 offset0:77 offset1:78
	ds_read2_b64 v[101:104], v96 offset0:79 offset1:80
	s_waitcnt vmcnt(28) lgkmcnt(1)
	v_fma_f64 v[97:98], v[113:114], v[97:98], v[107:108]
	s_clause 0x5
	buffer_load_dword v108, off, s[0:3], 0 offset:356
	buffer_load_dword v109, off, s[0:3], 0 offset:368
	;; [unrolled: 1-line block ×6, first 2 shown]
	s_waitcnt vmcnt(32)
	v_fma_f64 v[97:98], v[115:116], v[99:100], v[97:98]
	s_waitcnt vmcnt(30) lgkmcnt(0)
	v_fma_f64 v[97:98], v[117:118], v[101:102], v[97:98]
	s_waitcnt vmcnt(25)
	v_fma_f64 v[113:114], v[119:120], v[103:104], v[97:98]
	ds_read2_b64 v[97:100], v96 offset0:81 offset1:82
	s_clause 0x1
	buffer_load_dword v115, off, s[0:3], 0 offset:192
	buffer_load_dword v116, off, s[0:3], 0 offset:196
	ds_read2_b64 v[101:104], v96 offset0:83 offset1:84
	s_waitcnt vmcnt(26) lgkmcnt(1)
	v_fma_f64 v[97:98], v[125:126], v[97:98], v[113:114]
	s_waitcnt vmcnt(25)
	v_fma_f64 v[97:98], v[123:124], v[99:100], v[97:98]
	s_waitcnt vmcnt(24) lgkmcnt(0)
	v_fma_f64 v[97:98], v[121:122], v[101:102], v[97:98]
	s_waitcnt vmcnt(19)
	v_fma_f64 v[113:114], v[127:128], v[103:104], v[97:98]
	ds_read2_b64 v[97:100], v96 offset0:85 offset1:86
	ds_read2_b64 v[101:104], v96 offset0:87 offset1:88
	s_waitcnt vmcnt(18) lgkmcnt(1)
	v_fma_f64 v[97:98], v[133:134], v[97:98], v[113:114]
	s_waitcnt vmcnt(17)
	v_fma_f64 v[97:98], v[131:132], v[99:100], v[97:98]
	s_waitcnt vmcnt(16) lgkmcnt(0)
	v_fma_f64 v[97:98], v[129:130], v[101:102], v[97:98]
	s_waitcnt vmcnt(11)
	v_fma_f64 v[105:106], v[105:106], v[103:104], v[97:98]
	ds_read2_b64 v[97:100], v96 offset0:89 offset1:90
	;; [unrolled: 10-line block ×3, first 2 shown]
	s_waitcnt vmcnt(3) lgkmcnt(0)
	v_fma_f64 v[96:97], v[111:112], v[96:97], v[100:101]
	s_waitcnt vmcnt(2)
	v_fma_f64 v[96:97], v[109:110], v[98:99], v[96:97]
	s_waitcnt vmcnt(0)
	v_add_f64 v[96:97], v[115:116], -v[96:97]
	buffer_store_dword v97, off, s[0:3], 0 offset:196
	buffer_store_dword v96, off, s[0:3], 0 offset:192
	v_cmpx_lt_u32_e32 23, v0
	s_cbranch_execz .LBB46_245
; %bb.244:
	s_clause 0x1
	buffer_load_dword v96, off, s[0:3], 0 offset:184
	buffer_load_dword v97, off, s[0:3], 0 offset:188
	v_mov_b32_e32 v98, 0
	buffer_store_dword v98, off, s[0:3], 0 offset:184
	buffer_store_dword v98, off, s[0:3], 0 offset:188
	s_waitcnt vmcnt(0)
	ds_write_b64 v95, v[96:97]
.LBB46_245:
	s_or_b32 exec_lo, exec_lo, s4
	s_waitcnt lgkmcnt(0)
	s_waitcnt_vscnt null, 0x0
	s_barrier
	buffer_gl0_inv
	s_clause 0x1c
	buffer_load_dword v105, off, s[0:3], 0 offset:192
	buffer_load_dword v106, off, s[0:3], 0 offset:196
	;; [unrolled: 1-line block ×29, first 2 shown]
	v_mov_b32_e32 v96, 0
	buffer_load_dword v130, off, s[0:3], 0 offset:308
	s_mov_b32 s4, exec_lo
	ds_read_b128 v[97:100], v96 offset:576
	ds_read_b128 v[101:104], v96 offset:592
	s_waitcnt vmcnt(28) lgkmcnt(1)
	v_fma_f64 v[97:98], v[105:106], v[97:98], 0
	s_clause 0x7
	buffer_load_dword v106, off, s[0:3], 0 offset:316
	buffer_load_dword v135, off, s[0:3], 0 offset:336
	;; [unrolled: 1-line block ×8, first 2 shown]
	s_waitcnt vmcnt(34)
	v_fma_f64 v[97:98], v[107:108], v[99:100], v[97:98]
	s_waitcnt vmcnt(32) lgkmcnt(0)
	v_fma_f64 v[97:98], v[109:110], v[101:102], v[97:98]
	s_waitcnt vmcnt(30)
	v_fma_f64 v[107:108], v[111:112], v[103:104], v[97:98]
	ds_read_b128 v[97:100], v96 offset:608
	ds_read_b128 v[101:104], v96 offset:624
	s_waitcnt vmcnt(28) lgkmcnt(1)
	v_fma_f64 v[97:98], v[113:114], v[97:98], v[107:108]
	s_clause 0x7
	buffer_load_dword v108, off, s[0:3], 0 offset:348
	buffer_load_dword v109, off, s[0:3], 0 offset:368
	;; [unrolled: 1-line block ×8, first 2 shown]
	s_waitcnt vmcnt(34)
	v_fma_f64 v[97:98], v[115:116], v[99:100], v[97:98]
	s_waitcnt vmcnt(32) lgkmcnt(0)
	v_fma_f64 v[97:98], v[117:118], v[101:102], v[97:98]
	s_waitcnt vmcnt(27)
	v_fma_f64 v[115:116], v[119:120], v[103:104], v[97:98]
	ds_read_b128 v[97:100], v96 offset:640
	ds_read_b128 v[101:104], v96 offset:656
	s_waitcnt vmcnt(26) lgkmcnt(1)
	v_fma_f64 v[97:98], v[125:126], v[97:98], v[115:116]
	s_clause 0x1
	buffer_load_dword v115, off, s[0:3], 0 offset:184
	buffer_load_dword v116, off, s[0:3], 0 offset:188
	s_waitcnt vmcnt(27)
	v_fma_f64 v[97:98], v[123:124], v[99:100], v[97:98]
	s_waitcnt vmcnt(26) lgkmcnt(0)
	v_fma_f64 v[97:98], v[121:122], v[101:102], v[97:98]
	s_waitcnt vmcnt(21)
	v_fma_f64 v[117:118], v[127:128], v[103:104], v[97:98]
	ds_read_b128 v[97:100], v96 offset:672
	ds_read_b128 v[101:104], v96 offset:688
	s_waitcnt vmcnt(20) lgkmcnt(1)
	v_fma_f64 v[97:98], v[133:134], v[97:98], v[117:118]
	s_waitcnt vmcnt(19)
	v_fma_f64 v[97:98], v[131:132], v[99:100], v[97:98]
	s_waitcnt vmcnt(18) lgkmcnt(0)
	v_fma_f64 v[97:98], v[129:130], v[101:102], v[97:98]
	s_waitcnt vmcnt(13)
	v_fma_f64 v[105:106], v[105:106], v[103:104], v[97:98]
	ds_read_b128 v[97:100], v96 offset:704
	ds_read_b128 v[101:104], v96 offset:720
	s_waitcnt vmcnt(12) lgkmcnt(1)
	v_fma_f64 v[97:98], v[139:140], v[97:98], v[105:106]
	s_waitcnt vmcnt(11)
	v_fma_f64 v[97:98], v[137:138], v[99:100], v[97:98]
	s_waitcnt vmcnt(10) lgkmcnt(0)
	v_fma_f64 v[97:98], v[135:136], v[101:102], v[97:98]
	s_waitcnt vmcnt(5)
	v_fma_f64 v[101:102], v[107:108], v[103:104], v[97:98]
	ds_read_b128 v[97:100], v96 offset:736
	ds_read_b64 v[103:104], v96 offset:752
	s_waitcnt vmcnt(4) lgkmcnt(1)
	v_fma_f64 v[97:98], v[113:114], v[97:98], v[101:102]
	s_waitcnt vmcnt(3)
	v_fma_f64 v[97:98], v[111:112], v[99:100], v[97:98]
	s_waitcnt vmcnt(2) lgkmcnt(0)
	v_fma_f64 v[97:98], v[109:110], v[103:104], v[97:98]
	s_waitcnt vmcnt(0)
	v_add_f64 v[97:98], v[115:116], -v[97:98]
	buffer_store_dword v98, off, s[0:3], 0 offset:188
	buffer_store_dword v97, off, s[0:3], 0 offset:184
	v_cmpx_lt_u32_e32 22, v0
	s_cbranch_execz .LBB46_247
; %bb.246:
	s_clause 0x1
	buffer_load_dword v97, off, s[0:3], 0 offset:176
	buffer_load_dword v98, off, s[0:3], 0 offset:180
	buffer_store_dword v96, off, s[0:3], 0 offset:176
	buffer_store_dword v96, off, s[0:3], 0 offset:180
	s_waitcnt vmcnt(0)
	ds_write_b64 v95, v[97:98]
.LBB46_247:
	s_or_b32 exec_lo, exec_lo, s4
	s_waitcnt lgkmcnt(0)
	s_waitcnt_vscnt null, 0x0
	s_barrier
	buffer_gl0_inv
	s_clause 0x1c
	buffer_load_dword v105, off, s[0:3], 0 offset:184
	buffer_load_dword v106, off, s[0:3], 0 offset:188
	;; [unrolled: 1-line block ×29, first 2 shown]
	ds_read2_b64 v[97:100], v96 offset0:71 offset1:72
	ds_read2_b64 v[101:104], v96 offset0:73 offset1:74
	buffer_load_dword v130, off, s[0:3], 0 offset:300
	s_mov_b32 s4, exec_lo
	s_waitcnt vmcnt(28) lgkmcnt(1)
	v_fma_f64 v[97:98], v[105:106], v[97:98], 0
	s_clause 0x7
	buffer_load_dword v106, off, s[0:3], 0 offset:308
	buffer_load_dword v135, off, s[0:3], 0 offset:328
	;; [unrolled: 1-line block ×8, first 2 shown]
	s_waitcnt vmcnt(34)
	v_fma_f64 v[97:98], v[107:108], v[99:100], v[97:98]
	s_waitcnt vmcnt(32) lgkmcnt(0)
	v_fma_f64 v[97:98], v[109:110], v[101:102], v[97:98]
	s_waitcnt vmcnt(30)
	v_fma_f64 v[107:108], v[111:112], v[103:104], v[97:98]
	ds_read2_b64 v[97:100], v96 offset0:75 offset1:76
	ds_read2_b64 v[101:104], v96 offset0:77 offset1:78
	s_waitcnt vmcnt(28) lgkmcnt(1)
	v_fma_f64 v[97:98], v[113:114], v[97:98], v[107:108]
	s_clause 0x7
	buffer_load_dword v108, off, s[0:3], 0 offset:340
	buffer_load_dword v109, off, s[0:3], 0 offset:360
	;; [unrolled: 1-line block ×8, first 2 shown]
	s_waitcnt vmcnt(34)
	v_fma_f64 v[97:98], v[115:116], v[99:100], v[97:98]
	s_waitcnt vmcnt(32) lgkmcnt(0)
	v_fma_f64 v[97:98], v[117:118], v[101:102], v[97:98]
	s_waitcnt vmcnt(27)
	v_fma_f64 v[115:116], v[119:120], v[103:104], v[97:98]
	ds_read2_b64 v[97:100], v96 offset0:79 offset1:80
	ds_read2_b64 v[101:104], v96 offset0:81 offset1:82
	s_waitcnt vmcnt(26) lgkmcnt(1)
	v_fma_f64 v[97:98], v[125:126], v[97:98], v[115:116]
	s_clause 0x3
	buffer_load_dword v116, off, s[0:3], 0 offset:372
	buffer_load_dword v115, off, s[0:3], 0 offset:368
	;; [unrolled: 1-line block ×4, first 2 shown]
	s_waitcnt vmcnt(29)
	v_fma_f64 v[97:98], v[123:124], v[99:100], v[97:98]
	s_waitcnt vmcnt(28) lgkmcnt(0)
	v_fma_f64 v[97:98], v[121:122], v[101:102], v[97:98]
	s_waitcnt vmcnt(23)
	v_fma_f64 v[119:120], v[127:128], v[103:104], v[97:98]
	ds_read2_b64 v[97:100], v96 offset0:83 offset1:84
	ds_read2_b64 v[101:104], v96 offset0:85 offset1:86
	s_waitcnt vmcnt(22) lgkmcnt(1)
	v_fma_f64 v[97:98], v[133:134], v[97:98], v[119:120]
	s_waitcnt vmcnt(21)
	v_fma_f64 v[97:98], v[131:132], v[99:100], v[97:98]
	s_waitcnt vmcnt(20) lgkmcnt(0)
	v_fma_f64 v[97:98], v[129:130], v[101:102], v[97:98]
	s_waitcnt vmcnt(15)
	v_fma_f64 v[105:106], v[105:106], v[103:104], v[97:98]
	ds_read2_b64 v[97:100], v96 offset0:87 offset1:88
	ds_read2_b64 v[101:104], v96 offset0:89 offset1:90
	s_waitcnt vmcnt(14) lgkmcnt(1)
	v_fma_f64 v[97:98], v[139:140], v[97:98], v[105:106]
	s_waitcnt vmcnt(13)
	v_fma_f64 v[97:98], v[137:138], v[99:100], v[97:98]
	s_waitcnt vmcnt(12) lgkmcnt(0)
	v_fma_f64 v[97:98], v[135:136], v[101:102], v[97:98]
	s_waitcnt vmcnt(7)
	v_fma_f64 v[105:106], v[107:108], v[103:104], v[97:98]
	ds_read2_b64 v[97:100], v96 offset0:91 offset1:92
	ds_read2_b64 v[101:104], v96 offset0:93 offset1:94
	s_waitcnt vmcnt(6) lgkmcnt(1)
	v_fma_f64 v[96:97], v[113:114], v[97:98], v[105:106]
	s_waitcnt vmcnt(5)
	v_fma_f64 v[96:97], v[111:112], v[99:100], v[96:97]
	s_waitcnt vmcnt(4) lgkmcnt(0)
	v_fma_f64 v[96:97], v[109:110], v[101:102], v[96:97]
	s_waitcnt vmcnt(2)
	v_fma_f64 v[96:97], v[115:116], v[103:104], v[96:97]
	s_waitcnt vmcnt(0)
	v_add_f64 v[96:97], v[117:118], -v[96:97]
	buffer_store_dword v97, off, s[0:3], 0 offset:180
	buffer_store_dword v96, off, s[0:3], 0 offset:176
	v_cmpx_lt_u32_e32 21, v0
	s_cbranch_execz .LBB46_249
; %bb.248:
	s_clause 0x1
	buffer_load_dword v96, off, s[0:3], 0 offset:168
	buffer_load_dword v97, off, s[0:3], 0 offset:172
	v_mov_b32_e32 v98, 0
	buffer_store_dword v98, off, s[0:3], 0 offset:168
	buffer_store_dword v98, off, s[0:3], 0 offset:172
	s_waitcnt vmcnt(0)
	ds_write_b64 v95, v[96:97]
.LBB46_249:
	s_or_b32 exec_lo, exec_lo, s4
	s_waitcnt lgkmcnt(0)
	s_waitcnt_vscnt null, 0x0
	s_barrier
	buffer_gl0_inv
	s_clause 0x1c
	buffer_load_dword v105, off, s[0:3], 0 offset:176
	buffer_load_dword v106, off, s[0:3], 0 offset:180
	buffer_load_dword v107, off, s[0:3], 0 offset:184
	buffer_load_dword v108, off, s[0:3], 0 offset:188
	buffer_load_dword v109, off, s[0:3], 0 offset:192
	buffer_load_dword v110, off, s[0:3], 0 offset:196
	buffer_load_dword v111, off, s[0:3], 0 offset:200
	buffer_load_dword v112, off, s[0:3], 0 offset:204
	buffer_load_dword v113, off, s[0:3], 0 offset:208
	buffer_load_dword v114, off, s[0:3], 0 offset:212
	buffer_load_dword v115, off, s[0:3], 0 offset:216
	buffer_load_dword v116, off, s[0:3], 0 offset:220
	buffer_load_dword v117, off, s[0:3], 0 offset:224
	buffer_load_dword v118, off, s[0:3], 0 offset:228
	buffer_load_dword v120, off, s[0:3], 0 offset:236
	buffer_load_dword v121, off, s[0:3], 0 offset:256
	buffer_load_dword v123, off, s[0:3], 0 offset:248
	buffer_load_dword v125, off, s[0:3], 0 offset:240
	buffer_load_dword v119, off, s[0:3], 0 offset:232
	buffer_load_dword v126, off, s[0:3], 0 offset:244
	buffer_load_dword v124, off, s[0:3], 0 offset:252
	buffer_load_dword v122, off, s[0:3], 0 offset:260
	buffer_load_dword v128, off, s[0:3], 0 offset:268
	buffer_load_dword v129, off, s[0:3], 0 offset:288
	buffer_load_dword v131, off, s[0:3], 0 offset:280
	buffer_load_dword v133, off, s[0:3], 0 offset:272
	buffer_load_dword v127, off, s[0:3], 0 offset:264
	buffer_load_dword v134, off, s[0:3], 0 offset:276
	buffer_load_dword v132, off, s[0:3], 0 offset:284
	v_mov_b32_e32 v96, 0
	buffer_load_dword v130, off, s[0:3], 0 offset:292
	s_mov_b32 s4, exec_lo
	ds_read_b128 v[97:100], v96 offset:560
	ds_read_b128 v[101:104], v96 offset:576
	s_waitcnt vmcnt(28) lgkmcnt(1)
	v_fma_f64 v[97:98], v[105:106], v[97:98], 0
	s_clause 0x7
	buffer_load_dword v106, off, s[0:3], 0 offset:300
	buffer_load_dword v135, off, s[0:3], 0 offset:320
	;; [unrolled: 1-line block ×8, first 2 shown]
	s_waitcnt vmcnt(34)
	v_fma_f64 v[97:98], v[107:108], v[99:100], v[97:98]
	s_waitcnt vmcnt(32) lgkmcnt(0)
	v_fma_f64 v[97:98], v[109:110], v[101:102], v[97:98]
	s_waitcnt vmcnt(30)
	v_fma_f64 v[107:108], v[111:112], v[103:104], v[97:98]
	ds_read_b128 v[97:100], v96 offset:592
	ds_read_b128 v[101:104], v96 offset:608
	s_waitcnt vmcnt(28) lgkmcnt(1)
	v_fma_f64 v[97:98], v[113:114], v[97:98], v[107:108]
	s_clause 0x7
	buffer_load_dword v108, off, s[0:3], 0 offset:332
	buffer_load_dword v109, off, s[0:3], 0 offset:352
	;; [unrolled: 1-line block ×8, first 2 shown]
	s_waitcnt vmcnt(34)
	v_fma_f64 v[97:98], v[115:116], v[99:100], v[97:98]
	s_waitcnt vmcnt(32) lgkmcnt(0)
	v_fma_f64 v[97:98], v[117:118], v[101:102], v[97:98]
	s_waitcnt vmcnt(27)
	v_fma_f64 v[115:116], v[119:120], v[103:104], v[97:98]
	ds_read_b128 v[97:100], v96 offset:624
	ds_read_b128 v[101:104], v96 offset:640
	s_waitcnt vmcnt(26) lgkmcnt(1)
	v_fma_f64 v[97:98], v[125:126], v[97:98], v[115:116]
	s_clause 0x5
	buffer_load_dword v116, off, s[0:3], 0 offset:364
	buffer_load_dword v117, off, s[0:3], 0 offset:368
	buffer_load_dword v115, off, s[0:3], 0 offset:360
	buffer_load_dword v118, off, s[0:3], 0 offset:372
	buffer_load_dword v119, off, s[0:3], 0 offset:168
	buffer_load_dword v120, off, s[0:3], 0 offset:172
	s_waitcnt vmcnt(31)
	v_fma_f64 v[97:98], v[123:124], v[99:100], v[97:98]
	s_waitcnt vmcnt(30) lgkmcnt(0)
	v_fma_f64 v[97:98], v[121:122], v[101:102], v[97:98]
	s_waitcnt vmcnt(25)
	v_fma_f64 v[121:122], v[127:128], v[103:104], v[97:98]
	ds_read_b128 v[97:100], v96 offset:656
	ds_read_b128 v[101:104], v96 offset:672
	s_waitcnt vmcnt(24) lgkmcnt(1)
	v_fma_f64 v[97:98], v[133:134], v[97:98], v[121:122]
	s_waitcnt vmcnt(23)
	v_fma_f64 v[97:98], v[131:132], v[99:100], v[97:98]
	s_waitcnt vmcnt(22) lgkmcnt(0)
	v_fma_f64 v[97:98], v[129:130], v[101:102], v[97:98]
	s_waitcnt vmcnt(17)
	v_fma_f64 v[105:106], v[105:106], v[103:104], v[97:98]
	ds_read_b128 v[97:100], v96 offset:688
	ds_read_b128 v[101:104], v96 offset:704
	s_waitcnt vmcnt(16) lgkmcnt(1)
	v_fma_f64 v[97:98], v[139:140], v[97:98], v[105:106]
	;; [unrolled: 10-line block ×3, first 2 shown]
	s_waitcnt vmcnt(7)
	v_fma_f64 v[97:98], v[111:112], v[99:100], v[97:98]
	ds_read_b64 v[99:100], v96 offset:752
	s_waitcnt vmcnt(6) lgkmcnt(1)
	v_fma_f64 v[97:98], v[109:110], v[101:102], v[97:98]
	s_waitcnt vmcnt(3)
	v_fma_f64 v[97:98], v[115:116], v[103:104], v[97:98]
	s_waitcnt vmcnt(2) lgkmcnt(0)
	v_fma_f64 v[97:98], v[117:118], v[99:100], v[97:98]
	s_waitcnt vmcnt(0)
	v_add_f64 v[97:98], v[119:120], -v[97:98]
	buffer_store_dword v98, off, s[0:3], 0 offset:172
	buffer_store_dword v97, off, s[0:3], 0 offset:168
	v_cmpx_lt_u32_e32 20, v0
	s_cbranch_execz .LBB46_251
; %bb.250:
	s_clause 0x1
	buffer_load_dword v97, off, s[0:3], 0 offset:160
	buffer_load_dword v98, off, s[0:3], 0 offset:164
	buffer_store_dword v96, off, s[0:3], 0 offset:160
	buffer_store_dword v96, off, s[0:3], 0 offset:164
	s_waitcnt vmcnt(0)
	ds_write_b64 v95, v[97:98]
.LBB46_251:
	s_or_b32 exec_lo, exec_lo, s4
	s_waitcnt lgkmcnt(0)
	s_waitcnt_vscnt null, 0x0
	s_barrier
	buffer_gl0_inv
	s_clause 0x1c
	buffer_load_dword v105, off, s[0:3], 0 offset:168
	buffer_load_dword v106, off, s[0:3], 0 offset:172
	;; [unrolled: 1-line block ×29, first 2 shown]
	ds_read2_b64 v[97:100], v96 offset0:69 offset1:70
	ds_read2_b64 v[101:104], v96 offset0:71 offset1:72
	buffer_load_dword v130, off, s[0:3], 0 offset:284
	s_mov_b32 s4, exec_lo
	s_waitcnt vmcnt(28) lgkmcnt(1)
	v_fma_f64 v[97:98], v[105:106], v[97:98], 0
	s_clause 0x7
	buffer_load_dword v106, off, s[0:3], 0 offset:292
	buffer_load_dword v135, off, s[0:3], 0 offset:312
	;; [unrolled: 1-line block ×8, first 2 shown]
	s_waitcnt vmcnt(34)
	v_fma_f64 v[97:98], v[107:108], v[99:100], v[97:98]
	s_waitcnt vmcnt(32) lgkmcnt(0)
	v_fma_f64 v[97:98], v[109:110], v[101:102], v[97:98]
	s_waitcnt vmcnt(30)
	v_fma_f64 v[107:108], v[111:112], v[103:104], v[97:98]
	ds_read2_b64 v[97:100], v96 offset0:73 offset1:74
	ds_read2_b64 v[101:104], v96 offset0:75 offset1:76
	s_waitcnt vmcnt(28) lgkmcnt(1)
	v_fma_f64 v[97:98], v[113:114], v[97:98], v[107:108]
	s_clause 0x7
	buffer_load_dword v108, off, s[0:3], 0 offset:324
	buffer_load_dword v109, off, s[0:3], 0 offset:344
	;; [unrolled: 1-line block ×8, first 2 shown]
	s_waitcnt vmcnt(34)
	v_fma_f64 v[97:98], v[115:116], v[99:100], v[97:98]
	s_waitcnt vmcnt(32) lgkmcnt(0)
	v_fma_f64 v[97:98], v[117:118], v[101:102], v[97:98]
	s_waitcnt vmcnt(27)
	v_fma_f64 v[115:116], v[119:120], v[103:104], v[97:98]
	ds_read2_b64 v[97:100], v96 offset0:77 offset1:78
	ds_read2_b64 v[101:104], v96 offset0:79 offset1:80
	s_waitcnt vmcnt(26) lgkmcnt(1)
	v_fma_f64 v[97:98], v[125:126], v[97:98], v[115:116]
	s_clause 0x5
	buffer_load_dword v116, off, s[0:3], 0 offset:356
	buffer_load_dword v117, off, s[0:3], 0 offset:368
	;; [unrolled: 1-line block ×6, first 2 shown]
	s_waitcnt vmcnt(31)
	v_fma_f64 v[97:98], v[123:124], v[99:100], v[97:98]
	s_waitcnt vmcnt(30) lgkmcnt(0)
	v_fma_f64 v[97:98], v[121:122], v[101:102], v[97:98]
	s_waitcnt vmcnt(25)
	v_fma_f64 v[121:122], v[127:128], v[103:104], v[97:98]
	ds_read2_b64 v[97:100], v96 offset0:81 offset1:82
	s_clause 0x1
	buffer_load_dword v123, off, s[0:3], 0 offset:160
	buffer_load_dword v124, off, s[0:3], 0 offset:164
	ds_read2_b64 v[101:104], v96 offset0:83 offset1:84
	s_waitcnt vmcnt(26) lgkmcnt(1)
	v_fma_f64 v[97:98], v[133:134], v[97:98], v[121:122]
	s_waitcnt vmcnt(25)
	v_fma_f64 v[97:98], v[131:132], v[99:100], v[97:98]
	s_waitcnt vmcnt(24) lgkmcnt(0)
	v_fma_f64 v[97:98], v[129:130], v[101:102], v[97:98]
	s_waitcnt vmcnt(19)
	v_fma_f64 v[105:106], v[105:106], v[103:104], v[97:98]
	ds_read2_b64 v[97:100], v96 offset0:85 offset1:86
	ds_read2_b64 v[101:104], v96 offset0:87 offset1:88
	s_waitcnt vmcnt(18) lgkmcnt(1)
	v_fma_f64 v[97:98], v[139:140], v[97:98], v[105:106]
	s_waitcnt vmcnt(17)
	v_fma_f64 v[97:98], v[137:138], v[99:100], v[97:98]
	s_waitcnt vmcnt(16) lgkmcnt(0)
	v_fma_f64 v[97:98], v[135:136], v[101:102], v[97:98]
	s_waitcnt vmcnt(11)
	v_fma_f64 v[105:106], v[107:108], v[103:104], v[97:98]
	ds_read2_b64 v[97:100], v96 offset0:89 offset1:90
	;; [unrolled: 10-line block ×3, first 2 shown]
	s_waitcnt vmcnt(3) lgkmcnt(0)
	v_fma_f64 v[96:97], v[119:120], v[96:97], v[100:101]
	s_waitcnt vmcnt(2)
	v_fma_f64 v[96:97], v[117:118], v[98:99], v[96:97]
	s_waitcnt vmcnt(0)
	v_add_f64 v[96:97], v[123:124], -v[96:97]
	buffer_store_dword v97, off, s[0:3], 0 offset:164
	buffer_store_dword v96, off, s[0:3], 0 offset:160
	v_cmpx_lt_u32_e32 19, v0
	s_cbranch_execz .LBB46_253
; %bb.252:
	s_clause 0x1
	buffer_load_dword v96, off, s[0:3], 0 offset:152
	buffer_load_dword v97, off, s[0:3], 0 offset:156
	v_mov_b32_e32 v98, 0
	buffer_store_dword v98, off, s[0:3], 0 offset:152
	buffer_store_dword v98, off, s[0:3], 0 offset:156
	s_waitcnt vmcnt(0)
	ds_write_b64 v95, v[96:97]
.LBB46_253:
	s_or_b32 exec_lo, exec_lo, s4
	s_waitcnt lgkmcnt(0)
	s_waitcnt_vscnt null, 0x0
	s_barrier
	buffer_gl0_inv
	s_clause 0x1c
	buffer_load_dword v105, off, s[0:3], 0 offset:160
	buffer_load_dword v106, off, s[0:3], 0 offset:164
	;; [unrolled: 1-line block ×29, first 2 shown]
	v_mov_b32_e32 v96, 0
	buffer_load_dword v130, off, s[0:3], 0 offset:276
	s_mov_b32 s4, exec_lo
	ds_read_b128 v[97:100], v96 offset:544
	ds_read_b128 v[101:104], v96 offset:560
	s_waitcnt vmcnt(28) lgkmcnt(1)
	v_fma_f64 v[97:98], v[105:106], v[97:98], 0
	s_clause 0x7
	buffer_load_dword v106, off, s[0:3], 0 offset:284
	buffer_load_dword v135, off, s[0:3], 0 offset:304
	buffer_load_dword v137, off, s[0:3], 0 offset:296
	buffer_load_dword v139, off, s[0:3], 0 offset:288
	buffer_load_dword v105, off, s[0:3], 0 offset:280
	buffer_load_dword v140, off, s[0:3], 0 offset:292
	buffer_load_dword v138, off, s[0:3], 0 offset:300
	buffer_load_dword v136, off, s[0:3], 0 offset:308
	s_waitcnt vmcnt(34)
	v_fma_f64 v[97:98], v[107:108], v[99:100], v[97:98]
	s_waitcnt vmcnt(32) lgkmcnt(0)
	v_fma_f64 v[97:98], v[109:110], v[101:102], v[97:98]
	s_waitcnt vmcnt(30)
	v_fma_f64 v[107:108], v[111:112], v[103:104], v[97:98]
	ds_read_b128 v[97:100], v96 offset:576
	ds_read_b128 v[101:104], v96 offset:592
	s_waitcnt vmcnt(28) lgkmcnt(1)
	v_fma_f64 v[97:98], v[113:114], v[97:98], v[107:108]
	s_clause 0x7
	buffer_load_dword v108, off, s[0:3], 0 offset:316
	buffer_load_dword v109, off, s[0:3], 0 offset:336
	buffer_load_dword v111, off, s[0:3], 0 offset:328
	buffer_load_dword v113, off, s[0:3], 0 offset:320
	buffer_load_dword v107, off, s[0:3], 0 offset:312
	buffer_load_dword v114, off, s[0:3], 0 offset:324
	buffer_load_dword v112, off, s[0:3], 0 offset:332
	buffer_load_dword v110, off, s[0:3], 0 offset:340
	s_waitcnt vmcnt(34)
	v_fma_f64 v[97:98], v[115:116], v[99:100], v[97:98]
	s_waitcnt vmcnt(32) lgkmcnt(0)
	v_fma_f64 v[97:98], v[117:118], v[101:102], v[97:98]
	s_waitcnt vmcnt(27)
	v_fma_f64 v[115:116], v[119:120], v[103:104], v[97:98]
	;; [unrolled: 19-line block ×3, first 2 shown]
	ds_read_b128 v[97:100], v96 offset:640
	ds_read_b128 v[101:104], v96 offset:656
	s_waitcnt vmcnt(26) lgkmcnt(1)
	v_fma_f64 v[97:98], v[133:134], v[97:98], v[121:122]
	s_clause 0x1
	buffer_load_dword v121, off, s[0:3], 0 offset:152
	buffer_load_dword v122, off, s[0:3], 0 offset:156
	s_waitcnt vmcnt(27)
	v_fma_f64 v[97:98], v[131:132], v[99:100], v[97:98]
	s_waitcnt vmcnt(26) lgkmcnt(0)
	v_fma_f64 v[97:98], v[129:130], v[101:102], v[97:98]
	s_waitcnt vmcnt(21)
	v_fma_f64 v[105:106], v[105:106], v[103:104], v[97:98]
	ds_read_b128 v[97:100], v96 offset:672
	ds_read_b128 v[101:104], v96 offset:688
	s_waitcnt vmcnt(20) lgkmcnt(1)
	v_fma_f64 v[97:98], v[139:140], v[97:98], v[105:106]
	s_waitcnt vmcnt(19)
	v_fma_f64 v[97:98], v[137:138], v[99:100], v[97:98]
	s_waitcnt vmcnt(18) lgkmcnt(0)
	v_fma_f64 v[97:98], v[135:136], v[101:102], v[97:98]
	s_waitcnt vmcnt(13)
	v_fma_f64 v[105:106], v[107:108], v[103:104], v[97:98]
	ds_read_b128 v[97:100], v96 offset:704
	ds_read_b128 v[101:104], v96 offset:720
	s_waitcnt vmcnt(12) lgkmcnt(1)
	v_fma_f64 v[97:98], v[113:114], v[97:98], v[105:106]
	s_waitcnt vmcnt(11)
	v_fma_f64 v[97:98], v[111:112], v[99:100], v[97:98]
	s_waitcnt vmcnt(10) lgkmcnt(0)
	v_fma_f64 v[97:98], v[109:110], v[101:102], v[97:98]
	s_waitcnt vmcnt(5)
	v_fma_f64 v[101:102], v[115:116], v[103:104], v[97:98]
	ds_read_b128 v[97:100], v96 offset:736
	ds_read_b64 v[103:104], v96 offset:752
	s_waitcnt vmcnt(4) lgkmcnt(1)
	v_fma_f64 v[97:98], v[125:126], v[97:98], v[101:102]
	s_waitcnt vmcnt(3)
	v_fma_f64 v[97:98], v[119:120], v[99:100], v[97:98]
	s_waitcnt vmcnt(2) lgkmcnt(0)
	v_fma_f64 v[97:98], v[117:118], v[103:104], v[97:98]
	s_waitcnt vmcnt(0)
	v_add_f64 v[97:98], v[121:122], -v[97:98]
	buffer_store_dword v98, off, s[0:3], 0 offset:156
	buffer_store_dword v97, off, s[0:3], 0 offset:152
	v_cmpx_lt_u32_e32 18, v0
	s_cbranch_execz .LBB46_255
; %bb.254:
	s_clause 0x1
	buffer_load_dword v97, off, s[0:3], 0 offset:144
	buffer_load_dword v98, off, s[0:3], 0 offset:148
	buffer_store_dword v96, off, s[0:3], 0 offset:144
	buffer_store_dword v96, off, s[0:3], 0 offset:148
	s_waitcnt vmcnt(0)
	ds_write_b64 v95, v[97:98]
.LBB46_255:
	s_or_b32 exec_lo, exec_lo, s4
	s_waitcnt lgkmcnt(0)
	s_waitcnt_vscnt null, 0x0
	s_barrier
	buffer_gl0_inv
	s_clause 0x1c
	buffer_load_dword v105, off, s[0:3], 0 offset:152
	buffer_load_dword v106, off, s[0:3], 0 offset:156
	;; [unrolled: 1-line block ×29, first 2 shown]
	ds_read2_b64 v[97:100], v96 offset0:67 offset1:68
	ds_read2_b64 v[101:104], v96 offset0:69 offset1:70
	buffer_load_dword v130, off, s[0:3], 0 offset:268
	s_mov_b32 s4, exec_lo
	s_waitcnt vmcnt(28) lgkmcnt(1)
	v_fma_f64 v[97:98], v[105:106], v[97:98], 0
	s_clause 0x7
	buffer_load_dword v106, off, s[0:3], 0 offset:276
	buffer_load_dword v135, off, s[0:3], 0 offset:296
	buffer_load_dword v137, off, s[0:3], 0 offset:288
	buffer_load_dword v139, off, s[0:3], 0 offset:280
	buffer_load_dword v105, off, s[0:3], 0 offset:272
	buffer_load_dword v140, off, s[0:3], 0 offset:284
	buffer_load_dword v138, off, s[0:3], 0 offset:292
	buffer_load_dword v136, off, s[0:3], 0 offset:300
	s_waitcnt vmcnt(34)
	v_fma_f64 v[97:98], v[107:108], v[99:100], v[97:98]
	s_waitcnt vmcnt(32) lgkmcnt(0)
	v_fma_f64 v[97:98], v[109:110], v[101:102], v[97:98]
	s_waitcnt vmcnt(30)
	v_fma_f64 v[107:108], v[111:112], v[103:104], v[97:98]
	ds_read2_b64 v[97:100], v96 offset0:71 offset1:72
	ds_read2_b64 v[101:104], v96 offset0:73 offset1:74
	s_waitcnt vmcnt(28) lgkmcnt(1)
	v_fma_f64 v[97:98], v[113:114], v[97:98], v[107:108]
	s_clause 0x7
	buffer_load_dword v108, off, s[0:3], 0 offset:308
	buffer_load_dword v109, off, s[0:3], 0 offset:328
	buffer_load_dword v111, off, s[0:3], 0 offset:320
	buffer_load_dword v113, off, s[0:3], 0 offset:312
	buffer_load_dword v107, off, s[0:3], 0 offset:304
	buffer_load_dword v114, off, s[0:3], 0 offset:316
	buffer_load_dword v112, off, s[0:3], 0 offset:324
	buffer_load_dword v110, off, s[0:3], 0 offset:332
	s_waitcnt vmcnt(34)
	v_fma_f64 v[97:98], v[115:116], v[99:100], v[97:98]
	s_waitcnt vmcnt(32) lgkmcnt(0)
	v_fma_f64 v[97:98], v[117:118], v[101:102], v[97:98]
	s_waitcnt vmcnt(27)
	v_fma_f64 v[115:116], v[119:120], v[103:104], v[97:98]
	ds_read2_b64 v[97:100], v96 offset0:75 offset1:76
	ds_read2_b64 v[101:104], v96 offset0:77 offset1:78
	;; [unrolled: 19-line block ×3, first 2 shown]
	s_waitcnt vmcnt(26) lgkmcnt(1)
	v_fma_f64 v[97:98], v[133:134], v[97:98], v[121:122]
	s_clause 0x3
	buffer_load_dword v122, off, s[0:3], 0 offset:372
	buffer_load_dword v121, off, s[0:3], 0 offset:368
	;; [unrolled: 1-line block ×4, first 2 shown]
	s_waitcnt vmcnt(29)
	v_fma_f64 v[97:98], v[131:132], v[99:100], v[97:98]
	s_waitcnt vmcnt(28) lgkmcnt(0)
	v_fma_f64 v[97:98], v[129:130], v[101:102], v[97:98]
	s_waitcnt vmcnt(23)
	v_fma_f64 v[105:106], v[105:106], v[103:104], v[97:98]
	ds_read2_b64 v[97:100], v96 offset0:83 offset1:84
	ds_read2_b64 v[101:104], v96 offset0:85 offset1:86
	s_waitcnt vmcnt(22) lgkmcnt(1)
	v_fma_f64 v[97:98], v[139:140], v[97:98], v[105:106]
	s_waitcnt vmcnt(21)
	v_fma_f64 v[97:98], v[137:138], v[99:100], v[97:98]
	s_waitcnt vmcnt(20) lgkmcnt(0)
	v_fma_f64 v[97:98], v[135:136], v[101:102], v[97:98]
	s_waitcnt vmcnt(15)
	v_fma_f64 v[105:106], v[107:108], v[103:104], v[97:98]
	ds_read2_b64 v[97:100], v96 offset0:87 offset1:88
	ds_read2_b64 v[101:104], v96 offset0:89 offset1:90
	s_waitcnt vmcnt(14) lgkmcnt(1)
	v_fma_f64 v[97:98], v[113:114], v[97:98], v[105:106]
	;; [unrolled: 10-line block ×3, first 2 shown]
	s_waitcnt vmcnt(5)
	v_fma_f64 v[96:97], v[119:120], v[99:100], v[96:97]
	s_waitcnt vmcnt(4) lgkmcnt(0)
	v_fma_f64 v[96:97], v[117:118], v[101:102], v[96:97]
	s_waitcnt vmcnt(2)
	v_fma_f64 v[96:97], v[121:122], v[103:104], v[96:97]
	s_waitcnt vmcnt(0)
	v_add_f64 v[96:97], v[123:124], -v[96:97]
	buffer_store_dword v97, off, s[0:3], 0 offset:148
	buffer_store_dword v96, off, s[0:3], 0 offset:144
	v_cmpx_lt_u32_e32 17, v0
	s_cbranch_execz .LBB46_257
; %bb.256:
	s_clause 0x1
	buffer_load_dword v96, off, s[0:3], 0 offset:136
	buffer_load_dword v97, off, s[0:3], 0 offset:140
	v_mov_b32_e32 v98, 0
	buffer_store_dword v98, off, s[0:3], 0 offset:136
	buffer_store_dword v98, off, s[0:3], 0 offset:140
	s_waitcnt vmcnt(0)
	ds_write_b64 v95, v[96:97]
.LBB46_257:
	s_or_b32 exec_lo, exec_lo, s4
	s_waitcnt lgkmcnt(0)
	s_waitcnt_vscnt null, 0x0
	s_barrier
	buffer_gl0_inv
	s_clause 0x1c
	buffer_load_dword v105, off, s[0:3], 0 offset:144
	buffer_load_dword v106, off, s[0:3], 0 offset:148
	;; [unrolled: 1-line block ×29, first 2 shown]
	v_mov_b32_e32 v96, 0
	buffer_load_dword v130, off, s[0:3], 0 offset:260
	s_mov_b32 s4, exec_lo
	ds_read_b128 v[97:100], v96 offset:528
	ds_read_b128 v[101:104], v96 offset:544
	s_waitcnt vmcnt(28) lgkmcnt(1)
	v_fma_f64 v[97:98], v[105:106], v[97:98], 0
	s_clause 0x7
	buffer_load_dword v106, off, s[0:3], 0 offset:268
	buffer_load_dword v135, off, s[0:3], 0 offset:288
	buffer_load_dword v137, off, s[0:3], 0 offset:280
	buffer_load_dword v139, off, s[0:3], 0 offset:272
	buffer_load_dword v105, off, s[0:3], 0 offset:264
	buffer_load_dword v140, off, s[0:3], 0 offset:276
	buffer_load_dword v138, off, s[0:3], 0 offset:284
	buffer_load_dword v136, off, s[0:3], 0 offset:292
	s_waitcnt vmcnt(34)
	v_fma_f64 v[97:98], v[107:108], v[99:100], v[97:98]
	s_waitcnt vmcnt(32) lgkmcnt(0)
	v_fma_f64 v[97:98], v[109:110], v[101:102], v[97:98]
	s_waitcnt vmcnt(30)
	v_fma_f64 v[107:108], v[111:112], v[103:104], v[97:98]
	ds_read_b128 v[97:100], v96 offset:560
	ds_read_b128 v[101:104], v96 offset:576
	s_waitcnt vmcnt(28) lgkmcnt(1)
	v_fma_f64 v[97:98], v[113:114], v[97:98], v[107:108]
	s_clause 0x7
	buffer_load_dword v108, off, s[0:3], 0 offset:300
	buffer_load_dword v109, off, s[0:3], 0 offset:320
	buffer_load_dword v111, off, s[0:3], 0 offset:312
	buffer_load_dword v113, off, s[0:3], 0 offset:304
	buffer_load_dword v107, off, s[0:3], 0 offset:296
	buffer_load_dword v114, off, s[0:3], 0 offset:308
	buffer_load_dword v112, off, s[0:3], 0 offset:316
	buffer_load_dword v110, off, s[0:3], 0 offset:324
	s_waitcnt vmcnt(34)
	v_fma_f64 v[97:98], v[115:116], v[99:100], v[97:98]
	s_waitcnt vmcnt(32) lgkmcnt(0)
	v_fma_f64 v[97:98], v[117:118], v[101:102], v[97:98]
	s_waitcnt vmcnt(27)
	v_fma_f64 v[115:116], v[119:120], v[103:104], v[97:98]
	ds_read_b128 v[97:100], v96 offset:592
	ds_read_b128 v[101:104], v96 offset:608
	s_waitcnt vmcnt(26) lgkmcnt(1)
	v_fma_f64 v[97:98], v[125:126], v[97:98], v[115:116]
	s_clause 0x7
	buffer_load_dword v116, off, s[0:3], 0 offset:332
	buffer_load_dword v117, off, s[0:3], 0 offset:352
	buffer_load_dword v119, off, s[0:3], 0 offset:344
	buffer_load_dword v125, off, s[0:3], 0 offset:336
	buffer_load_dword v115, off, s[0:3], 0 offset:328
	buffer_load_dword v126, off, s[0:3], 0 offset:340
	buffer_load_dword v120, off, s[0:3], 0 offset:348
	buffer_load_dword v118, off, s[0:3], 0 offset:356
	s_waitcnt vmcnt(33)
	v_fma_f64 v[97:98], v[123:124], v[99:100], v[97:98]
	s_waitcnt vmcnt(32) lgkmcnt(0)
	v_fma_f64 v[97:98], v[121:122], v[101:102], v[97:98]
	s_waitcnt vmcnt(27)
	v_fma_f64 v[121:122], v[127:128], v[103:104], v[97:98]
	ds_read_b128 v[97:100], v96 offset:624
	ds_read_b128 v[101:104], v96 offset:640
	s_waitcnt vmcnt(26) lgkmcnt(1)
	v_fma_f64 v[97:98], v[133:134], v[97:98], v[121:122]
	s_clause 0x5
	buffer_load_dword v122, off, s[0:3], 0 offset:364
	buffer_load_dword v123, off, s[0:3], 0 offset:368
	;; [unrolled: 1-line block ×6, first 2 shown]
	s_waitcnt vmcnt(31)
	v_fma_f64 v[97:98], v[131:132], v[99:100], v[97:98]
	s_waitcnt vmcnt(30) lgkmcnt(0)
	v_fma_f64 v[97:98], v[129:130], v[101:102], v[97:98]
	s_waitcnt vmcnt(25)
	v_fma_f64 v[105:106], v[105:106], v[103:104], v[97:98]
	ds_read_b128 v[97:100], v96 offset:656
	ds_read_b128 v[101:104], v96 offset:672
	s_waitcnt vmcnt(24) lgkmcnt(1)
	v_fma_f64 v[97:98], v[139:140], v[97:98], v[105:106]
	s_waitcnt vmcnt(23)
	v_fma_f64 v[97:98], v[137:138], v[99:100], v[97:98]
	s_waitcnt vmcnt(22) lgkmcnt(0)
	v_fma_f64 v[97:98], v[135:136], v[101:102], v[97:98]
	s_waitcnt vmcnt(17)
	v_fma_f64 v[105:106], v[107:108], v[103:104], v[97:98]
	ds_read_b128 v[97:100], v96 offset:688
	ds_read_b128 v[101:104], v96 offset:704
	s_waitcnt vmcnt(16) lgkmcnt(1)
	v_fma_f64 v[97:98], v[113:114], v[97:98], v[105:106]
	;; [unrolled: 10-line block ×3, first 2 shown]
	s_waitcnt vmcnt(7)
	v_fma_f64 v[97:98], v[119:120], v[99:100], v[97:98]
	ds_read_b64 v[99:100], v96 offset:752
	s_waitcnt vmcnt(6) lgkmcnt(1)
	v_fma_f64 v[97:98], v[117:118], v[101:102], v[97:98]
	s_waitcnt vmcnt(3)
	v_fma_f64 v[97:98], v[121:122], v[103:104], v[97:98]
	s_waitcnt vmcnt(2) lgkmcnt(0)
	v_fma_f64 v[97:98], v[123:124], v[99:100], v[97:98]
	s_waitcnt vmcnt(0)
	v_add_f64 v[97:98], v[127:128], -v[97:98]
	buffer_store_dword v98, off, s[0:3], 0 offset:140
	buffer_store_dword v97, off, s[0:3], 0 offset:136
	v_cmpx_lt_u32_e32 16, v0
	s_cbranch_execz .LBB46_259
; %bb.258:
	s_clause 0x1
	buffer_load_dword v97, off, s[0:3], 0 offset:128
	buffer_load_dword v98, off, s[0:3], 0 offset:132
	buffer_store_dword v96, off, s[0:3], 0 offset:128
	buffer_store_dword v96, off, s[0:3], 0 offset:132
	s_waitcnt vmcnt(0)
	ds_write_b64 v95, v[97:98]
.LBB46_259:
	s_or_b32 exec_lo, exec_lo, s4
	s_waitcnt lgkmcnt(0)
	s_waitcnt_vscnt null, 0x0
	s_barrier
	buffer_gl0_inv
	s_clause 0x1c
	buffer_load_dword v105, off, s[0:3], 0 offset:136
	buffer_load_dword v106, off, s[0:3], 0 offset:140
	;; [unrolled: 1-line block ×29, first 2 shown]
	ds_read2_b64 v[97:100], v96 offset0:65 offset1:66
	ds_read2_b64 v[101:104], v96 offset0:67 offset1:68
	buffer_load_dword v130, off, s[0:3], 0 offset:252
	s_mov_b32 s4, exec_lo
	s_waitcnt vmcnt(28) lgkmcnt(1)
	v_fma_f64 v[97:98], v[105:106], v[97:98], 0
	s_clause 0x7
	buffer_load_dword v106, off, s[0:3], 0 offset:260
	buffer_load_dword v135, off, s[0:3], 0 offset:280
	buffer_load_dword v137, off, s[0:3], 0 offset:272
	buffer_load_dword v139, off, s[0:3], 0 offset:264
	buffer_load_dword v105, off, s[0:3], 0 offset:256
	buffer_load_dword v140, off, s[0:3], 0 offset:268
	buffer_load_dword v138, off, s[0:3], 0 offset:276
	buffer_load_dword v136, off, s[0:3], 0 offset:284
	s_waitcnt vmcnt(34)
	v_fma_f64 v[97:98], v[107:108], v[99:100], v[97:98]
	s_waitcnt vmcnt(32) lgkmcnt(0)
	v_fma_f64 v[97:98], v[109:110], v[101:102], v[97:98]
	s_waitcnt vmcnt(30)
	v_fma_f64 v[107:108], v[111:112], v[103:104], v[97:98]
	ds_read2_b64 v[97:100], v96 offset0:69 offset1:70
	ds_read2_b64 v[101:104], v96 offset0:71 offset1:72
	s_waitcnt vmcnt(28) lgkmcnt(1)
	v_fma_f64 v[97:98], v[113:114], v[97:98], v[107:108]
	s_clause 0x7
	buffer_load_dword v108, off, s[0:3], 0 offset:292
	buffer_load_dword v109, off, s[0:3], 0 offset:312
	buffer_load_dword v111, off, s[0:3], 0 offset:304
	buffer_load_dword v113, off, s[0:3], 0 offset:296
	buffer_load_dword v107, off, s[0:3], 0 offset:288
	buffer_load_dword v114, off, s[0:3], 0 offset:300
	buffer_load_dword v112, off, s[0:3], 0 offset:308
	buffer_load_dword v110, off, s[0:3], 0 offset:316
	s_waitcnt vmcnt(34)
	v_fma_f64 v[97:98], v[115:116], v[99:100], v[97:98]
	s_waitcnt vmcnt(32) lgkmcnt(0)
	v_fma_f64 v[97:98], v[117:118], v[101:102], v[97:98]
	s_waitcnt vmcnt(27)
	v_fma_f64 v[115:116], v[119:120], v[103:104], v[97:98]
	ds_read2_b64 v[97:100], v96 offset0:73 offset1:74
	ds_read2_b64 v[101:104], v96 offset0:75 offset1:76
	;; [unrolled: 19-line block ×3, first 2 shown]
	s_waitcnt vmcnt(26) lgkmcnt(1)
	v_fma_f64 v[97:98], v[133:134], v[97:98], v[121:122]
	s_clause 0x5
	buffer_load_dword v122, off, s[0:3], 0 offset:356
	buffer_load_dword v123, off, s[0:3], 0 offset:368
	;; [unrolled: 1-line block ×6, first 2 shown]
	s_waitcnt vmcnt(31)
	v_fma_f64 v[97:98], v[131:132], v[99:100], v[97:98]
	s_waitcnt vmcnt(30) lgkmcnt(0)
	v_fma_f64 v[97:98], v[129:130], v[101:102], v[97:98]
	s_waitcnt vmcnt(25)
	v_fma_f64 v[105:106], v[105:106], v[103:104], v[97:98]
	ds_read2_b64 v[97:100], v96 offset0:81 offset1:82
	s_clause 0x1
	buffer_load_dword v129, off, s[0:3], 0 offset:128
	buffer_load_dword v130, off, s[0:3], 0 offset:132
	ds_read2_b64 v[101:104], v96 offset0:83 offset1:84
	s_waitcnt vmcnt(26) lgkmcnt(1)
	v_fma_f64 v[97:98], v[139:140], v[97:98], v[105:106]
	s_waitcnt vmcnt(25)
	v_fma_f64 v[97:98], v[137:138], v[99:100], v[97:98]
	s_waitcnt vmcnt(24) lgkmcnt(0)
	v_fma_f64 v[97:98], v[135:136], v[101:102], v[97:98]
	s_waitcnt vmcnt(19)
	v_fma_f64 v[105:106], v[107:108], v[103:104], v[97:98]
	ds_read2_b64 v[97:100], v96 offset0:85 offset1:86
	ds_read2_b64 v[101:104], v96 offset0:87 offset1:88
	s_waitcnt vmcnt(18) lgkmcnt(1)
	v_fma_f64 v[97:98], v[113:114], v[97:98], v[105:106]
	s_waitcnt vmcnt(17)
	v_fma_f64 v[97:98], v[111:112], v[99:100], v[97:98]
	s_waitcnt vmcnt(16) lgkmcnt(0)
	v_fma_f64 v[97:98], v[109:110], v[101:102], v[97:98]
	s_waitcnt vmcnt(11)
	v_fma_f64 v[105:106], v[115:116], v[103:104], v[97:98]
	ds_read2_b64 v[97:100], v96 offset0:89 offset1:90
	;; [unrolled: 10-line block ×3, first 2 shown]
	s_waitcnt vmcnt(3) lgkmcnt(0)
	v_fma_f64 v[96:97], v[127:128], v[96:97], v[100:101]
	s_waitcnt vmcnt(2)
	v_fma_f64 v[96:97], v[123:124], v[98:99], v[96:97]
	s_waitcnt vmcnt(0)
	v_add_f64 v[96:97], v[129:130], -v[96:97]
	buffer_store_dword v97, off, s[0:3], 0 offset:132
	buffer_store_dword v96, off, s[0:3], 0 offset:128
	v_cmpx_lt_u32_e32 15, v0
	s_cbranch_execz .LBB46_261
; %bb.260:
	s_clause 0x1
	buffer_load_dword v96, off, s[0:3], 0 offset:120
	buffer_load_dword v97, off, s[0:3], 0 offset:124
	v_mov_b32_e32 v98, 0
	buffer_store_dword v98, off, s[0:3], 0 offset:120
	buffer_store_dword v98, off, s[0:3], 0 offset:124
	s_waitcnt vmcnt(0)
	ds_write_b64 v95, v[96:97]
.LBB46_261:
	s_or_b32 exec_lo, exec_lo, s4
	s_waitcnt lgkmcnt(0)
	s_waitcnt_vscnt null, 0x0
	s_barrier
	buffer_gl0_inv
	s_clause 0x1c
	buffer_load_dword v105, off, s[0:3], 0 offset:128
	buffer_load_dword v106, off, s[0:3], 0 offset:132
	buffer_load_dword v107, off, s[0:3], 0 offset:136
	buffer_load_dword v108, off, s[0:3], 0 offset:140
	buffer_load_dword v109, off, s[0:3], 0 offset:144
	buffer_load_dword v110, off, s[0:3], 0 offset:148
	buffer_load_dword v111, off, s[0:3], 0 offset:152
	buffer_load_dword v112, off, s[0:3], 0 offset:156
	buffer_load_dword v113, off, s[0:3], 0 offset:160
	buffer_load_dword v114, off, s[0:3], 0 offset:164
	buffer_load_dword v115, off, s[0:3], 0 offset:168
	buffer_load_dword v116, off, s[0:3], 0 offset:172
	buffer_load_dword v117, off, s[0:3], 0 offset:176
	buffer_load_dword v118, off, s[0:3], 0 offset:180
	buffer_load_dword v120, off, s[0:3], 0 offset:188
	buffer_load_dword v121, off, s[0:3], 0 offset:208
	buffer_load_dword v123, off, s[0:3], 0 offset:200
	buffer_load_dword v125, off, s[0:3], 0 offset:192
	buffer_load_dword v119, off, s[0:3], 0 offset:184
	buffer_load_dword v126, off, s[0:3], 0 offset:196
	buffer_load_dword v124, off, s[0:3], 0 offset:204
	buffer_load_dword v122, off, s[0:3], 0 offset:212
	buffer_load_dword v128, off, s[0:3], 0 offset:220
	buffer_load_dword v129, off, s[0:3], 0 offset:240
	buffer_load_dword v131, off, s[0:3], 0 offset:232
	buffer_load_dword v133, off, s[0:3], 0 offset:224
	buffer_load_dword v127, off, s[0:3], 0 offset:216
	buffer_load_dword v134, off, s[0:3], 0 offset:228
	buffer_load_dword v132, off, s[0:3], 0 offset:236
	v_mov_b32_e32 v96, 0
	buffer_load_dword v130, off, s[0:3], 0 offset:244
	s_mov_b32 s4, exec_lo
	ds_read_b128 v[97:100], v96 offset:512
	ds_read_b128 v[101:104], v96 offset:528
	s_waitcnt vmcnt(28) lgkmcnt(1)
	v_fma_f64 v[97:98], v[105:106], v[97:98], 0
	s_clause 0x7
	buffer_load_dword v106, off, s[0:3], 0 offset:252
	buffer_load_dword v135, off, s[0:3], 0 offset:272
	buffer_load_dword v137, off, s[0:3], 0 offset:264
	buffer_load_dword v139, off, s[0:3], 0 offset:256
	buffer_load_dword v105, off, s[0:3], 0 offset:248
	buffer_load_dword v140, off, s[0:3], 0 offset:260
	buffer_load_dword v138, off, s[0:3], 0 offset:268
	buffer_load_dword v136, off, s[0:3], 0 offset:276
	s_waitcnt vmcnt(34)
	v_fma_f64 v[97:98], v[107:108], v[99:100], v[97:98]
	s_waitcnt vmcnt(32) lgkmcnt(0)
	v_fma_f64 v[97:98], v[109:110], v[101:102], v[97:98]
	s_waitcnt vmcnt(30)
	v_fma_f64 v[107:108], v[111:112], v[103:104], v[97:98]
	ds_read_b128 v[97:100], v96 offset:544
	ds_read_b128 v[101:104], v96 offset:560
	s_waitcnt vmcnt(28) lgkmcnt(1)
	v_fma_f64 v[97:98], v[113:114], v[97:98], v[107:108]
	s_clause 0x7
	buffer_load_dword v108, off, s[0:3], 0 offset:284
	buffer_load_dword v109, off, s[0:3], 0 offset:304
	buffer_load_dword v111, off, s[0:3], 0 offset:296
	buffer_load_dword v113, off, s[0:3], 0 offset:288
	buffer_load_dword v107, off, s[0:3], 0 offset:280
	buffer_load_dword v114, off, s[0:3], 0 offset:292
	buffer_load_dword v112, off, s[0:3], 0 offset:300
	buffer_load_dword v110, off, s[0:3], 0 offset:308
	s_waitcnt vmcnt(34)
	v_fma_f64 v[97:98], v[115:116], v[99:100], v[97:98]
	s_waitcnt vmcnt(32) lgkmcnt(0)
	v_fma_f64 v[97:98], v[117:118], v[101:102], v[97:98]
	s_waitcnt vmcnt(27)
	v_fma_f64 v[115:116], v[119:120], v[103:104], v[97:98]
	;; [unrolled: 19-line block ×4, first 2 shown]
	ds_read_b128 v[97:100], v96 offset:640
	ds_read_b128 v[101:104], v96 offset:656
	s_waitcnt vmcnt(26) lgkmcnt(1)
	v_fma_f64 v[97:98], v[139:140], v[97:98], v[105:106]
	s_clause 0x1
	buffer_load_dword v105, off, s[0:3], 0 offset:120
	buffer_load_dword v106, off, s[0:3], 0 offset:124
	s_waitcnt vmcnt(27)
	v_fma_f64 v[97:98], v[137:138], v[99:100], v[97:98]
	s_waitcnt vmcnt(26) lgkmcnt(0)
	v_fma_f64 v[97:98], v[135:136], v[101:102], v[97:98]
	s_waitcnt vmcnt(21)
	v_fma_f64 v[107:108], v[107:108], v[103:104], v[97:98]
	ds_read_b128 v[97:100], v96 offset:672
	ds_read_b128 v[101:104], v96 offset:688
	s_waitcnt vmcnt(20) lgkmcnt(1)
	v_fma_f64 v[97:98], v[113:114], v[97:98], v[107:108]
	s_waitcnt vmcnt(19)
	v_fma_f64 v[97:98], v[111:112], v[99:100], v[97:98]
	s_waitcnt vmcnt(18) lgkmcnt(0)
	v_fma_f64 v[97:98], v[109:110], v[101:102], v[97:98]
	s_waitcnt vmcnt(13)
	v_fma_f64 v[107:108], v[115:116], v[103:104], v[97:98]
	ds_read_b128 v[97:100], v96 offset:704
	ds_read_b128 v[101:104], v96 offset:720
	s_waitcnt vmcnt(12) lgkmcnt(1)
	v_fma_f64 v[97:98], v[125:126], v[97:98], v[107:108]
	s_waitcnt vmcnt(11)
	v_fma_f64 v[97:98], v[119:120], v[99:100], v[97:98]
	s_waitcnt vmcnt(10) lgkmcnt(0)
	v_fma_f64 v[97:98], v[117:118], v[101:102], v[97:98]
	s_waitcnt vmcnt(5)
	v_fma_f64 v[101:102], v[121:122], v[103:104], v[97:98]
	ds_read_b128 v[97:100], v96 offset:736
	ds_read_b64 v[103:104], v96 offset:752
	s_waitcnt vmcnt(4) lgkmcnt(1)
	v_fma_f64 v[97:98], v[133:134], v[97:98], v[101:102]
	s_waitcnt vmcnt(3)
	v_fma_f64 v[97:98], v[127:128], v[99:100], v[97:98]
	s_waitcnt vmcnt(2) lgkmcnt(0)
	v_fma_f64 v[97:98], v[123:124], v[103:104], v[97:98]
	s_waitcnt vmcnt(0)
	v_add_f64 v[97:98], v[105:106], -v[97:98]
	buffer_store_dword v98, off, s[0:3], 0 offset:124
	buffer_store_dword v97, off, s[0:3], 0 offset:120
	v_cmpx_lt_u32_e32 14, v0
	s_cbranch_execz .LBB46_263
; %bb.262:
	s_clause 0x1
	buffer_load_dword v97, off, s[0:3], 0 offset:112
	buffer_load_dword v98, off, s[0:3], 0 offset:116
	buffer_store_dword v96, off, s[0:3], 0 offset:112
	buffer_store_dword v96, off, s[0:3], 0 offset:116
	s_waitcnt vmcnt(0)
	ds_write_b64 v95, v[97:98]
.LBB46_263:
	s_or_b32 exec_lo, exec_lo, s4
	s_waitcnt lgkmcnt(0)
	s_waitcnt_vscnt null, 0x0
	s_barrier
	buffer_gl0_inv
	s_clause 0x1c
	buffer_load_dword v105, off, s[0:3], 0 offset:120
	buffer_load_dword v106, off, s[0:3], 0 offset:124
	;; [unrolled: 1-line block ×29, first 2 shown]
	ds_read2_b64 v[97:100], v96 offset0:63 offset1:64
	ds_read2_b64 v[101:104], v96 offset0:65 offset1:66
	buffer_load_dword v130, off, s[0:3], 0 offset:236
	s_mov_b32 s4, exec_lo
	s_waitcnt vmcnt(28) lgkmcnt(1)
	v_fma_f64 v[97:98], v[105:106], v[97:98], 0
	s_clause 0x7
	buffer_load_dword v106, off, s[0:3], 0 offset:244
	buffer_load_dword v135, off, s[0:3], 0 offset:264
	buffer_load_dword v137, off, s[0:3], 0 offset:256
	buffer_load_dword v139, off, s[0:3], 0 offset:248
	buffer_load_dword v105, off, s[0:3], 0 offset:240
	buffer_load_dword v140, off, s[0:3], 0 offset:252
	buffer_load_dword v138, off, s[0:3], 0 offset:260
	buffer_load_dword v136, off, s[0:3], 0 offset:268
	s_waitcnt vmcnt(34)
	v_fma_f64 v[97:98], v[107:108], v[99:100], v[97:98]
	s_waitcnt vmcnt(32) lgkmcnt(0)
	v_fma_f64 v[97:98], v[109:110], v[101:102], v[97:98]
	s_waitcnt vmcnt(30)
	v_fma_f64 v[107:108], v[111:112], v[103:104], v[97:98]
	ds_read2_b64 v[97:100], v96 offset0:67 offset1:68
	ds_read2_b64 v[101:104], v96 offset0:69 offset1:70
	s_waitcnt vmcnt(28) lgkmcnt(1)
	v_fma_f64 v[97:98], v[113:114], v[97:98], v[107:108]
	s_clause 0x7
	buffer_load_dword v108, off, s[0:3], 0 offset:276
	buffer_load_dword v109, off, s[0:3], 0 offset:296
	buffer_load_dword v111, off, s[0:3], 0 offset:288
	buffer_load_dword v113, off, s[0:3], 0 offset:280
	buffer_load_dword v107, off, s[0:3], 0 offset:272
	buffer_load_dword v114, off, s[0:3], 0 offset:284
	buffer_load_dword v112, off, s[0:3], 0 offset:292
	buffer_load_dword v110, off, s[0:3], 0 offset:300
	s_waitcnt vmcnt(34)
	v_fma_f64 v[97:98], v[115:116], v[99:100], v[97:98]
	s_waitcnt vmcnt(32) lgkmcnt(0)
	v_fma_f64 v[97:98], v[117:118], v[101:102], v[97:98]
	s_waitcnt vmcnt(27)
	v_fma_f64 v[115:116], v[119:120], v[103:104], v[97:98]
	ds_read2_b64 v[97:100], v96 offset0:71 offset1:72
	ds_read2_b64 v[101:104], v96 offset0:73 offset1:74
	;; [unrolled: 19-line block ×4, first 2 shown]
	s_waitcnt vmcnt(26) lgkmcnt(1)
	v_fma_f64 v[97:98], v[139:140], v[97:98], v[105:106]
	s_clause 0x3
	buffer_load_dword v106, off, s[0:3], 0 offset:372
	buffer_load_dword v105, off, s[0:3], 0 offset:368
	;; [unrolled: 1-line block ×4, first 2 shown]
	s_waitcnt vmcnt(29)
	v_fma_f64 v[97:98], v[137:138], v[99:100], v[97:98]
	s_waitcnt vmcnt(28) lgkmcnt(0)
	v_fma_f64 v[97:98], v[135:136], v[101:102], v[97:98]
	s_waitcnt vmcnt(23)
	v_fma_f64 v[107:108], v[107:108], v[103:104], v[97:98]
	ds_read2_b64 v[97:100], v96 offset0:83 offset1:84
	ds_read2_b64 v[101:104], v96 offset0:85 offset1:86
	s_waitcnt vmcnt(22) lgkmcnt(1)
	v_fma_f64 v[97:98], v[113:114], v[97:98], v[107:108]
	s_waitcnt vmcnt(21)
	v_fma_f64 v[97:98], v[111:112], v[99:100], v[97:98]
	s_waitcnt vmcnt(20) lgkmcnt(0)
	v_fma_f64 v[97:98], v[109:110], v[101:102], v[97:98]
	s_waitcnt vmcnt(15)
	v_fma_f64 v[107:108], v[115:116], v[103:104], v[97:98]
	ds_read2_b64 v[97:100], v96 offset0:87 offset1:88
	ds_read2_b64 v[101:104], v96 offset0:89 offset1:90
	s_waitcnt vmcnt(14) lgkmcnt(1)
	v_fma_f64 v[97:98], v[125:126], v[97:98], v[107:108]
	;; [unrolled: 10-line block ×3, first 2 shown]
	s_waitcnt vmcnt(5)
	v_fma_f64 v[96:97], v[127:128], v[99:100], v[96:97]
	s_waitcnt vmcnt(4) lgkmcnt(0)
	v_fma_f64 v[96:97], v[123:124], v[101:102], v[96:97]
	s_waitcnt vmcnt(2)
	v_fma_f64 v[96:97], v[105:106], v[103:104], v[96:97]
	s_waitcnt vmcnt(0)
	v_add_f64 v[96:97], v[129:130], -v[96:97]
	buffer_store_dword v97, off, s[0:3], 0 offset:116
	buffer_store_dword v96, off, s[0:3], 0 offset:112
	v_cmpx_lt_u32_e32 13, v0
	s_cbranch_execz .LBB46_265
; %bb.264:
	s_clause 0x1
	buffer_load_dword v96, off, s[0:3], 0 offset:104
	buffer_load_dword v97, off, s[0:3], 0 offset:108
	v_mov_b32_e32 v98, 0
	buffer_store_dword v98, off, s[0:3], 0 offset:104
	buffer_store_dword v98, off, s[0:3], 0 offset:108
	s_waitcnt vmcnt(0)
	ds_write_b64 v95, v[96:97]
.LBB46_265:
	s_or_b32 exec_lo, exec_lo, s4
	s_waitcnt lgkmcnt(0)
	s_waitcnt_vscnt null, 0x0
	s_barrier
	buffer_gl0_inv
	s_clause 0x1c
	buffer_load_dword v105, off, s[0:3], 0 offset:112
	buffer_load_dword v106, off, s[0:3], 0 offset:116
	;; [unrolled: 1-line block ×29, first 2 shown]
	v_mov_b32_e32 v96, 0
	buffer_load_dword v130, off, s[0:3], 0 offset:228
	s_mov_b32 s4, exec_lo
	ds_read_b128 v[97:100], v96 offset:496
	ds_read_b128 v[101:104], v96 offset:512
	s_waitcnt vmcnt(28) lgkmcnt(1)
	v_fma_f64 v[97:98], v[105:106], v[97:98], 0
	s_clause 0x7
	buffer_load_dword v106, off, s[0:3], 0 offset:236
	buffer_load_dword v135, off, s[0:3], 0 offset:256
	buffer_load_dword v137, off, s[0:3], 0 offset:248
	buffer_load_dword v139, off, s[0:3], 0 offset:240
	buffer_load_dword v105, off, s[0:3], 0 offset:232
	buffer_load_dword v140, off, s[0:3], 0 offset:244
	buffer_load_dword v138, off, s[0:3], 0 offset:252
	buffer_load_dword v136, off, s[0:3], 0 offset:260
	s_waitcnt vmcnt(34)
	v_fma_f64 v[97:98], v[107:108], v[99:100], v[97:98]
	s_waitcnt vmcnt(32) lgkmcnt(0)
	v_fma_f64 v[97:98], v[109:110], v[101:102], v[97:98]
	s_waitcnt vmcnt(30)
	v_fma_f64 v[107:108], v[111:112], v[103:104], v[97:98]
	ds_read_b128 v[97:100], v96 offset:528
	ds_read_b128 v[101:104], v96 offset:544
	s_waitcnt vmcnt(28) lgkmcnt(1)
	v_fma_f64 v[97:98], v[113:114], v[97:98], v[107:108]
	s_clause 0x7
	buffer_load_dword v108, off, s[0:3], 0 offset:268
	buffer_load_dword v109, off, s[0:3], 0 offset:288
	buffer_load_dword v111, off, s[0:3], 0 offset:280
	buffer_load_dword v113, off, s[0:3], 0 offset:272
	buffer_load_dword v107, off, s[0:3], 0 offset:264
	buffer_load_dword v114, off, s[0:3], 0 offset:276
	buffer_load_dword v112, off, s[0:3], 0 offset:284
	buffer_load_dword v110, off, s[0:3], 0 offset:292
	s_waitcnt vmcnt(34)
	v_fma_f64 v[97:98], v[115:116], v[99:100], v[97:98]
	s_waitcnt vmcnt(32) lgkmcnt(0)
	v_fma_f64 v[97:98], v[117:118], v[101:102], v[97:98]
	s_waitcnt vmcnt(27)
	v_fma_f64 v[115:116], v[119:120], v[103:104], v[97:98]
	;; [unrolled: 19-line block ×4, first 2 shown]
	ds_read_b128 v[97:100], v96 offset:624
	ds_read_b128 v[101:104], v96 offset:640
	s_waitcnt vmcnt(26) lgkmcnt(1)
	v_fma_f64 v[97:98], v[139:140], v[97:98], v[105:106]
	s_clause 0x5
	buffer_load_dword v106, off, s[0:3], 0 offset:364
	buffer_load_dword v129, off, s[0:3], 0 offset:368
	;; [unrolled: 1-line block ×6, first 2 shown]
	s_waitcnt vmcnt(31)
	v_fma_f64 v[97:98], v[137:138], v[99:100], v[97:98]
	s_waitcnt vmcnt(30) lgkmcnt(0)
	v_fma_f64 v[97:98], v[135:136], v[101:102], v[97:98]
	s_waitcnt vmcnt(25)
	v_fma_f64 v[107:108], v[107:108], v[103:104], v[97:98]
	ds_read_b128 v[97:100], v96 offset:656
	ds_read_b128 v[101:104], v96 offset:672
	s_waitcnt vmcnt(24) lgkmcnt(1)
	v_fma_f64 v[97:98], v[113:114], v[97:98], v[107:108]
	s_waitcnt vmcnt(23)
	v_fma_f64 v[97:98], v[111:112], v[99:100], v[97:98]
	s_waitcnt vmcnt(22) lgkmcnt(0)
	v_fma_f64 v[97:98], v[109:110], v[101:102], v[97:98]
	s_waitcnt vmcnt(17)
	v_fma_f64 v[107:108], v[115:116], v[103:104], v[97:98]
	ds_read_b128 v[97:100], v96 offset:688
	ds_read_b128 v[101:104], v96 offset:704
	s_waitcnt vmcnt(16) lgkmcnt(1)
	v_fma_f64 v[97:98], v[125:126], v[97:98], v[107:108]
	;; [unrolled: 10-line block ×3, first 2 shown]
	s_waitcnt vmcnt(7)
	v_fma_f64 v[97:98], v[127:128], v[99:100], v[97:98]
	ds_read_b64 v[99:100], v96 offset:752
	s_waitcnt vmcnt(6) lgkmcnt(1)
	v_fma_f64 v[97:98], v[123:124], v[101:102], v[97:98]
	s_waitcnt vmcnt(3)
	v_fma_f64 v[97:98], v[105:106], v[103:104], v[97:98]
	s_waitcnt vmcnt(2) lgkmcnt(0)
	v_fma_f64 v[97:98], v[129:130], v[99:100], v[97:98]
	s_waitcnt vmcnt(0)
	v_add_f64 v[97:98], v[131:132], -v[97:98]
	buffer_store_dword v98, off, s[0:3], 0 offset:108
	buffer_store_dword v97, off, s[0:3], 0 offset:104
	v_cmpx_lt_u32_e32 12, v0
	s_cbranch_execz .LBB46_267
; %bb.266:
	s_clause 0x1
	buffer_load_dword v97, off, s[0:3], 0 offset:96
	buffer_load_dword v98, off, s[0:3], 0 offset:100
	buffer_store_dword v96, off, s[0:3], 0 offset:96
	buffer_store_dword v96, off, s[0:3], 0 offset:100
	s_waitcnt vmcnt(0)
	ds_write_b64 v95, v[97:98]
.LBB46_267:
	s_or_b32 exec_lo, exec_lo, s4
	s_waitcnt lgkmcnt(0)
	s_waitcnt_vscnt null, 0x0
	s_barrier
	buffer_gl0_inv
	s_clause 0x1c
	buffer_load_dword v105, off, s[0:3], 0 offset:104
	buffer_load_dword v106, off, s[0:3], 0 offset:108
	;; [unrolled: 1-line block ×29, first 2 shown]
	ds_read2_b64 v[97:100], v96 offset0:61 offset1:62
	ds_read2_b64 v[101:104], v96 offset0:63 offset1:64
	buffer_load_dword v130, off, s[0:3], 0 offset:220
	s_mov_b32 s4, exec_lo
	s_waitcnt vmcnt(28) lgkmcnt(1)
	v_fma_f64 v[97:98], v[105:106], v[97:98], 0
	s_clause 0x7
	buffer_load_dword v106, off, s[0:3], 0 offset:228
	buffer_load_dword v135, off, s[0:3], 0 offset:248
	buffer_load_dword v137, off, s[0:3], 0 offset:240
	buffer_load_dword v139, off, s[0:3], 0 offset:232
	buffer_load_dword v105, off, s[0:3], 0 offset:224
	buffer_load_dword v140, off, s[0:3], 0 offset:236
	buffer_load_dword v138, off, s[0:3], 0 offset:244
	buffer_load_dword v136, off, s[0:3], 0 offset:252
	s_waitcnt vmcnt(34)
	v_fma_f64 v[97:98], v[107:108], v[99:100], v[97:98]
	s_waitcnt vmcnt(32) lgkmcnt(0)
	v_fma_f64 v[97:98], v[109:110], v[101:102], v[97:98]
	s_waitcnt vmcnt(30)
	v_fma_f64 v[107:108], v[111:112], v[103:104], v[97:98]
	ds_read2_b64 v[97:100], v96 offset0:65 offset1:66
	ds_read2_b64 v[101:104], v96 offset0:67 offset1:68
	s_waitcnt vmcnt(28) lgkmcnt(1)
	v_fma_f64 v[97:98], v[113:114], v[97:98], v[107:108]
	s_clause 0x7
	buffer_load_dword v108, off, s[0:3], 0 offset:260
	buffer_load_dword v109, off, s[0:3], 0 offset:280
	buffer_load_dword v111, off, s[0:3], 0 offset:272
	buffer_load_dword v113, off, s[0:3], 0 offset:264
	buffer_load_dword v107, off, s[0:3], 0 offset:256
	buffer_load_dword v114, off, s[0:3], 0 offset:268
	buffer_load_dword v112, off, s[0:3], 0 offset:276
	buffer_load_dword v110, off, s[0:3], 0 offset:284
	s_waitcnt vmcnt(34)
	v_fma_f64 v[97:98], v[115:116], v[99:100], v[97:98]
	s_waitcnt vmcnt(32) lgkmcnt(0)
	v_fma_f64 v[97:98], v[117:118], v[101:102], v[97:98]
	s_waitcnt vmcnt(27)
	v_fma_f64 v[115:116], v[119:120], v[103:104], v[97:98]
	ds_read2_b64 v[97:100], v96 offset0:69 offset1:70
	ds_read2_b64 v[101:104], v96 offset0:71 offset1:72
	;; [unrolled: 19-line block ×4, first 2 shown]
	s_waitcnt vmcnt(26) lgkmcnt(1)
	v_fma_f64 v[97:98], v[139:140], v[97:98], v[105:106]
	s_clause 0x5
	buffer_load_dword v106, off, s[0:3], 0 offset:356
	buffer_load_dword v129, off, s[0:3], 0 offset:368
	;; [unrolled: 1-line block ×6, first 2 shown]
	s_waitcnt vmcnt(31)
	v_fma_f64 v[97:98], v[137:138], v[99:100], v[97:98]
	s_waitcnt vmcnt(30) lgkmcnt(0)
	v_fma_f64 v[97:98], v[135:136], v[101:102], v[97:98]
	s_waitcnt vmcnt(25)
	v_fma_f64 v[107:108], v[107:108], v[103:104], v[97:98]
	ds_read2_b64 v[97:100], v96 offset0:81 offset1:82
	s_clause 0x1
	buffer_load_dword v135, off, s[0:3], 0 offset:96
	buffer_load_dword v136, off, s[0:3], 0 offset:100
	ds_read2_b64 v[101:104], v96 offset0:83 offset1:84
	s_waitcnt vmcnt(26) lgkmcnt(1)
	v_fma_f64 v[97:98], v[113:114], v[97:98], v[107:108]
	s_waitcnt vmcnt(25)
	v_fma_f64 v[97:98], v[111:112], v[99:100], v[97:98]
	s_waitcnt vmcnt(24) lgkmcnt(0)
	v_fma_f64 v[97:98], v[109:110], v[101:102], v[97:98]
	s_waitcnt vmcnt(19)
	v_fma_f64 v[107:108], v[115:116], v[103:104], v[97:98]
	ds_read2_b64 v[97:100], v96 offset0:85 offset1:86
	ds_read2_b64 v[101:104], v96 offset0:87 offset1:88
	s_waitcnt vmcnt(18) lgkmcnt(1)
	v_fma_f64 v[97:98], v[125:126], v[97:98], v[107:108]
	s_waitcnt vmcnt(17)
	v_fma_f64 v[97:98], v[119:120], v[99:100], v[97:98]
	s_waitcnt vmcnt(16) lgkmcnt(0)
	v_fma_f64 v[97:98], v[117:118], v[101:102], v[97:98]
	s_waitcnt vmcnt(11)
	v_fma_f64 v[107:108], v[121:122], v[103:104], v[97:98]
	ds_read2_b64 v[97:100], v96 offset0:89 offset1:90
	;; [unrolled: 10-line block ×3, first 2 shown]
	s_waitcnt vmcnt(3) lgkmcnt(0)
	v_fma_f64 v[96:97], v[131:132], v[96:97], v[100:101]
	s_waitcnt vmcnt(2)
	v_fma_f64 v[96:97], v[129:130], v[98:99], v[96:97]
	s_waitcnt vmcnt(0)
	v_add_f64 v[96:97], v[135:136], -v[96:97]
	buffer_store_dword v97, off, s[0:3], 0 offset:100
	buffer_store_dword v96, off, s[0:3], 0 offset:96
	v_cmpx_lt_u32_e32 11, v0
	s_cbranch_execz .LBB46_269
; %bb.268:
	s_clause 0x1
	buffer_load_dword v96, off, s[0:3], 0 offset:88
	buffer_load_dword v97, off, s[0:3], 0 offset:92
	v_mov_b32_e32 v98, 0
	buffer_store_dword v98, off, s[0:3], 0 offset:88
	buffer_store_dword v98, off, s[0:3], 0 offset:92
	s_waitcnt vmcnt(0)
	ds_write_b64 v95, v[96:97]
.LBB46_269:
	s_or_b32 exec_lo, exec_lo, s4
	s_waitcnt lgkmcnt(0)
	s_waitcnt_vscnt null, 0x0
	s_barrier
	buffer_gl0_inv
	s_clause 0x1c
	buffer_load_dword v105, off, s[0:3], 0 offset:96
	buffer_load_dword v106, off, s[0:3], 0 offset:100
	;; [unrolled: 1-line block ×29, first 2 shown]
	v_mov_b32_e32 v96, 0
	buffer_load_dword v130, off, s[0:3], 0 offset:212
	s_mov_b32 s4, exec_lo
	ds_read_b128 v[97:100], v96 offset:480
	ds_read_b128 v[101:104], v96 offset:496
	s_waitcnt vmcnt(28) lgkmcnt(1)
	v_fma_f64 v[97:98], v[105:106], v[97:98], 0
	s_clause 0x7
	buffer_load_dword v106, off, s[0:3], 0 offset:220
	buffer_load_dword v135, off, s[0:3], 0 offset:240
	buffer_load_dword v137, off, s[0:3], 0 offset:232
	buffer_load_dword v139, off, s[0:3], 0 offset:224
	buffer_load_dword v105, off, s[0:3], 0 offset:216
	buffer_load_dword v140, off, s[0:3], 0 offset:228
	buffer_load_dword v138, off, s[0:3], 0 offset:236
	buffer_load_dword v136, off, s[0:3], 0 offset:244
	s_waitcnt vmcnt(34)
	v_fma_f64 v[97:98], v[107:108], v[99:100], v[97:98]
	s_waitcnt vmcnt(32) lgkmcnt(0)
	v_fma_f64 v[97:98], v[109:110], v[101:102], v[97:98]
	s_waitcnt vmcnt(30)
	v_fma_f64 v[107:108], v[111:112], v[103:104], v[97:98]
	ds_read_b128 v[97:100], v96 offset:512
	ds_read_b128 v[101:104], v96 offset:528
	s_waitcnt vmcnt(28) lgkmcnt(1)
	v_fma_f64 v[97:98], v[113:114], v[97:98], v[107:108]
	s_clause 0x7
	buffer_load_dword v108, off, s[0:3], 0 offset:252
	buffer_load_dword v109, off, s[0:3], 0 offset:272
	buffer_load_dword v111, off, s[0:3], 0 offset:264
	buffer_load_dword v113, off, s[0:3], 0 offset:256
	buffer_load_dword v107, off, s[0:3], 0 offset:248
	buffer_load_dword v114, off, s[0:3], 0 offset:260
	buffer_load_dword v112, off, s[0:3], 0 offset:268
	buffer_load_dword v110, off, s[0:3], 0 offset:276
	s_waitcnt vmcnt(34)
	v_fma_f64 v[97:98], v[115:116], v[99:100], v[97:98]
	s_waitcnt vmcnt(32) lgkmcnt(0)
	v_fma_f64 v[97:98], v[117:118], v[101:102], v[97:98]
	s_waitcnt vmcnt(27)
	v_fma_f64 v[115:116], v[119:120], v[103:104], v[97:98]
	;; [unrolled: 19-line block ×5, first 2 shown]
	ds_read_b128 v[97:100], v96 offset:640
	ds_read_b128 v[101:104], v96 offset:656
	s_waitcnt vmcnt(26) lgkmcnt(1)
	v_fma_f64 v[97:98], v[113:114], v[97:98], v[107:108]
	s_clause 0x1
	buffer_load_dword v107, off, s[0:3], 0 offset:88
	buffer_load_dword v108, off, s[0:3], 0 offset:92
	s_waitcnt vmcnt(27)
	v_fma_f64 v[97:98], v[111:112], v[99:100], v[97:98]
	s_waitcnt vmcnt(26) lgkmcnt(0)
	v_fma_f64 v[97:98], v[109:110], v[101:102], v[97:98]
	s_waitcnt vmcnt(21)
	v_fma_f64 v[109:110], v[115:116], v[103:104], v[97:98]
	ds_read_b128 v[97:100], v96 offset:672
	ds_read_b128 v[101:104], v96 offset:688
	s_waitcnt vmcnt(20) lgkmcnt(1)
	v_fma_f64 v[97:98], v[125:126], v[97:98], v[109:110]
	s_waitcnt vmcnt(19)
	v_fma_f64 v[97:98], v[119:120], v[99:100], v[97:98]
	s_waitcnt vmcnt(18) lgkmcnt(0)
	v_fma_f64 v[97:98], v[117:118], v[101:102], v[97:98]
	s_waitcnt vmcnt(13)
	v_fma_f64 v[109:110], v[121:122], v[103:104], v[97:98]
	ds_read_b128 v[97:100], v96 offset:704
	ds_read_b128 v[101:104], v96 offset:720
	s_waitcnt vmcnt(12) lgkmcnt(1)
	v_fma_f64 v[97:98], v[133:134], v[97:98], v[109:110]
	s_waitcnt vmcnt(11)
	v_fma_f64 v[97:98], v[127:128], v[99:100], v[97:98]
	s_waitcnt vmcnt(10) lgkmcnt(0)
	v_fma_f64 v[97:98], v[123:124], v[101:102], v[97:98]
	s_waitcnt vmcnt(5)
	v_fma_f64 v[101:102], v[105:106], v[103:104], v[97:98]
	ds_read_b128 v[97:100], v96 offset:736
	ds_read_b64 v[103:104], v96 offset:752
	s_waitcnt vmcnt(4) lgkmcnt(1)
	v_fma_f64 v[97:98], v[139:140], v[97:98], v[101:102]
	s_waitcnt vmcnt(3)
	v_fma_f64 v[97:98], v[131:132], v[99:100], v[97:98]
	s_waitcnt vmcnt(2) lgkmcnt(0)
	v_fma_f64 v[97:98], v[129:130], v[103:104], v[97:98]
	s_waitcnt vmcnt(0)
	v_add_f64 v[97:98], v[107:108], -v[97:98]
	buffer_store_dword v98, off, s[0:3], 0 offset:92
	buffer_store_dword v97, off, s[0:3], 0 offset:88
	v_cmpx_lt_u32_e32 10, v0
	s_cbranch_execz .LBB46_271
; %bb.270:
	s_clause 0x1
	buffer_load_dword v97, off, s[0:3], 0 offset:80
	buffer_load_dword v98, off, s[0:3], 0 offset:84
	buffer_store_dword v96, off, s[0:3], 0 offset:80
	buffer_store_dword v96, off, s[0:3], 0 offset:84
	s_waitcnt vmcnt(0)
	ds_write_b64 v95, v[97:98]
.LBB46_271:
	s_or_b32 exec_lo, exec_lo, s4
	s_waitcnt lgkmcnt(0)
	s_waitcnt_vscnt null, 0x0
	s_barrier
	buffer_gl0_inv
	s_clause 0x1c
	buffer_load_dword v105, off, s[0:3], 0 offset:88
	buffer_load_dword v106, off, s[0:3], 0 offset:92
	buffer_load_dword v107, off, s[0:3], 0 offset:96
	buffer_load_dword v108, off, s[0:3], 0 offset:100
	buffer_load_dword v109, off, s[0:3], 0 offset:104
	buffer_load_dword v110, off, s[0:3], 0 offset:108
	buffer_load_dword v111, off, s[0:3], 0 offset:112
	buffer_load_dword v112, off, s[0:3], 0 offset:116
	buffer_load_dword v113, off, s[0:3], 0 offset:120
	buffer_load_dword v114, off, s[0:3], 0 offset:124
	buffer_load_dword v115, off, s[0:3], 0 offset:128
	buffer_load_dword v116, off, s[0:3], 0 offset:132
	buffer_load_dword v117, off, s[0:3], 0 offset:136
	buffer_load_dword v118, off, s[0:3], 0 offset:140
	buffer_load_dword v120, off, s[0:3], 0 offset:148
	buffer_load_dword v121, off, s[0:3], 0 offset:168
	buffer_load_dword v123, off, s[0:3], 0 offset:160
	buffer_load_dword v125, off, s[0:3], 0 offset:152
	buffer_load_dword v119, off, s[0:3], 0 offset:144
	buffer_load_dword v126, off, s[0:3], 0 offset:156
	buffer_load_dword v124, off, s[0:3], 0 offset:164
	buffer_load_dword v122, off, s[0:3], 0 offset:172
	buffer_load_dword v128, off, s[0:3], 0 offset:180
	buffer_load_dword v129, off, s[0:3], 0 offset:200
	buffer_load_dword v131, off, s[0:3], 0 offset:192
	buffer_load_dword v133, off, s[0:3], 0 offset:184
	buffer_load_dword v127, off, s[0:3], 0 offset:176
	buffer_load_dword v134, off, s[0:3], 0 offset:188
	buffer_load_dword v132, off, s[0:3], 0 offset:196
	ds_read2_b64 v[97:100], v96 offset0:59 offset1:60
	ds_read2_b64 v[101:104], v96 offset0:61 offset1:62
	buffer_load_dword v130, off, s[0:3], 0 offset:204
	s_mov_b32 s4, exec_lo
	s_waitcnt vmcnt(28) lgkmcnt(1)
	v_fma_f64 v[97:98], v[105:106], v[97:98], 0
	s_clause 0x7
	buffer_load_dword v106, off, s[0:3], 0 offset:212
	buffer_load_dword v135, off, s[0:3], 0 offset:232
	buffer_load_dword v137, off, s[0:3], 0 offset:224
	buffer_load_dword v139, off, s[0:3], 0 offset:216
	buffer_load_dword v105, off, s[0:3], 0 offset:208
	buffer_load_dword v140, off, s[0:3], 0 offset:220
	buffer_load_dword v138, off, s[0:3], 0 offset:228
	buffer_load_dword v136, off, s[0:3], 0 offset:236
	s_waitcnt vmcnt(34)
	v_fma_f64 v[97:98], v[107:108], v[99:100], v[97:98]
	s_waitcnt vmcnt(32) lgkmcnt(0)
	v_fma_f64 v[97:98], v[109:110], v[101:102], v[97:98]
	s_waitcnt vmcnt(30)
	v_fma_f64 v[107:108], v[111:112], v[103:104], v[97:98]
	ds_read2_b64 v[97:100], v96 offset0:63 offset1:64
	ds_read2_b64 v[101:104], v96 offset0:65 offset1:66
	s_waitcnt vmcnt(28) lgkmcnt(1)
	v_fma_f64 v[97:98], v[113:114], v[97:98], v[107:108]
	s_clause 0x7
	buffer_load_dword v108, off, s[0:3], 0 offset:244
	buffer_load_dword v109, off, s[0:3], 0 offset:264
	buffer_load_dword v111, off, s[0:3], 0 offset:256
	buffer_load_dword v113, off, s[0:3], 0 offset:248
	buffer_load_dword v107, off, s[0:3], 0 offset:240
	buffer_load_dword v114, off, s[0:3], 0 offset:252
	buffer_load_dword v112, off, s[0:3], 0 offset:260
	buffer_load_dword v110, off, s[0:3], 0 offset:268
	s_waitcnt vmcnt(34)
	v_fma_f64 v[97:98], v[115:116], v[99:100], v[97:98]
	s_waitcnt vmcnt(32) lgkmcnt(0)
	v_fma_f64 v[97:98], v[117:118], v[101:102], v[97:98]
	s_waitcnt vmcnt(27)
	v_fma_f64 v[115:116], v[119:120], v[103:104], v[97:98]
	ds_read2_b64 v[97:100], v96 offset0:67 offset1:68
	ds_read2_b64 v[101:104], v96 offset0:69 offset1:70
	;; [unrolled: 19-line block ×5, first 2 shown]
	s_waitcnt vmcnt(26) lgkmcnt(1)
	v_fma_f64 v[97:98], v[113:114], v[97:98], v[107:108]
	s_clause 0x1
	buffer_load_dword v108, off, s[0:3], 0 offset:372
	buffer_load_dword v107, off, s[0:3], 0 offset:368
	s_waitcnt vmcnt(27)
	v_fma_f64 v[97:98], v[111:112], v[99:100], v[97:98]
	s_clause 0x1
	buffer_load_dword v111, off, s[0:3], 0 offset:80
	buffer_load_dword v112, off, s[0:3], 0 offset:84
	s_waitcnt vmcnt(28) lgkmcnt(0)
	v_fma_f64 v[97:98], v[109:110], v[101:102], v[97:98]
	s_waitcnt vmcnt(23)
	v_fma_f64 v[109:110], v[115:116], v[103:104], v[97:98]
	ds_read2_b64 v[97:100], v96 offset0:83 offset1:84
	ds_read2_b64 v[101:104], v96 offset0:85 offset1:86
	s_waitcnt vmcnt(22) lgkmcnt(1)
	v_fma_f64 v[97:98], v[125:126], v[97:98], v[109:110]
	s_waitcnt vmcnt(21)
	v_fma_f64 v[97:98], v[119:120], v[99:100], v[97:98]
	s_waitcnt vmcnt(20) lgkmcnt(0)
	v_fma_f64 v[97:98], v[117:118], v[101:102], v[97:98]
	s_waitcnt vmcnt(15)
	v_fma_f64 v[109:110], v[121:122], v[103:104], v[97:98]
	ds_read2_b64 v[97:100], v96 offset0:87 offset1:88
	ds_read2_b64 v[101:104], v96 offset0:89 offset1:90
	s_waitcnt vmcnt(14) lgkmcnt(1)
	v_fma_f64 v[97:98], v[133:134], v[97:98], v[109:110]
	s_waitcnt vmcnt(13)
	v_fma_f64 v[97:98], v[127:128], v[99:100], v[97:98]
	;; [unrolled: 10-line block ×3, first 2 shown]
	s_waitcnt vmcnt(4) lgkmcnt(0)
	v_fma_f64 v[96:97], v[129:130], v[101:102], v[96:97]
	s_waitcnt vmcnt(2)
	v_fma_f64 v[96:97], v[107:108], v[103:104], v[96:97]
	s_waitcnt vmcnt(0)
	v_add_f64 v[96:97], v[111:112], -v[96:97]
	buffer_store_dword v97, off, s[0:3], 0 offset:84
	buffer_store_dword v96, off, s[0:3], 0 offset:80
	v_cmpx_lt_u32_e32 9, v0
	s_cbranch_execz .LBB46_273
; %bb.272:
	s_clause 0x1
	buffer_load_dword v96, off, s[0:3], 0 offset:72
	buffer_load_dword v97, off, s[0:3], 0 offset:76
	v_mov_b32_e32 v98, 0
	buffer_store_dword v98, off, s[0:3], 0 offset:72
	buffer_store_dword v98, off, s[0:3], 0 offset:76
	s_waitcnt vmcnt(0)
	ds_write_b64 v95, v[96:97]
.LBB46_273:
	s_or_b32 exec_lo, exec_lo, s4
	s_waitcnt lgkmcnt(0)
	s_waitcnt_vscnt null, 0x0
	s_barrier
	buffer_gl0_inv
	s_clause 0x1c
	buffer_load_dword v105, off, s[0:3], 0 offset:80
	buffer_load_dword v106, off, s[0:3], 0 offset:84
	buffer_load_dword v107, off, s[0:3], 0 offset:88
	buffer_load_dword v108, off, s[0:3], 0 offset:92
	buffer_load_dword v109, off, s[0:3], 0 offset:96
	buffer_load_dword v110, off, s[0:3], 0 offset:100
	buffer_load_dword v111, off, s[0:3], 0 offset:104
	buffer_load_dword v112, off, s[0:3], 0 offset:108
	buffer_load_dword v113, off, s[0:3], 0 offset:112
	buffer_load_dword v114, off, s[0:3], 0 offset:116
	buffer_load_dword v115, off, s[0:3], 0 offset:120
	buffer_load_dword v116, off, s[0:3], 0 offset:124
	buffer_load_dword v117, off, s[0:3], 0 offset:128
	buffer_load_dword v118, off, s[0:3], 0 offset:132
	buffer_load_dword v120, off, s[0:3], 0 offset:140
	buffer_load_dword v121, off, s[0:3], 0 offset:160
	buffer_load_dword v123, off, s[0:3], 0 offset:152
	buffer_load_dword v125, off, s[0:3], 0 offset:144
	buffer_load_dword v119, off, s[0:3], 0 offset:136
	buffer_load_dword v126, off, s[0:3], 0 offset:148
	buffer_load_dword v124, off, s[0:3], 0 offset:156
	buffer_load_dword v122, off, s[0:3], 0 offset:164
	buffer_load_dword v128, off, s[0:3], 0 offset:172
	buffer_load_dword v129, off, s[0:3], 0 offset:192
	buffer_load_dword v131, off, s[0:3], 0 offset:184
	buffer_load_dword v133, off, s[0:3], 0 offset:176
	buffer_load_dword v127, off, s[0:3], 0 offset:168
	buffer_load_dword v134, off, s[0:3], 0 offset:180
	buffer_load_dword v132, off, s[0:3], 0 offset:188
	v_mov_b32_e32 v96, 0
	buffer_load_dword v130, off, s[0:3], 0 offset:196
	s_mov_b32 s4, exec_lo
	ds_read_b128 v[97:100], v96 offset:464
	ds_read_b128 v[101:104], v96 offset:480
	s_waitcnt vmcnt(28) lgkmcnt(1)
	v_fma_f64 v[97:98], v[105:106], v[97:98], 0
	s_clause 0x7
	buffer_load_dword v106, off, s[0:3], 0 offset:204
	buffer_load_dword v135, off, s[0:3], 0 offset:224
	buffer_load_dword v137, off, s[0:3], 0 offset:216
	buffer_load_dword v139, off, s[0:3], 0 offset:208
	buffer_load_dword v105, off, s[0:3], 0 offset:200
	buffer_load_dword v140, off, s[0:3], 0 offset:212
	buffer_load_dword v138, off, s[0:3], 0 offset:220
	buffer_load_dword v136, off, s[0:3], 0 offset:228
	s_waitcnt vmcnt(34)
	v_fma_f64 v[97:98], v[107:108], v[99:100], v[97:98]
	s_waitcnt vmcnt(32) lgkmcnt(0)
	v_fma_f64 v[97:98], v[109:110], v[101:102], v[97:98]
	s_waitcnt vmcnt(30)
	v_fma_f64 v[107:108], v[111:112], v[103:104], v[97:98]
	ds_read_b128 v[97:100], v96 offset:496
	ds_read_b128 v[101:104], v96 offset:512
	s_waitcnt vmcnt(28) lgkmcnt(1)
	v_fma_f64 v[97:98], v[113:114], v[97:98], v[107:108]
	s_clause 0x7
	buffer_load_dword v108, off, s[0:3], 0 offset:236
	buffer_load_dword v109, off, s[0:3], 0 offset:256
	buffer_load_dword v111, off, s[0:3], 0 offset:248
	buffer_load_dword v113, off, s[0:3], 0 offset:240
	buffer_load_dword v107, off, s[0:3], 0 offset:232
	buffer_load_dword v114, off, s[0:3], 0 offset:244
	buffer_load_dword v112, off, s[0:3], 0 offset:252
	buffer_load_dword v110, off, s[0:3], 0 offset:260
	s_waitcnt vmcnt(34)
	v_fma_f64 v[97:98], v[115:116], v[99:100], v[97:98]
	s_waitcnt vmcnt(32) lgkmcnt(0)
	v_fma_f64 v[97:98], v[117:118], v[101:102], v[97:98]
	s_waitcnt vmcnt(27)
	v_fma_f64 v[115:116], v[119:120], v[103:104], v[97:98]
	;; [unrolled: 19-line block ×5, first 2 shown]
	ds_read_b128 v[97:100], v96 offset:624
	ds_read_b128 v[101:104], v96 offset:640
	s_waitcnt vmcnt(26) lgkmcnt(1)
	v_fma_f64 v[97:98], v[113:114], v[97:98], v[107:108]
	s_clause 0x3
	buffer_load_dword v108, off, s[0:3], 0 offset:364
	buffer_load_dword v113, off, s[0:3], 0 offset:368
	;; [unrolled: 1-line block ×4, first 2 shown]
	s_waitcnt vmcnt(29)
	v_fma_f64 v[97:98], v[111:112], v[99:100], v[97:98]
	s_waitcnt vmcnt(28) lgkmcnt(0)
	v_fma_f64 v[97:98], v[109:110], v[101:102], v[97:98]
	s_clause 0x1
	buffer_load_dword v109, off, s[0:3], 0 offset:72
	buffer_load_dword v110, off, s[0:3], 0 offset:76
	s_waitcnt vmcnt(25)
	v_fma_f64 v[111:112], v[115:116], v[103:104], v[97:98]
	ds_read_b128 v[97:100], v96 offset:656
	ds_read_b128 v[101:104], v96 offset:672
	s_waitcnt vmcnt(24) lgkmcnt(1)
	v_fma_f64 v[97:98], v[125:126], v[97:98], v[111:112]
	s_waitcnt vmcnt(23)
	v_fma_f64 v[97:98], v[119:120], v[99:100], v[97:98]
	s_waitcnt vmcnt(22) lgkmcnt(0)
	v_fma_f64 v[97:98], v[117:118], v[101:102], v[97:98]
	s_waitcnt vmcnt(17)
	v_fma_f64 v[111:112], v[121:122], v[103:104], v[97:98]
	ds_read_b128 v[97:100], v96 offset:688
	ds_read_b128 v[101:104], v96 offset:704
	s_waitcnt vmcnt(16) lgkmcnt(1)
	v_fma_f64 v[97:98], v[133:134], v[97:98], v[111:112]
	s_waitcnt vmcnt(15)
	v_fma_f64 v[97:98], v[127:128], v[99:100], v[97:98]
	s_waitcnt vmcnt(14) lgkmcnt(0)
	v_fma_f64 v[97:98], v[123:124], v[101:102], v[97:98]
	s_waitcnt vmcnt(9)
	v_fma_f64 v[105:106], v[105:106], v[103:104], v[97:98]
	ds_read_b128 v[97:100], v96 offset:720
	ds_read_b128 v[101:104], v96 offset:736
	s_waitcnt vmcnt(8) lgkmcnt(1)
	v_fma_f64 v[97:98], v[139:140], v[97:98], v[105:106]
	s_waitcnt vmcnt(7)
	v_fma_f64 v[97:98], v[131:132], v[99:100], v[97:98]
	ds_read_b64 v[99:100], v96 offset:752
	s_waitcnt vmcnt(6) lgkmcnt(1)
	v_fma_f64 v[97:98], v[129:130], v[101:102], v[97:98]
	s_waitcnt vmcnt(3)
	v_fma_f64 v[97:98], v[107:108], v[103:104], v[97:98]
	s_waitcnt vmcnt(2) lgkmcnt(0)
	v_fma_f64 v[97:98], v[113:114], v[99:100], v[97:98]
	s_waitcnt vmcnt(0)
	v_add_f64 v[97:98], v[109:110], -v[97:98]
	buffer_store_dword v98, off, s[0:3], 0 offset:76
	buffer_store_dword v97, off, s[0:3], 0 offset:72
	v_cmpx_lt_u32_e32 8, v0
	s_cbranch_execz .LBB46_275
; %bb.274:
	s_clause 0x1
	buffer_load_dword v97, off, s[0:3], 0 offset:64
	buffer_load_dword v98, off, s[0:3], 0 offset:68
	buffer_store_dword v96, off, s[0:3], 0 offset:64
	buffer_store_dword v96, off, s[0:3], 0 offset:68
	s_waitcnt vmcnt(0)
	ds_write_b64 v95, v[97:98]
.LBB46_275:
	s_or_b32 exec_lo, exec_lo, s4
	s_waitcnt lgkmcnt(0)
	s_waitcnt_vscnt null, 0x0
	s_barrier
	buffer_gl0_inv
	s_clause 0x1c
	buffer_load_dword v105, off, s[0:3], 0 offset:72
	buffer_load_dword v106, off, s[0:3], 0 offset:76
	;; [unrolled: 1-line block ×29, first 2 shown]
	ds_read2_b64 v[97:100], v96 offset0:57 offset1:58
	ds_read2_b64 v[101:104], v96 offset0:59 offset1:60
	buffer_load_dword v130, off, s[0:3], 0 offset:188
	s_mov_b32 s4, exec_lo
	s_waitcnt vmcnt(28) lgkmcnt(1)
	v_fma_f64 v[97:98], v[105:106], v[97:98], 0
	s_clause 0x7
	buffer_load_dword v106, off, s[0:3], 0 offset:196
	buffer_load_dword v135, off, s[0:3], 0 offset:216
	buffer_load_dword v137, off, s[0:3], 0 offset:208
	buffer_load_dword v139, off, s[0:3], 0 offset:200
	buffer_load_dword v105, off, s[0:3], 0 offset:192
	buffer_load_dword v140, off, s[0:3], 0 offset:204
	buffer_load_dword v138, off, s[0:3], 0 offset:212
	buffer_load_dword v136, off, s[0:3], 0 offset:220
	s_waitcnt vmcnt(34)
	v_fma_f64 v[97:98], v[107:108], v[99:100], v[97:98]
	s_waitcnt vmcnt(32) lgkmcnt(0)
	v_fma_f64 v[97:98], v[109:110], v[101:102], v[97:98]
	s_waitcnt vmcnt(30)
	v_fma_f64 v[107:108], v[111:112], v[103:104], v[97:98]
	ds_read2_b64 v[97:100], v96 offset0:61 offset1:62
	ds_read2_b64 v[101:104], v96 offset0:63 offset1:64
	s_waitcnt vmcnt(28) lgkmcnt(1)
	v_fma_f64 v[97:98], v[113:114], v[97:98], v[107:108]
	s_clause 0x7
	buffer_load_dword v108, off, s[0:3], 0 offset:228
	buffer_load_dword v109, off, s[0:3], 0 offset:248
	buffer_load_dword v111, off, s[0:3], 0 offset:240
	buffer_load_dword v113, off, s[0:3], 0 offset:232
	buffer_load_dword v107, off, s[0:3], 0 offset:224
	buffer_load_dword v114, off, s[0:3], 0 offset:236
	buffer_load_dword v112, off, s[0:3], 0 offset:244
	buffer_load_dword v110, off, s[0:3], 0 offset:252
	s_waitcnt vmcnt(34)
	v_fma_f64 v[97:98], v[115:116], v[99:100], v[97:98]
	s_waitcnt vmcnt(32) lgkmcnt(0)
	v_fma_f64 v[97:98], v[117:118], v[101:102], v[97:98]
	s_waitcnt vmcnt(27)
	v_fma_f64 v[115:116], v[119:120], v[103:104], v[97:98]
	ds_read2_b64 v[97:100], v96 offset0:65 offset1:66
	ds_read2_b64 v[101:104], v96 offset0:67 offset1:68
	;; [unrolled: 19-line block ×5, first 2 shown]
	s_waitcnt vmcnt(26) lgkmcnt(1)
	v_fma_f64 v[97:98], v[113:114], v[97:98], v[107:108]
	s_clause 0x5
	buffer_load_dword v108, off, s[0:3], 0 offset:356
	buffer_load_dword v113, off, s[0:3], 0 offset:368
	;; [unrolled: 1-line block ×6, first 2 shown]
	s_waitcnt vmcnt(31)
	v_fma_f64 v[97:98], v[111:112], v[99:100], v[97:98]
	s_waitcnt vmcnt(30) lgkmcnt(0)
	v_fma_f64 v[97:98], v[109:110], v[101:102], v[97:98]
	s_waitcnt vmcnt(25)
	v_fma_f64 v[109:110], v[115:116], v[103:104], v[97:98]
	ds_read2_b64 v[97:100], v96 offset0:81 offset1:82
	s_clause 0x1
	buffer_load_dword v111, off, s[0:3], 0 offset:64
	buffer_load_dword v112, off, s[0:3], 0 offset:68
	ds_read2_b64 v[101:104], v96 offset0:83 offset1:84
	s_waitcnt vmcnt(26) lgkmcnt(1)
	v_fma_f64 v[97:98], v[125:126], v[97:98], v[109:110]
	s_waitcnt vmcnt(25)
	v_fma_f64 v[97:98], v[119:120], v[99:100], v[97:98]
	s_waitcnt vmcnt(24) lgkmcnt(0)
	v_fma_f64 v[97:98], v[117:118], v[101:102], v[97:98]
	s_waitcnt vmcnt(19)
	v_fma_f64 v[109:110], v[121:122], v[103:104], v[97:98]
	ds_read2_b64 v[97:100], v96 offset0:85 offset1:86
	ds_read2_b64 v[101:104], v96 offset0:87 offset1:88
	s_waitcnt vmcnt(18) lgkmcnt(1)
	v_fma_f64 v[97:98], v[133:134], v[97:98], v[109:110]
	s_waitcnt vmcnt(17)
	v_fma_f64 v[97:98], v[127:128], v[99:100], v[97:98]
	s_waitcnt vmcnt(16) lgkmcnt(0)
	v_fma_f64 v[97:98], v[123:124], v[101:102], v[97:98]
	s_waitcnt vmcnt(11)
	v_fma_f64 v[105:106], v[105:106], v[103:104], v[97:98]
	ds_read2_b64 v[97:100], v96 offset0:89 offset1:90
	;; [unrolled: 10-line block ×3, first 2 shown]
	s_waitcnt vmcnt(3) lgkmcnt(0)
	v_fma_f64 v[96:97], v[135:136], v[96:97], v[100:101]
	s_waitcnt vmcnt(2)
	v_fma_f64 v[96:97], v[113:114], v[98:99], v[96:97]
	s_waitcnt vmcnt(0)
	v_add_f64 v[96:97], v[111:112], -v[96:97]
	buffer_store_dword v97, off, s[0:3], 0 offset:68
	buffer_store_dword v96, off, s[0:3], 0 offset:64
	v_cmpx_lt_u32_e32 7, v0
	s_cbranch_execz .LBB46_277
; %bb.276:
	s_clause 0x1
	buffer_load_dword v96, off, s[0:3], 0 offset:56
	buffer_load_dword v97, off, s[0:3], 0 offset:60
	v_mov_b32_e32 v98, 0
	buffer_store_dword v98, off, s[0:3], 0 offset:56
	buffer_store_dword v98, off, s[0:3], 0 offset:60
	s_waitcnt vmcnt(0)
	ds_write_b64 v95, v[96:97]
.LBB46_277:
	s_or_b32 exec_lo, exec_lo, s4
	s_waitcnt lgkmcnt(0)
	s_waitcnt_vscnt null, 0x0
	s_barrier
	buffer_gl0_inv
	s_clause 0x1c
	buffer_load_dword v105, off, s[0:3], 0 offset:64
	buffer_load_dword v106, off, s[0:3], 0 offset:68
	;; [unrolled: 1-line block ×29, first 2 shown]
	v_mov_b32_e32 v96, 0
	buffer_load_dword v130, off, s[0:3], 0 offset:180
	s_mov_b32 s4, exec_lo
	ds_read_b128 v[97:100], v96 offset:448
	ds_read_b128 v[101:104], v96 offset:464
	s_waitcnt vmcnt(28) lgkmcnt(1)
	v_fma_f64 v[97:98], v[105:106], v[97:98], 0
	s_clause 0x7
	buffer_load_dword v106, off, s[0:3], 0 offset:188
	buffer_load_dword v135, off, s[0:3], 0 offset:208
	buffer_load_dword v137, off, s[0:3], 0 offset:200
	buffer_load_dword v139, off, s[0:3], 0 offset:192
	buffer_load_dword v105, off, s[0:3], 0 offset:184
	buffer_load_dword v140, off, s[0:3], 0 offset:196
	buffer_load_dword v138, off, s[0:3], 0 offset:204
	buffer_load_dword v136, off, s[0:3], 0 offset:212
	s_waitcnt vmcnt(34)
	v_fma_f64 v[97:98], v[107:108], v[99:100], v[97:98]
	s_waitcnt vmcnt(32) lgkmcnt(0)
	v_fma_f64 v[97:98], v[109:110], v[101:102], v[97:98]
	s_waitcnt vmcnt(30)
	v_fma_f64 v[107:108], v[111:112], v[103:104], v[97:98]
	ds_read_b128 v[97:100], v96 offset:480
	ds_read_b128 v[101:104], v96 offset:496
	s_waitcnt vmcnt(28) lgkmcnt(1)
	v_fma_f64 v[97:98], v[113:114], v[97:98], v[107:108]
	s_clause 0x7
	buffer_load_dword v108, off, s[0:3], 0 offset:220
	buffer_load_dword v109, off, s[0:3], 0 offset:240
	buffer_load_dword v111, off, s[0:3], 0 offset:232
	buffer_load_dword v113, off, s[0:3], 0 offset:224
	buffer_load_dword v107, off, s[0:3], 0 offset:216
	buffer_load_dword v114, off, s[0:3], 0 offset:228
	buffer_load_dword v112, off, s[0:3], 0 offset:236
	buffer_load_dword v110, off, s[0:3], 0 offset:244
	s_waitcnt vmcnt(34)
	v_fma_f64 v[97:98], v[115:116], v[99:100], v[97:98]
	s_waitcnt vmcnt(32) lgkmcnt(0)
	v_fma_f64 v[97:98], v[117:118], v[101:102], v[97:98]
	s_waitcnt vmcnt(27)
	v_fma_f64 v[115:116], v[119:120], v[103:104], v[97:98]
	;; [unrolled: 19-line block ×6, first 2 shown]
	ds_read_b128 v[97:100], v96 offset:640
	ds_read_b128 v[101:104], v96 offset:656
	s_waitcnt vmcnt(26) lgkmcnt(1)
	v_fma_f64 v[97:98], v[125:126], v[97:98], v[109:110]
	s_clause 0x1
	buffer_load_dword v109, off, s[0:3], 0 offset:56
	buffer_load_dword v110, off, s[0:3], 0 offset:60
	s_waitcnt vmcnt(27)
	v_fma_f64 v[97:98], v[119:120], v[99:100], v[97:98]
	s_waitcnt vmcnt(26) lgkmcnt(0)
	v_fma_f64 v[97:98], v[117:118], v[101:102], v[97:98]
	s_waitcnt vmcnt(21)
	v_fma_f64 v[111:112], v[121:122], v[103:104], v[97:98]
	ds_read_b128 v[97:100], v96 offset:672
	ds_read_b128 v[101:104], v96 offset:688
	s_waitcnt vmcnt(20) lgkmcnt(1)
	v_fma_f64 v[97:98], v[133:134], v[97:98], v[111:112]
	s_waitcnt vmcnt(19)
	v_fma_f64 v[97:98], v[127:128], v[99:100], v[97:98]
	s_waitcnt vmcnt(18) lgkmcnt(0)
	v_fma_f64 v[97:98], v[123:124], v[101:102], v[97:98]
	s_waitcnt vmcnt(13)
	v_fma_f64 v[105:106], v[105:106], v[103:104], v[97:98]
	ds_read_b128 v[97:100], v96 offset:704
	ds_read_b128 v[101:104], v96 offset:720
	s_waitcnt vmcnt(12) lgkmcnt(1)
	v_fma_f64 v[97:98], v[139:140], v[97:98], v[105:106]
	s_waitcnt vmcnt(11)
	v_fma_f64 v[97:98], v[131:132], v[99:100], v[97:98]
	s_waitcnt vmcnt(10) lgkmcnt(0)
	v_fma_f64 v[97:98], v[129:130], v[101:102], v[97:98]
	s_waitcnt vmcnt(5)
	v_fma_f64 v[101:102], v[107:108], v[103:104], v[97:98]
	ds_read_b128 v[97:100], v96 offset:736
	ds_read_b64 v[103:104], v96 offset:752
	s_waitcnt vmcnt(4) lgkmcnt(1)
	v_fma_f64 v[97:98], v[137:138], v[97:98], v[101:102]
	s_waitcnt vmcnt(3)
	v_fma_f64 v[97:98], v[135:136], v[99:100], v[97:98]
	s_waitcnt vmcnt(2) lgkmcnt(0)
	v_fma_f64 v[97:98], v[113:114], v[103:104], v[97:98]
	s_waitcnt vmcnt(0)
	v_add_f64 v[97:98], v[109:110], -v[97:98]
	buffer_store_dword v98, off, s[0:3], 0 offset:60
	buffer_store_dword v97, off, s[0:3], 0 offset:56
	v_cmpx_lt_u32_e32 6, v0
	s_cbranch_execz .LBB46_279
; %bb.278:
	s_clause 0x1
	buffer_load_dword v97, off, s[0:3], 0 offset:48
	buffer_load_dword v98, off, s[0:3], 0 offset:52
	buffer_store_dword v96, off, s[0:3], 0 offset:48
	buffer_store_dword v96, off, s[0:3], 0 offset:52
	s_waitcnt vmcnt(0)
	ds_write_b64 v95, v[97:98]
.LBB46_279:
	s_or_b32 exec_lo, exec_lo, s4
	s_waitcnt lgkmcnt(0)
	s_waitcnt_vscnt null, 0x0
	s_barrier
	buffer_gl0_inv
	s_clause 0x1c
	buffer_load_dword v105, off, s[0:3], 0 offset:56
	buffer_load_dword v106, off, s[0:3], 0 offset:60
	;; [unrolled: 1-line block ×29, first 2 shown]
	ds_read2_b64 v[97:100], v96 offset0:55 offset1:56
	ds_read2_b64 v[101:104], v96 offset0:57 offset1:58
	buffer_load_dword v130, off, s[0:3], 0 offset:172
	s_mov_b32 s4, exec_lo
	s_waitcnt vmcnt(28) lgkmcnt(1)
	v_fma_f64 v[97:98], v[105:106], v[97:98], 0
	s_clause 0x7
	buffer_load_dword v106, off, s[0:3], 0 offset:180
	buffer_load_dword v135, off, s[0:3], 0 offset:200
	buffer_load_dword v137, off, s[0:3], 0 offset:192
	buffer_load_dword v139, off, s[0:3], 0 offset:184
	buffer_load_dword v105, off, s[0:3], 0 offset:176
	buffer_load_dword v140, off, s[0:3], 0 offset:188
	buffer_load_dword v138, off, s[0:3], 0 offset:196
	buffer_load_dword v136, off, s[0:3], 0 offset:204
	s_waitcnt vmcnt(34)
	v_fma_f64 v[97:98], v[107:108], v[99:100], v[97:98]
	s_waitcnt vmcnt(32) lgkmcnt(0)
	v_fma_f64 v[97:98], v[109:110], v[101:102], v[97:98]
	s_waitcnt vmcnt(30)
	v_fma_f64 v[107:108], v[111:112], v[103:104], v[97:98]
	ds_read2_b64 v[97:100], v96 offset0:59 offset1:60
	ds_read2_b64 v[101:104], v96 offset0:61 offset1:62
	s_waitcnt vmcnt(28) lgkmcnt(1)
	v_fma_f64 v[97:98], v[113:114], v[97:98], v[107:108]
	s_clause 0x7
	buffer_load_dword v108, off, s[0:3], 0 offset:212
	buffer_load_dword v109, off, s[0:3], 0 offset:232
	buffer_load_dword v111, off, s[0:3], 0 offset:224
	buffer_load_dword v113, off, s[0:3], 0 offset:216
	buffer_load_dword v107, off, s[0:3], 0 offset:208
	buffer_load_dword v114, off, s[0:3], 0 offset:220
	buffer_load_dword v112, off, s[0:3], 0 offset:228
	buffer_load_dword v110, off, s[0:3], 0 offset:236
	s_waitcnt vmcnt(34)
	v_fma_f64 v[97:98], v[115:116], v[99:100], v[97:98]
	s_waitcnt vmcnt(32) lgkmcnt(0)
	v_fma_f64 v[97:98], v[117:118], v[101:102], v[97:98]
	s_waitcnt vmcnt(27)
	v_fma_f64 v[115:116], v[119:120], v[103:104], v[97:98]
	ds_read2_b64 v[97:100], v96 offset0:63 offset1:64
	ds_read2_b64 v[101:104], v96 offset0:65 offset1:66
	;; [unrolled: 19-line block ×6, first 2 shown]
	s_waitcnt vmcnt(26) lgkmcnt(1)
	v_fma_f64 v[97:98], v[125:126], v[97:98], v[109:110]
	s_clause 0x3
	buffer_load_dword v110, off, s[0:3], 0 offset:372
	buffer_load_dword v109, off, s[0:3], 0 offset:368
	;; [unrolled: 1-line block ×4, first 2 shown]
	s_waitcnt vmcnt(29)
	v_fma_f64 v[97:98], v[119:120], v[99:100], v[97:98]
	s_waitcnt vmcnt(28) lgkmcnt(0)
	v_fma_f64 v[97:98], v[117:118], v[101:102], v[97:98]
	s_waitcnt vmcnt(23)
	v_fma_f64 v[115:116], v[121:122], v[103:104], v[97:98]
	ds_read2_b64 v[97:100], v96 offset0:83 offset1:84
	ds_read2_b64 v[101:104], v96 offset0:85 offset1:86
	s_waitcnt vmcnt(22) lgkmcnt(1)
	v_fma_f64 v[97:98], v[133:134], v[97:98], v[115:116]
	s_waitcnt vmcnt(21)
	v_fma_f64 v[97:98], v[127:128], v[99:100], v[97:98]
	s_waitcnt vmcnt(20) lgkmcnt(0)
	v_fma_f64 v[97:98], v[123:124], v[101:102], v[97:98]
	s_waitcnt vmcnt(15)
	v_fma_f64 v[105:106], v[105:106], v[103:104], v[97:98]
	ds_read2_b64 v[97:100], v96 offset0:87 offset1:88
	ds_read2_b64 v[101:104], v96 offset0:89 offset1:90
	s_waitcnt vmcnt(14) lgkmcnt(1)
	v_fma_f64 v[97:98], v[139:140], v[97:98], v[105:106]
	;; [unrolled: 10-line block ×3, first 2 shown]
	s_waitcnt vmcnt(5)
	v_fma_f64 v[96:97], v[135:136], v[99:100], v[96:97]
	s_waitcnt vmcnt(4) lgkmcnt(0)
	v_fma_f64 v[96:97], v[113:114], v[101:102], v[96:97]
	s_waitcnt vmcnt(2)
	v_fma_f64 v[96:97], v[109:110], v[103:104], v[96:97]
	s_waitcnt vmcnt(0)
	v_add_f64 v[96:97], v[111:112], -v[96:97]
	buffer_store_dword v97, off, s[0:3], 0 offset:52
	buffer_store_dword v96, off, s[0:3], 0 offset:48
	v_cmpx_lt_u32_e32 5, v0
	s_cbranch_execz .LBB46_281
; %bb.280:
	s_clause 0x1
	buffer_load_dword v96, off, s[0:3], 0 offset:40
	buffer_load_dword v97, off, s[0:3], 0 offset:44
	v_mov_b32_e32 v98, 0
	buffer_store_dword v98, off, s[0:3], 0 offset:40
	buffer_store_dword v98, off, s[0:3], 0 offset:44
	s_waitcnt vmcnt(0)
	ds_write_b64 v95, v[96:97]
.LBB46_281:
	s_or_b32 exec_lo, exec_lo, s4
	s_waitcnt lgkmcnt(0)
	s_waitcnt_vscnt null, 0x0
	s_barrier
	buffer_gl0_inv
	s_clause 0x1c
	buffer_load_dword v105, off, s[0:3], 0 offset:48
	buffer_load_dword v106, off, s[0:3], 0 offset:52
	;; [unrolled: 1-line block ×29, first 2 shown]
	v_mov_b32_e32 v96, 0
	buffer_load_dword v130, off, s[0:3], 0 offset:164
	s_mov_b32 s4, exec_lo
	ds_read_b128 v[97:100], v96 offset:432
	ds_read_b128 v[101:104], v96 offset:448
	s_waitcnt vmcnt(28) lgkmcnt(1)
	v_fma_f64 v[97:98], v[105:106], v[97:98], 0
	s_clause 0x7
	buffer_load_dword v106, off, s[0:3], 0 offset:172
	buffer_load_dword v135, off, s[0:3], 0 offset:192
	buffer_load_dword v137, off, s[0:3], 0 offset:184
	buffer_load_dword v139, off, s[0:3], 0 offset:176
	buffer_load_dword v105, off, s[0:3], 0 offset:168
	buffer_load_dword v140, off, s[0:3], 0 offset:180
	buffer_load_dword v138, off, s[0:3], 0 offset:188
	buffer_load_dword v136, off, s[0:3], 0 offset:196
	s_waitcnt vmcnt(34)
	v_fma_f64 v[97:98], v[107:108], v[99:100], v[97:98]
	s_waitcnt vmcnt(32) lgkmcnt(0)
	v_fma_f64 v[97:98], v[109:110], v[101:102], v[97:98]
	s_waitcnt vmcnt(30)
	v_fma_f64 v[107:108], v[111:112], v[103:104], v[97:98]
	ds_read_b128 v[97:100], v96 offset:464
	ds_read_b128 v[101:104], v96 offset:480
	s_waitcnt vmcnt(28) lgkmcnt(1)
	v_fma_f64 v[97:98], v[113:114], v[97:98], v[107:108]
	s_clause 0x7
	buffer_load_dword v108, off, s[0:3], 0 offset:204
	buffer_load_dword v109, off, s[0:3], 0 offset:224
	buffer_load_dword v111, off, s[0:3], 0 offset:216
	buffer_load_dword v113, off, s[0:3], 0 offset:208
	buffer_load_dword v107, off, s[0:3], 0 offset:200
	buffer_load_dword v114, off, s[0:3], 0 offset:212
	buffer_load_dword v112, off, s[0:3], 0 offset:220
	buffer_load_dword v110, off, s[0:3], 0 offset:228
	s_waitcnt vmcnt(34)
	v_fma_f64 v[97:98], v[115:116], v[99:100], v[97:98]
	s_waitcnt vmcnt(32) lgkmcnt(0)
	v_fma_f64 v[97:98], v[117:118], v[101:102], v[97:98]
	s_waitcnt vmcnt(27)
	v_fma_f64 v[115:116], v[119:120], v[103:104], v[97:98]
	;; [unrolled: 19-line block ×6, first 2 shown]
	ds_read_b128 v[97:100], v96 offset:624
	ds_read_b128 v[101:104], v96 offset:640
	s_waitcnt vmcnt(26) lgkmcnt(1)
	v_fma_f64 v[97:98], v[125:126], v[97:98], v[109:110]
	s_clause 0x5
	buffer_load_dword v110, off, s[0:3], 0 offset:364
	buffer_load_dword v111, off, s[0:3], 0 offset:368
	;; [unrolled: 1-line block ×6, first 2 shown]
	s_waitcnt vmcnt(31)
	v_fma_f64 v[97:98], v[119:120], v[99:100], v[97:98]
	s_waitcnt vmcnt(30) lgkmcnt(0)
	v_fma_f64 v[97:98], v[117:118], v[101:102], v[97:98]
	s_waitcnt vmcnt(25)
	v_fma_f64 v[117:118], v[121:122], v[103:104], v[97:98]
	ds_read_b128 v[97:100], v96 offset:656
	ds_read_b128 v[101:104], v96 offset:672
	s_waitcnt vmcnt(24) lgkmcnt(1)
	v_fma_f64 v[97:98], v[133:134], v[97:98], v[117:118]
	s_waitcnt vmcnt(23)
	v_fma_f64 v[97:98], v[127:128], v[99:100], v[97:98]
	s_waitcnt vmcnt(22) lgkmcnt(0)
	v_fma_f64 v[97:98], v[123:124], v[101:102], v[97:98]
	s_waitcnt vmcnt(17)
	v_fma_f64 v[105:106], v[105:106], v[103:104], v[97:98]
	ds_read_b128 v[97:100], v96 offset:688
	ds_read_b128 v[101:104], v96 offset:704
	s_waitcnt vmcnt(16) lgkmcnt(1)
	v_fma_f64 v[97:98], v[139:140], v[97:98], v[105:106]
	;; [unrolled: 10-line block ×3, first 2 shown]
	s_waitcnt vmcnt(7)
	v_fma_f64 v[97:98], v[135:136], v[99:100], v[97:98]
	ds_read_b64 v[99:100], v96 offset:752
	s_waitcnt vmcnt(6) lgkmcnt(1)
	v_fma_f64 v[97:98], v[113:114], v[101:102], v[97:98]
	s_waitcnt vmcnt(3)
	v_fma_f64 v[97:98], v[109:110], v[103:104], v[97:98]
	s_waitcnt vmcnt(2) lgkmcnt(0)
	v_fma_f64 v[97:98], v[111:112], v[99:100], v[97:98]
	s_waitcnt vmcnt(0)
	v_add_f64 v[97:98], v[115:116], -v[97:98]
	buffer_store_dword v98, off, s[0:3], 0 offset:44
	buffer_store_dword v97, off, s[0:3], 0 offset:40
	v_cmpx_lt_u32_e32 4, v0
	s_cbranch_execz .LBB46_283
; %bb.282:
	s_clause 0x1
	buffer_load_dword v97, off, s[0:3], 0 offset:32
	buffer_load_dword v98, off, s[0:3], 0 offset:36
	buffer_store_dword v96, off, s[0:3], 0 offset:32
	buffer_store_dword v96, off, s[0:3], 0 offset:36
	s_waitcnt vmcnt(0)
	ds_write_b64 v95, v[97:98]
.LBB46_283:
	s_or_b32 exec_lo, exec_lo, s4
	s_waitcnt lgkmcnt(0)
	s_waitcnt_vscnt null, 0x0
	s_barrier
	buffer_gl0_inv
	s_clause 0x1c
	buffer_load_dword v105, off, s[0:3], 0 offset:40
	buffer_load_dword v106, off, s[0:3], 0 offset:44
	;; [unrolled: 1-line block ×29, first 2 shown]
	ds_read2_b64 v[97:100], v96 offset0:53 offset1:54
	ds_read2_b64 v[101:104], v96 offset0:55 offset1:56
	buffer_load_dword v130, off, s[0:3], 0 offset:156
	s_mov_b32 s4, exec_lo
	s_waitcnt vmcnt(28) lgkmcnt(1)
	v_fma_f64 v[97:98], v[105:106], v[97:98], 0
	s_clause 0x7
	buffer_load_dword v106, off, s[0:3], 0 offset:164
	buffer_load_dword v135, off, s[0:3], 0 offset:184
	buffer_load_dword v137, off, s[0:3], 0 offset:176
	buffer_load_dword v139, off, s[0:3], 0 offset:168
	buffer_load_dword v105, off, s[0:3], 0 offset:160
	buffer_load_dword v140, off, s[0:3], 0 offset:172
	buffer_load_dword v138, off, s[0:3], 0 offset:180
	buffer_load_dword v136, off, s[0:3], 0 offset:188
	s_waitcnt vmcnt(34)
	v_fma_f64 v[97:98], v[107:108], v[99:100], v[97:98]
	s_waitcnt vmcnt(32) lgkmcnt(0)
	v_fma_f64 v[97:98], v[109:110], v[101:102], v[97:98]
	s_waitcnt vmcnt(30)
	v_fma_f64 v[107:108], v[111:112], v[103:104], v[97:98]
	ds_read2_b64 v[97:100], v96 offset0:57 offset1:58
	ds_read2_b64 v[101:104], v96 offset0:59 offset1:60
	s_waitcnt vmcnt(28) lgkmcnt(1)
	v_fma_f64 v[97:98], v[113:114], v[97:98], v[107:108]
	s_clause 0x7
	buffer_load_dword v108, off, s[0:3], 0 offset:196
	buffer_load_dword v109, off, s[0:3], 0 offset:216
	buffer_load_dword v111, off, s[0:3], 0 offset:208
	buffer_load_dword v113, off, s[0:3], 0 offset:200
	buffer_load_dword v107, off, s[0:3], 0 offset:192
	buffer_load_dword v114, off, s[0:3], 0 offset:204
	buffer_load_dword v112, off, s[0:3], 0 offset:212
	buffer_load_dword v110, off, s[0:3], 0 offset:220
	s_waitcnt vmcnt(34)
	v_fma_f64 v[97:98], v[115:116], v[99:100], v[97:98]
	s_waitcnt vmcnt(32) lgkmcnt(0)
	v_fma_f64 v[97:98], v[117:118], v[101:102], v[97:98]
	s_waitcnt vmcnt(27)
	v_fma_f64 v[115:116], v[119:120], v[103:104], v[97:98]
	ds_read2_b64 v[97:100], v96 offset0:61 offset1:62
	ds_read2_b64 v[101:104], v96 offset0:63 offset1:64
	;; [unrolled: 19-line block ×6, first 2 shown]
	s_waitcnt vmcnt(26) lgkmcnt(1)
	v_fma_f64 v[97:98], v[125:126], v[97:98], v[109:110]
	s_clause 0x5
	buffer_load_dword v110, off, s[0:3], 0 offset:356
	buffer_load_dword v111, off, s[0:3], 0 offset:368
	;; [unrolled: 1-line block ×6, first 2 shown]
	s_waitcnt vmcnt(31)
	v_fma_f64 v[97:98], v[119:120], v[99:100], v[97:98]
	s_waitcnt vmcnt(30) lgkmcnt(0)
	v_fma_f64 v[97:98], v[117:118], v[101:102], v[97:98]
	s_waitcnt vmcnt(25)
	v_fma_f64 v[117:118], v[121:122], v[103:104], v[97:98]
	ds_read2_b64 v[97:100], v96 offset0:81 offset1:82
	s_clause 0x1
	buffer_load_dword v119, off, s[0:3], 0 offset:32
	buffer_load_dword v120, off, s[0:3], 0 offset:36
	ds_read2_b64 v[101:104], v96 offset0:83 offset1:84
	s_waitcnt vmcnt(26) lgkmcnt(1)
	v_fma_f64 v[97:98], v[133:134], v[97:98], v[117:118]
	s_waitcnt vmcnt(25)
	v_fma_f64 v[97:98], v[127:128], v[99:100], v[97:98]
	s_waitcnt vmcnt(24) lgkmcnt(0)
	v_fma_f64 v[97:98], v[123:124], v[101:102], v[97:98]
	s_waitcnt vmcnt(19)
	v_fma_f64 v[105:106], v[105:106], v[103:104], v[97:98]
	ds_read2_b64 v[97:100], v96 offset0:85 offset1:86
	ds_read2_b64 v[101:104], v96 offset0:87 offset1:88
	s_waitcnt vmcnt(18) lgkmcnt(1)
	v_fma_f64 v[97:98], v[139:140], v[97:98], v[105:106]
	s_waitcnt vmcnt(17)
	v_fma_f64 v[97:98], v[131:132], v[99:100], v[97:98]
	s_waitcnt vmcnt(16) lgkmcnt(0)
	v_fma_f64 v[97:98], v[129:130], v[101:102], v[97:98]
	s_waitcnt vmcnt(11)
	v_fma_f64 v[105:106], v[107:108], v[103:104], v[97:98]
	ds_read2_b64 v[97:100], v96 offset0:89 offset1:90
	;; [unrolled: 10-line block ×3, first 2 shown]
	s_waitcnt vmcnt(3) lgkmcnt(0)
	v_fma_f64 v[96:97], v[115:116], v[96:97], v[100:101]
	s_waitcnt vmcnt(2)
	v_fma_f64 v[96:97], v[111:112], v[98:99], v[96:97]
	s_waitcnt vmcnt(0)
	v_add_f64 v[96:97], v[119:120], -v[96:97]
	buffer_store_dword v97, off, s[0:3], 0 offset:36
	buffer_store_dword v96, off, s[0:3], 0 offset:32
	v_cmpx_lt_u32_e32 3, v0
	s_cbranch_execz .LBB46_285
; %bb.284:
	s_clause 0x1
	buffer_load_dword v96, off, s[0:3], 0 offset:24
	buffer_load_dword v97, off, s[0:3], 0 offset:28
	v_mov_b32_e32 v98, 0
	buffer_store_dword v98, off, s[0:3], 0 offset:24
	buffer_store_dword v98, off, s[0:3], 0 offset:28
	s_waitcnt vmcnt(0)
	ds_write_b64 v95, v[96:97]
.LBB46_285:
	s_or_b32 exec_lo, exec_lo, s4
	s_waitcnt lgkmcnt(0)
	s_waitcnt_vscnt null, 0x0
	s_barrier
	buffer_gl0_inv
	s_clause 0x1c
	buffer_load_dword v105, off, s[0:3], 0 offset:32
	buffer_load_dword v106, off, s[0:3], 0 offset:36
	buffer_load_dword v107, off, s[0:3], 0 offset:40
	buffer_load_dword v108, off, s[0:3], 0 offset:44
	buffer_load_dword v109, off, s[0:3], 0 offset:48
	buffer_load_dword v110, off, s[0:3], 0 offset:52
	buffer_load_dword v111, off, s[0:3], 0 offset:56
	buffer_load_dword v112, off, s[0:3], 0 offset:60
	buffer_load_dword v113, off, s[0:3], 0 offset:64
	buffer_load_dword v114, off, s[0:3], 0 offset:68
	buffer_load_dword v115, off, s[0:3], 0 offset:72
	buffer_load_dword v116, off, s[0:3], 0 offset:76
	buffer_load_dword v117, off, s[0:3], 0 offset:80
	buffer_load_dword v118, off, s[0:3], 0 offset:84
	buffer_load_dword v120, off, s[0:3], 0 offset:92
	buffer_load_dword v121, off, s[0:3], 0 offset:112
	buffer_load_dword v123, off, s[0:3], 0 offset:104
	buffer_load_dword v125, off, s[0:3], 0 offset:96
	buffer_load_dword v119, off, s[0:3], 0 offset:88
	buffer_load_dword v126, off, s[0:3], 0 offset:100
	buffer_load_dword v124, off, s[0:3], 0 offset:108
	buffer_load_dword v122, off, s[0:3], 0 offset:116
	buffer_load_dword v128, off, s[0:3], 0 offset:124
	buffer_load_dword v129, off, s[0:3], 0 offset:144
	buffer_load_dword v131, off, s[0:3], 0 offset:136
	buffer_load_dword v133, off, s[0:3], 0 offset:128
	buffer_load_dword v127, off, s[0:3], 0 offset:120
	buffer_load_dword v134, off, s[0:3], 0 offset:132
	buffer_load_dword v132, off, s[0:3], 0 offset:140
	v_mov_b32_e32 v96, 0
	buffer_load_dword v130, off, s[0:3], 0 offset:148
	s_mov_b32 s4, exec_lo
	ds_read_b128 v[97:100], v96 offset:416
	ds_read_b128 v[101:104], v96 offset:432
	s_waitcnt vmcnt(28) lgkmcnt(1)
	v_fma_f64 v[97:98], v[105:106], v[97:98], 0
	s_clause 0x7
	buffer_load_dword v106, off, s[0:3], 0 offset:156
	buffer_load_dword v135, off, s[0:3], 0 offset:176
	buffer_load_dword v137, off, s[0:3], 0 offset:168
	buffer_load_dword v139, off, s[0:3], 0 offset:160
	buffer_load_dword v105, off, s[0:3], 0 offset:152
	buffer_load_dword v140, off, s[0:3], 0 offset:164
	buffer_load_dword v138, off, s[0:3], 0 offset:172
	buffer_load_dword v136, off, s[0:3], 0 offset:180
	s_waitcnt vmcnt(34)
	v_fma_f64 v[97:98], v[107:108], v[99:100], v[97:98]
	s_waitcnt vmcnt(32) lgkmcnt(0)
	v_fma_f64 v[97:98], v[109:110], v[101:102], v[97:98]
	s_waitcnt vmcnt(30)
	v_fma_f64 v[107:108], v[111:112], v[103:104], v[97:98]
	ds_read_b128 v[97:100], v96 offset:448
	ds_read_b128 v[101:104], v96 offset:464
	s_waitcnt vmcnt(28) lgkmcnt(1)
	v_fma_f64 v[97:98], v[113:114], v[97:98], v[107:108]
	s_clause 0x7
	buffer_load_dword v108, off, s[0:3], 0 offset:188
	buffer_load_dword v109, off, s[0:3], 0 offset:208
	buffer_load_dword v111, off, s[0:3], 0 offset:200
	buffer_load_dword v113, off, s[0:3], 0 offset:192
	buffer_load_dword v107, off, s[0:3], 0 offset:184
	buffer_load_dword v114, off, s[0:3], 0 offset:196
	buffer_load_dword v112, off, s[0:3], 0 offset:204
	buffer_load_dword v110, off, s[0:3], 0 offset:212
	s_waitcnt vmcnt(34)
	v_fma_f64 v[97:98], v[115:116], v[99:100], v[97:98]
	s_waitcnt vmcnt(32) lgkmcnt(0)
	v_fma_f64 v[97:98], v[117:118], v[101:102], v[97:98]
	s_waitcnt vmcnt(27)
	v_fma_f64 v[115:116], v[119:120], v[103:104], v[97:98]
	;; [unrolled: 19-line block ×7, first 2 shown]
	ds_read_b128 v[97:100], v96 offset:640
	ds_read_b128 v[101:104], v96 offset:656
	s_waitcnt vmcnt(26) lgkmcnt(1)
	v_fma_f64 v[97:98], v[133:134], v[97:98], v[117:118]
	s_clause 0x1
	buffer_load_dword v117, off, s[0:3], 0 offset:24
	buffer_load_dword v118, off, s[0:3], 0 offset:28
	s_waitcnt vmcnt(27)
	v_fma_f64 v[97:98], v[127:128], v[99:100], v[97:98]
	s_waitcnt vmcnt(26) lgkmcnt(0)
	v_fma_f64 v[97:98], v[123:124], v[101:102], v[97:98]
	s_waitcnt vmcnt(21)
	v_fma_f64 v[105:106], v[105:106], v[103:104], v[97:98]
	ds_read_b128 v[97:100], v96 offset:672
	ds_read_b128 v[101:104], v96 offset:688
	s_waitcnt vmcnt(20) lgkmcnt(1)
	v_fma_f64 v[97:98], v[139:140], v[97:98], v[105:106]
	s_waitcnt vmcnt(19)
	v_fma_f64 v[97:98], v[131:132], v[99:100], v[97:98]
	s_waitcnt vmcnt(18) lgkmcnt(0)
	v_fma_f64 v[97:98], v[129:130], v[101:102], v[97:98]
	s_waitcnt vmcnt(13)
	v_fma_f64 v[105:106], v[107:108], v[103:104], v[97:98]
	ds_read_b128 v[97:100], v96 offset:704
	ds_read_b128 v[101:104], v96 offset:720
	s_waitcnt vmcnt(12) lgkmcnt(1)
	v_fma_f64 v[97:98], v[137:138], v[97:98], v[105:106]
	s_waitcnt vmcnt(11)
	v_fma_f64 v[97:98], v[135:136], v[99:100], v[97:98]
	s_waitcnt vmcnt(10) lgkmcnt(0)
	v_fma_f64 v[97:98], v[113:114], v[101:102], v[97:98]
	s_waitcnt vmcnt(5)
	v_fma_f64 v[101:102], v[109:110], v[103:104], v[97:98]
	ds_read_b128 v[97:100], v96 offset:736
	ds_read_b64 v[103:104], v96 offset:752
	s_waitcnt vmcnt(4) lgkmcnt(1)
	v_fma_f64 v[97:98], v[125:126], v[97:98], v[101:102]
	s_waitcnt vmcnt(3)
	v_fma_f64 v[97:98], v[115:116], v[99:100], v[97:98]
	s_waitcnt vmcnt(2) lgkmcnt(0)
	v_fma_f64 v[97:98], v[111:112], v[103:104], v[97:98]
	s_waitcnt vmcnt(0)
	v_add_f64 v[97:98], v[117:118], -v[97:98]
	buffer_store_dword v98, off, s[0:3], 0 offset:28
	buffer_store_dword v97, off, s[0:3], 0 offset:24
	v_cmpx_lt_u32_e32 2, v0
	s_cbranch_execz .LBB46_287
; %bb.286:
	s_clause 0x1
	buffer_load_dword v97, off, s[0:3], 0 offset:16
	buffer_load_dword v98, off, s[0:3], 0 offset:20
	buffer_store_dword v96, off, s[0:3], 0 offset:16
	buffer_store_dword v96, off, s[0:3], 0 offset:20
	s_waitcnt vmcnt(0)
	ds_write_b64 v95, v[97:98]
.LBB46_287:
	s_or_b32 exec_lo, exec_lo, s4
	s_waitcnt lgkmcnt(0)
	s_waitcnt_vscnt null, 0x0
	s_barrier
	buffer_gl0_inv
	s_clause 0x1c
	buffer_load_dword v105, off, s[0:3], 0 offset:24
	buffer_load_dword v106, off, s[0:3], 0 offset:28
	buffer_load_dword v107, off, s[0:3], 0 offset:32
	buffer_load_dword v108, off, s[0:3], 0 offset:36
	buffer_load_dword v109, off, s[0:3], 0 offset:40
	buffer_load_dword v110, off, s[0:3], 0 offset:44
	buffer_load_dword v111, off, s[0:3], 0 offset:48
	buffer_load_dword v112, off, s[0:3], 0 offset:52
	buffer_load_dword v113, off, s[0:3], 0 offset:56
	buffer_load_dword v114, off, s[0:3], 0 offset:60
	buffer_load_dword v115, off, s[0:3], 0 offset:64
	buffer_load_dword v116, off, s[0:3], 0 offset:68
	buffer_load_dword v117, off, s[0:3], 0 offset:72
	buffer_load_dword v118, off, s[0:3], 0 offset:76
	buffer_load_dword v120, off, s[0:3], 0 offset:84
	buffer_load_dword v121, off, s[0:3], 0 offset:104
	buffer_load_dword v123, off, s[0:3], 0 offset:96
	buffer_load_dword v125, off, s[0:3], 0 offset:88
	buffer_load_dword v119, off, s[0:3], 0 offset:80
	buffer_load_dword v126, off, s[0:3], 0 offset:92
	buffer_load_dword v124, off, s[0:3], 0 offset:100
	buffer_load_dword v122, off, s[0:3], 0 offset:108
	buffer_load_dword v128, off, s[0:3], 0 offset:116
	buffer_load_dword v129, off, s[0:3], 0 offset:136
	buffer_load_dword v131, off, s[0:3], 0 offset:128
	buffer_load_dword v133, off, s[0:3], 0 offset:120
	buffer_load_dword v127, off, s[0:3], 0 offset:112
	buffer_load_dword v134, off, s[0:3], 0 offset:124
	buffer_load_dword v132, off, s[0:3], 0 offset:132
	ds_read2_b64 v[97:100], v96 offset0:51 offset1:52
	ds_read2_b64 v[101:104], v96 offset0:53 offset1:54
	buffer_load_dword v130, off, s[0:3], 0 offset:140
	s_mov_b32 s4, exec_lo
	s_waitcnt vmcnt(28) lgkmcnt(1)
	v_fma_f64 v[97:98], v[105:106], v[97:98], 0
	s_clause 0x7
	buffer_load_dword v106, off, s[0:3], 0 offset:148
	buffer_load_dword v135, off, s[0:3], 0 offset:168
	buffer_load_dword v137, off, s[0:3], 0 offset:160
	buffer_load_dword v139, off, s[0:3], 0 offset:152
	buffer_load_dword v105, off, s[0:3], 0 offset:144
	buffer_load_dword v140, off, s[0:3], 0 offset:156
	buffer_load_dword v138, off, s[0:3], 0 offset:164
	buffer_load_dword v136, off, s[0:3], 0 offset:172
	s_waitcnt vmcnt(34)
	v_fma_f64 v[97:98], v[107:108], v[99:100], v[97:98]
	s_waitcnt vmcnt(32) lgkmcnt(0)
	v_fma_f64 v[97:98], v[109:110], v[101:102], v[97:98]
	s_waitcnt vmcnt(30)
	v_fma_f64 v[107:108], v[111:112], v[103:104], v[97:98]
	ds_read2_b64 v[97:100], v96 offset0:55 offset1:56
	ds_read2_b64 v[101:104], v96 offset0:57 offset1:58
	s_waitcnt vmcnt(28) lgkmcnt(1)
	v_fma_f64 v[97:98], v[113:114], v[97:98], v[107:108]
	s_clause 0x7
	buffer_load_dword v108, off, s[0:3], 0 offset:180
	buffer_load_dword v109, off, s[0:3], 0 offset:200
	buffer_load_dword v111, off, s[0:3], 0 offset:192
	buffer_load_dword v113, off, s[0:3], 0 offset:184
	buffer_load_dword v107, off, s[0:3], 0 offset:176
	buffer_load_dword v114, off, s[0:3], 0 offset:188
	buffer_load_dword v112, off, s[0:3], 0 offset:196
	buffer_load_dword v110, off, s[0:3], 0 offset:204
	s_waitcnt vmcnt(34)
	v_fma_f64 v[97:98], v[115:116], v[99:100], v[97:98]
	s_waitcnt vmcnt(32) lgkmcnt(0)
	v_fma_f64 v[97:98], v[117:118], v[101:102], v[97:98]
	s_waitcnt vmcnt(27)
	v_fma_f64 v[115:116], v[119:120], v[103:104], v[97:98]
	ds_read2_b64 v[97:100], v96 offset0:59 offset1:60
	ds_read2_b64 v[101:104], v96 offset0:61 offset1:62
	;; [unrolled: 19-line block ×7, first 2 shown]
	s_waitcnt vmcnt(26) lgkmcnt(1)
	v_fma_f64 v[97:98], v[133:134], v[97:98], v[117:118]
	s_clause 0x3
	buffer_load_dword v118, off, s[0:3], 0 offset:372
	buffer_load_dword v117, off, s[0:3], 0 offset:368
	buffer_load_dword v119, off, s[0:3], 0 offset:16
	buffer_load_dword v120, off, s[0:3], 0 offset:20
	s_waitcnt vmcnt(29)
	v_fma_f64 v[97:98], v[127:128], v[99:100], v[97:98]
	s_waitcnt vmcnt(28) lgkmcnt(0)
	v_fma_f64 v[97:98], v[123:124], v[101:102], v[97:98]
	s_waitcnt vmcnt(23)
	v_fma_f64 v[105:106], v[105:106], v[103:104], v[97:98]
	ds_read2_b64 v[97:100], v96 offset0:83 offset1:84
	ds_read2_b64 v[101:104], v96 offset0:85 offset1:86
	s_waitcnt vmcnt(22) lgkmcnt(1)
	v_fma_f64 v[97:98], v[139:140], v[97:98], v[105:106]
	s_waitcnt vmcnt(21)
	v_fma_f64 v[97:98], v[131:132], v[99:100], v[97:98]
	s_waitcnt vmcnt(20) lgkmcnt(0)
	v_fma_f64 v[97:98], v[129:130], v[101:102], v[97:98]
	s_waitcnt vmcnt(15)
	v_fma_f64 v[105:106], v[107:108], v[103:104], v[97:98]
	ds_read2_b64 v[97:100], v96 offset0:87 offset1:88
	ds_read2_b64 v[101:104], v96 offset0:89 offset1:90
	s_waitcnt vmcnt(14) lgkmcnt(1)
	v_fma_f64 v[97:98], v[137:138], v[97:98], v[105:106]
	;; [unrolled: 10-line block ×3, first 2 shown]
	s_waitcnt vmcnt(5)
	v_fma_f64 v[96:97], v[115:116], v[99:100], v[96:97]
	s_waitcnt vmcnt(4) lgkmcnt(0)
	v_fma_f64 v[96:97], v[111:112], v[101:102], v[96:97]
	s_waitcnt vmcnt(2)
	v_fma_f64 v[96:97], v[117:118], v[103:104], v[96:97]
	s_waitcnt vmcnt(0)
	v_add_f64 v[96:97], v[119:120], -v[96:97]
	buffer_store_dword v97, off, s[0:3], 0 offset:20
	buffer_store_dword v96, off, s[0:3], 0 offset:16
	v_cmpx_lt_u32_e32 1, v0
	s_cbranch_execz .LBB46_289
; %bb.288:
	s_clause 0x1
	buffer_load_dword v96, off, s[0:3], 0 offset:8
	buffer_load_dword v97, off, s[0:3], 0 offset:12
	v_mov_b32_e32 v98, 0
	buffer_store_dword v98, off, s[0:3], 0 offset:8
	buffer_store_dword v98, off, s[0:3], 0 offset:12
	s_waitcnt vmcnt(0)
	ds_write_b64 v95, v[96:97]
.LBB46_289:
	s_or_b32 exec_lo, exec_lo, s4
	s_waitcnt lgkmcnt(0)
	s_waitcnt_vscnt null, 0x0
	s_barrier
	buffer_gl0_inv
	s_clause 0x1c
	buffer_load_dword v105, off, s[0:3], 0 offset:16
	buffer_load_dword v106, off, s[0:3], 0 offset:20
	;; [unrolled: 1-line block ×29, first 2 shown]
	v_mov_b32_e32 v96, 0
	buffer_load_dword v130, off, s[0:3], 0 offset:132
	s_mov_b32 s4, exec_lo
	ds_read_b128 v[97:100], v96 offset:400
	ds_read_b128 v[101:104], v96 offset:416
	s_waitcnt vmcnt(28) lgkmcnt(1)
	v_fma_f64 v[97:98], v[105:106], v[97:98], 0
	s_clause 0x7
	buffer_load_dword v106, off, s[0:3], 0 offset:140
	buffer_load_dword v135, off, s[0:3], 0 offset:160
	buffer_load_dword v137, off, s[0:3], 0 offset:152
	buffer_load_dword v139, off, s[0:3], 0 offset:144
	buffer_load_dword v105, off, s[0:3], 0 offset:136
	buffer_load_dword v140, off, s[0:3], 0 offset:148
	buffer_load_dword v138, off, s[0:3], 0 offset:156
	buffer_load_dword v136, off, s[0:3], 0 offset:164
	s_waitcnt vmcnt(34)
	v_fma_f64 v[97:98], v[107:108], v[99:100], v[97:98]
	s_waitcnt vmcnt(32) lgkmcnt(0)
	v_fma_f64 v[97:98], v[109:110], v[101:102], v[97:98]
	s_waitcnt vmcnt(30)
	v_fma_f64 v[107:108], v[111:112], v[103:104], v[97:98]
	ds_read_b128 v[97:100], v96 offset:432
	ds_read_b128 v[101:104], v96 offset:448
	s_waitcnt vmcnt(28) lgkmcnt(1)
	v_fma_f64 v[97:98], v[113:114], v[97:98], v[107:108]
	s_clause 0x7
	buffer_load_dword v108, off, s[0:3], 0 offset:172
	buffer_load_dword v109, off, s[0:3], 0 offset:192
	buffer_load_dword v111, off, s[0:3], 0 offset:184
	buffer_load_dword v113, off, s[0:3], 0 offset:176
	buffer_load_dword v107, off, s[0:3], 0 offset:168
	buffer_load_dword v114, off, s[0:3], 0 offset:180
	buffer_load_dword v112, off, s[0:3], 0 offset:188
	buffer_load_dword v110, off, s[0:3], 0 offset:196
	s_waitcnt vmcnt(34)
	v_fma_f64 v[97:98], v[115:116], v[99:100], v[97:98]
	s_waitcnt vmcnt(32) lgkmcnt(0)
	v_fma_f64 v[97:98], v[117:118], v[101:102], v[97:98]
	s_waitcnt vmcnt(27)
	v_fma_f64 v[115:116], v[119:120], v[103:104], v[97:98]
	;; [unrolled: 19-line block ×7, first 2 shown]
	ds_read_b128 v[97:100], v96 offset:624
	ds_read_b128 v[101:104], v96 offset:640
	s_waitcnt vmcnt(26) lgkmcnt(1)
	v_fma_f64 v[97:98], v[133:134], v[97:98], v[117:118]
	s_clause 0x5
	buffer_load_dword v118, off, s[0:3], 0 offset:364
	buffer_load_dword v119, off, s[0:3], 0 offset:368
	;; [unrolled: 1-line block ×6, first 2 shown]
	s_waitcnt vmcnt(31)
	v_fma_f64 v[97:98], v[127:128], v[99:100], v[97:98]
	s_waitcnt vmcnt(30) lgkmcnt(0)
	v_fma_f64 v[97:98], v[123:124], v[101:102], v[97:98]
	s_waitcnt vmcnt(25)
	v_fma_f64 v[105:106], v[105:106], v[103:104], v[97:98]
	ds_read_b128 v[97:100], v96 offset:656
	ds_read_b128 v[101:104], v96 offset:672
	s_waitcnt vmcnt(24) lgkmcnt(1)
	v_fma_f64 v[97:98], v[139:140], v[97:98], v[105:106]
	s_waitcnt vmcnt(23)
	v_fma_f64 v[97:98], v[131:132], v[99:100], v[97:98]
	s_waitcnt vmcnt(22) lgkmcnt(0)
	v_fma_f64 v[97:98], v[129:130], v[101:102], v[97:98]
	s_waitcnt vmcnt(17)
	v_fma_f64 v[105:106], v[107:108], v[103:104], v[97:98]
	ds_read_b128 v[97:100], v96 offset:688
	ds_read_b128 v[101:104], v96 offset:704
	s_waitcnt vmcnt(16) lgkmcnt(1)
	v_fma_f64 v[97:98], v[137:138], v[97:98], v[105:106]
	;; [unrolled: 10-line block ×3, first 2 shown]
	s_waitcnt vmcnt(7)
	v_fma_f64 v[97:98], v[115:116], v[99:100], v[97:98]
	ds_read_b64 v[99:100], v96 offset:752
	s_waitcnt vmcnt(6) lgkmcnt(1)
	v_fma_f64 v[97:98], v[111:112], v[101:102], v[97:98]
	s_waitcnt vmcnt(3)
	v_fma_f64 v[97:98], v[117:118], v[103:104], v[97:98]
	s_waitcnt vmcnt(2) lgkmcnt(0)
	v_fma_f64 v[97:98], v[119:120], v[99:100], v[97:98]
	s_waitcnt vmcnt(0)
	v_add_f64 v[97:98], v[121:122], -v[97:98]
	buffer_store_dword v98, off, s[0:3], 0 offset:12
	buffer_store_dword v97, off, s[0:3], 0 offset:8
	v_cmpx_ne_u32_e32 0, v0
	s_cbranch_execz .LBB46_291
; %bb.290:
	s_clause 0x1
	buffer_load_dword v97, off, s[0:3], 0
	buffer_load_dword v98, off, s[0:3], 0 offset:4
	buffer_store_dword v96, off, s[0:3], 0
	buffer_store_dword v96, off, s[0:3], 0 offset:4
	s_waitcnt vmcnt(0)
	ds_write_b64 v95, v[97:98]
.LBB46_291:
	s_or_b32 exec_lo, exec_lo, s4
	s_waitcnt lgkmcnt(0)
	s_waitcnt_vscnt null, 0x0
	s_barrier
	buffer_gl0_inv
	s_clause 0x1c
	buffer_load_dword v105, off, s[0:3], 0 offset:8
	buffer_load_dword v106, off, s[0:3], 0 offset:12
	;; [unrolled: 1-line block ×29, first 2 shown]
	ds_read2_b64 v[97:100], v96 offset0:49 offset1:50
	ds_read2_b64 v[101:104], v96 offset0:51 offset1:52
	buffer_load_dword v130, off, s[0:3], 0 offset:124
	s_and_b32 vcc_lo, exec_lo, s22
	s_waitcnt vmcnt(28) lgkmcnt(1)
	v_fma_f64 v[97:98], v[105:106], v[97:98], 0
	s_clause 0x7
	buffer_load_dword v106, off, s[0:3], 0 offset:132
	buffer_load_dword v135, off, s[0:3], 0 offset:152
	buffer_load_dword v137, off, s[0:3], 0 offset:144
	buffer_load_dword v139, off, s[0:3], 0 offset:136
	buffer_load_dword v105, off, s[0:3], 0 offset:128
	buffer_load_dword v140, off, s[0:3], 0 offset:140
	buffer_load_dword v138, off, s[0:3], 0 offset:148
	buffer_load_dword v136, off, s[0:3], 0 offset:156
	s_waitcnt vmcnt(34)
	v_fma_f64 v[97:98], v[107:108], v[99:100], v[97:98]
	s_waitcnt vmcnt(32) lgkmcnt(0)
	v_fma_f64 v[97:98], v[109:110], v[101:102], v[97:98]
	s_waitcnt vmcnt(30)
	v_fma_f64 v[107:108], v[111:112], v[103:104], v[97:98]
	ds_read2_b64 v[97:100], v96 offset0:53 offset1:54
	ds_read2_b64 v[101:104], v96 offset0:55 offset1:56
	s_waitcnt vmcnt(28) lgkmcnt(1)
	v_fma_f64 v[97:98], v[113:114], v[97:98], v[107:108]
	s_clause 0x7
	buffer_load_dword v108, off, s[0:3], 0 offset:164
	buffer_load_dword v109, off, s[0:3], 0 offset:184
	buffer_load_dword v111, off, s[0:3], 0 offset:176
	buffer_load_dword v113, off, s[0:3], 0 offset:168
	buffer_load_dword v107, off, s[0:3], 0 offset:160
	buffer_load_dword v114, off, s[0:3], 0 offset:172
	buffer_load_dword v112, off, s[0:3], 0 offset:180
	buffer_load_dword v110, off, s[0:3], 0 offset:188
	s_waitcnt vmcnt(34)
	v_fma_f64 v[97:98], v[115:116], v[99:100], v[97:98]
	s_waitcnt vmcnt(32) lgkmcnt(0)
	v_fma_f64 v[97:98], v[117:118], v[101:102], v[97:98]
	s_waitcnt vmcnt(27)
	v_fma_f64 v[115:116], v[119:120], v[103:104], v[97:98]
	ds_read2_b64 v[97:100], v96 offset0:57 offset1:58
	ds_read2_b64 v[101:104], v96 offset0:59 offset1:60
	;; [unrolled: 19-line block ×7, first 2 shown]
	s_waitcnt vmcnt(26) lgkmcnt(1)
	v_fma_f64 v[117:118], v[133:134], v[97:98], v[117:118]
	s_clause 0x5
	buffer_load_dword v120, off, s[0:3], 0 offset:356
	buffer_load_dword v121, off, s[0:3], 0 offset:368
	;; [unrolled: 1-line block ×6, first 2 shown]
	s_waitcnt vmcnt(31)
	v_fma_f64 v[99:100], v[127:128], v[99:100], v[117:118]
	s_waitcnt vmcnt(30) lgkmcnt(0)
	v_fma_f64 v[99:100], v[123:124], v[101:102], v[99:100]
	s_waitcnt vmcnt(25)
	v_fma_f64 v[117:118], v[105:106], v[103:104], v[99:100]
	ds_read2_b64 v[99:102], v96 offset0:81 offset1:82
	s_clause 0x1
	buffer_load_dword v123, off, s[0:3], 0
	buffer_load_dword v124, off, s[0:3], 0 offset:4
	ds_read2_b64 v[103:106], v96 offset0:83 offset1:84
	s_waitcnt vmcnt(26) lgkmcnt(1)
	v_fma_f64 v[99:100], v[139:140], v[99:100], v[117:118]
	s_waitcnt vmcnt(25)
	v_fma_f64 v[99:100], v[131:132], v[101:102], v[99:100]
	s_waitcnt vmcnt(24) lgkmcnt(0)
	v_fma_f64 v[99:100], v[129:130], v[103:104], v[99:100]
	s_waitcnt vmcnt(19)
	v_fma_f64 v[107:108], v[107:108], v[105:106], v[99:100]
	ds_read2_b64 v[99:102], v96 offset0:85 offset1:86
	ds_read2_b64 v[103:106], v96 offset0:87 offset1:88
	s_waitcnt vmcnt(18) lgkmcnt(1)
	v_fma_f64 v[99:100], v[137:138], v[99:100], v[107:108]
	s_waitcnt vmcnt(17)
	v_fma_f64 v[99:100], v[135:136], v[101:102], v[99:100]
	s_waitcnt vmcnt(16) lgkmcnt(0)
	v_fma_f64 v[99:100], v[113:114], v[103:104], v[99:100]
	s_waitcnt vmcnt(11)
	v_fma_f64 v[107:108], v[109:110], v[105:106], v[99:100]
	ds_read2_b64 v[99:102], v96 offset0:89 offset1:90
	;; [unrolled: 10-line block ×3, first 2 shown]
	s_waitcnt vmcnt(3) lgkmcnt(0)
	v_fma_f64 v[95:96], v[97:98], v[99:100], v[103:104]
	s_waitcnt vmcnt(2)
	v_fma_f64 v[95:96], v[121:122], v[101:102], v[95:96]
	s_waitcnt vmcnt(0)
	v_add_f64 v[95:96], v[123:124], -v[95:96]
	buffer_store_dword v96, off, s[0:3], 0 offset:4
	buffer_store_dword v95, off, s[0:3], 0
	s_cbranch_vccz .LBB46_384
; %bb.292:
	v_mov_b32_e32 v0, 0
	global_load_dword v95, v0, s[20:21] offset:180
	s_waitcnt vmcnt(0)
	v_add_nc_u32_e32 v95, -1, v95
	v_cmp_ne_u32_e32 vcc_lo, 45, v95
	s_cbranch_vccz .LBB46_294
; %bb.293:
	v_lshlrev_b32_e32 v95, 3, v95
	s_clause 0x1
	buffer_load_dword v96, v95, s[0:3], 0 offen
	buffer_load_dword v99, v95, s[0:3], 0 offen offset:4
	s_waitcnt vmcnt(1)
	buffer_store_dword v96, off, s[0:3], 0 offset:360
	s_waitcnt vmcnt(0)
	buffer_store_dword v99, off, s[0:3], 0 offset:364
	buffer_store_dword v97, v95, s[0:3], 0 offen
	buffer_store_dword v98, v95, s[0:3], 0 offen offset:4
.LBB46_294:
	global_load_dword v0, v0, s[20:21] offset:176
	s_waitcnt vmcnt(0)
	v_add_nc_u32_e32 v0, -1, v0
	v_cmp_eq_u32_e32 vcc_lo, 44, v0
	s_cbranch_vccnz .LBB46_296
; %bb.295:
	v_lshlrev_b32_e32 v0, 3, v0
	s_clause 0x3
	buffer_load_dword v95, v0, s[0:3], 0 offen
	buffer_load_dword v96, v0, s[0:3], 0 offen offset:4
	buffer_load_dword v97, off, s[0:3], 0 offset:356
	buffer_load_dword v98, off, s[0:3], 0 offset:352
	s_waitcnt vmcnt(3)
	buffer_store_dword v95, off, s[0:3], 0 offset:352
	s_waitcnt vmcnt(2)
	buffer_store_dword v96, off, s[0:3], 0 offset:356
	s_waitcnt vmcnt(1)
	buffer_store_dword v97, v0, s[0:3], 0 offen offset:4
	s_waitcnt vmcnt(0)
	buffer_store_dword v98, v0, s[0:3], 0 offen
.LBB46_296:
	v_mov_b32_e32 v0, 0
	global_load_dword v95, v0, s[20:21] offset:172
	s_waitcnt vmcnt(0)
	v_add_nc_u32_e32 v95, -1, v95
	v_cmp_eq_u32_e32 vcc_lo, 43, v95
	s_cbranch_vccnz .LBB46_298
; %bb.297:
	v_lshlrev_b32_e32 v95, 3, v95
	s_clause 0x3
	buffer_load_dword v96, v95, s[0:3], 0 offen
	buffer_load_dword v97, v95, s[0:3], 0 offen offset:4
	buffer_load_dword v98, off, s[0:3], 0 offset:344
	buffer_load_dword v99, off, s[0:3], 0 offset:348
	s_waitcnt vmcnt(3)
	buffer_store_dword v96, off, s[0:3], 0 offset:344
	s_waitcnt vmcnt(2)
	buffer_store_dword v97, off, s[0:3], 0 offset:348
	s_waitcnt vmcnt(1)
	buffer_store_dword v98, v95, s[0:3], 0 offen
	s_waitcnt vmcnt(0)
	buffer_store_dword v99, v95, s[0:3], 0 offen offset:4
.LBB46_298:
	global_load_dword v0, v0, s[20:21] offset:168
	s_waitcnt vmcnt(0)
	v_add_nc_u32_e32 v0, -1, v0
	v_cmp_eq_u32_e32 vcc_lo, 42, v0
	s_cbranch_vccnz .LBB46_300
; %bb.299:
	v_lshlrev_b32_e32 v0, 3, v0
	s_clause 0x3
	buffer_load_dword v95, v0, s[0:3], 0 offen
	buffer_load_dword v96, v0, s[0:3], 0 offen offset:4
	buffer_load_dword v97, off, s[0:3], 0 offset:340
	buffer_load_dword v98, off, s[0:3], 0 offset:336
	s_waitcnt vmcnt(3)
	buffer_store_dword v95, off, s[0:3], 0 offset:336
	s_waitcnt vmcnt(2)
	buffer_store_dword v96, off, s[0:3], 0 offset:340
	s_waitcnt vmcnt(1)
	buffer_store_dword v97, v0, s[0:3], 0 offen offset:4
	s_waitcnt vmcnt(0)
	buffer_store_dword v98, v0, s[0:3], 0 offen
.LBB46_300:
	v_mov_b32_e32 v0, 0
	global_load_dword v95, v0, s[20:21] offset:164
	s_waitcnt vmcnt(0)
	v_add_nc_u32_e32 v95, -1, v95
	v_cmp_eq_u32_e32 vcc_lo, 41, v95
	s_cbranch_vccnz .LBB46_302
; %bb.301:
	v_lshlrev_b32_e32 v95, 3, v95
	s_clause 0x3
	buffer_load_dword v96, v95, s[0:3], 0 offen
	buffer_load_dword v97, v95, s[0:3], 0 offen offset:4
	buffer_load_dword v98, off, s[0:3], 0 offset:328
	buffer_load_dword v99, off, s[0:3], 0 offset:332
	s_waitcnt vmcnt(3)
	buffer_store_dword v96, off, s[0:3], 0 offset:328
	s_waitcnt vmcnt(2)
	buffer_store_dword v97, off, s[0:3], 0 offset:332
	s_waitcnt vmcnt(1)
	buffer_store_dword v98, v95, s[0:3], 0 offen
	s_waitcnt vmcnt(0)
	buffer_store_dword v99, v95, s[0:3], 0 offen offset:4
.LBB46_302:
	;; [unrolled: 43-line block ×22, first 2 shown]
	global_load_dword v0, v0, s[20:21]
	s_clause 0x1
	buffer_load_dword v95, off, s[0:3], 0
	buffer_load_dword v96, off, s[0:3], 0 offset:4
	s_waitcnt vmcnt(2)
	v_add_nc_u32_e32 v0, -1, v0
	v_cmp_eq_u32_e32 vcc_lo, 0, v0
	s_cbranch_vccnz .LBB46_384
; %bb.383:
	v_lshlrev_b32_e32 v0, 3, v0
	s_clause 0x1
	buffer_load_dword v97, v0, s[0:3], 0 offen offset:4
	buffer_load_dword v98, v0, s[0:3], 0 offen
	s_waitcnt vmcnt(1)
	buffer_store_dword v97, off, s[0:3], 0 offset:4
	s_waitcnt vmcnt(0)
	buffer_store_dword v98, off, s[0:3], 0
	buffer_store_dword v96, v0, s[0:3], 0 offen offset:4
	buffer_store_dword v95, v0, s[0:3], 0 offen
	s_clause 0x1
	buffer_load_dword v95, off, s[0:3], 0
	buffer_load_dword v96, off, s[0:3], 0 offset:4
.LBB46_384:
	s_clause 0x15
	buffer_load_dword v97, off, s[0:3], 0 offset:8
	buffer_load_dword v98, off, s[0:3], 0 offset:12
	;; [unrolled: 1-line block ×22, first 2 shown]
	s_waitcnt vmcnt(22)
	global_store_dwordx2 v[83:84], v[95:96], off
	s_clause 0x19
	buffer_load_dword v83, off, s[0:3], 0 offset:96
	buffer_load_dword v84, off, s[0:3], 0 offset:100
	buffer_load_dword v95, off, s[0:3], 0 offset:104
	buffer_load_dword v96, off, s[0:3], 0 offset:108
	buffer_load_dword v119, off, s[0:3], 0 offset:112
	buffer_load_dword v120, off, s[0:3], 0 offset:116
	buffer_load_dword v121, off, s[0:3], 0 offset:120
	buffer_load_dword v122, off, s[0:3], 0 offset:124
	buffer_load_dword v123, off, s[0:3], 0 offset:128
	buffer_load_dword v124, off, s[0:3], 0 offset:132
	buffer_load_dword v125, off, s[0:3], 0 offset:136
	buffer_load_dword v126, off, s[0:3], 0 offset:140
	buffer_load_dword v127, off, s[0:3], 0 offset:144
	buffer_load_dword v128, off, s[0:3], 0 offset:148
	buffer_load_dword v129, off, s[0:3], 0 offset:152
	buffer_load_dword v130, off, s[0:3], 0 offset:156
	buffer_load_dword v131, off, s[0:3], 0 offset:160
	buffer_load_dword v132, off, s[0:3], 0 offset:164
	buffer_load_dword v133, off, s[0:3], 0 offset:168
	buffer_load_dword v134, off, s[0:3], 0 offset:172
	buffer_load_dword v135, off, s[0:3], 0 offset:176
	buffer_load_dword v136, off, s[0:3], 0 offset:180
	buffer_load_dword v137, off, s[0:3], 0 offset:184
	buffer_load_dword v138, off, s[0:3], 0 offset:188
	buffer_load_dword v139, off, s[0:3], 0 offset:192
	buffer_load_dword v140, off, s[0:3], 0 offset:196
	s_waitcnt vmcnt(46)
	global_store_dwordx2 v[57:58], v[97:98], off
	s_waitcnt vmcnt(44)
	global_store_dwordx2 v[53:54], v[99:100], off
	s_clause 0x7
	buffer_load_dword v53, off, s[0:3], 0 offset:200
	buffer_load_dword v54, off, s[0:3], 0 offset:204
	buffer_load_dword v57, off, s[0:3], 0 offset:208
	buffer_load_dword v58, off, s[0:3], 0 offset:212
	buffer_load_dword v97, off, s[0:3], 0 offset:216
	buffer_load_dword v98, off, s[0:3], 0 offset:220
	buffer_load_dword v99, off, s[0:3], 0 offset:224
	buffer_load_dword v100, off, s[0:3], 0 offset:228
	s_waitcnt vmcnt(50)
	global_store_dwordx2 v[41:42], v[101:102], off
	s_waitcnt vmcnt(48)
	global_store_dwordx2 v[47:48], v[103:104], off
	s_clause 0x7
	buffer_load_dword v41, off, s[0:3], 0 offset:232
	buffer_load_dword v42, off, s[0:3], 0 offset:236
	buffer_load_dword v47, off, s[0:3], 0 offset:240
	buffer_load_dword v48, off, s[0:3], 0 offset:244
	buffer_load_dword v101, off, s[0:3], 0 offset:248
	buffer_load_dword v102, off, s[0:3], 0 offset:252
	buffer_load_dword v103, off, s[0:3], 0 offset:256
	buffer_load_dword v104, off, s[0:3], 0 offset:260
	;; [unrolled: 13-line block ×5, first 2 shown]
	s_waitcnt vmcnt(62)
	global_store_dwordx2 v[5:6], v[117:118], off
	s_clause 0x3
	buffer_load_dword v5, off, s[0:3], 0 offset:360
	buffer_load_dword v6, off, s[0:3], 0 offset:364
	;; [unrolled: 1-line block ×4, first 2 shown]
	global_store_dwordx2 v[1:2], v[83:84], off
	global_store_dwordx2 v[3:4], v[95:96], off
	s_waitcnt vmcnt(62)
	global_store_dwordx2 v[7:8], v[119:120], off
	global_store_dwordx2 v[9:10], v[121:122], off
	s_waitcnt vmcnt(60)
	global_store_dwordx2 v[11:12], v[123:124], off
	s_waitcnt vmcnt(58)
	;; [unrolled: 2-line block ×31, first 2 shown]
	global_store_dwordx2 v[93:94], v[117:118], off
	s_endpgm
	.section	.rodata,"a",@progbits
	.p2align	6, 0x0
	.amdhsa_kernel _ZN9rocsolver6v33100L18getri_kernel_smallILi47EdPdEEvT1_iilPiilS4_bb
		.amdhsa_group_segment_fixed_size 760
		.amdhsa_private_segment_fixed_size 384
		.amdhsa_kernarg_size 60
		.amdhsa_user_sgpr_count 6
		.amdhsa_user_sgpr_private_segment_buffer 1
		.amdhsa_user_sgpr_dispatch_ptr 0
		.amdhsa_user_sgpr_queue_ptr 0
		.amdhsa_user_sgpr_kernarg_segment_ptr 1
		.amdhsa_user_sgpr_dispatch_id 0
		.amdhsa_user_sgpr_flat_scratch_init 0
		.amdhsa_user_sgpr_private_segment_size 0
		.amdhsa_wavefront_size32 1
		.amdhsa_uses_dynamic_stack 0
		.amdhsa_system_sgpr_private_segment_wavefront_offset 1
		.amdhsa_system_sgpr_workgroup_id_x 1
		.amdhsa_system_sgpr_workgroup_id_y 0
		.amdhsa_system_sgpr_workgroup_id_z 0
		.amdhsa_system_sgpr_workgroup_info 0
		.amdhsa_system_vgpr_workitem_id 0
		.amdhsa_next_free_vgpr 141
		.amdhsa_next_free_sgpr 23
		.amdhsa_reserve_vcc 1
		.amdhsa_reserve_flat_scratch 0
		.amdhsa_float_round_mode_32 0
		.amdhsa_float_round_mode_16_64 0
		.amdhsa_float_denorm_mode_32 3
		.amdhsa_float_denorm_mode_16_64 3
		.amdhsa_dx10_clamp 1
		.amdhsa_ieee_mode 1
		.amdhsa_fp16_overflow 0
		.amdhsa_workgroup_processor_mode 1
		.amdhsa_memory_ordered 1
		.amdhsa_forward_progress 1
		.amdhsa_shared_vgpr_count 0
		.amdhsa_exception_fp_ieee_invalid_op 0
		.amdhsa_exception_fp_denorm_src 0
		.amdhsa_exception_fp_ieee_div_zero 0
		.amdhsa_exception_fp_ieee_overflow 0
		.amdhsa_exception_fp_ieee_underflow 0
		.amdhsa_exception_fp_ieee_inexact 0
		.amdhsa_exception_int_div_zero 0
	.end_amdhsa_kernel
	.section	.text._ZN9rocsolver6v33100L18getri_kernel_smallILi47EdPdEEvT1_iilPiilS4_bb,"axG",@progbits,_ZN9rocsolver6v33100L18getri_kernel_smallILi47EdPdEEvT1_iilPiilS4_bb,comdat
.Lfunc_end46:
	.size	_ZN9rocsolver6v33100L18getri_kernel_smallILi47EdPdEEvT1_iilPiilS4_bb, .Lfunc_end46-_ZN9rocsolver6v33100L18getri_kernel_smallILi47EdPdEEvT1_iilPiilS4_bb
                                        ; -- End function
	.set _ZN9rocsolver6v33100L18getri_kernel_smallILi47EdPdEEvT1_iilPiilS4_bb.num_vgpr, 141
	.set _ZN9rocsolver6v33100L18getri_kernel_smallILi47EdPdEEvT1_iilPiilS4_bb.num_agpr, 0
	.set _ZN9rocsolver6v33100L18getri_kernel_smallILi47EdPdEEvT1_iilPiilS4_bb.numbered_sgpr, 23
	.set _ZN9rocsolver6v33100L18getri_kernel_smallILi47EdPdEEvT1_iilPiilS4_bb.num_named_barrier, 0
	.set _ZN9rocsolver6v33100L18getri_kernel_smallILi47EdPdEEvT1_iilPiilS4_bb.private_seg_size, 384
	.set _ZN9rocsolver6v33100L18getri_kernel_smallILi47EdPdEEvT1_iilPiilS4_bb.uses_vcc, 1
	.set _ZN9rocsolver6v33100L18getri_kernel_smallILi47EdPdEEvT1_iilPiilS4_bb.uses_flat_scratch, 0
	.set _ZN9rocsolver6v33100L18getri_kernel_smallILi47EdPdEEvT1_iilPiilS4_bb.has_dyn_sized_stack, 0
	.set _ZN9rocsolver6v33100L18getri_kernel_smallILi47EdPdEEvT1_iilPiilS4_bb.has_recursion, 0
	.set _ZN9rocsolver6v33100L18getri_kernel_smallILi47EdPdEEvT1_iilPiilS4_bb.has_indirect_call, 0
	.section	.AMDGPU.csdata,"",@progbits
; Kernel info:
; codeLenInByte = 61712
; TotalNumSgprs: 25
; NumVgprs: 141
; ScratchSize: 384
; MemoryBound: 1
; FloatMode: 240
; IeeeMode: 1
; LDSByteSize: 760 bytes/workgroup (compile time only)
; SGPRBlocks: 0
; VGPRBlocks: 17
; NumSGPRsForWavesPerEU: 25
; NumVGPRsForWavesPerEU: 141
; Occupancy: 7
; WaveLimiterHint : 1
; COMPUTE_PGM_RSRC2:SCRATCH_EN: 1
; COMPUTE_PGM_RSRC2:USER_SGPR: 6
; COMPUTE_PGM_RSRC2:TRAP_HANDLER: 0
; COMPUTE_PGM_RSRC2:TGID_X_EN: 1
; COMPUTE_PGM_RSRC2:TGID_Y_EN: 0
; COMPUTE_PGM_RSRC2:TGID_Z_EN: 0
; COMPUTE_PGM_RSRC2:TIDIG_COMP_CNT: 0
	.section	.text._ZN9rocsolver6v33100L18getri_kernel_smallILi48EdPdEEvT1_iilPiilS4_bb,"axG",@progbits,_ZN9rocsolver6v33100L18getri_kernel_smallILi48EdPdEEvT1_iilPiilS4_bb,comdat
	.globl	_ZN9rocsolver6v33100L18getri_kernel_smallILi48EdPdEEvT1_iilPiilS4_bb ; -- Begin function _ZN9rocsolver6v33100L18getri_kernel_smallILi48EdPdEEvT1_iilPiilS4_bb
	.p2align	8
	.type	_ZN9rocsolver6v33100L18getri_kernel_smallILi48EdPdEEvT1_iilPiilS4_bb,@function
_ZN9rocsolver6v33100L18getri_kernel_smallILi48EdPdEEvT1_iilPiilS4_bb: ; @_ZN9rocsolver6v33100L18getri_kernel_smallILi48EdPdEEvT1_iilPiilS4_bb
; %bb.0:
	s_add_u32 s0, s0, s7
	s_addc_u32 s1, s1, 0
	s_mov_b32 s7, exec_lo
	v_cmpx_gt_u32_e32 48, v0
	s_cbranch_execz .LBB47_202
; %bb.1:
	s_clause 0x2
	s_load_dword s7, s[4:5], 0x38
	s_load_dwordx4 s[16:19], s[4:5], 0x10
	s_load_dwordx4 s[8:11], s[4:5], 0x28
                                        ; implicit-def: $sgpr20_sgpr21
	s_waitcnt lgkmcnt(0)
	s_bitcmp1_b32 s7, 8
	s_cselect_b32 s22, -1, 0
	s_bfe_u32 s12, s7, 0x10008
	s_ashr_i32 s7, s6, 31
	s_cmp_eq_u32 s12, 0
	s_cbranch_scc1 .LBB47_3
; %bb.2:
	s_load_dword s12, s[4:5], 0x20
	s_mul_i32 s13, s8, s7
	s_mul_hi_u32 s14, s8, s6
	s_mul_i32 s9, s9, s6
	s_add_i32 s13, s14, s13
	s_mul_i32 s8, s8, s6
	s_add_i32 s9, s13, s9
	s_lshl_b64 s[8:9], s[8:9], 2
	s_waitcnt lgkmcnt(0)
	s_ashr_i32 s13, s12, 31
	s_add_u32 s14, s18, s8
	s_addc_u32 s15, s19, s9
	s_lshl_b64 s[8:9], s[12:13], 2
	s_add_u32 s20, s14, s8
	s_addc_u32 s21, s15, s9
.LBB47_3:
	s_clause 0x1
	s_load_dwordx4 s[12:15], s[4:5], 0x0
	s_load_dword s8, s[4:5], 0x38
	s_mul_i32 s4, s16, s7
	s_mul_hi_u32 s5, s16, s6
	s_mul_i32 s9, s17, s6
	s_add_i32 s5, s5, s4
	s_mul_i32 s4, s16, s6
	s_add_i32 s5, s5, s9
	v_lshlrev_b32_e32 v99, 3, v0
	s_lshl_b64 s[4:5], s[4:5], 3
	s_waitcnt lgkmcnt(0)
	v_add3_u32 v1, s15, s15, v0
	s_ashr_i32 s17, s14, 31
	s_mov_b32 s16, s14
	s_add_u32 s9, s12, s4
	s_addc_u32 s12, s13, s5
	v_add_nc_u32_e32 v3, s15, v1
	v_ashrrev_i32_e32 v2, 31, v1
	s_lshl_b64 s[4:5], s[16:17], 3
	s_mov_b32 s18, s15
	s_add_u32 s4, s9, s4
	v_add_nc_u32_e32 v5, s15, v3
	v_ashrrev_i32_e32 v4, 31, v3
	v_lshlrev_b64 v[1:2], 3, v[1:2]
	s_addc_u32 s5, s12, s5
	v_add_co_u32 v87, s9, s4, v99
	v_ashrrev_i32_e32 v6, 31, v5
	v_lshlrev_b64 v[3:4], 3, v[3:4]
	v_add_co_u32 v43, vcc_lo, s4, v1
	s_ashr_i32 s19, s15, 31
	v_add_co_ci_u32_e64 v44, null, s5, v2, vcc_lo
	v_lshlrev_b64 v[1:2], 3, v[5:6]
	v_add_co_ci_u32_e64 v88, null, s5, 0, s9
	v_add_co_u32 v49, vcc_lo, s4, v3
	s_lshl_b64 s[12:13], s[18:19], 3
	v_add_co_ci_u32_e64 v50, null, s5, v4, vcc_lo
	v_add_co_u32 v65, vcc_lo, v87, s12
	v_add_co_ci_u32_e64 v66, null, s13, v88, vcc_lo
	v_add_co_u32 v35, vcc_lo, s4, v1
	v_add_co_ci_u32_e64 v36, null, s5, v2, vcc_lo
	s_clause 0x4
	global_load_dwordx2 v[97:98], v99, s[4:5]
	global_load_dwordx2 v[100:101], v[65:66], off
	global_load_dwordx2 v[102:103], v[43:44], off
	;; [unrolled: 1-line block ×4, first 2 shown]
	v_add_nc_u32_e32 v7, s15, v5
	s_bitcmp0_b32 s8, 0
	v_ashrrev_i32_e32 v8, 31, v7
	v_add_nc_u32_e32 v5, s15, v7
	v_lshlrev_b64 v[3:4], 3, v[7:8]
	v_add_nc_u32_e32 v7, s15, v5
	v_ashrrev_i32_e32 v6, 31, v5
	v_add_co_u32 v45, vcc_lo, s4, v3
	v_add_co_ci_u32_e64 v46, null, s5, v4, vcc_lo
	v_ashrrev_i32_e32 v8, 31, v7
	v_add_nc_u32_e32 v1, s15, v7
	v_lshlrev_b64 v[3:4], 3, v[5:6]
	global_load_dwordx2 v[108:109], v[45:46], off
	v_lshlrev_b64 v[5:6], 3, v[7:8]
	v_add_nc_u32_e32 v7, s15, v1
	v_ashrrev_i32_e32 v2, 31, v1
	v_add_co_u32 v37, vcc_lo, s4, v3
	v_add_co_ci_u32_e64 v38, null, s5, v4, vcc_lo
	v_ashrrev_i32_e32 v8, 31, v7
	v_add_nc_u32_e32 v3, s15, v7
	v_lshlrev_b64 v[1:2], 3, v[1:2]
	v_add_co_u32 v41, vcc_lo, s4, v5
	v_add_co_ci_u32_e64 v42, null, s5, v6, vcc_lo
	v_lshlrev_b64 v[5:6], 3, v[7:8]
	v_ashrrev_i32_e32 v4, 31, v3
	v_add_nc_u32_e32 v7, s15, v3
	v_add_co_u32 v25, vcc_lo, s4, v1
	v_add_co_ci_u32_e64 v26, null, s5, v2, vcc_lo
	v_lshlrev_b64 v[1:2], 3, v[3:4]
	v_ashrrev_i32_e32 v8, 31, v7
	v_add_nc_u32_e32 v3, s15, v7
	;; [unrolled: 5-line block ×3, first 2 shown]
	v_add_co_u32 v15, vcc_lo, s4, v1
	v_add_co_ci_u32_e64 v16, null, s5, v2, vcc_lo
	v_lshlrev_b64 v[1:2], 3, v[3:4]
	v_add_nc_u32_e32 v3, s15, v7
	v_ashrrev_i32_e32 v8, 31, v7
	v_add_co_u32 v19, vcc_lo, s4, v5
	v_add_co_ci_u32_e64 v20, null, s5, v6, vcc_lo
	v_add_nc_u32_e32 v9, s15, v3
	v_lshlrev_b64 v[5:6], 3, v[7:8]
	v_add_co_u32 v7, vcc_lo, s4, v1
	v_add_co_ci_u32_e64 v8, null, s5, v2, vcc_lo
	v_ashrrev_i32_e32 v10, 31, v9
	v_add_nc_u32_e32 v11, s15, v9
	v_add_co_u32 v1, vcc_lo, s4, v5
	v_add_co_ci_u32_e64 v2, null, s5, v6, vcc_lo
	v_lshlrev_b64 v[5:6], 3, v[9:10]
	v_add_nc_u32_e32 v9, s15, v11
	v_ashrrev_i32_e32 v4, 31, v3
	v_ashrrev_i32_e32 v12, 31, v11
	s_clause 0x2
	global_load_dwordx2 v[110:111], v[37:38], off
	global_load_dwordx2 v[112:113], v[41:42], off
	;; [unrolled: 1-line block ×3, first 2 shown]
	v_add_nc_u32_e32 v13, s15, v9
	v_lshlrev_b64 v[3:4], 3, v[3:4]
	v_ashrrev_i32_e32 v10, 31, v9
	v_lshlrev_b64 v[11:12], 3, v[11:12]
	s_clause 0x2
	global_load_dwordx2 v[118:119], v[29:30], off
	global_load_dwordx2 v[120:121], v[15:16], off
	;; [unrolled: 1-line block ×3, first 2 shown]
	v_add_nc_u32_e32 v21, s15, v13
	v_ashrrev_i32_e32 v14, 31, v13
	v_add_co_u32 v3, vcc_lo, s4, v3
	v_lshlrev_b64 v[17:18], 3, v[9:10]
	v_add_co_ci_u32_e64 v4, null, s5, v4, vcc_lo
	v_add_co_u32 v5, vcc_lo, s4, v5
	v_ashrrev_i32_e32 v22, 31, v21
	v_add_nc_u32_e32 v23, s15, v21
	v_add_co_ci_u32_e64 v6, null, s5, v6, vcc_lo
	v_add_co_u32 v9, vcc_lo, s4, v11
	v_add_co_ci_u32_e64 v10, null, s5, v12, vcc_lo
	v_add_co_u32 v11, vcc_lo, s4, v17
	v_add_co_ci_u32_e64 v12, null, s5, v18, vcc_lo
	v_lshlrev_b64 v[17:18], 3, v[21:22]
	v_add_nc_u32_e32 v21, s15, v23
	v_ashrrev_i32_e32 v24, 31, v23
	v_lshlrev_b64 v[13:14], 3, v[13:14]
	s_clause 0x3
	global_load_dwordx2 v[124:125], v[7:8], off
	global_load_dwordx2 v[126:127], v[1:2], off
	;; [unrolled: 1-line block ×4, first 2 shown]
	v_add_nc_u32_e32 v27, s15, v21
	v_ashrrev_i32_e32 v22, 31, v21
	v_lshlrev_b64 v[23:24], 3, v[23:24]
	v_add_co_u32 v13, vcc_lo, s4, v13
	v_add_nc_u32_e32 v33, s15, v27
	v_lshlrev_b64 v[31:32], 3, v[21:22]
	v_add_co_ci_u32_e64 v14, null, s5, v14, vcc_lo
	v_add_co_u32 v17, vcc_lo, s4, v17
	v_ashrrev_i32_e32 v34, 31, v33
	v_add_nc_u32_e32 v39, s15, v33
	v_add_co_ci_u32_e64 v18, null, s5, v18, vcc_lo
	v_add_co_u32 v21, vcc_lo, s4, v23
	v_add_co_ci_u32_e64 v22, null, s5, v24, vcc_lo
	v_add_co_u32 v23, vcc_lo, s4, v31
	v_add_co_ci_u32_e64 v24, null, s5, v32, vcc_lo
	v_lshlrev_b64 v[31:32], 3, v[33:34]
	v_add_nc_u32_e32 v33, s15, v39
	v_ashrrev_i32_e32 v28, 31, v27
	v_ashrrev_i32_e32 v40, 31, v39
	v_add_nc_u32_e32 v47, s15, v33
	v_lshlrev_b64 v[27:28], 3, v[27:28]
	v_ashrrev_i32_e32 v34, 31, v33
	v_lshlrev_b64 v[39:40], 3, v[39:40]
	v_add_nc_u32_e32 v53, s15, v47
	v_ashrrev_i32_e32 v48, 31, v47
	v_add_co_u32 v27, vcc_lo, s4, v27
	v_lshlrev_b64 v[51:52], 3, v[33:34]
	v_add_co_ci_u32_e64 v28, null, s5, v28, vcc_lo
	v_add_co_u32 v31, vcc_lo, s4, v31
	v_ashrrev_i32_e32 v54, 31, v53
	v_add_nc_u32_e32 v55, s15, v53
	v_add_co_ci_u32_e64 v32, null, s5, v32, vcc_lo
	v_add_co_u32 v33, vcc_lo, s4, v39
	v_add_co_ci_u32_e64 v34, null, s5, v40, vcc_lo
	v_add_co_u32 v39, vcc_lo, s4, v51
	v_add_co_ci_u32_e64 v40, null, s5, v52, vcc_lo
	v_lshlrev_b64 v[51:52], 3, v[53:54]
	v_add_nc_u32_e32 v53, s15, v55
	v_ashrrev_i32_e32 v56, 31, v55
	v_lshlrev_b64 v[47:48], 3, v[47:48]
	v_add_nc_u32_e32 v57, s15, v53
	v_ashrrev_i32_e32 v54, 31, v53
	v_lshlrev_b64 v[55:56], 3, v[55:56]
	v_add_co_u32 v47, vcc_lo, s4, v47
	v_add_nc_u32_e32 v61, s15, v57
	v_lshlrev_b64 v[59:60], 3, v[53:54]
	v_add_co_ci_u32_e64 v48, null, s5, v48, vcc_lo
	v_add_co_u32 v51, vcc_lo, s4, v51
	v_ashrrev_i32_e32 v62, 31, v61
	v_add_nc_u32_e32 v63, s15, v61
	v_add_co_ci_u32_e64 v52, null, s5, v52, vcc_lo
	v_add_co_u32 v53, vcc_lo, s4, v55
	v_add_co_ci_u32_e64 v54, null, s5, v56, vcc_lo
	v_add_co_u32 v55, vcc_lo, s4, v59
	v_add_co_ci_u32_e64 v56, null, s5, v60, vcc_lo
	v_lshlrev_b64 v[59:60], 3, v[61:62]
	v_add_nc_u32_e32 v61, s15, v63
	v_ashrrev_i32_e32 v58, 31, v57
	v_ashrrev_i32_e32 v64, 31, v63
	v_add_nc_u32_e32 v67, s15, v61
	v_lshlrev_b64 v[57:58], 3, v[57:58]
	v_ashrrev_i32_e32 v62, 31, v61
	v_lshlrev_b64 v[63:64], 3, v[63:64]
	v_add_nc_u32_e32 v71, s15, v67
	v_ashrrev_i32_e32 v68, 31, v67
	v_add_co_u32 v57, vcc_lo, s4, v57
	v_lshlrev_b64 v[69:70], 3, v[61:62]
	v_add_co_ci_u32_e64 v58, null, s5, v58, vcc_lo
	v_add_co_u32 v59, vcc_lo, s4, v59
	v_ashrrev_i32_e32 v72, 31, v71
	v_add_nc_u32_e32 v73, s15, v71
	v_add_co_ci_u32_e64 v60, null, s5, v60, vcc_lo
	v_add_co_u32 v61, vcc_lo, s4, v63
	v_add_co_ci_u32_e64 v62, null, s5, v64, vcc_lo
	v_add_co_u32 v63, vcc_lo, s4, v69
	v_add_co_ci_u32_e64 v64, null, s5, v70, vcc_lo
	v_lshlrev_b64 v[69:70], 3, v[71:72]
	v_add_nc_u32_e32 v71, s15, v73
	v_ashrrev_i32_e32 v74, 31, v73
	v_lshlrev_b64 v[67:68], 3, v[67:68]
	v_add_nc_u32_e32 v75, s15, v71
	v_ashrrev_i32_e32 v72, 31, v71
	v_lshlrev_b64 v[73:74], 3, v[73:74]
	v_add_co_u32 v67, vcc_lo, s4, v67
	v_add_nc_u32_e32 v79, s15, v75
	v_lshlrev_b64 v[77:78], 3, v[71:72]
	v_add_co_ci_u32_e64 v68, null, s5, v68, vcc_lo
	v_add_co_u32 v69, vcc_lo, s4, v69
	v_ashrrev_i32_e32 v80, 31, v79
	v_add_nc_u32_e32 v81, s15, v79
	v_add_co_ci_u32_e64 v70, null, s5, v70, vcc_lo
	v_add_co_u32 v71, vcc_lo, s4, v73
	v_add_co_ci_u32_e64 v72, null, s5, v74, vcc_lo
	v_add_co_u32 v73, vcc_lo, s4, v77
	v_add_co_ci_u32_e64 v74, null, s5, v78, vcc_lo
	v_lshlrev_b64 v[77:78], 3, v[79:80]
	v_add_nc_u32_e32 v79, s15, v81
	v_ashrrev_i32_e32 v76, 31, v75
	v_ashrrev_i32_e32 v82, 31, v81
	v_add_nc_u32_e32 v83, s15, v79
	v_lshlrev_b64 v[75:76], 3, v[75:76]
	v_ashrrev_i32_e32 v80, 31, v79
	v_lshlrev_b64 v[81:82], 3, v[81:82]
	v_add_nc_u32_e32 v89, s15, v83
	v_ashrrev_i32_e32 v84, 31, v83
	v_add_co_u32 v75, vcc_lo, s4, v75
	v_lshlrev_b64 v[85:86], 3, v[79:80]
	v_add_nc_u32_e32 v91, s15, v89
	v_add_co_ci_u32_e64 v76, null, s5, v76, vcc_lo
	v_add_co_u32 v77, vcc_lo, s4, v77
	v_add_nc_u32_e32 v93, s15, v91
	v_ashrrev_i32_e32 v90, 31, v89
	v_ashrrev_i32_e32 v92, 31, v91
	v_add_co_ci_u32_e64 v78, null, s5, v78, vcc_lo
	v_add_nc_u32_e32 v95, s15, v93
	v_ashrrev_i32_e32 v94, 31, v93
	v_add_co_u32 v79, vcc_lo, s4, v81
	v_add_co_ci_u32_e64 v80, null, s5, v82, vcc_lo
	v_add_nc_u32_e32 v116, s15, v95
	v_ashrrev_i32_e32 v96, 31, v95
	v_add_co_u32 v81, vcc_lo, s4, v85
	v_add_co_ci_u32_e64 v82, null, s5, v86, vcc_lo
	v_ashrrev_i32_e32 v117, 31, v116
	v_lshlrev_b64 v[85:86], 3, v[89:90]
	v_lshlrev_b64 v[89:90], 3, v[91:92]
	;; [unrolled: 1-line block ×5, first 2 shown]
	s_clause 0x3
	global_load_dwordx2 v[116:117], v[9:10], off
	global_load_dwordx2 v[132:133], v[11:12], off
	;; [unrolled: 1-line block ×4, first 2 shown]
	s_waitcnt vmcnt(19)
	buffer_store_dword v98, off, s[0:3], 0 offset:4
	buffer_store_dword v97, off, s[0:3], 0
	s_waitcnt vmcnt(18)
	buffer_store_dword v101, off, s[0:3], 0 offset:12
	s_clause 0x1
	global_load_dwordx2 v[97:98], v[21:22], off
	global_load_dwordx2 v[138:139], v[27:28], off
	buffer_store_dword v100, off, s[0:3], 0 offset:8
	global_load_dwordx2 v[100:101], v[23:24], off
	s_waitcnt vmcnt(20)
	buffer_store_dword v103, off, s[0:3], 0 offset:20
	buffer_store_dword v102, off, s[0:3], 0 offset:16
	global_load_dwordx2 v[102:103], v[31:32], off
	s_waitcnt vmcnt(20)
	buffer_store_dword v105, off, s[0:3], 0 offset:28
	buffer_store_dword v104, off, s[0:3], 0 offset:24
	s_waitcnt vmcnt(19)
	buffer_store_dword v107, off, s[0:3], 0 offset:36
	global_load_dwordx2 v[104:105], v[33:34], off
	buffer_store_dword v106, off, s[0:3], 0 offset:32
	global_load_dwordx2 v[106:107], v[39:40], off
	s_waitcnt vmcnt(20)
	buffer_store_dword v109, off, s[0:3], 0 offset:44
	buffer_store_dword v108, off, s[0:3], 0 offset:40
	global_load_dwordx2 v[108:109], v[47:48], off
	v_lshlrev_b64 v[83:84], 3, v[83:84]
	s_waitcnt vmcnt(20)
	buffer_store_dword v111, off, s[0:3], 0 offset:52
	buffer_store_dword v110, off, s[0:3], 0 offset:48
	s_waitcnt vmcnt(19)
	buffer_store_dword v113, off, s[0:3], 0 offset:60
	buffer_store_dword v112, off, s[0:3], 0 offset:56
	v_add_co_u32 v83, vcc_lo, s4, v83
	v_add_co_ci_u32_e64 v84, null, s5, v84, vcc_lo
	v_add_co_u32 v85, vcc_lo, s4, v85
	v_add_co_ci_u32_e64 v86, null, s5, v86, vcc_lo
	;; [unrolled: 2-line block ×4, first 2 shown]
	v_add_co_u32 v93, vcc_lo, s4, v93
	s_clause 0x1
	global_load_dwordx2 v[110:111], v[51:52], off
	global_load_dwordx2 v[112:113], v[53:54], off
	s_waitcnt vmcnt(20)
	buffer_store_dword v115, off, s[0:3], 0 offset:68
	buffer_store_dword v114, off, s[0:3], 0 offset:64
	s_waitcnt vmcnt(19)
	buffer_store_dword v118, off, s[0:3], 0 offset:72
	buffer_store_dword v119, off, s[0:3], 0 offset:76
	;; [unrolled: 3-line block ×4, first 2 shown]
	v_add_co_ci_u32_e64 v94, null, s5, v94, vcc_lo
	s_clause 0x3
	global_load_dwordx2 v[114:115], v[55:56], off
	global_load_dwordx2 v[118:119], v[57:58], off
	global_load_dwordx2 v[120:121], v[59:60], off
	global_load_dwordx2 v[122:123], v[61:62], off
	s_waitcnt vmcnt(20)
	buffer_store_dword v124, off, s[0:3], 0 offset:96
	buffer_store_dword v125, off, s[0:3], 0 offset:100
	s_waitcnt vmcnt(19)
	buffer_store_dword v126, off, s[0:3], 0 offset:104
	buffer_store_dword v127, off, s[0:3], 0 offset:108
	;; [unrolled: 3-line block ×4, first 2 shown]
	s_clause 0x3
	global_load_dwordx2 v[124:125], v[63:64], off
	global_load_dwordx2 v[126:127], v[67:68], off
	;; [unrolled: 1-line block ×4, first 2 shown]
	v_add_co_u32 v95, vcc_lo, s4, v95
	v_add_co_ci_u32_e64 v96, null, s5, v96, vcc_lo
	s_mov_b32 s5, -1
	s_waitcnt vmcnt(20)
	buffer_store_dword v116, off, s[0:3], 0 offset:128
	buffer_store_dword v117, off, s[0:3], 0 offset:132
	s_waitcnt vmcnt(19)
	buffer_store_dword v132, off, s[0:3], 0 offset:136
	buffer_store_dword v133, off, s[0:3], 0 offset:140
	;; [unrolled: 3-line block ×4, first 2 shown]
	s_clause 0x3
	global_load_dwordx2 v[116:117], v[73:74], off
	global_load_dwordx2 v[132:133], v[75:76], off
	;; [unrolled: 1-line block ×4, first 2 shown]
	s_waitcnt vmcnt(20)
	buffer_store_dword v98, off, s[0:3], 0 offset:164
	buffer_store_dword v97, off, s[0:3], 0 offset:160
	s_waitcnt vmcnt(18)
	buffer_store_dword v100, off, s[0:3], 0 offset:168
	buffer_store_dword v101, off, s[0:3], 0 offset:172
	;; [unrolled: 1-line block ×4, first 2 shown]
	s_waitcnt vmcnt(17)
	buffer_store_dword v102, off, s[0:3], 0 offset:184
	buffer_store_dword v103, off, s[0:3], 0 offset:188
	s_clause 0x3
	global_load_dwordx2 v[97:98], v[81:82], off
	global_load_dwordx2 v[100:101], v[83:84], off
	;; [unrolled: 1-line block ×4, first 2 shown]
	s_waitcnt vmcnt(20)
	buffer_store_dword v104, off, s[0:3], 0 offset:192
	buffer_store_dword v105, off, s[0:3], 0 offset:196
	s_waitcnt vmcnt(19)
	buffer_store_dword v107, off, s[0:3], 0 offset:204
	buffer_store_dword v106, off, s[0:3], 0 offset:200
	s_clause 0x1
	global_load_dwordx2 v[104:105], v[91:92], off
	global_load_dwordx2 v[106:107], v[93:94], off
	s_waitcnt vmcnt(20)
	buffer_store_dword v109, off, s[0:3], 0 offset:212
	buffer_store_dword v108, off, s[0:3], 0 offset:208
	global_load_dwordx2 v[108:109], v[95:96], off
	s_waitcnt vmcnt(20)
	buffer_store_dword v110, off, s[0:3], 0 offset:216
	buffer_store_dword v111, off, s[0:3], 0 offset:220
	s_waitcnt vmcnt(19)
	buffer_store_dword v112, off, s[0:3], 0 offset:224
	buffer_store_dword v113, off, s[0:3], 0 offset:228
	;; [unrolled: 3-line block ×21, first 2 shown]
	s_cbranch_scc1 .LBB47_200
; %bb.4:
	v_cmp_eq_u32_e64 s4, 0, v0
	s_and_saveexec_b32 s5, s4
; %bb.5:
	v_mov_b32_e32 v97, 0
	ds_write_b32 v97, v97 offset:768
; %bb.6:
	s_or_b32 exec_lo, exec_lo, s5
	v_lshl_add_u32 v97, v0, 3, 0
	s_waitcnt lgkmcnt(0)
	s_waitcnt_vscnt null, 0x0
	s_barrier
	buffer_gl0_inv
	s_mov_b32 s8, exec_lo
	s_clause 0x1
	buffer_load_dword v100, v97, s[0:3], 0 offen
	buffer_load_dword v101, v97, s[0:3], 0 offen offset:4
	s_waitcnt vmcnt(0)
	v_cmpx_eq_f64_e32 0, v[100:101]
	s_cbranch_execz .LBB47_10
; %bb.7:
	v_mov_b32_e32 v98, 0
	s_mov_b32 s9, 0
	ds_read_b32 v100, v98 offset:768
	s_waitcnt lgkmcnt(0)
	v_readfirstlane_b32 s5, v100
	v_add_nc_u32_e32 v100, 1, v0
	s_cmp_eq_u32 s5, 0
	v_cmp_gt_i32_e32 vcc_lo, s5, v100
	s_cselect_b32 s12, -1, 0
	s_or_b32 s12, s12, vcc_lo
	s_and_b32 exec_lo, exec_lo, s12
	s_cbranch_execz .LBB47_10
; %bb.8:
	v_mov_b32_e32 v101, s5
.LBB47_9:                               ; =>This Inner Loop Header: Depth=1
	ds_cmpst_rtn_b32 v101, v98, v101, v100 offset:768
	s_waitcnt lgkmcnt(0)
	v_cmp_ne_u32_e32 vcc_lo, 0, v101
	v_cmp_le_i32_e64 s5, v101, v100
	s_and_b32 s5, vcc_lo, s5
	s_and_b32 s5, exec_lo, s5
	s_or_b32 s9, s5, s9
	s_andn2_b32 exec_lo, exec_lo, s9
	s_cbranch_execnz .LBB47_9
.LBB47_10:
	s_or_b32 exec_lo, exec_lo, s8
	v_mov_b32_e32 v98, 0
	s_barrier
	buffer_gl0_inv
	ds_read_b32 v100, v98 offset:768
	s_and_saveexec_b32 s5, s4
	s_cbranch_execz .LBB47_12
; %bb.11:
	s_lshl_b64 s[8:9], s[6:7], 2
	s_add_u32 s8, s10, s8
	s_addc_u32 s9, s11, s9
	s_waitcnt lgkmcnt(0)
	global_store_dword v98, v100, s[8:9]
.LBB47_12:
	s_or_b32 exec_lo, exec_lo, s5
	s_waitcnt lgkmcnt(0)
	v_cmp_ne_u32_e32 vcc_lo, 0, v100
	s_mov_b32 s5, 0
	s_cbranch_vccnz .LBB47_200
; %bb.13:
	s_clause 0x1
	buffer_load_dword v100, v97, s[0:3], 0 offen
	buffer_load_dword v101, v97, s[0:3], 0 offen offset:4
	s_waitcnt vmcnt(0)
	v_div_scale_f64 v[102:103], null, v[100:101], v[100:101], 1.0
	v_div_scale_f64 v[108:109], vcc_lo, 1.0, v[100:101], 1.0
	v_rcp_f64_e32 v[104:105], v[102:103]
	v_fma_f64 v[106:107], -v[102:103], v[104:105], 1.0
	v_fma_f64 v[104:105], v[104:105], v[106:107], v[104:105]
	v_fma_f64 v[106:107], -v[102:103], v[104:105], 1.0
	v_fma_f64 v[104:105], v[104:105], v[106:107], v[104:105]
	v_mul_f64 v[106:107], v[108:109], v[104:105]
	v_fma_f64 v[102:103], -v[102:103], v[106:107], v[108:109]
	v_div_fmas_f64 v[102:103], v[102:103], v[104:105], v[106:107]
	v_div_fixup_f64 v[101:102], v[102:103], v[100:101], 1.0
	v_add_nc_u32_e32 v100, 0x180, v99
	buffer_store_dword v102, v97, s[0:3], 0 offen offset:4
	buffer_store_dword v101, v97, s[0:3], 0 offen
	s_clause 0x1
	buffer_load_dword v104, off, s[0:3], 0 offset:12
	buffer_load_dword v103, off, s[0:3], 0 offset:8
	v_xor_b32_e32 v102, 0x80000000, v102
	s_waitcnt vmcnt(0)
	ds_write2_b64 v99, v[101:102], v[103:104] offset1:48
	s_waitcnt lgkmcnt(0)
	s_waitcnt_vscnt null, 0x0
	s_barrier
	buffer_gl0_inv
	s_and_saveexec_b32 s5, s4
	s_cbranch_execz .LBB47_15
; %bb.14:
	s_clause 0x1
	buffer_load_dword v101, v97, s[0:3], 0 offen
	buffer_load_dword v102, v97, s[0:3], 0 offen offset:4
	ds_read_b64 v[103:104], v100
	v_mov_b32_e32 v98, 0
	ds_read_b64 v[105:106], v98 offset:8
	s_waitcnt vmcnt(0) lgkmcnt(1)
	v_fma_f64 v[101:102], v[101:102], v[103:104], 0
	s_waitcnt lgkmcnt(0)
	v_mul_f64 v[101:102], v[101:102], v[105:106]
	buffer_store_dword v101, off, s[0:3], 0 offset:8
	buffer_store_dword v102, off, s[0:3], 0 offset:12
.LBB47_15:
	s_or_b32 exec_lo, exec_lo, s5
	s_waitcnt_vscnt null, 0x0
	s_barrier
	buffer_gl0_inv
	s_clause 0x1
	buffer_load_dword v101, off, s[0:3], 0 offset:16
	buffer_load_dword v102, off, s[0:3], 0 offset:20
	s_mov_b32 s5, exec_lo
	s_waitcnt vmcnt(0)
	ds_write_b64 v100, v[101:102]
	s_waitcnt lgkmcnt(0)
	s_barrier
	buffer_gl0_inv
	v_cmpx_gt_u32_e32 2, v0
	s_cbranch_execz .LBB47_19
; %bb.16:
	s_clause 0x1
	buffer_load_dword v101, v97, s[0:3], 0 offen
	buffer_load_dword v102, v97, s[0:3], 0 offen offset:4
	ds_read_b64 v[97:98], v100
	s_waitcnt vmcnt(0) lgkmcnt(0)
	v_fma_f64 v[97:98], v[101:102], v[97:98], 0
	s_and_saveexec_b32 s8, s4
	s_cbranch_execz .LBB47_18
; %bb.17:
	s_clause 0x1
	buffer_load_dword v101, off, s[0:3], 0 offset:8
	buffer_load_dword v102, off, s[0:3], 0 offset:12
	v_mov_b32_e32 v103, 0
	ds_read_b64 v[103:104], v103 offset:392
	s_waitcnt vmcnt(0) lgkmcnt(0)
	v_fma_f64 v[97:98], v[101:102], v[103:104], v[97:98]
.LBB47_18:
	s_or_b32 exec_lo, exec_lo, s8
	v_mov_b32_e32 v101, 0
	ds_read_b64 v[101:102], v101 offset:16
	s_waitcnt lgkmcnt(0)
	v_mul_f64 v[97:98], v[97:98], v[101:102]
	buffer_store_dword v98, off, s[0:3], 0 offset:20
	buffer_store_dword v97, off, s[0:3], 0 offset:16
.LBB47_19:
	s_or_b32 exec_lo, exec_lo, s5
	s_waitcnt_vscnt null, 0x0
	s_barrier
	buffer_gl0_inv
	s_clause 0x1
	buffer_load_dword v97, off, s[0:3], 0 offset:24
	buffer_load_dword v98, off, s[0:3], 0 offset:28
	v_add_nc_u32_e32 v101, -1, v0
	s_mov_b32 s4, exec_lo
	s_waitcnt vmcnt(0)
	ds_write_b64 v100, v[97:98]
	s_waitcnt lgkmcnt(0)
	s_barrier
	buffer_gl0_inv
	v_cmpx_gt_u32_e32 3, v0
	s_cbranch_execz .LBB47_23
; %bb.20:
	v_mov_b32_e32 v97, 0
	v_add_nc_u32_e32 v102, -1, v0
	v_add_nc_u32_e32 v103, 0x180, v99
	v_mov_b32_e32 v98, 0
	v_mov_b32_e32 v104, v99
	s_mov_b32 s5, 0
.LBB47_21:                              ; =>This Inner Loop Header: Depth=1
	s_clause 0x1
	buffer_load_dword v105, v104, s[0:3], 0 offen
	buffer_load_dword v106, v104, s[0:3], 0 offen offset:4
	ds_read_b64 v[107:108], v103
	v_add_nc_u32_e32 v102, 1, v102
	v_add_nc_u32_e32 v103, 8, v103
	v_add_nc_u32_e32 v104, 8, v104
	v_cmp_lt_u32_e32 vcc_lo, 1, v102
	s_or_b32 s5, vcc_lo, s5
	s_waitcnt vmcnt(0) lgkmcnt(0)
	v_fma_f64 v[97:98], v[105:106], v[107:108], v[97:98]
	s_andn2_b32 exec_lo, exec_lo, s5
	s_cbranch_execnz .LBB47_21
; %bb.22:
	s_or_b32 exec_lo, exec_lo, s5
	v_mov_b32_e32 v102, 0
	ds_read_b64 v[102:103], v102 offset:24
	s_waitcnt lgkmcnt(0)
	v_mul_f64 v[97:98], v[97:98], v[102:103]
	buffer_store_dword v98, off, s[0:3], 0 offset:28
	buffer_store_dword v97, off, s[0:3], 0 offset:24
.LBB47_23:
	s_or_b32 exec_lo, exec_lo, s4
	s_waitcnt_vscnt null, 0x0
	s_barrier
	buffer_gl0_inv
	s_clause 0x1
	buffer_load_dword v97, off, s[0:3], 0 offset:32
	buffer_load_dword v98, off, s[0:3], 0 offset:36
	s_mov_b32 s4, exec_lo
	s_waitcnt vmcnt(0)
	ds_write_b64 v100, v[97:98]
	s_waitcnt lgkmcnt(0)
	s_barrier
	buffer_gl0_inv
	v_cmpx_gt_u32_e32 4, v0
	s_cbranch_execz .LBB47_27
; %bb.24:
	v_mov_b32_e32 v97, 0
	v_add_nc_u32_e32 v102, -1, v0
	v_add_nc_u32_e32 v103, 0x180, v99
	v_mov_b32_e32 v98, 0
	v_mov_b32_e32 v104, v99
	s_mov_b32 s5, 0
.LBB47_25:                              ; =>This Inner Loop Header: Depth=1
	s_clause 0x1
	buffer_load_dword v105, v104, s[0:3], 0 offen
	buffer_load_dword v106, v104, s[0:3], 0 offen offset:4
	ds_read_b64 v[107:108], v103
	v_add_nc_u32_e32 v102, 1, v102
	v_add_nc_u32_e32 v103, 8, v103
	v_add_nc_u32_e32 v104, 8, v104
	v_cmp_lt_u32_e32 vcc_lo, 2, v102
	s_or_b32 s5, vcc_lo, s5
	s_waitcnt vmcnt(0) lgkmcnt(0)
	v_fma_f64 v[97:98], v[105:106], v[107:108], v[97:98]
	s_andn2_b32 exec_lo, exec_lo, s5
	s_cbranch_execnz .LBB47_25
; %bb.26:
	s_or_b32 exec_lo, exec_lo, s5
	v_mov_b32_e32 v102, 0
	ds_read_b64 v[102:103], v102 offset:32
	s_waitcnt lgkmcnt(0)
	v_mul_f64 v[97:98], v[97:98], v[102:103]
	buffer_store_dword v98, off, s[0:3], 0 offset:36
	buffer_store_dword v97, off, s[0:3], 0 offset:32
.LBB47_27:
	s_or_b32 exec_lo, exec_lo, s4
	s_waitcnt_vscnt null, 0x0
	s_barrier
	buffer_gl0_inv
	s_clause 0x1
	buffer_load_dword v97, off, s[0:3], 0 offset:40
	buffer_load_dword v98, off, s[0:3], 0 offset:44
	s_mov_b32 s4, exec_lo
	s_waitcnt vmcnt(0)
	ds_write_b64 v100, v[97:98]
	s_waitcnt lgkmcnt(0)
	s_barrier
	buffer_gl0_inv
	v_cmpx_gt_u32_e32 5, v0
	s_cbranch_execz .LBB47_31
; %bb.28:
	v_mov_b32_e32 v97, 0
	v_add_nc_u32_e32 v102, -1, v0
	v_add_nc_u32_e32 v103, 0x180, v99
	v_mov_b32_e32 v98, 0
	v_mov_b32_e32 v104, v99
	s_mov_b32 s5, 0
.LBB47_29:                              ; =>This Inner Loop Header: Depth=1
	s_clause 0x1
	buffer_load_dword v105, v104, s[0:3], 0 offen
	buffer_load_dword v106, v104, s[0:3], 0 offen offset:4
	ds_read_b64 v[107:108], v103
	v_add_nc_u32_e32 v102, 1, v102
	v_add_nc_u32_e32 v103, 8, v103
	v_add_nc_u32_e32 v104, 8, v104
	v_cmp_lt_u32_e32 vcc_lo, 3, v102
	s_or_b32 s5, vcc_lo, s5
	s_waitcnt vmcnt(0) lgkmcnt(0)
	v_fma_f64 v[97:98], v[105:106], v[107:108], v[97:98]
	s_andn2_b32 exec_lo, exec_lo, s5
	s_cbranch_execnz .LBB47_29
; %bb.30:
	s_or_b32 exec_lo, exec_lo, s5
	v_mov_b32_e32 v102, 0
	ds_read_b64 v[102:103], v102 offset:40
	s_waitcnt lgkmcnt(0)
	v_mul_f64 v[97:98], v[97:98], v[102:103]
	buffer_store_dword v98, off, s[0:3], 0 offset:44
	buffer_store_dword v97, off, s[0:3], 0 offset:40
.LBB47_31:
	s_or_b32 exec_lo, exec_lo, s4
	s_waitcnt_vscnt null, 0x0
	s_barrier
	buffer_gl0_inv
	s_clause 0x1
	buffer_load_dword v97, off, s[0:3], 0 offset:48
	buffer_load_dword v98, off, s[0:3], 0 offset:52
	s_mov_b32 s4, exec_lo
	s_waitcnt vmcnt(0)
	ds_write_b64 v100, v[97:98]
	s_waitcnt lgkmcnt(0)
	s_barrier
	buffer_gl0_inv
	v_cmpx_gt_u32_e32 6, v0
	s_cbranch_execz .LBB47_35
; %bb.32:
	v_mov_b32_e32 v97, 0
	v_add_nc_u32_e32 v102, -1, v0
	v_add_nc_u32_e32 v103, 0x180, v99
	v_mov_b32_e32 v98, 0
	v_mov_b32_e32 v104, v99
	s_mov_b32 s5, 0
.LBB47_33:                              ; =>This Inner Loop Header: Depth=1
	s_clause 0x1
	buffer_load_dword v105, v104, s[0:3], 0 offen
	buffer_load_dword v106, v104, s[0:3], 0 offen offset:4
	ds_read_b64 v[107:108], v103
	v_add_nc_u32_e32 v102, 1, v102
	v_add_nc_u32_e32 v103, 8, v103
	v_add_nc_u32_e32 v104, 8, v104
	v_cmp_lt_u32_e32 vcc_lo, 4, v102
	s_or_b32 s5, vcc_lo, s5
	s_waitcnt vmcnt(0) lgkmcnt(0)
	v_fma_f64 v[97:98], v[105:106], v[107:108], v[97:98]
	s_andn2_b32 exec_lo, exec_lo, s5
	s_cbranch_execnz .LBB47_33
; %bb.34:
	s_or_b32 exec_lo, exec_lo, s5
	v_mov_b32_e32 v102, 0
	ds_read_b64 v[102:103], v102 offset:48
	s_waitcnt lgkmcnt(0)
	v_mul_f64 v[97:98], v[97:98], v[102:103]
	buffer_store_dword v98, off, s[0:3], 0 offset:52
	buffer_store_dword v97, off, s[0:3], 0 offset:48
.LBB47_35:
	s_or_b32 exec_lo, exec_lo, s4
	s_waitcnt_vscnt null, 0x0
	s_barrier
	buffer_gl0_inv
	s_clause 0x1
	buffer_load_dword v97, off, s[0:3], 0 offset:56
	buffer_load_dword v98, off, s[0:3], 0 offset:60
	s_mov_b32 s4, exec_lo
	s_waitcnt vmcnt(0)
	ds_write_b64 v100, v[97:98]
	s_waitcnt lgkmcnt(0)
	s_barrier
	buffer_gl0_inv
	v_cmpx_gt_u32_e32 7, v0
	s_cbranch_execz .LBB47_39
; %bb.36:
	v_mov_b32_e32 v97, 0
	v_add_nc_u32_e32 v102, -1, v0
	v_add_nc_u32_e32 v103, 0x180, v99
	v_mov_b32_e32 v98, 0
	v_mov_b32_e32 v104, v99
	s_mov_b32 s5, 0
.LBB47_37:                              ; =>This Inner Loop Header: Depth=1
	s_clause 0x1
	buffer_load_dword v105, v104, s[0:3], 0 offen
	buffer_load_dword v106, v104, s[0:3], 0 offen offset:4
	ds_read_b64 v[107:108], v103
	v_add_nc_u32_e32 v102, 1, v102
	v_add_nc_u32_e32 v103, 8, v103
	v_add_nc_u32_e32 v104, 8, v104
	v_cmp_lt_u32_e32 vcc_lo, 5, v102
	s_or_b32 s5, vcc_lo, s5
	s_waitcnt vmcnt(0) lgkmcnt(0)
	v_fma_f64 v[97:98], v[105:106], v[107:108], v[97:98]
	s_andn2_b32 exec_lo, exec_lo, s5
	s_cbranch_execnz .LBB47_37
; %bb.38:
	s_or_b32 exec_lo, exec_lo, s5
	v_mov_b32_e32 v102, 0
	ds_read_b64 v[102:103], v102 offset:56
	s_waitcnt lgkmcnt(0)
	v_mul_f64 v[97:98], v[97:98], v[102:103]
	buffer_store_dword v98, off, s[0:3], 0 offset:60
	buffer_store_dword v97, off, s[0:3], 0 offset:56
.LBB47_39:
	s_or_b32 exec_lo, exec_lo, s4
	s_waitcnt_vscnt null, 0x0
	s_barrier
	buffer_gl0_inv
	s_clause 0x1
	buffer_load_dword v97, off, s[0:3], 0 offset:64
	buffer_load_dword v98, off, s[0:3], 0 offset:68
	s_mov_b32 s4, exec_lo
	s_waitcnt vmcnt(0)
	ds_write_b64 v100, v[97:98]
	s_waitcnt lgkmcnt(0)
	s_barrier
	buffer_gl0_inv
	v_cmpx_gt_u32_e32 8, v0
	s_cbranch_execz .LBB47_43
; %bb.40:
	v_mov_b32_e32 v97, 0
	v_add_nc_u32_e32 v102, -1, v0
	v_add_nc_u32_e32 v103, 0x180, v99
	v_mov_b32_e32 v98, 0
	v_mov_b32_e32 v104, v99
	s_mov_b32 s5, 0
.LBB47_41:                              ; =>This Inner Loop Header: Depth=1
	s_clause 0x1
	buffer_load_dword v105, v104, s[0:3], 0 offen
	buffer_load_dword v106, v104, s[0:3], 0 offen offset:4
	ds_read_b64 v[107:108], v103
	v_add_nc_u32_e32 v102, 1, v102
	v_add_nc_u32_e32 v103, 8, v103
	v_add_nc_u32_e32 v104, 8, v104
	v_cmp_lt_u32_e32 vcc_lo, 6, v102
	s_or_b32 s5, vcc_lo, s5
	s_waitcnt vmcnt(0) lgkmcnt(0)
	v_fma_f64 v[97:98], v[105:106], v[107:108], v[97:98]
	s_andn2_b32 exec_lo, exec_lo, s5
	s_cbranch_execnz .LBB47_41
; %bb.42:
	s_or_b32 exec_lo, exec_lo, s5
	v_mov_b32_e32 v102, 0
	ds_read_b64 v[102:103], v102 offset:64
	s_waitcnt lgkmcnt(0)
	v_mul_f64 v[97:98], v[97:98], v[102:103]
	buffer_store_dword v98, off, s[0:3], 0 offset:68
	buffer_store_dword v97, off, s[0:3], 0 offset:64
.LBB47_43:
	s_or_b32 exec_lo, exec_lo, s4
	s_waitcnt_vscnt null, 0x0
	s_barrier
	buffer_gl0_inv
	s_clause 0x1
	buffer_load_dword v97, off, s[0:3], 0 offset:72
	buffer_load_dword v98, off, s[0:3], 0 offset:76
	s_mov_b32 s4, exec_lo
	s_waitcnt vmcnt(0)
	ds_write_b64 v100, v[97:98]
	s_waitcnt lgkmcnt(0)
	s_barrier
	buffer_gl0_inv
	v_cmpx_gt_u32_e32 9, v0
	s_cbranch_execz .LBB47_47
; %bb.44:
	v_mov_b32_e32 v97, 0
	v_add_nc_u32_e32 v102, -1, v0
	v_add_nc_u32_e32 v103, 0x180, v99
	v_mov_b32_e32 v98, 0
	v_mov_b32_e32 v104, v99
	s_mov_b32 s5, 0
.LBB47_45:                              ; =>This Inner Loop Header: Depth=1
	s_clause 0x1
	buffer_load_dword v105, v104, s[0:3], 0 offen
	buffer_load_dword v106, v104, s[0:3], 0 offen offset:4
	ds_read_b64 v[107:108], v103
	v_add_nc_u32_e32 v102, 1, v102
	v_add_nc_u32_e32 v103, 8, v103
	v_add_nc_u32_e32 v104, 8, v104
	v_cmp_lt_u32_e32 vcc_lo, 7, v102
	s_or_b32 s5, vcc_lo, s5
	s_waitcnt vmcnt(0) lgkmcnt(0)
	v_fma_f64 v[97:98], v[105:106], v[107:108], v[97:98]
	s_andn2_b32 exec_lo, exec_lo, s5
	s_cbranch_execnz .LBB47_45
; %bb.46:
	s_or_b32 exec_lo, exec_lo, s5
	v_mov_b32_e32 v102, 0
	ds_read_b64 v[102:103], v102 offset:72
	s_waitcnt lgkmcnt(0)
	v_mul_f64 v[97:98], v[97:98], v[102:103]
	buffer_store_dword v98, off, s[0:3], 0 offset:76
	buffer_store_dword v97, off, s[0:3], 0 offset:72
.LBB47_47:
	s_or_b32 exec_lo, exec_lo, s4
	s_waitcnt_vscnt null, 0x0
	s_barrier
	buffer_gl0_inv
	s_clause 0x1
	buffer_load_dword v97, off, s[0:3], 0 offset:80
	buffer_load_dword v98, off, s[0:3], 0 offset:84
	s_mov_b32 s4, exec_lo
	s_waitcnt vmcnt(0)
	ds_write_b64 v100, v[97:98]
	s_waitcnt lgkmcnt(0)
	s_barrier
	buffer_gl0_inv
	v_cmpx_gt_u32_e32 10, v0
	s_cbranch_execz .LBB47_51
; %bb.48:
	v_mov_b32_e32 v97, 0
	v_add_nc_u32_e32 v102, -1, v0
	v_add_nc_u32_e32 v103, 0x180, v99
	v_mov_b32_e32 v98, 0
	v_mov_b32_e32 v104, v99
	s_mov_b32 s5, 0
.LBB47_49:                              ; =>This Inner Loop Header: Depth=1
	s_clause 0x1
	buffer_load_dword v105, v104, s[0:3], 0 offen
	buffer_load_dword v106, v104, s[0:3], 0 offen offset:4
	ds_read_b64 v[107:108], v103
	v_add_nc_u32_e32 v102, 1, v102
	v_add_nc_u32_e32 v103, 8, v103
	v_add_nc_u32_e32 v104, 8, v104
	v_cmp_lt_u32_e32 vcc_lo, 8, v102
	s_or_b32 s5, vcc_lo, s5
	s_waitcnt vmcnt(0) lgkmcnt(0)
	v_fma_f64 v[97:98], v[105:106], v[107:108], v[97:98]
	s_andn2_b32 exec_lo, exec_lo, s5
	s_cbranch_execnz .LBB47_49
; %bb.50:
	s_or_b32 exec_lo, exec_lo, s5
	v_mov_b32_e32 v102, 0
	ds_read_b64 v[102:103], v102 offset:80
	s_waitcnt lgkmcnt(0)
	v_mul_f64 v[97:98], v[97:98], v[102:103]
	buffer_store_dword v98, off, s[0:3], 0 offset:84
	buffer_store_dword v97, off, s[0:3], 0 offset:80
.LBB47_51:
	s_or_b32 exec_lo, exec_lo, s4
	s_waitcnt_vscnt null, 0x0
	s_barrier
	buffer_gl0_inv
	s_clause 0x1
	buffer_load_dword v97, off, s[0:3], 0 offset:88
	buffer_load_dword v98, off, s[0:3], 0 offset:92
	s_mov_b32 s4, exec_lo
	s_waitcnt vmcnt(0)
	ds_write_b64 v100, v[97:98]
	s_waitcnt lgkmcnt(0)
	s_barrier
	buffer_gl0_inv
	v_cmpx_gt_u32_e32 11, v0
	s_cbranch_execz .LBB47_55
; %bb.52:
	v_mov_b32_e32 v97, 0
	v_add_nc_u32_e32 v102, -1, v0
	v_add_nc_u32_e32 v103, 0x180, v99
	v_mov_b32_e32 v98, 0
	v_mov_b32_e32 v104, v99
	s_mov_b32 s5, 0
.LBB47_53:                              ; =>This Inner Loop Header: Depth=1
	s_clause 0x1
	buffer_load_dword v105, v104, s[0:3], 0 offen
	buffer_load_dword v106, v104, s[0:3], 0 offen offset:4
	ds_read_b64 v[107:108], v103
	v_add_nc_u32_e32 v102, 1, v102
	v_add_nc_u32_e32 v103, 8, v103
	v_add_nc_u32_e32 v104, 8, v104
	v_cmp_lt_u32_e32 vcc_lo, 9, v102
	s_or_b32 s5, vcc_lo, s5
	s_waitcnt vmcnt(0) lgkmcnt(0)
	v_fma_f64 v[97:98], v[105:106], v[107:108], v[97:98]
	s_andn2_b32 exec_lo, exec_lo, s5
	s_cbranch_execnz .LBB47_53
; %bb.54:
	s_or_b32 exec_lo, exec_lo, s5
	v_mov_b32_e32 v102, 0
	ds_read_b64 v[102:103], v102 offset:88
	s_waitcnt lgkmcnt(0)
	v_mul_f64 v[97:98], v[97:98], v[102:103]
	buffer_store_dword v98, off, s[0:3], 0 offset:92
	buffer_store_dword v97, off, s[0:3], 0 offset:88
.LBB47_55:
	s_or_b32 exec_lo, exec_lo, s4
	s_waitcnt_vscnt null, 0x0
	s_barrier
	buffer_gl0_inv
	s_clause 0x1
	buffer_load_dword v97, off, s[0:3], 0 offset:96
	buffer_load_dword v98, off, s[0:3], 0 offset:100
	s_mov_b32 s4, exec_lo
	s_waitcnt vmcnt(0)
	ds_write_b64 v100, v[97:98]
	s_waitcnt lgkmcnt(0)
	s_barrier
	buffer_gl0_inv
	v_cmpx_gt_u32_e32 12, v0
	s_cbranch_execz .LBB47_59
; %bb.56:
	v_mov_b32_e32 v97, 0
	v_add_nc_u32_e32 v102, -1, v0
	v_add_nc_u32_e32 v103, 0x180, v99
	v_mov_b32_e32 v98, 0
	v_mov_b32_e32 v104, v99
	s_mov_b32 s5, 0
.LBB47_57:                              ; =>This Inner Loop Header: Depth=1
	s_clause 0x1
	buffer_load_dword v105, v104, s[0:3], 0 offen
	buffer_load_dword v106, v104, s[0:3], 0 offen offset:4
	ds_read_b64 v[107:108], v103
	v_add_nc_u32_e32 v102, 1, v102
	v_add_nc_u32_e32 v103, 8, v103
	v_add_nc_u32_e32 v104, 8, v104
	v_cmp_lt_u32_e32 vcc_lo, 10, v102
	s_or_b32 s5, vcc_lo, s5
	s_waitcnt vmcnt(0) lgkmcnt(0)
	v_fma_f64 v[97:98], v[105:106], v[107:108], v[97:98]
	s_andn2_b32 exec_lo, exec_lo, s5
	s_cbranch_execnz .LBB47_57
; %bb.58:
	s_or_b32 exec_lo, exec_lo, s5
	v_mov_b32_e32 v102, 0
	ds_read_b64 v[102:103], v102 offset:96
	s_waitcnt lgkmcnt(0)
	v_mul_f64 v[97:98], v[97:98], v[102:103]
	buffer_store_dword v98, off, s[0:3], 0 offset:100
	buffer_store_dword v97, off, s[0:3], 0 offset:96
.LBB47_59:
	s_or_b32 exec_lo, exec_lo, s4
	s_waitcnt_vscnt null, 0x0
	s_barrier
	buffer_gl0_inv
	s_clause 0x1
	buffer_load_dword v97, off, s[0:3], 0 offset:104
	buffer_load_dword v98, off, s[0:3], 0 offset:108
	s_mov_b32 s4, exec_lo
	s_waitcnt vmcnt(0)
	ds_write_b64 v100, v[97:98]
	s_waitcnt lgkmcnt(0)
	s_barrier
	buffer_gl0_inv
	v_cmpx_gt_u32_e32 13, v0
	s_cbranch_execz .LBB47_63
; %bb.60:
	v_mov_b32_e32 v97, 0
	v_add_nc_u32_e32 v102, -1, v0
	v_add_nc_u32_e32 v103, 0x180, v99
	v_mov_b32_e32 v98, 0
	v_mov_b32_e32 v104, v99
	s_mov_b32 s5, 0
.LBB47_61:                              ; =>This Inner Loop Header: Depth=1
	s_clause 0x1
	buffer_load_dword v105, v104, s[0:3], 0 offen
	buffer_load_dword v106, v104, s[0:3], 0 offen offset:4
	ds_read_b64 v[107:108], v103
	v_add_nc_u32_e32 v102, 1, v102
	v_add_nc_u32_e32 v103, 8, v103
	v_add_nc_u32_e32 v104, 8, v104
	v_cmp_lt_u32_e32 vcc_lo, 11, v102
	s_or_b32 s5, vcc_lo, s5
	s_waitcnt vmcnt(0) lgkmcnt(0)
	v_fma_f64 v[97:98], v[105:106], v[107:108], v[97:98]
	s_andn2_b32 exec_lo, exec_lo, s5
	s_cbranch_execnz .LBB47_61
; %bb.62:
	s_or_b32 exec_lo, exec_lo, s5
	v_mov_b32_e32 v102, 0
	ds_read_b64 v[102:103], v102 offset:104
	s_waitcnt lgkmcnt(0)
	v_mul_f64 v[97:98], v[97:98], v[102:103]
	buffer_store_dword v98, off, s[0:3], 0 offset:108
	buffer_store_dword v97, off, s[0:3], 0 offset:104
.LBB47_63:
	s_or_b32 exec_lo, exec_lo, s4
	s_waitcnt_vscnt null, 0x0
	s_barrier
	buffer_gl0_inv
	s_clause 0x1
	buffer_load_dword v97, off, s[0:3], 0 offset:112
	buffer_load_dword v98, off, s[0:3], 0 offset:116
	s_mov_b32 s4, exec_lo
	s_waitcnt vmcnt(0)
	ds_write_b64 v100, v[97:98]
	s_waitcnt lgkmcnt(0)
	s_barrier
	buffer_gl0_inv
	v_cmpx_gt_u32_e32 14, v0
	s_cbranch_execz .LBB47_67
; %bb.64:
	v_mov_b32_e32 v97, 0
	v_add_nc_u32_e32 v102, -1, v0
	v_add_nc_u32_e32 v103, 0x180, v99
	v_mov_b32_e32 v98, 0
	v_mov_b32_e32 v104, v99
	s_mov_b32 s5, 0
.LBB47_65:                              ; =>This Inner Loop Header: Depth=1
	s_clause 0x1
	buffer_load_dword v105, v104, s[0:3], 0 offen
	buffer_load_dword v106, v104, s[0:3], 0 offen offset:4
	ds_read_b64 v[107:108], v103
	v_add_nc_u32_e32 v102, 1, v102
	v_add_nc_u32_e32 v103, 8, v103
	v_add_nc_u32_e32 v104, 8, v104
	v_cmp_lt_u32_e32 vcc_lo, 12, v102
	s_or_b32 s5, vcc_lo, s5
	s_waitcnt vmcnt(0) lgkmcnt(0)
	v_fma_f64 v[97:98], v[105:106], v[107:108], v[97:98]
	s_andn2_b32 exec_lo, exec_lo, s5
	s_cbranch_execnz .LBB47_65
; %bb.66:
	s_or_b32 exec_lo, exec_lo, s5
	v_mov_b32_e32 v102, 0
	ds_read_b64 v[102:103], v102 offset:112
	s_waitcnt lgkmcnt(0)
	v_mul_f64 v[97:98], v[97:98], v[102:103]
	buffer_store_dword v98, off, s[0:3], 0 offset:116
	buffer_store_dword v97, off, s[0:3], 0 offset:112
.LBB47_67:
	s_or_b32 exec_lo, exec_lo, s4
	s_waitcnt_vscnt null, 0x0
	s_barrier
	buffer_gl0_inv
	s_clause 0x1
	buffer_load_dword v97, off, s[0:3], 0 offset:120
	buffer_load_dword v98, off, s[0:3], 0 offset:124
	s_mov_b32 s4, exec_lo
	s_waitcnt vmcnt(0)
	ds_write_b64 v100, v[97:98]
	s_waitcnt lgkmcnt(0)
	s_barrier
	buffer_gl0_inv
	v_cmpx_gt_u32_e32 15, v0
	s_cbranch_execz .LBB47_71
; %bb.68:
	v_mov_b32_e32 v97, 0
	v_add_nc_u32_e32 v102, -1, v0
	v_add_nc_u32_e32 v103, 0x180, v99
	v_mov_b32_e32 v98, 0
	v_mov_b32_e32 v104, v99
	s_mov_b32 s5, 0
.LBB47_69:                              ; =>This Inner Loop Header: Depth=1
	s_clause 0x1
	buffer_load_dword v105, v104, s[0:3], 0 offen
	buffer_load_dword v106, v104, s[0:3], 0 offen offset:4
	ds_read_b64 v[107:108], v103
	v_add_nc_u32_e32 v102, 1, v102
	v_add_nc_u32_e32 v103, 8, v103
	v_add_nc_u32_e32 v104, 8, v104
	v_cmp_lt_u32_e32 vcc_lo, 13, v102
	s_or_b32 s5, vcc_lo, s5
	s_waitcnt vmcnt(0) lgkmcnt(0)
	v_fma_f64 v[97:98], v[105:106], v[107:108], v[97:98]
	s_andn2_b32 exec_lo, exec_lo, s5
	s_cbranch_execnz .LBB47_69
; %bb.70:
	s_or_b32 exec_lo, exec_lo, s5
	v_mov_b32_e32 v102, 0
	ds_read_b64 v[102:103], v102 offset:120
	s_waitcnt lgkmcnt(0)
	v_mul_f64 v[97:98], v[97:98], v[102:103]
	buffer_store_dword v98, off, s[0:3], 0 offset:124
	buffer_store_dword v97, off, s[0:3], 0 offset:120
.LBB47_71:
	s_or_b32 exec_lo, exec_lo, s4
	s_waitcnt_vscnt null, 0x0
	s_barrier
	buffer_gl0_inv
	s_clause 0x1
	buffer_load_dword v97, off, s[0:3], 0 offset:128
	buffer_load_dword v98, off, s[0:3], 0 offset:132
	s_mov_b32 s4, exec_lo
	s_waitcnt vmcnt(0)
	ds_write_b64 v100, v[97:98]
	s_waitcnt lgkmcnt(0)
	s_barrier
	buffer_gl0_inv
	v_cmpx_gt_u32_e32 16, v0
	s_cbranch_execz .LBB47_75
; %bb.72:
	v_mov_b32_e32 v97, 0
	v_add_nc_u32_e32 v102, -1, v0
	v_add_nc_u32_e32 v103, 0x180, v99
	v_mov_b32_e32 v98, 0
	v_mov_b32_e32 v104, v99
	s_mov_b32 s5, 0
.LBB47_73:                              ; =>This Inner Loop Header: Depth=1
	s_clause 0x1
	buffer_load_dword v105, v104, s[0:3], 0 offen
	buffer_load_dword v106, v104, s[0:3], 0 offen offset:4
	ds_read_b64 v[107:108], v103
	v_add_nc_u32_e32 v102, 1, v102
	v_add_nc_u32_e32 v103, 8, v103
	v_add_nc_u32_e32 v104, 8, v104
	v_cmp_lt_u32_e32 vcc_lo, 14, v102
	s_or_b32 s5, vcc_lo, s5
	s_waitcnt vmcnt(0) lgkmcnt(0)
	v_fma_f64 v[97:98], v[105:106], v[107:108], v[97:98]
	s_andn2_b32 exec_lo, exec_lo, s5
	s_cbranch_execnz .LBB47_73
; %bb.74:
	s_or_b32 exec_lo, exec_lo, s5
	v_mov_b32_e32 v102, 0
	ds_read_b64 v[102:103], v102 offset:128
	s_waitcnt lgkmcnt(0)
	v_mul_f64 v[97:98], v[97:98], v[102:103]
	buffer_store_dword v98, off, s[0:3], 0 offset:132
	buffer_store_dword v97, off, s[0:3], 0 offset:128
.LBB47_75:
	s_or_b32 exec_lo, exec_lo, s4
	s_waitcnt_vscnt null, 0x0
	s_barrier
	buffer_gl0_inv
	s_clause 0x1
	buffer_load_dword v97, off, s[0:3], 0 offset:136
	buffer_load_dword v98, off, s[0:3], 0 offset:140
	s_mov_b32 s4, exec_lo
	s_waitcnt vmcnt(0)
	ds_write_b64 v100, v[97:98]
	s_waitcnt lgkmcnt(0)
	s_barrier
	buffer_gl0_inv
	v_cmpx_gt_u32_e32 17, v0
	s_cbranch_execz .LBB47_79
; %bb.76:
	v_mov_b32_e32 v97, 0
	v_add_nc_u32_e32 v102, -1, v0
	v_add_nc_u32_e32 v103, 0x180, v99
	v_mov_b32_e32 v98, 0
	v_mov_b32_e32 v104, v99
	s_mov_b32 s5, 0
.LBB47_77:                              ; =>This Inner Loop Header: Depth=1
	s_clause 0x1
	buffer_load_dword v105, v104, s[0:3], 0 offen
	buffer_load_dword v106, v104, s[0:3], 0 offen offset:4
	ds_read_b64 v[107:108], v103
	v_add_nc_u32_e32 v102, 1, v102
	v_add_nc_u32_e32 v103, 8, v103
	v_add_nc_u32_e32 v104, 8, v104
	v_cmp_lt_u32_e32 vcc_lo, 15, v102
	s_or_b32 s5, vcc_lo, s5
	s_waitcnt vmcnt(0) lgkmcnt(0)
	v_fma_f64 v[97:98], v[105:106], v[107:108], v[97:98]
	s_andn2_b32 exec_lo, exec_lo, s5
	s_cbranch_execnz .LBB47_77
; %bb.78:
	s_or_b32 exec_lo, exec_lo, s5
	v_mov_b32_e32 v102, 0
	ds_read_b64 v[102:103], v102 offset:136
	s_waitcnt lgkmcnt(0)
	v_mul_f64 v[97:98], v[97:98], v[102:103]
	buffer_store_dword v98, off, s[0:3], 0 offset:140
	buffer_store_dword v97, off, s[0:3], 0 offset:136
.LBB47_79:
	s_or_b32 exec_lo, exec_lo, s4
	s_waitcnt_vscnt null, 0x0
	s_barrier
	buffer_gl0_inv
	s_clause 0x1
	buffer_load_dword v97, off, s[0:3], 0 offset:144
	buffer_load_dword v98, off, s[0:3], 0 offset:148
	s_mov_b32 s4, exec_lo
	s_waitcnt vmcnt(0)
	ds_write_b64 v100, v[97:98]
	s_waitcnt lgkmcnt(0)
	s_barrier
	buffer_gl0_inv
	v_cmpx_gt_u32_e32 18, v0
	s_cbranch_execz .LBB47_83
; %bb.80:
	v_mov_b32_e32 v97, 0
	v_add_nc_u32_e32 v102, -1, v0
	v_add_nc_u32_e32 v103, 0x180, v99
	v_mov_b32_e32 v98, 0
	v_mov_b32_e32 v104, v99
	s_mov_b32 s5, 0
.LBB47_81:                              ; =>This Inner Loop Header: Depth=1
	s_clause 0x1
	buffer_load_dword v105, v104, s[0:3], 0 offen
	buffer_load_dword v106, v104, s[0:3], 0 offen offset:4
	ds_read_b64 v[107:108], v103
	v_add_nc_u32_e32 v102, 1, v102
	v_add_nc_u32_e32 v103, 8, v103
	v_add_nc_u32_e32 v104, 8, v104
	v_cmp_lt_u32_e32 vcc_lo, 16, v102
	s_or_b32 s5, vcc_lo, s5
	s_waitcnt vmcnt(0) lgkmcnt(0)
	v_fma_f64 v[97:98], v[105:106], v[107:108], v[97:98]
	s_andn2_b32 exec_lo, exec_lo, s5
	s_cbranch_execnz .LBB47_81
; %bb.82:
	s_or_b32 exec_lo, exec_lo, s5
	v_mov_b32_e32 v102, 0
	ds_read_b64 v[102:103], v102 offset:144
	s_waitcnt lgkmcnt(0)
	v_mul_f64 v[97:98], v[97:98], v[102:103]
	buffer_store_dword v98, off, s[0:3], 0 offset:148
	buffer_store_dword v97, off, s[0:3], 0 offset:144
.LBB47_83:
	s_or_b32 exec_lo, exec_lo, s4
	s_waitcnt_vscnt null, 0x0
	s_barrier
	buffer_gl0_inv
	s_clause 0x1
	buffer_load_dword v97, off, s[0:3], 0 offset:152
	buffer_load_dword v98, off, s[0:3], 0 offset:156
	s_mov_b32 s4, exec_lo
	s_waitcnt vmcnt(0)
	ds_write_b64 v100, v[97:98]
	s_waitcnt lgkmcnt(0)
	s_barrier
	buffer_gl0_inv
	v_cmpx_gt_u32_e32 19, v0
	s_cbranch_execz .LBB47_87
; %bb.84:
	v_mov_b32_e32 v97, 0
	v_add_nc_u32_e32 v102, -1, v0
	v_add_nc_u32_e32 v103, 0x180, v99
	v_mov_b32_e32 v98, 0
	v_mov_b32_e32 v104, v99
	s_mov_b32 s5, 0
.LBB47_85:                              ; =>This Inner Loop Header: Depth=1
	s_clause 0x1
	buffer_load_dword v105, v104, s[0:3], 0 offen
	buffer_load_dword v106, v104, s[0:3], 0 offen offset:4
	ds_read_b64 v[107:108], v103
	v_add_nc_u32_e32 v102, 1, v102
	v_add_nc_u32_e32 v103, 8, v103
	v_add_nc_u32_e32 v104, 8, v104
	v_cmp_lt_u32_e32 vcc_lo, 17, v102
	s_or_b32 s5, vcc_lo, s5
	s_waitcnt vmcnt(0) lgkmcnt(0)
	v_fma_f64 v[97:98], v[105:106], v[107:108], v[97:98]
	s_andn2_b32 exec_lo, exec_lo, s5
	s_cbranch_execnz .LBB47_85
; %bb.86:
	s_or_b32 exec_lo, exec_lo, s5
	v_mov_b32_e32 v102, 0
	ds_read_b64 v[102:103], v102 offset:152
	s_waitcnt lgkmcnt(0)
	v_mul_f64 v[97:98], v[97:98], v[102:103]
	buffer_store_dword v98, off, s[0:3], 0 offset:156
	buffer_store_dword v97, off, s[0:3], 0 offset:152
.LBB47_87:
	s_or_b32 exec_lo, exec_lo, s4
	s_waitcnt_vscnt null, 0x0
	s_barrier
	buffer_gl0_inv
	s_clause 0x1
	buffer_load_dword v97, off, s[0:3], 0 offset:160
	buffer_load_dword v98, off, s[0:3], 0 offset:164
	s_mov_b32 s4, exec_lo
	s_waitcnt vmcnt(0)
	ds_write_b64 v100, v[97:98]
	s_waitcnt lgkmcnt(0)
	s_barrier
	buffer_gl0_inv
	v_cmpx_gt_u32_e32 20, v0
	s_cbranch_execz .LBB47_91
; %bb.88:
	v_mov_b32_e32 v97, 0
	v_add_nc_u32_e32 v102, -1, v0
	v_add_nc_u32_e32 v103, 0x180, v99
	v_mov_b32_e32 v98, 0
	v_mov_b32_e32 v104, v99
	s_mov_b32 s5, 0
.LBB47_89:                              ; =>This Inner Loop Header: Depth=1
	s_clause 0x1
	buffer_load_dword v105, v104, s[0:3], 0 offen
	buffer_load_dword v106, v104, s[0:3], 0 offen offset:4
	ds_read_b64 v[107:108], v103
	v_add_nc_u32_e32 v102, 1, v102
	v_add_nc_u32_e32 v103, 8, v103
	v_add_nc_u32_e32 v104, 8, v104
	v_cmp_lt_u32_e32 vcc_lo, 18, v102
	s_or_b32 s5, vcc_lo, s5
	s_waitcnt vmcnt(0) lgkmcnt(0)
	v_fma_f64 v[97:98], v[105:106], v[107:108], v[97:98]
	s_andn2_b32 exec_lo, exec_lo, s5
	s_cbranch_execnz .LBB47_89
; %bb.90:
	s_or_b32 exec_lo, exec_lo, s5
	v_mov_b32_e32 v102, 0
	ds_read_b64 v[102:103], v102 offset:160
	s_waitcnt lgkmcnt(0)
	v_mul_f64 v[97:98], v[97:98], v[102:103]
	buffer_store_dword v98, off, s[0:3], 0 offset:164
	buffer_store_dword v97, off, s[0:3], 0 offset:160
.LBB47_91:
	s_or_b32 exec_lo, exec_lo, s4
	s_waitcnt_vscnt null, 0x0
	s_barrier
	buffer_gl0_inv
	s_clause 0x1
	buffer_load_dword v97, off, s[0:3], 0 offset:168
	buffer_load_dword v98, off, s[0:3], 0 offset:172
	s_mov_b32 s4, exec_lo
	s_waitcnt vmcnt(0)
	ds_write_b64 v100, v[97:98]
	s_waitcnt lgkmcnt(0)
	s_barrier
	buffer_gl0_inv
	v_cmpx_gt_u32_e32 21, v0
	s_cbranch_execz .LBB47_95
; %bb.92:
	v_mov_b32_e32 v97, 0
	v_add_nc_u32_e32 v102, -1, v0
	v_add_nc_u32_e32 v103, 0x180, v99
	v_mov_b32_e32 v98, 0
	v_mov_b32_e32 v104, v99
	s_mov_b32 s5, 0
.LBB47_93:                              ; =>This Inner Loop Header: Depth=1
	s_clause 0x1
	buffer_load_dword v105, v104, s[0:3], 0 offen
	buffer_load_dword v106, v104, s[0:3], 0 offen offset:4
	ds_read_b64 v[107:108], v103
	v_add_nc_u32_e32 v102, 1, v102
	v_add_nc_u32_e32 v103, 8, v103
	v_add_nc_u32_e32 v104, 8, v104
	v_cmp_lt_u32_e32 vcc_lo, 19, v102
	s_or_b32 s5, vcc_lo, s5
	s_waitcnt vmcnt(0) lgkmcnt(0)
	v_fma_f64 v[97:98], v[105:106], v[107:108], v[97:98]
	s_andn2_b32 exec_lo, exec_lo, s5
	s_cbranch_execnz .LBB47_93
; %bb.94:
	s_or_b32 exec_lo, exec_lo, s5
	v_mov_b32_e32 v102, 0
	ds_read_b64 v[102:103], v102 offset:168
	s_waitcnt lgkmcnt(0)
	v_mul_f64 v[97:98], v[97:98], v[102:103]
	buffer_store_dword v98, off, s[0:3], 0 offset:172
	buffer_store_dword v97, off, s[0:3], 0 offset:168
.LBB47_95:
	s_or_b32 exec_lo, exec_lo, s4
	s_waitcnt_vscnt null, 0x0
	s_barrier
	buffer_gl0_inv
	s_clause 0x1
	buffer_load_dword v97, off, s[0:3], 0 offset:176
	buffer_load_dword v98, off, s[0:3], 0 offset:180
	s_mov_b32 s4, exec_lo
	s_waitcnt vmcnt(0)
	ds_write_b64 v100, v[97:98]
	s_waitcnt lgkmcnt(0)
	s_barrier
	buffer_gl0_inv
	v_cmpx_gt_u32_e32 22, v0
	s_cbranch_execz .LBB47_99
; %bb.96:
	v_mov_b32_e32 v97, 0
	v_add_nc_u32_e32 v102, -1, v0
	v_add_nc_u32_e32 v103, 0x180, v99
	v_mov_b32_e32 v98, 0
	v_mov_b32_e32 v104, v99
	s_mov_b32 s5, 0
.LBB47_97:                              ; =>This Inner Loop Header: Depth=1
	s_clause 0x1
	buffer_load_dword v105, v104, s[0:3], 0 offen
	buffer_load_dword v106, v104, s[0:3], 0 offen offset:4
	ds_read_b64 v[107:108], v103
	v_add_nc_u32_e32 v102, 1, v102
	v_add_nc_u32_e32 v103, 8, v103
	v_add_nc_u32_e32 v104, 8, v104
	v_cmp_lt_u32_e32 vcc_lo, 20, v102
	s_or_b32 s5, vcc_lo, s5
	s_waitcnt vmcnt(0) lgkmcnt(0)
	v_fma_f64 v[97:98], v[105:106], v[107:108], v[97:98]
	s_andn2_b32 exec_lo, exec_lo, s5
	s_cbranch_execnz .LBB47_97
; %bb.98:
	s_or_b32 exec_lo, exec_lo, s5
	v_mov_b32_e32 v102, 0
	ds_read_b64 v[102:103], v102 offset:176
	s_waitcnt lgkmcnt(0)
	v_mul_f64 v[97:98], v[97:98], v[102:103]
	buffer_store_dword v98, off, s[0:3], 0 offset:180
	buffer_store_dword v97, off, s[0:3], 0 offset:176
.LBB47_99:
	s_or_b32 exec_lo, exec_lo, s4
	s_waitcnt_vscnt null, 0x0
	s_barrier
	buffer_gl0_inv
	s_clause 0x1
	buffer_load_dword v97, off, s[0:3], 0 offset:184
	buffer_load_dword v98, off, s[0:3], 0 offset:188
	s_mov_b32 s4, exec_lo
	s_waitcnt vmcnt(0)
	ds_write_b64 v100, v[97:98]
	s_waitcnt lgkmcnt(0)
	s_barrier
	buffer_gl0_inv
	v_cmpx_gt_u32_e32 23, v0
	s_cbranch_execz .LBB47_103
; %bb.100:
	v_mov_b32_e32 v97, 0
	v_add_nc_u32_e32 v102, -1, v0
	v_add_nc_u32_e32 v103, 0x180, v99
	v_mov_b32_e32 v98, 0
	v_mov_b32_e32 v104, v99
	s_mov_b32 s5, 0
.LBB47_101:                             ; =>This Inner Loop Header: Depth=1
	s_clause 0x1
	buffer_load_dword v105, v104, s[0:3], 0 offen
	buffer_load_dword v106, v104, s[0:3], 0 offen offset:4
	ds_read_b64 v[107:108], v103
	v_add_nc_u32_e32 v102, 1, v102
	v_add_nc_u32_e32 v103, 8, v103
	v_add_nc_u32_e32 v104, 8, v104
	v_cmp_lt_u32_e32 vcc_lo, 21, v102
	s_or_b32 s5, vcc_lo, s5
	s_waitcnt vmcnt(0) lgkmcnt(0)
	v_fma_f64 v[97:98], v[105:106], v[107:108], v[97:98]
	s_andn2_b32 exec_lo, exec_lo, s5
	s_cbranch_execnz .LBB47_101
; %bb.102:
	s_or_b32 exec_lo, exec_lo, s5
	v_mov_b32_e32 v102, 0
	ds_read_b64 v[102:103], v102 offset:184
	s_waitcnt lgkmcnt(0)
	v_mul_f64 v[97:98], v[97:98], v[102:103]
	buffer_store_dword v98, off, s[0:3], 0 offset:188
	buffer_store_dword v97, off, s[0:3], 0 offset:184
.LBB47_103:
	s_or_b32 exec_lo, exec_lo, s4
	s_waitcnt_vscnt null, 0x0
	s_barrier
	buffer_gl0_inv
	s_clause 0x1
	buffer_load_dword v97, off, s[0:3], 0 offset:192
	buffer_load_dword v98, off, s[0:3], 0 offset:196
	s_mov_b32 s4, exec_lo
	s_waitcnt vmcnt(0)
	ds_write_b64 v100, v[97:98]
	s_waitcnt lgkmcnt(0)
	s_barrier
	buffer_gl0_inv
	v_cmpx_gt_u32_e32 24, v0
	s_cbranch_execz .LBB47_107
; %bb.104:
	v_mov_b32_e32 v97, 0
	v_add_nc_u32_e32 v102, -1, v0
	v_add_nc_u32_e32 v103, 0x180, v99
	v_mov_b32_e32 v98, 0
	v_mov_b32_e32 v104, v99
	s_mov_b32 s5, 0
.LBB47_105:                             ; =>This Inner Loop Header: Depth=1
	s_clause 0x1
	buffer_load_dword v105, v104, s[0:3], 0 offen
	buffer_load_dword v106, v104, s[0:3], 0 offen offset:4
	ds_read_b64 v[107:108], v103
	v_add_nc_u32_e32 v102, 1, v102
	v_add_nc_u32_e32 v103, 8, v103
	v_add_nc_u32_e32 v104, 8, v104
	v_cmp_lt_u32_e32 vcc_lo, 22, v102
	s_or_b32 s5, vcc_lo, s5
	s_waitcnt vmcnt(0) lgkmcnt(0)
	v_fma_f64 v[97:98], v[105:106], v[107:108], v[97:98]
	s_andn2_b32 exec_lo, exec_lo, s5
	s_cbranch_execnz .LBB47_105
; %bb.106:
	s_or_b32 exec_lo, exec_lo, s5
	v_mov_b32_e32 v102, 0
	ds_read_b64 v[102:103], v102 offset:192
	s_waitcnt lgkmcnt(0)
	v_mul_f64 v[97:98], v[97:98], v[102:103]
	buffer_store_dword v98, off, s[0:3], 0 offset:196
	buffer_store_dword v97, off, s[0:3], 0 offset:192
.LBB47_107:
	s_or_b32 exec_lo, exec_lo, s4
	s_waitcnt_vscnt null, 0x0
	s_barrier
	buffer_gl0_inv
	s_clause 0x1
	buffer_load_dword v97, off, s[0:3], 0 offset:200
	buffer_load_dword v98, off, s[0:3], 0 offset:204
	s_mov_b32 s4, exec_lo
	s_waitcnt vmcnt(0)
	ds_write_b64 v100, v[97:98]
	s_waitcnt lgkmcnt(0)
	s_barrier
	buffer_gl0_inv
	v_cmpx_gt_u32_e32 25, v0
	s_cbranch_execz .LBB47_111
; %bb.108:
	v_mov_b32_e32 v97, 0
	v_add_nc_u32_e32 v102, -1, v0
	v_add_nc_u32_e32 v103, 0x180, v99
	v_mov_b32_e32 v98, 0
	v_mov_b32_e32 v104, v99
	s_mov_b32 s5, 0
.LBB47_109:                             ; =>This Inner Loop Header: Depth=1
	s_clause 0x1
	buffer_load_dword v105, v104, s[0:3], 0 offen
	buffer_load_dword v106, v104, s[0:3], 0 offen offset:4
	ds_read_b64 v[107:108], v103
	v_add_nc_u32_e32 v102, 1, v102
	v_add_nc_u32_e32 v103, 8, v103
	v_add_nc_u32_e32 v104, 8, v104
	v_cmp_lt_u32_e32 vcc_lo, 23, v102
	s_or_b32 s5, vcc_lo, s5
	s_waitcnt vmcnt(0) lgkmcnt(0)
	v_fma_f64 v[97:98], v[105:106], v[107:108], v[97:98]
	s_andn2_b32 exec_lo, exec_lo, s5
	s_cbranch_execnz .LBB47_109
; %bb.110:
	s_or_b32 exec_lo, exec_lo, s5
	v_mov_b32_e32 v102, 0
	ds_read_b64 v[102:103], v102 offset:200
	s_waitcnt lgkmcnt(0)
	v_mul_f64 v[97:98], v[97:98], v[102:103]
	buffer_store_dword v98, off, s[0:3], 0 offset:204
	buffer_store_dword v97, off, s[0:3], 0 offset:200
.LBB47_111:
	s_or_b32 exec_lo, exec_lo, s4
	s_waitcnt_vscnt null, 0x0
	s_barrier
	buffer_gl0_inv
	s_clause 0x1
	buffer_load_dword v97, off, s[0:3], 0 offset:208
	buffer_load_dword v98, off, s[0:3], 0 offset:212
	s_mov_b32 s4, exec_lo
	s_waitcnt vmcnt(0)
	ds_write_b64 v100, v[97:98]
	s_waitcnt lgkmcnt(0)
	s_barrier
	buffer_gl0_inv
	v_cmpx_gt_u32_e32 26, v0
	s_cbranch_execz .LBB47_115
; %bb.112:
	v_mov_b32_e32 v97, 0
	v_add_nc_u32_e32 v102, -1, v0
	v_add_nc_u32_e32 v103, 0x180, v99
	v_mov_b32_e32 v98, 0
	v_mov_b32_e32 v104, v99
	s_mov_b32 s5, 0
.LBB47_113:                             ; =>This Inner Loop Header: Depth=1
	s_clause 0x1
	buffer_load_dword v105, v104, s[0:3], 0 offen
	buffer_load_dword v106, v104, s[0:3], 0 offen offset:4
	ds_read_b64 v[107:108], v103
	v_add_nc_u32_e32 v102, 1, v102
	v_add_nc_u32_e32 v103, 8, v103
	v_add_nc_u32_e32 v104, 8, v104
	v_cmp_lt_u32_e32 vcc_lo, 24, v102
	s_or_b32 s5, vcc_lo, s5
	s_waitcnt vmcnt(0) lgkmcnt(0)
	v_fma_f64 v[97:98], v[105:106], v[107:108], v[97:98]
	s_andn2_b32 exec_lo, exec_lo, s5
	s_cbranch_execnz .LBB47_113
; %bb.114:
	s_or_b32 exec_lo, exec_lo, s5
	v_mov_b32_e32 v102, 0
	ds_read_b64 v[102:103], v102 offset:208
	s_waitcnt lgkmcnt(0)
	v_mul_f64 v[97:98], v[97:98], v[102:103]
	buffer_store_dword v98, off, s[0:3], 0 offset:212
	buffer_store_dword v97, off, s[0:3], 0 offset:208
.LBB47_115:
	s_or_b32 exec_lo, exec_lo, s4
	s_waitcnt_vscnt null, 0x0
	s_barrier
	buffer_gl0_inv
	s_clause 0x1
	buffer_load_dword v97, off, s[0:3], 0 offset:216
	buffer_load_dword v98, off, s[0:3], 0 offset:220
	s_mov_b32 s4, exec_lo
	s_waitcnt vmcnt(0)
	ds_write_b64 v100, v[97:98]
	s_waitcnt lgkmcnt(0)
	s_barrier
	buffer_gl0_inv
	v_cmpx_gt_u32_e32 27, v0
	s_cbranch_execz .LBB47_119
; %bb.116:
	v_mov_b32_e32 v97, 0
	v_add_nc_u32_e32 v102, -1, v0
	v_add_nc_u32_e32 v103, 0x180, v99
	v_mov_b32_e32 v98, 0
	v_mov_b32_e32 v104, v99
	s_mov_b32 s5, 0
.LBB47_117:                             ; =>This Inner Loop Header: Depth=1
	s_clause 0x1
	buffer_load_dword v105, v104, s[0:3], 0 offen
	buffer_load_dword v106, v104, s[0:3], 0 offen offset:4
	ds_read_b64 v[107:108], v103
	v_add_nc_u32_e32 v102, 1, v102
	v_add_nc_u32_e32 v103, 8, v103
	v_add_nc_u32_e32 v104, 8, v104
	v_cmp_lt_u32_e32 vcc_lo, 25, v102
	s_or_b32 s5, vcc_lo, s5
	s_waitcnt vmcnt(0) lgkmcnt(0)
	v_fma_f64 v[97:98], v[105:106], v[107:108], v[97:98]
	s_andn2_b32 exec_lo, exec_lo, s5
	s_cbranch_execnz .LBB47_117
; %bb.118:
	s_or_b32 exec_lo, exec_lo, s5
	v_mov_b32_e32 v102, 0
	ds_read_b64 v[102:103], v102 offset:216
	s_waitcnt lgkmcnt(0)
	v_mul_f64 v[97:98], v[97:98], v[102:103]
	buffer_store_dword v98, off, s[0:3], 0 offset:220
	buffer_store_dword v97, off, s[0:3], 0 offset:216
.LBB47_119:
	s_or_b32 exec_lo, exec_lo, s4
	s_waitcnt_vscnt null, 0x0
	s_barrier
	buffer_gl0_inv
	s_clause 0x1
	buffer_load_dword v97, off, s[0:3], 0 offset:224
	buffer_load_dword v98, off, s[0:3], 0 offset:228
	s_mov_b32 s4, exec_lo
	s_waitcnt vmcnt(0)
	ds_write_b64 v100, v[97:98]
	s_waitcnt lgkmcnt(0)
	s_barrier
	buffer_gl0_inv
	v_cmpx_gt_u32_e32 28, v0
	s_cbranch_execz .LBB47_123
; %bb.120:
	v_mov_b32_e32 v97, 0
	v_add_nc_u32_e32 v102, -1, v0
	v_add_nc_u32_e32 v103, 0x180, v99
	v_mov_b32_e32 v98, 0
	v_mov_b32_e32 v104, v99
	s_mov_b32 s5, 0
.LBB47_121:                             ; =>This Inner Loop Header: Depth=1
	s_clause 0x1
	buffer_load_dword v105, v104, s[0:3], 0 offen
	buffer_load_dword v106, v104, s[0:3], 0 offen offset:4
	ds_read_b64 v[107:108], v103
	v_add_nc_u32_e32 v102, 1, v102
	v_add_nc_u32_e32 v103, 8, v103
	v_add_nc_u32_e32 v104, 8, v104
	v_cmp_lt_u32_e32 vcc_lo, 26, v102
	s_or_b32 s5, vcc_lo, s5
	s_waitcnt vmcnt(0) lgkmcnt(0)
	v_fma_f64 v[97:98], v[105:106], v[107:108], v[97:98]
	s_andn2_b32 exec_lo, exec_lo, s5
	s_cbranch_execnz .LBB47_121
; %bb.122:
	s_or_b32 exec_lo, exec_lo, s5
	v_mov_b32_e32 v102, 0
	ds_read_b64 v[102:103], v102 offset:224
	s_waitcnt lgkmcnt(0)
	v_mul_f64 v[97:98], v[97:98], v[102:103]
	buffer_store_dword v98, off, s[0:3], 0 offset:228
	buffer_store_dword v97, off, s[0:3], 0 offset:224
.LBB47_123:
	s_or_b32 exec_lo, exec_lo, s4
	s_waitcnt_vscnt null, 0x0
	s_barrier
	buffer_gl0_inv
	s_clause 0x1
	buffer_load_dword v97, off, s[0:3], 0 offset:232
	buffer_load_dword v98, off, s[0:3], 0 offset:236
	s_mov_b32 s4, exec_lo
	s_waitcnt vmcnt(0)
	ds_write_b64 v100, v[97:98]
	s_waitcnt lgkmcnt(0)
	s_barrier
	buffer_gl0_inv
	v_cmpx_gt_u32_e32 29, v0
	s_cbranch_execz .LBB47_127
; %bb.124:
	v_mov_b32_e32 v97, 0
	v_add_nc_u32_e32 v102, -1, v0
	v_add_nc_u32_e32 v103, 0x180, v99
	v_mov_b32_e32 v98, 0
	v_mov_b32_e32 v104, v99
	s_mov_b32 s5, 0
.LBB47_125:                             ; =>This Inner Loop Header: Depth=1
	s_clause 0x1
	buffer_load_dword v105, v104, s[0:3], 0 offen
	buffer_load_dword v106, v104, s[0:3], 0 offen offset:4
	ds_read_b64 v[107:108], v103
	v_add_nc_u32_e32 v102, 1, v102
	v_add_nc_u32_e32 v103, 8, v103
	v_add_nc_u32_e32 v104, 8, v104
	v_cmp_lt_u32_e32 vcc_lo, 27, v102
	s_or_b32 s5, vcc_lo, s5
	s_waitcnt vmcnt(0) lgkmcnt(0)
	v_fma_f64 v[97:98], v[105:106], v[107:108], v[97:98]
	s_andn2_b32 exec_lo, exec_lo, s5
	s_cbranch_execnz .LBB47_125
; %bb.126:
	s_or_b32 exec_lo, exec_lo, s5
	v_mov_b32_e32 v102, 0
	ds_read_b64 v[102:103], v102 offset:232
	s_waitcnt lgkmcnt(0)
	v_mul_f64 v[97:98], v[97:98], v[102:103]
	buffer_store_dword v98, off, s[0:3], 0 offset:236
	buffer_store_dword v97, off, s[0:3], 0 offset:232
.LBB47_127:
	s_or_b32 exec_lo, exec_lo, s4
	s_waitcnt_vscnt null, 0x0
	s_barrier
	buffer_gl0_inv
	s_clause 0x1
	buffer_load_dword v97, off, s[0:3], 0 offset:240
	buffer_load_dword v98, off, s[0:3], 0 offset:244
	s_mov_b32 s4, exec_lo
	s_waitcnt vmcnt(0)
	ds_write_b64 v100, v[97:98]
	s_waitcnt lgkmcnt(0)
	s_barrier
	buffer_gl0_inv
	v_cmpx_gt_u32_e32 30, v0
	s_cbranch_execz .LBB47_131
; %bb.128:
	v_mov_b32_e32 v97, 0
	v_add_nc_u32_e32 v102, -1, v0
	v_add_nc_u32_e32 v103, 0x180, v99
	v_mov_b32_e32 v98, 0
	v_mov_b32_e32 v104, v99
	s_mov_b32 s5, 0
.LBB47_129:                             ; =>This Inner Loop Header: Depth=1
	s_clause 0x1
	buffer_load_dword v105, v104, s[0:3], 0 offen
	buffer_load_dword v106, v104, s[0:3], 0 offen offset:4
	ds_read_b64 v[107:108], v103
	v_add_nc_u32_e32 v102, 1, v102
	v_add_nc_u32_e32 v103, 8, v103
	v_add_nc_u32_e32 v104, 8, v104
	v_cmp_lt_u32_e32 vcc_lo, 28, v102
	s_or_b32 s5, vcc_lo, s5
	s_waitcnt vmcnt(0) lgkmcnt(0)
	v_fma_f64 v[97:98], v[105:106], v[107:108], v[97:98]
	s_andn2_b32 exec_lo, exec_lo, s5
	s_cbranch_execnz .LBB47_129
; %bb.130:
	s_or_b32 exec_lo, exec_lo, s5
	v_mov_b32_e32 v102, 0
	ds_read_b64 v[102:103], v102 offset:240
	s_waitcnt lgkmcnt(0)
	v_mul_f64 v[97:98], v[97:98], v[102:103]
	buffer_store_dword v98, off, s[0:3], 0 offset:244
	buffer_store_dword v97, off, s[0:3], 0 offset:240
.LBB47_131:
	s_or_b32 exec_lo, exec_lo, s4
	s_waitcnt_vscnt null, 0x0
	s_barrier
	buffer_gl0_inv
	s_clause 0x1
	buffer_load_dword v97, off, s[0:3], 0 offset:248
	buffer_load_dword v98, off, s[0:3], 0 offset:252
	s_mov_b32 s4, exec_lo
	s_waitcnt vmcnt(0)
	ds_write_b64 v100, v[97:98]
	s_waitcnt lgkmcnt(0)
	s_barrier
	buffer_gl0_inv
	v_cmpx_gt_u32_e32 31, v0
	s_cbranch_execz .LBB47_135
; %bb.132:
	v_mov_b32_e32 v97, 0
	v_add_nc_u32_e32 v102, -1, v0
	v_add_nc_u32_e32 v103, 0x180, v99
	v_mov_b32_e32 v98, 0
	v_mov_b32_e32 v104, v99
	s_mov_b32 s5, 0
.LBB47_133:                             ; =>This Inner Loop Header: Depth=1
	s_clause 0x1
	buffer_load_dword v105, v104, s[0:3], 0 offen
	buffer_load_dword v106, v104, s[0:3], 0 offen offset:4
	ds_read_b64 v[107:108], v103
	v_add_nc_u32_e32 v102, 1, v102
	v_add_nc_u32_e32 v103, 8, v103
	v_add_nc_u32_e32 v104, 8, v104
	v_cmp_lt_u32_e32 vcc_lo, 29, v102
	s_or_b32 s5, vcc_lo, s5
	s_waitcnt vmcnt(0) lgkmcnt(0)
	v_fma_f64 v[97:98], v[105:106], v[107:108], v[97:98]
	s_andn2_b32 exec_lo, exec_lo, s5
	s_cbranch_execnz .LBB47_133
; %bb.134:
	s_or_b32 exec_lo, exec_lo, s5
	v_mov_b32_e32 v102, 0
	ds_read_b64 v[102:103], v102 offset:248
	s_waitcnt lgkmcnt(0)
	v_mul_f64 v[97:98], v[97:98], v[102:103]
	buffer_store_dword v98, off, s[0:3], 0 offset:252
	buffer_store_dword v97, off, s[0:3], 0 offset:248
.LBB47_135:
	s_or_b32 exec_lo, exec_lo, s4
	s_waitcnt_vscnt null, 0x0
	s_barrier
	buffer_gl0_inv
	s_clause 0x1
	buffer_load_dword v97, off, s[0:3], 0 offset:256
	buffer_load_dword v98, off, s[0:3], 0 offset:260
	s_mov_b32 s4, exec_lo
	s_waitcnt vmcnt(0)
	ds_write_b64 v100, v[97:98]
	s_waitcnt lgkmcnt(0)
	s_barrier
	buffer_gl0_inv
	v_cmpx_gt_u32_e32 32, v0
	s_cbranch_execz .LBB47_139
; %bb.136:
	v_mov_b32_e32 v97, 0
	v_add_nc_u32_e32 v102, -1, v0
	v_add_nc_u32_e32 v103, 0x180, v99
	v_mov_b32_e32 v98, 0
	v_mov_b32_e32 v104, v99
	s_mov_b32 s5, 0
.LBB47_137:                             ; =>This Inner Loop Header: Depth=1
	s_clause 0x1
	buffer_load_dword v105, v104, s[0:3], 0 offen
	buffer_load_dword v106, v104, s[0:3], 0 offen offset:4
	ds_read_b64 v[107:108], v103
	v_add_nc_u32_e32 v102, 1, v102
	v_add_nc_u32_e32 v103, 8, v103
	v_add_nc_u32_e32 v104, 8, v104
	v_cmp_lt_u32_e32 vcc_lo, 30, v102
	s_or_b32 s5, vcc_lo, s5
	s_waitcnt vmcnt(0) lgkmcnt(0)
	v_fma_f64 v[97:98], v[105:106], v[107:108], v[97:98]
	s_andn2_b32 exec_lo, exec_lo, s5
	s_cbranch_execnz .LBB47_137
; %bb.138:
	s_or_b32 exec_lo, exec_lo, s5
	v_mov_b32_e32 v102, 0
	ds_read_b64 v[102:103], v102 offset:256
	s_waitcnt lgkmcnt(0)
	v_mul_f64 v[97:98], v[97:98], v[102:103]
	buffer_store_dword v98, off, s[0:3], 0 offset:260
	buffer_store_dword v97, off, s[0:3], 0 offset:256
.LBB47_139:
	s_or_b32 exec_lo, exec_lo, s4
	s_waitcnt_vscnt null, 0x0
	s_barrier
	buffer_gl0_inv
	s_clause 0x1
	buffer_load_dword v97, off, s[0:3], 0 offset:264
	buffer_load_dword v98, off, s[0:3], 0 offset:268
	s_mov_b32 s4, exec_lo
	s_waitcnt vmcnt(0)
	ds_write_b64 v100, v[97:98]
	s_waitcnt lgkmcnt(0)
	s_barrier
	buffer_gl0_inv
	v_cmpx_gt_u32_e32 33, v0
	s_cbranch_execz .LBB47_143
; %bb.140:
	v_mov_b32_e32 v97, 0
	v_add_nc_u32_e32 v102, -1, v0
	v_add_nc_u32_e32 v103, 0x180, v99
	v_mov_b32_e32 v98, 0
	v_mov_b32_e32 v104, v99
	s_mov_b32 s5, 0
.LBB47_141:                             ; =>This Inner Loop Header: Depth=1
	s_clause 0x1
	buffer_load_dword v105, v104, s[0:3], 0 offen
	buffer_load_dword v106, v104, s[0:3], 0 offen offset:4
	ds_read_b64 v[107:108], v103
	v_add_nc_u32_e32 v102, 1, v102
	v_add_nc_u32_e32 v103, 8, v103
	v_add_nc_u32_e32 v104, 8, v104
	v_cmp_lt_u32_e32 vcc_lo, 31, v102
	s_or_b32 s5, vcc_lo, s5
	s_waitcnt vmcnt(0) lgkmcnt(0)
	v_fma_f64 v[97:98], v[105:106], v[107:108], v[97:98]
	s_andn2_b32 exec_lo, exec_lo, s5
	s_cbranch_execnz .LBB47_141
; %bb.142:
	s_or_b32 exec_lo, exec_lo, s5
	v_mov_b32_e32 v102, 0
	ds_read_b64 v[102:103], v102 offset:264
	s_waitcnt lgkmcnt(0)
	v_mul_f64 v[97:98], v[97:98], v[102:103]
	buffer_store_dword v98, off, s[0:3], 0 offset:268
	buffer_store_dword v97, off, s[0:3], 0 offset:264
.LBB47_143:
	s_or_b32 exec_lo, exec_lo, s4
	s_waitcnt_vscnt null, 0x0
	s_barrier
	buffer_gl0_inv
	s_clause 0x1
	buffer_load_dword v97, off, s[0:3], 0 offset:272
	buffer_load_dword v98, off, s[0:3], 0 offset:276
	s_mov_b32 s4, exec_lo
	s_waitcnt vmcnt(0)
	ds_write_b64 v100, v[97:98]
	s_waitcnt lgkmcnt(0)
	s_barrier
	buffer_gl0_inv
	v_cmpx_gt_u32_e32 34, v0
	s_cbranch_execz .LBB47_147
; %bb.144:
	v_mov_b32_e32 v97, 0
	v_add_nc_u32_e32 v102, -1, v0
	v_add_nc_u32_e32 v103, 0x180, v99
	v_mov_b32_e32 v98, 0
	v_mov_b32_e32 v104, v99
	s_mov_b32 s5, 0
.LBB47_145:                             ; =>This Inner Loop Header: Depth=1
	s_clause 0x1
	buffer_load_dword v105, v104, s[0:3], 0 offen
	buffer_load_dword v106, v104, s[0:3], 0 offen offset:4
	ds_read_b64 v[107:108], v103
	v_add_nc_u32_e32 v102, 1, v102
	v_add_nc_u32_e32 v103, 8, v103
	v_add_nc_u32_e32 v104, 8, v104
	v_cmp_lt_u32_e32 vcc_lo, 32, v102
	s_or_b32 s5, vcc_lo, s5
	s_waitcnt vmcnt(0) lgkmcnt(0)
	v_fma_f64 v[97:98], v[105:106], v[107:108], v[97:98]
	s_andn2_b32 exec_lo, exec_lo, s5
	s_cbranch_execnz .LBB47_145
; %bb.146:
	s_or_b32 exec_lo, exec_lo, s5
	v_mov_b32_e32 v102, 0
	ds_read_b64 v[102:103], v102 offset:272
	s_waitcnt lgkmcnt(0)
	v_mul_f64 v[97:98], v[97:98], v[102:103]
	buffer_store_dword v98, off, s[0:3], 0 offset:276
	buffer_store_dword v97, off, s[0:3], 0 offset:272
.LBB47_147:
	s_or_b32 exec_lo, exec_lo, s4
	s_waitcnt_vscnt null, 0x0
	s_barrier
	buffer_gl0_inv
	s_clause 0x1
	buffer_load_dword v97, off, s[0:3], 0 offset:280
	buffer_load_dword v98, off, s[0:3], 0 offset:284
	s_mov_b32 s4, exec_lo
	s_waitcnt vmcnt(0)
	ds_write_b64 v100, v[97:98]
	s_waitcnt lgkmcnt(0)
	s_barrier
	buffer_gl0_inv
	v_cmpx_gt_u32_e32 35, v0
	s_cbranch_execz .LBB47_151
; %bb.148:
	v_mov_b32_e32 v97, 0
	v_add_nc_u32_e32 v102, -1, v0
	v_add_nc_u32_e32 v103, 0x180, v99
	v_mov_b32_e32 v98, 0
	v_mov_b32_e32 v104, v99
	s_mov_b32 s5, 0
.LBB47_149:                             ; =>This Inner Loop Header: Depth=1
	s_clause 0x1
	buffer_load_dword v105, v104, s[0:3], 0 offen
	buffer_load_dword v106, v104, s[0:3], 0 offen offset:4
	ds_read_b64 v[107:108], v103
	v_add_nc_u32_e32 v102, 1, v102
	v_add_nc_u32_e32 v103, 8, v103
	v_add_nc_u32_e32 v104, 8, v104
	v_cmp_lt_u32_e32 vcc_lo, 33, v102
	s_or_b32 s5, vcc_lo, s5
	s_waitcnt vmcnt(0) lgkmcnt(0)
	v_fma_f64 v[97:98], v[105:106], v[107:108], v[97:98]
	s_andn2_b32 exec_lo, exec_lo, s5
	s_cbranch_execnz .LBB47_149
; %bb.150:
	s_or_b32 exec_lo, exec_lo, s5
	v_mov_b32_e32 v102, 0
	ds_read_b64 v[102:103], v102 offset:280
	s_waitcnt lgkmcnt(0)
	v_mul_f64 v[97:98], v[97:98], v[102:103]
	buffer_store_dword v98, off, s[0:3], 0 offset:284
	buffer_store_dword v97, off, s[0:3], 0 offset:280
.LBB47_151:
	s_or_b32 exec_lo, exec_lo, s4
	s_waitcnt_vscnt null, 0x0
	s_barrier
	buffer_gl0_inv
	s_clause 0x1
	buffer_load_dword v97, off, s[0:3], 0 offset:288
	buffer_load_dword v98, off, s[0:3], 0 offset:292
	s_mov_b32 s4, exec_lo
	s_waitcnt vmcnt(0)
	ds_write_b64 v100, v[97:98]
	s_waitcnt lgkmcnt(0)
	s_barrier
	buffer_gl0_inv
	v_cmpx_gt_u32_e32 36, v0
	s_cbranch_execz .LBB47_155
; %bb.152:
	v_mov_b32_e32 v97, 0
	v_add_nc_u32_e32 v102, -1, v0
	v_add_nc_u32_e32 v103, 0x180, v99
	v_mov_b32_e32 v98, 0
	v_mov_b32_e32 v104, v99
	s_mov_b32 s5, 0
.LBB47_153:                             ; =>This Inner Loop Header: Depth=1
	s_clause 0x1
	buffer_load_dword v105, v104, s[0:3], 0 offen
	buffer_load_dword v106, v104, s[0:3], 0 offen offset:4
	ds_read_b64 v[107:108], v103
	v_add_nc_u32_e32 v102, 1, v102
	v_add_nc_u32_e32 v103, 8, v103
	v_add_nc_u32_e32 v104, 8, v104
	v_cmp_lt_u32_e32 vcc_lo, 34, v102
	s_or_b32 s5, vcc_lo, s5
	s_waitcnt vmcnt(0) lgkmcnt(0)
	v_fma_f64 v[97:98], v[105:106], v[107:108], v[97:98]
	s_andn2_b32 exec_lo, exec_lo, s5
	s_cbranch_execnz .LBB47_153
; %bb.154:
	s_or_b32 exec_lo, exec_lo, s5
	v_mov_b32_e32 v102, 0
	ds_read_b64 v[102:103], v102 offset:288
	s_waitcnt lgkmcnt(0)
	v_mul_f64 v[97:98], v[97:98], v[102:103]
	buffer_store_dword v98, off, s[0:3], 0 offset:292
	buffer_store_dword v97, off, s[0:3], 0 offset:288
.LBB47_155:
	s_or_b32 exec_lo, exec_lo, s4
	s_waitcnt_vscnt null, 0x0
	s_barrier
	buffer_gl0_inv
	s_clause 0x1
	buffer_load_dword v97, off, s[0:3], 0 offset:296
	buffer_load_dword v98, off, s[0:3], 0 offset:300
	s_mov_b32 s4, exec_lo
	s_waitcnt vmcnt(0)
	ds_write_b64 v100, v[97:98]
	s_waitcnt lgkmcnt(0)
	s_barrier
	buffer_gl0_inv
	v_cmpx_gt_u32_e32 37, v0
	s_cbranch_execz .LBB47_159
; %bb.156:
	v_mov_b32_e32 v97, 0
	v_add_nc_u32_e32 v102, -1, v0
	v_add_nc_u32_e32 v103, 0x180, v99
	v_mov_b32_e32 v98, 0
	v_mov_b32_e32 v104, v99
	s_mov_b32 s5, 0
.LBB47_157:                             ; =>This Inner Loop Header: Depth=1
	s_clause 0x1
	buffer_load_dword v105, v104, s[0:3], 0 offen
	buffer_load_dword v106, v104, s[0:3], 0 offen offset:4
	ds_read_b64 v[107:108], v103
	v_add_nc_u32_e32 v102, 1, v102
	v_add_nc_u32_e32 v103, 8, v103
	v_add_nc_u32_e32 v104, 8, v104
	v_cmp_lt_u32_e32 vcc_lo, 35, v102
	s_or_b32 s5, vcc_lo, s5
	s_waitcnt vmcnt(0) lgkmcnt(0)
	v_fma_f64 v[97:98], v[105:106], v[107:108], v[97:98]
	s_andn2_b32 exec_lo, exec_lo, s5
	s_cbranch_execnz .LBB47_157
; %bb.158:
	s_or_b32 exec_lo, exec_lo, s5
	v_mov_b32_e32 v102, 0
	ds_read_b64 v[102:103], v102 offset:296
	s_waitcnt lgkmcnt(0)
	v_mul_f64 v[97:98], v[97:98], v[102:103]
	buffer_store_dword v98, off, s[0:3], 0 offset:300
	buffer_store_dword v97, off, s[0:3], 0 offset:296
.LBB47_159:
	s_or_b32 exec_lo, exec_lo, s4
	s_waitcnt_vscnt null, 0x0
	s_barrier
	buffer_gl0_inv
	s_clause 0x1
	buffer_load_dword v97, off, s[0:3], 0 offset:304
	buffer_load_dword v98, off, s[0:3], 0 offset:308
	s_mov_b32 s4, exec_lo
	s_waitcnt vmcnt(0)
	ds_write_b64 v100, v[97:98]
	s_waitcnt lgkmcnt(0)
	s_barrier
	buffer_gl0_inv
	v_cmpx_gt_u32_e32 38, v0
	s_cbranch_execz .LBB47_163
; %bb.160:
	v_mov_b32_e32 v97, 0
	v_add_nc_u32_e32 v102, -1, v0
	v_add_nc_u32_e32 v103, 0x180, v99
	v_mov_b32_e32 v98, 0
	v_mov_b32_e32 v104, v99
	s_mov_b32 s5, 0
.LBB47_161:                             ; =>This Inner Loop Header: Depth=1
	s_clause 0x1
	buffer_load_dword v105, v104, s[0:3], 0 offen
	buffer_load_dword v106, v104, s[0:3], 0 offen offset:4
	ds_read_b64 v[107:108], v103
	v_add_nc_u32_e32 v102, 1, v102
	v_add_nc_u32_e32 v103, 8, v103
	v_add_nc_u32_e32 v104, 8, v104
	v_cmp_lt_u32_e32 vcc_lo, 36, v102
	s_or_b32 s5, vcc_lo, s5
	s_waitcnt vmcnt(0) lgkmcnt(0)
	v_fma_f64 v[97:98], v[105:106], v[107:108], v[97:98]
	s_andn2_b32 exec_lo, exec_lo, s5
	s_cbranch_execnz .LBB47_161
; %bb.162:
	s_or_b32 exec_lo, exec_lo, s5
	v_mov_b32_e32 v102, 0
	ds_read_b64 v[102:103], v102 offset:304
	s_waitcnt lgkmcnt(0)
	v_mul_f64 v[97:98], v[97:98], v[102:103]
	buffer_store_dword v98, off, s[0:3], 0 offset:308
	buffer_store_dword v97, off, s[0:3], 0 offset:304
.LBB47_163:
	s_or_b32 exec_lo, exec_lo, s4
	s_waitcnt_vscnt null, 0x0
	s_barrier
	buffer_gl0_inv
	s_clause 0x1
	buffer_load_dword v97, off, s[0:3], 0 offset:312
	buffer_load_dword v98, off, s[0:3], 0 offset:316
	s_mov_b32 s4, exec_lo
	s_waitcnt vmcnt(0)
	ds_write_b64 v100, v[97:98]
	s_waitcnt lgkmcnt(0)
	s_barrier
	buffer_gl0_inv
	v_cmpx_gt_u32_e32 39, v0
	s_cbranch_execz .LBB47_167
; %bb.164:
	v_mov_b32_e32 v97, 0
	v_add_nc_u32_e32 v102, -1, v0
	v_add_nc_u32_e32 v103, 0x180, v99
	v_mov_b32_e32 v98, 0
	v_mov_b32_e32 v104, v99
	s_mov_b32 s5, 0
.LBB47_165:                             ; =>This Inner Loop Header: Depth=1
	s_clause 0x1
	buffer_load_dword v105, v104, s[0:3], 0 offen
	buffer_load_dword v106, v104, s[0:3], 0 offen offset:4
	ds_read_b64 v[107:108], v103
	v_add_nc_u32_e32 v102, 1, v102
	v_add_nc_u32_e32 v103, 8, v103
	v_add_nc_u32_e32 v104, 8, v104
	v_cmp_lt_u32_e32 vcc_lo, 37, v102
	s_or_b32 s5, vcc_lo, s5
	s_waitcnt vmcnt(0) lgkmcnt(0)
	v_fma_f64 v[97:98], v[105:106], v[107:108], v[97:98]
	s_andn2_b32 exec_lo, exec_lo, s5
	s_cbranch_execnz .LBB47_165
; %bb.166:
	s_or_b32 exec_lo, exec_lo, s5
	v_mov_b32_e32 v102, 0
	ds_read_b64 v[102:103], v102 offset:312
	s_waitcnt lgkmcnt(0)
	v_mul_f64 v[97:98], v[97:98], v[102:103]
	buffer_store_dword v98, off, s[0:3], 0 offset:316
	buffer_store_dword v97, off, s[0:3], 0 offset:312
.LBB47_167:
	s_or_b32 exec_lo, exec_lo, s4
	s_waitcnt_vscnt null, 0x0
	s_barrier
	buffer_gl0_inv
	s_clause 0x1
	buffer_load_dword v97, off, s[0:3], 0 offset:320
	buffer_load_dword v98, off, s[0:3], 0 offset:324
	s_mov_b32 s4, exec_lo
	s_waitcnt vmcnt(0)
	ds_write_b64 v100, v[97:98]
	s_waitcnt lgkmcnt(0)
	s_barrier
	buffer_gl0_inv
	v_cmpx_gt_u32_e32 40, v0
	s_cbranch_execz .LBB47_171
; %bb.168:
	v_mov_b32_e32 v97, 0
	v_add_nc_u32_e32 v102, -1, v0
	v_add_nc_u32_e32 v103, 0x180, v99
	v_mov_b32_e32 v98, 0
	v_mov_b32_e32 v104, v99
	s_mov_b32 s5, 0
.LBB47_169:                             ; =>This Inner Loop Header: Depth=1
	s_clause 0x1
	buffer_load_dword v105, v104, s[0:3], 0 offen
	buffer_load_dword v106, v104, s[0:3], 0 offen offset:4
	ds_read_b64 v[107:108], v103
	v_add_nc_u32_e32 v102, 1, v102
	v_add_nc_u32_e32 v103, 8, v103
	v_add_nc_u32_e32 v104, 8, v104
	v_cmp_lt_u32_e32 vcc_lo, 38, v102
	s_or_b32 s5, vcc_lo, s5
	s_waitcnt vmcnt(0) lgkmcnt(0)
	v_fma_f64 v[97:98], v[105:106], v[107:108], v[97:98]
	s_andn2_b32 exec_lo, exec_lo, s5
	s_cbranch_execnz .LBB47_169
; %bb.170:
	s_or_b32 exec_lo, exec_lo, s5
	v_mov_b32_e32 v102, 0
	ds_read_b64 v[102:103], v102 offset:320
	s_waitcnt lgkmcnt(0)
	v_mul_f64 v[97:98], v[97:98], v[102:103]
	buffer_store_dword v98, off, s[0:3], 0 offset:324
	buffer_store_dword v97, off, s[0:3], 0 offset:320
.LBB47_171:
	s_or_b32 exec_lo, exec_lo, s4
	s_waitcnt_vscnt null, 0x0
	s_barrier
	buffer_gl0_inv
	s_clause 0x1
	buffer_load_dword v97, off, s[0:3], 0 offset:328
	buffer_load_dword v98, off, s[0:3], 0 offset:332
	s_mov_b32 s4, exec_lo
	s_waitcnt vmcnt(0)
	ds_write_b64 v100, v[97:98]
	s_waitcnt lgkmcnt(0)
	s_barrier
	buffer_gl0_inv
	v_cmpx_gt_u32_e32 41, v0
	s_cbranch_execz .LBB47_175
; %bb.172:
	v_mov_b32_e32 v97, 0
	v_add_nc_u32_e32 v102, -1, v0
	v_add_nc_u32_e32 v103, 0x180, v99
	v_mov_b32_e32 v98, 0
	v_mov_b32_e32 v104, v99
	s_mov_b32 s5, 0
.LBB47_173:                             ; =>This Inner Loop Header: Depth=1
	s_clause 0x1
	buffer_load_dword v105, v104, s[0:3], 0 offen
	buffer_load_dword v106, v104, s[0:3], 0 offen offset:4
	ds_read_b64 v[107:108], v103
	v_add_nc_u32_e32 v102, 1, v102
	v_add_nc_u32_e32 v103, 8, v103
	v_add_nc_u32_e32 v104, 8, v104
	v_cmp_lt_u32_e32 vcc_lo, 39, v102
	s_or_b32 s5, vcc_lo, s5
	s_waitcnt vmcnt(0) lgkmcnt(0)
	v_fma_f64 v[97:98], v[105:106], v[107:108], v[97:98]
	s_andn2_b32 exec_lo, exec_lo, s5
	s_cbranch_execnz .LBB47_173
; %bb.174:
	s_or_b32 exec_lo, exec_lo, s5
	v_mov_b32_e32 v102, 0
	ds_read_b64 v[102:103], v102 offset:328
	s_waitcnt lgkmcnt(0)
	v_mul_f64 v[97:98], v[97:98], v[102:103]
	buffer_store_dword v98, off, s[0:3], 0 offset:332
	buffer_store_dword v97, off, s[0:3], 0 offset:328
.LBB47_175:
	s_or_b32 exec_lo, exec_lo, s4
	s_waitcnt_vscnt null, 0x0
	s_barrier
	buffer_gl0_inv
	s_clause 0x1
	buffer_load_dword v97, off, s[0:3], 0 offset:336
	buffer_load_dword v98, off, s[0:3], 0 offset:340
	s_mov_b32 s4, exec_lo
	s_waitcnt vmcnt(0)
	ds_write_b64 v100, v[97:98]
	s_waitcnt lgkmcnt(0)
	s_barrier
	buffer_gl0_inv
	v_cmpx_gt_u32_e32 42, v0
	s_cbranch_execz .LBB47_179
; %bb.176:
	v_mov_b32_e32 v97, 0
	v_add_nc_u32_e32 v102, -1, v0
	v_add_nc_u32_e32 v103, 0x180, v99
	v_mov_b32_e32 v98, 0
	v_mov_b32_e32 v104, v99
	s_mov_b32 s5, 0
.LBB47_177:                             ; =>This Inner Loop Header: Depth=1
	s_clause 0x1
	buffer_load_dword v105, v104, s[0:3], 0 offen
	buffer_load_dword v106, v104, s[0:3], 0 offen offset:4
	ds_read_b64 v[107:108], v103
	v_add_nc_u32_e32 v102, 1, v102
	v_add_nc_u32_e32 v103, 8, v103
	v_add_nc_u32_e32 v104, 8, v104
	v_cmp_lt_u32_e32 vcc_lo, 40, v102
	s_or_b32 s5, vcc_lo, s5
	s_waitcnt vmcnt(0) lgkmcnt(0)
	v_fma_f64 v[97:98], v[105:106], v[107:108], v[97:98]
	s_andn2_b32 exec_lo, exec_lo, s5
	s_cbranch_execnz .LBB47_177
; %bb.178:
	s_or_b32 exec_lo, exec_lo, s5
	v_mov_b32_e32 v102, 0
	ds_read_b64 v[102:103], v102 offset:336
	s_waitcnt lgkmcnt(0)
	v_mul_f64 v[97:98], v[97:98], v[102:103]
	buffer_store_dword v98, off, s[0:3], 0 offset:340
	buffer_store_dword v97, off, s[0:3], 0 offset:336
.LBB47_179:
	s_or_b32 exec_lo, exec_lo, s4
	s_waitcnt_vscnt null, 0x0
	s_barrier
	buffer_gl0_inv
	s_clause 0x1
	buffer_load_dword v97, off, s[0:3], 0 offset:344
	buffer_load_dword v98, off, s[0:3], 0 offset:348
	s_mov_b32 s4, exec_lo
	s_waitcnt vmcnt(0)
	ds_write_b64 v100, v[97:98]
	s_waitcnt lgkmcnt(0)
	s_barrier
	buffer_gl0_inv
	v_cmpx_gt_u32_e32 43, v0
	s_cbranch_execz .LBB47_183
; %bb.180:
	v_mov_b32_e32 v97, 0
	v_add_nc_u32_e32 v102, -1, v0
	v_add_nc_u32_e32 v103, 0x180, v99
	v_mov_b32_e32 v98, 0
	v_mov_b32_e32 v104, v99
	s_mov_b32 s5, 0
.LBB47_181:                             ; =>This Inner Loop Header: Depth=1
	s_clause 0x1
	buffer_load_dword v105, v104, s[0:3], 0 offen
	buffer_load_dword v106, v104, s[0:3], 0 offen offset:4
	ds_read_b64 v[107:108], v103
	v_add_nc_u32_e32 v102, 1, v102
	v_add_nc_u32_e32 v103, 8, v103
	v_add_nc_u32_e32 v104, 8, v104
	v_cmp_lt_u32_e32 vcc_lo, 41, v102
	s_or_b32 s5, vcc_lo, s5
	s_waitcnt vmcnt(0) lgkmcnt(0)
	v_fma_f64 v[97:98], v[105:106], v[107:108], v[97:98]
	s_andn2_b32 exec_lo, exec_lo, s5
	s_cbranch_execnz .LBB47_181
; %bb.182:
	s_or_b32 exec_lo, exec_lo, s5
	v_mov_b32_e32 v102, 0
	ds_read_b64 v[102:103], v102 offset:344
	s_waitcnt lgkmcnt(0)
	v_mul_f64 v[97:98], v[97:98], v[102:103]
	buffer_store_dword v98, off, s[0:3], 0 offset:348
	buffer_store_dword v97, off, s[0:3], 0 offset:344
.LBB47_183:
	s_or_b32 exec_lo, exec_lo, s4
	s_waitcnt_vscnt null, 0x0
	s_barrier
	buffer_gl0_inv
	s_clause 0x1
	buffer_load_dword v97, off, s[0:3], 0 offset:352
	buffer_load_dword v98, off, s[0:3], 0 offset:356
	s_mov_b32 s4, exec_lo
	s_waitcnt vmcnt(0)
	ds_write_b64 v100, v[97:98]
	s_waitcnt lgkmcnt(0)
	s_barrier
	buffer_gl0_inv
	v_cmpx_gt_u32_e32 44, v0
	s_cbranch_execz .LBB47_187
; %bb.184:
	v_mov_b32_e32 v97, 0
	v_add_nc_u32_e32 v102, -1, v0
	v_add_nc_u32_e32 v103, 0x180, v99
	v_mov_b32_e32 v98, 0
	v_mov_b32_e32 v104, v99
	s_mov_b32 s5, 0
.LBB47_185:                             ; =>This Inner Loop Header: Depth=1
	s_clause 0x1
	buffer_load_dword v105, v104, s[0:3], 0 offen
	buffer_load_dword v106, v104, s[0:3], 0 offen offset:4
	ds_read_b64 v[107:108], v103
	v_add_nc_u32_e32 v102, 1, v102
	v_add_nc_u32_e32 v103, 8, v103
	v_add_nc_u32_e32 v104, 8, v104
	v_cmp_lt_u32_e32 vcc_lo, 42, v102
	s_or_b32 s5, vcc_lo, s5
	s_waitcnt vmcnt(0) lgkmcnt(0)
	v_fma_f64 v[97:98], v[105:106], v[107:108], v[97:98]
	s_andn2_b32 exec_lo, exec_lo, s5
	s_cbranch_execnz .LBB47_185
; %bb.186:
	s_or_b32 exec_lo, exec_lo, s5
	v_mov_b32_e32 v102, 0
	ds_read_b64 v[102:103], v102 offset:352
	s_waitcnt lgkmcnt(0)
	v_mul_f64 v[97:98], v[97:98], v[102:103]
	buffer_store_dword v98, off, s[0:3], 0 offset:356
	buffer_store_dword v97, off, s[0:3], 0 offset:352
.LBB47_187:
	s_or_b32 exec_lo, exec_lo, s4
	s_waitcnt_vscnt null, 0x0
	s_barrier
	buffer_gl0_inv
	s_clause 0x1
	buffer_load_dword v97, off, s[0:3], 0 offset:360
	buffer_load_dword v98, off, s[0:3], 0 offset:364
	s_mov_b32 s4, exec_lo
	s_waitcnt vmcnt(0)
	ds_write_b64 v100, v[97:98]
	s_waitcnt lgkmcnt(0)
	s_barrier
	buffer_gl0_inv
	v_cmpx_gt_u32_e32 45, v0
	s_cbranch_execz .LBB47_191
; %bb.188:
	v_mov_b32_e32 v97, 0
	v_add_nc_u32_e32 v102, -1, v0
	v_add_nc_u32_e32 v103, 0x180, v99
	v_mov_b32_e32 v98, 0
	v_mov_b32_e32 v104, v99
	s_mov_b32 s5, 0
.LBB47_189:                             ; =>This Inner Loop Header: Depth=1
	s_clause 0x1
	buffer_load_dword v105, v104, s[0:3], 0 offen
	buffer_load_dword v106, v104, s[0:3], 0 offen offset:4
	ds_read_b64 v[107:108], v103
	v_add_nc_u32_e32 v102, 1, v102
	v_add_nc_u32_e32 v103, 8, v103
	v_add_nc_u32_e32 v104, 8, v104
	v_cmp_lt_u32_e32 vcc_lo, 43, v102
	s_or_b32 s5, vcc_lo, s5
	s_waitcnt vmcnt(0) lgkmcnt(0)
	v_fma_f64 v[97:98], v[105:106], v[107:108], v[97:98]
	s_andn2_b32 exec_lo, exec_lo, s5
	s_cbranch_execnz .LBB47_189
; %bb.190:
	s_or_b32 exec_lo, exec_lo, s5
	v_mov_b32_e32 v102, 0
	ds_read_b64 v[102:103], v102 offset:360
	s_waitcnt lgkmcnt(0)
	v_mul_f64 v[97:98], v[97:98], v[102:103]
	buffer_store_dword v98, off, s[0:3], 0 offset:364
	buffer_store_dword v97, off, s[0:3], 0 offset:360
.LBB47_191:
	s_or_b32 exec_lo, exec_lo, s4
	s_waitcnt_vscnt null, 0x0
	s_barrier
	buffer_gl0_inv
	s_clause 0x1
	buffer_load_dword v97, off, s[0:3], 0 offset:368
	buffer_load_dword v98, off, s[0:3], 0 offset:372
	s_mov_b32 s4, exec_lo
	s_waitcnt vmcnt(0)
	ds_write_b64 v100, v[97:98]
	s_waitcnt lgkmcnt(0)
	s_barrier
	buffer_gl0_inv
	v_cmpx_gt_u32_e32 46, v0
	s_cbranch_execz .LBB47_195
; %bb.192:
	v_mov_b32_e32 v97, 0
	v_add_nc_u32_e32 v102, -1, v0
	v_add_nc_u32_e32 v103, 0x180, v99
	v_mov_b32_e32 v98, 0
	v_mov_b32_e32 v104, v99
	s_mov_b32 s5, 0
.LBB47_193:                             ; =>This Inner Loop Header: Depth=1
	s_clause 0x1
	buffer_load_dword v105, v104, s[0:3], 0 offen
	buffer_load_dword v106, v104, s[0:3], 0 offen offset:4
	ds_read_b64 v[107:108], v103
	v_add_nc_u32_e32 v102, 1, v102
	v_add_nc_u32_e32 v103, 8, v103
	v_add_nc_u32_e32 v104, 8, v104
	v_cmp_lt_u32_e32 vcc_lo, 44, v102
	s_or_b32 s5, vcc_lo, s5
	s_waitcnt vmcnt(0) lgkmcnt(0)
	v_fma_f64 v[97:98], v[105:106], v[107:108], v[97:98]
	s_andn2_b32 exec_lo, exec_lo, s5
	s_cbranch_execnz .LBB47_193
; %bb.194:
	s_or_b32 exec_lo, exec_lo, s5
	v_mov_b32_e32 v102, 0
	ds_read_b64 v[102:103], v102 offset:368
	s_waitcnt lgkmcnt(0)
	v_mul_f64 v[97:98], v[97:98], v[102:103]
	buffer_store_dword v98, off, s[0:3], 0 offset:372
	buffer_store_dword v97, off, s[0:3], 0 offset:368
.LBB47_195:
	s_or_b32 exec_lo, exec_lo, s4
	s_waitcnt_vscnt null, 0x0
	s_barrier
	buffer_gl0_inv
	s_clause 0x1
	buffer_load_dword v97, off, s[0:3], 0 offset:376
	buffer_load_dword v98, off, s[0:3], 0 offset:380
	s_mov_b32 s4, exec_lo
	s_waitcnt vmcnt(0)
	ds_write_b64 v100, v[97:98]
	s_waitcnt lgkmcnt(0)
	s_barrier
	buffer_gl0_inv
	v_cmpx_ne_u32_e32 47, v0
	s_cbranch_execz .LBB47_199
; %bb.196:
	v_mov_b32_e32 v97, 0
	v_mov_b32_e32 v98, 0
	s_mov_b32 s5, 0
.LBB47_197:                             ; =>This Inner Loop Header: Depth=1
	s_clause 0x1
	buffer_load_dword v102, v99, s[0:3], 0 offen
	buffer_load_dword v103, v99, s[0:3], 0 offen offset:4
	ds_read_b64 v[104:105], v100
	v_add_nc_u32_e32 v101, 1, v101
	v_add_nc_u32_e32 v100, 8, v100
	;; [unrolled: 1-line block ×3, first 2 shown]
	v_cmp_lt_u32_e32 vcc_lo, 45, v101
	s_or_b32 s5, vcc_lo, s5
	s_waitcnt vmcnt(0) lgkmcnt(0)
	v_fma_f64 v[97:98], v[102:103], v[104:105], v[97:98]
	s_andn2_b32 exec_lo, exec_lo, s5
	s_cbranch_execnz .LBB47_197
; %bb.198:
	s_or_b32 exec_lo, exec_lo, s5
	v_mov_b32_e32 v99, 0
	ds_read_b64 v[99:100], v99 offset:376
	s_waitcnt lgkmcnt(0)
	v_mul_f64 v[97:98], v[97:98], v[99:100]
	buffer_store_dword v98, off, s[0:3], 0 offset:380
	buffer_store_dword v97, off, s[0:3], 0 offset:376
.LBB47_199:
	s_or_b32 exec_lo, exec_lo, s4
	s_mov_b32 s5, -1
	s_waitcnt_vscnt null, 0x0
	s_barrier
	buffer_gl0_inv
.LBB47_200:
	s_and_b32 vcc_lo, exec_lo, s5
	s_cbranch_vccz .LBB47_202
; %bb.201:
	s_lshl_b64 s[4:5], s[6:7], 2
	v_mov_b32_e32 v97, 0
	s_add_u32 s4, s10, s4
	s_addc_u32 s5, s11, s5
	global_load_dword v97, v97, s[4:5]
	s_waitcnt vmcnt(0)
	v_cmp_ne_u32_e32 vcc_lo, 0, v97
	s_cbranch_vccz .LBB47_203
.LBB47_202:
	s_endpgm
.LBB47_203:
	v_lshl_add_u32 v97, v0, 3, 0x180
	s_mov_b32 s4, exec_lo
	v_cmpx_eq_u32_e32 47, v0
	s_cbranch_execz .LBB47_205
; %bb.204:
	s_clause 0x1
	buffer_load_dword v98, off, s[0:3], 0 offset:368
	buffer_load_dword v99, off, s[0:3], 0 offset:372
	v_mov_b32_e32 v100, 0
	buffer_store_dword v100, off, s[0:3], 0 offset:368
	buffer_store_dword v100, off, s[0:3], 0 offset:372
	s_waitcnt vmcnt(0)
	ds_write_b64 v97, v[98:99]
.LBB47_205:
	s_or_b32 exec_lo, exec_lo, s4
	s_waitcnt lgkmcnt(0)
	s_waitcnt_vscnt null, 0x0
	s_barrier
	buffer_gl0_inv
	s_clause 0x3
	buffer_load_dword v99, off, s[0:3], 0 offset:376
	buffer_load_dword v100, off, s[0:3], 0 offset:380
	;; [unrolled: 1-line block ×4, first 2 shown]
	v_mov_b32_e32 v98, 0
	s_mov_b32 s4, exec_lo
	ds_read_b64 v[103:104], v98 offset:760
	s_waitcnt vmcnt(2) lgkmcnt(0)
	v_fma_f64 v[99:100], v[99:100], v[103:104], 0
	s_waitcnt vmcnt(0)
	v_add_f64 v[99:100], v[101:102], -v[99:100]
	buffer_store_dword v99, off, s[0:3], 0 offset:368
	buffer_store_dword v100, off, s[0:3], 0 offset:372
	v_cmpx_lt_u32_e32 45, v0
	s_cbranch_execz .LBB47_207
; %bb.206:
	s_clause 0x1
	buffer_load_dword v99, off, s[0:3], 0 offset:360
	buffer_load_dword v100, off, s[0:3], 0 offset:364
	buffer_store_dword v98, off, s[0:3], 0 offset:360
	buffer_store_dword v98, off, s[0:3], 0 offset:364
	s_waitcnt vmcnt(0)
	ds_write_b64 v97, v[99:100]
.LBB47_207:
	s_or_b32 exec_lo, exec_lo, s4
	s_waitcnt lgkmcnt(0)
	s_waitcnt_vscnt null, 0x0
	s_barrier
	buffer_gl0_inv
	s_clause 0x5
	buffer_load_dword v102, off, s[0:3], 0 offset:368
	buffer_load_dword v103, off, s[0:3], 0 offset:372
	;; [unrolled: 1-line block ×6, first 2 shown]
	ds_read_b128 v[98:101], v98 offset:752
	s_mov_b32 s4, exec_lo
	s_waitcnt vmcnt(4) lgkmcnt(0)
	v_fma_f64 v[98:99], v[102:103], v[98:99], 0
	s_waitcnt vmcnt(2)
	v_fma_f64 v[98:99], v[104:105], v[100:101], v[98:99]
	s_waitcnt vmcnt(0)
	v_add_f64 v[98:99], v[106:107], -v[98:99]
	buffer_store_dword v98, off, s[0:3], 0 offset:360
	buffer_store_dword v99, off, s[0:3], 0 offset:364
	v_cmpx_lt_u32_e32 44, v0
	s_cbranch_execz .LBB47_209
; %bb.208:
	s_clause 0x1
	buffer_load_dword v98, off, s[0:3], 0 offset:352
	buffer_load_dword v99, off, s[0:3], 0 offset:356
	v_mov_b32_e32 v100, 0
	buffer_store_dword v100, off, s[0:3], 0 offset:352
	buffer_store_dword v100, off, s[0:3], 0 offset:356
	s_waitcnt vmcnt(0)
	ds_write_b64 v97, v[98:99]
.LBB47_209:
	s_or_b32 exec_lo, exec_lo, s4
	s_waitcnt lgkmcnt(0)
	s_waitcnt_vscnt null, 0x0
	s_barrier
	buffer_gl0_inv
	s_clause 0x7
	buffer_load_dword v103, off, s[0:3], 0 offset:360
	buffer_load_dword v104, off, s[0:3], 0 offset:364
	;; [unrolled: 1-line block ×8, first 2 shown]
	v_mov_b32_e32 v98, 0
	ds_read2_b64 v[99:102], v98 offset0:93 offset1:94
	ds_read_b64 v[111:112], v98 offset:760
	s_mov_b32 s4, exec_lo
	s_waitcnt vmcnt(6) lgkmcnt(1)
	v_fma_f64 v[99:100], v[103:104], v[99:100], 0
	s_waitcnt vmcnt(4)
	v_fma_f64 v[99:100], v[105:106], v[101:102], v[99:100]
	s_waitcnt vmcnt(2) lgkmcnt(0)
	v_fma_f64 v[99:100], v[107:108], v[111:112], v[99:100]
	s_waitcnt vmcnt(0)
	v_add_f64 v[99:100], v[109:110], -v[99:100]
	buffer_store_dword v99, off, s[0:3], 0 offset:352
	buffer_store_dword v100, off, s[0:3], 0 offset:356
	v_cmpx_lt_u32_e32 43, v0
	s_cbranch_execz .LBB47_211
; %bb.210:
	s_clause 0x1
	buffer_load_dword v99, off, s[0:3], 0 offset:344
	buffer_load_dword v100, off, s[0:3], 0 offset:348
	buffer_store_dword v98, off, s[0:3], 0 offset:344
	buffer_store_dword v98, off, s[0:3], 0 offset:348
	s_waitcnt vmcnt(0)
	ds_write_b64 v97, v[99:100]
.LBB47_211:
	s_or_b32 exec_lo, exec_lo, s4
	s_waitcnt lgkmcnt(0)
	s_waitcnt_vscnt null, 0x0
	s_barrier
	buffer_gl0_inv
	s_clause 0x9
	buffer_load_dword v107, off, s[0:3], 0 offset:352
	buffer_load_dword v108, off, s[0:3], 0 offset:356
	buffer_load_dword v109, off, s[0:3], 0 offset:360
	buffer_load_dword v110, off, s[0:3], 0 offset:364
	buffer_load_dword v111, off, s[0:3], 0 offset:368
	buffer_load_dword v112, off, s[0:3], 0 offset:372
	buffer_load_dword v113, off, s[0:3], 0 offset:376
	buffer_load_dword v114, off, s[0:3], 0 offset:380
	buffer_load_dword v115, off, s[0:3], 0 offset:344
	buffer_load_dword v116, off, s[0:3], 0 offset:348
	ds_read_b128 v[99:102], v98 offset:736
	ds_read_b128 v[103:106], v98 offset:752
	s_mov_b32 s4, exec_lo
	s_waitcnt vmcnt(8) lgkmcnt(1)
	v_fma_f64 v[98:99], v[107:108], v[99:100], 0
	s_waitcnt vmcnt(6)
	v_fma_f64 v[98:99], v[109:110], v[101:102], v[98:99]
	s_waitcnt vmcnt(4) lgkmcnt(0)
	v_fma_f64 v[98:99], v[111:112], v[103:104], v[98:99]
	s_waitcnt vmcnt(2)
	v_fma_f64 v[98:99], v[113:114], v[105:106], v[98:99]
	s_waitcnt vmcnt(0)
	v_add_f64 v[98:99], v[115:116], -v[98:99]
	buffer_store_dword v98, off, s[0:3], 0 offset:344
	buffer_store_dword v99, off, s[0:3], 0 offset:348
	v_cmpx_lt_u32_e32 42, v0
	s_cbranch_execz .LBB47_213
; %bb.212:
	s_clause 0x1
	buffer_load_dword v98, off, s[0:3], 0 offset:336
	buffer_load_dword v99, off, s[0:3], 0 offset:340
	v_mov_b32_e32 v100, 0
	buffer_store_dword v100, off, s[0:3], 0 offset:336
	buffer_store_dword v100, off, s[0:3], 0 offset:340
	s_waitcnt vmcnt(0)
	ds_write_b64 v97, v[98:99]
.LBB47_213:
	s_or_b32 exec_lo, exec_lo, s4
	s_waitcnt lgkmcnt(0)
	s_waitcnt_vscnt null, 0x0
	s_barrier
	buffer_gl0_inv
	s_clause 0xb
	buffer_load_dword v107, off, s[0:3], 0 offset:344
	buffer_load_dword v108, off, s[0:3], 0 offset:348
	;; [unrolled: 1-line block ×12, first 2 shown]
	v_mov_b32_e32 v98, 0
	ds_read2_b64 v[99:102], v98 offset0:91 offset1:92
	ds_read2_b64 v[103:106], v98 offset0:93 offset1:94
	s_mov_b32 s4, exec_lo
	s_waitcnt vmcnt(10) lgkmcnt(1)
	v_fma_f64 v[99:100], v[107:108], v[99:100], 0
	s_waitcnt vmcnt(8)
	v_fma_f64 v[99:100], v[109:110], v[101:102], v[99:100]
	ds_read_b64 v[101:102], v98 offset:760
	s_waitcnt vmcnt(6) lgkmcnt(1)
	v_fma_f64 v[99:100], v[111:112], v[103:104], v[99:100]
	s_waitcnt vmcnt(4)
	v_fma_f64 v[99:100], v[113:114], v[105:106], v[99:100]
	s_waitcnt vmcnt(2) lgkmcnt(0)
	v_fma_f64 v[99:100], v[115:116], v[101:102], v[99:100]
	s_waitcnt vmcnt(0)
	v_add_f64 v[99:100], v[117:118], -v[99:100]
	buffer_store_dword v99, off, s[0:3], 0 offset:336
	buffer_store_dword v100, off, s[0:3], 0 offset:340
	v_cmpx_lt_u32_e32 41, v0
	s_cbranch_execz .LBB47_215
; %bb.214:
	s_clause 0x1
	buffer_load_dword v99, off, s[0:3], 0 offset:328
	buffer_load_dword v100, off, s[0:3], 0 offset:332
	buffer_store_dword v98, off, s[0:3], 0 offset:328
	buffer_store_dword v98, off, s[0:3], 0 offset:332
	s_waitcnt vmcnt(0)
	ds_write_b64 v97, v[99:100]
.LBB47_215:
	s_or_b32 exec_lo, exec_lo, s4
	s_waitcnt lgkmcnt(0)
	s_waitcnt_vscnt null, 0x0
	s_barrier
	buffer_gl0_inv
	s_clause 0xd
	buffer_load_dword v107, off, s[0:3], 0 offset:336
	buffer_load_dword v108, off, s[0:3], 0 offset:340
	;; [unrolled: 1-line block ×14, first 2 shown]
	ds_read_b128 v[99:102], v98 offset:720
	ds_read_b128 v[103:106], v98 offset:736
	s_mov_b32 s4, exec_lo
	s_waitcnt vmcnt(12) lgkmcnt(1)
	v_fma_f64 v[99:100], v[107:108], v[99:100], 0
	s_waitcnt vmcnt(10)
	v_fma_f64 v[99:100], v[109:110], v[101:102], v[99:100]
	s_waitcnt vmcnt(8) lgkmcnt(0)
	v_fma_f64 v[99:100], v[111:112], v[103:104], v[99:100]
	s_waitcnt vmcnt(6)
	v_fma_f64 v[102:103], v[113:114], v[105:106], v[99:100]
	ds_read_b128 v[98:101], v98 offset:752
	s_waitcnt vmcnt(4) lgkmcnt(0)
	v_fma_f64 v[98:99], v[115:116], v[98:99], v[102:103]
	s_waitcnt vmcnt(2)
	v_fma_f64 v[98:99], v[117:118], v[100:101], v[98:99]
	s_waitcnt vmcnt(0)
	v_add_f64 v[98:99], v[119:120], -v[98:99]
	buffer_store_dword v98, off, s[0:3], 0 offset:328
	buffer_store_dword v99, off, s[0:3], 0 offset:332
	v_cmpx_lt_u32_e32 40, v0
	s_cbranch_execz .LBB47_217
; %bb.216:
	s_clause 0x1
	buffer_load_dword v98, off, s[0:3], 0 offset:320
	buffer_load_dword v99, off, s[0:3], 0 offset:324
	v_mov_b32_e32 v100, 0
	buffer_store_dword v100, off, s[0:3], 0 offset:320
	buffer_store_dword v100, off, s[0:3], 0 offset:324
	s_waitcnt vmcnt(0)
	ds_write_b64 v97, v[98:99]
.LBB47_217:
	s_or_b32 exec_lo, exec_lo, s4
	s_waitcnt lgkmcnt(0)
	s_waitcnt_vscnt null, 0x0
	s_barrier
	buffer_gl0_inv
	s_clause 0xf
	buffer_load_dword v107, off, s[0:3], 0 offset:328
	buffer_load_dword v108, off, s[0:3], 0 offset:332
	;; [unrolled: 1-line block ×16, first 2 shown]
	v_mov_b32_e32 v98, 0
	ds_read2_b64 v[99:102], v98 offset0:89 offset1:90
	ds_read2_b64 v[103:106], v98 offset0:91 offset1:92
	s_mov_b32 s4, exec_lo
	s_waitcnt vmcnt(14) lgkmcnt(1)
	v_fma_f64 v[99:100], v[107:108], v[99:100], 0
	s_waitcnt vmcnt(12)
	v_fma_f64 v[99:100], v[109:110], v[101:102], v[99:100]
	s_waitcnt vmcnt(10) lgkmcnt(0)
	v_fma_f64 v[99:100], v[111:112], v[103:104], v[99:100]
	s_waitcnt vmcnt(8)
	v_fma_f64 v[103:104], v[113:114], v[105:106], v[99:100]
	ds_read2_b64 v[99:102], v98 offset0:93 offset1:94
	ds_read_b64 v[105:106], v98 offset:760
	s_waitcnt vmcnt(6) lgkmcnt(1)
	v_fma_f64 v[99:100], v[115:116], v[99:100], v[103:104]
	s_waitcnt vmcnt(4)
	v_fma_f64 v[99:100], v[117:118], v[101:102], v[99:100]
	s_waitcnt vmcnt(2) lgkmcnt(0)
	v_fma_f64 v[99:100], v[119:120], v[105:106], v[99:100]
	s_waitcnt vmcnt(0)
	v_add_f64 v[99:100], v[121:122], -v[99:100]
	buffer_store_dword v99, off, s[0:3], 0 offset:320
	buffer_store_dword v100, off, s[0:3], 0 offset:324
	v_cmpx_lt_u32_e32 39, v0
	s_cbranch_execz .LBB47_219
; %bb.218:
	s_clause 0x1
	buffer_load_dword v99, off, s[0:3], 0 offset:312
	buffer_load_dword v100, off, s[0:3], 0 offset:316
	buffer_store_dword v98, off, s[0:3], 0 offset:312
	buffer_store_dword v98, off, s[0:3], 0 offset:316
	s_waitcnt vmcnt(0)
	ds_write_b64 v97, v[99:100]
.LBB47_219:
	s_or_b32 exec_lo, exec_lo, s4
	s_waitcnt lgkmcnt(0)
	s_waitcnt_vscnt null, 0x0
	s_barrier
	buffer_gl0_inv
	s_clause 0x11
	buffer_load_dword v107, off, s[0:3], 0 offset:320
	buffer_load_dword v108, off, s[0:3], 0 offset:324
	;; [unrolled: 1-line block ×18, first 2 shown]
	ds_read_b128 v[99:102], v98 offset:704
	ds_read_b128 v[103:106], v98 offset:720
	s_mov_b32 s4, exec_lo
	s_waitcnt vmcnt(16) lgkmcnt(1)
	v_fma_f64 v[99:100], v[107:108], v[99:100], 0
	s_waitcnt vmcnt(14)
	v_fma_f64 v[99:100], v[109:110], v[101:102], v[99:100]
	s_waitcnt vmcnt(12) lgkmcnt(0)
	v_fma_f64 v[99:100], v[111:112], v[103:104], v[99:100]
	s_waitcnt vmcnt(10)
	v_fma_f64 v[107:108], v[113:114], v[105:106], v[99:100]
	ds_read_b128 v[99:102], v98 offset:736
	ds_read_b128 v[103:106], v98 offset:752
	s_waitcnt vmcnt(8) lgkmcnt(1)
	v_fma_f64 v[98:99], v[115:116], v[99:100], v[107:108]
	s_waitcnt vmcnt(6)
	v_fma_f64 v[98:99], v[117:118], v[101:102], v[98:99]
	s_waitcnt vmcnt(4) lgkmcnt(0)
	v_fma_f64 v[98:99], v[119:120], v[103:104], v[98:99]
	s_waitcnt vmcnt(2)
	v_fma_f64 v[98:99], v[121:122], v[105:106], v[98:99]
	s_waitcnt vmcnt(0)
	v_add_f64 v[98:99], v[123:124], -v[98:99]
	buffer_store_dword v98, off, s[0:3], 0 offset:312
	buffer_store_dword v99, off, s[0:3], 0 offset:316
	v_cmpx_lt_u32_e32 38, v0
	s_cbranch_execz .LBB47_221
; %bb.220:
	s_clause 0x1
	buffer_load_dword v98, off, s[0:3], 0 offset:304
	buffer_load_dword v99, off, s[0:3], 0 offset:308
	v_mov_b32_e32 v100, 0
	buffer_store_dword v100, off, s[0:3], 0 offset:304
	buffer_store_dword v100, off, s[0:3], 0 offset:308
	s_waitcnt vmcnt(0)
	ds_write_b64 v97, v[98:99]
.LBB47_221:
	s_or_b32 exec_lo, exec_lo, s4
	s_waitcnt lgkmcnt(0)
	s_waitcnt_vscnt null, 0x0
	s_barrier
	buffer_gl0_inv
	s_clause 0x13
	buffer_load_dword v103, off, s[0:3], 0 offset:312
	buffer_load_dword v104, off, s[0:3], 0 offset:316
	;; [unrolled: 1-line block ×20, first 2 shown]
	v_mov_b32_e32 v98, 0
	s_mov_b32 s4, exec_lo
	ds_read2_b64 v[99:102], v98 offset0:87 offset1:88
	s_waitcnt vmcnt(18) lgkmcnt(0)
	v_fma_f64 v[99:100], v[103:104], v[99:100], 0
	s_waitcnt vmcnt(16)
	v_fma_f64 v[103:104], v[105:106], v[101:102], v[99:100]
	ds_read2_b64 v[99:102], v98 offset0:89 offset1:90
	s_waitcnt vmcnt(14) lgkmcnt(0)
	v_fma_f64 v[99:100], v[107:108], v[99:100], v[103:104]
	s_waitcnt vmcnt(12)
	v_fma_f64 v[103:104], v[109:110], v[101:102], v[99:100]
	;; [unrolled: 5-line block ×4, first 2 shown]
	ds_read_b64 v[101:102], v98 offset:760
	s_waitcnt vmcnt(2) lgkmcnt(0)
	v_fma_f64 v[99:100], v[119:120], v[101:102], v[99:100]
	s_waitcnt vmcnt(0)
	v_add_f64 v[99:100], v[121:122], -v[99:100]
	buffer_store_dword v99, off, s[0:3], 0 offset:304
	buffer_store_dword v100, off, s[0:3], 0 offset:308
	v_cmpx_lt_u32_e32 37, v0
	s_cbranch_execz .LBB47_223
; %bb.222:
	s_clause 0x1
	buffer_load_dword v99, off, s[0:3], 0 offset:296
	buffer_load_dword v100, off, s[0:3], 0 offset:300
	buffer_store_dword v98, off, s[0:3], 0 offset:296
	buffer_store_dword v98, off, s[0:3], 0 offset:300
	s_waitcnt vmcnt(0)
	ds_write_b64 v97, v[99:100]
.LBB47_223:
	s_or_b32 exec_lo, exec_lo, s4
	s_waitcnt lgkmcnt(0)
	s_waitcnt_vscnt null, 0x0
	s_barrier
	buffer_gl0_inv
	s_clause 0x15
	buffer_load_dword v103, off, s[0:3], 0 offset:304
	buffer_load_dword v104, off, s[0:3], 0 offset:308
	buffer_load_dword v105, off, s[0:3], 0 offset:312
	buffer_load_dword v106, off, s[0:3], 0 offset:316
	buffer_load_dword v107, off, s[0:3], 0 offset:320
	buffer_load_dword v108, off, s[0:3], 0 offset:324
	buffer_load_dword v109, off, s[0:3], 0 offset:328
	buffer_load_dword v110, off, s[0:3], 0 offset:332
	buffer_load_dword v111, off, s[0:3], 0 offset:336
	buffer_load_dword v112, off, s[0:3], 0 offset:340
	buffer_load_dword v113, off, s[0:3], 0 offset:344
	buffer_load_dword v114, off, s[0:3], 0 offset:348
	buffer_load_dword v115, off, s[0:3], 0 offset:352
	buffer_load_dword v116, off, s[0:3], 0 offset:356
	buffer_load_dword v118, off, s[0:3], 0 offset:364
	buffer_load_dword v117, off, s[0:3], 0 offset:360
	buffer_load_dword v119, off, s[0:3], 0 offset:368
	buffer_load_dword v120, off, s[0:3], 0 offset:372
	buffer_load_dword v121, off, s[0:3], 0 offset:376
	buffer_load_dword v122, off, s[0:3], 0 offset:380
	buffer_load_dword v123, off, s[0:3], 0 offset:296
	buffer_load_dword v124, off, s[0:3], 0 offset:300
	ds_read_b128 v[99:102], v98 offset:688
	s_mov_b32 s4, exec_lo
	s_waitcnt vmcnt(20) lgkmcnt(0)
	v_fma_f64 v[99:100], v[103:104], v[99:100], 0
	s_waitcnt vmcnt(18)
	v_fma_f64 v[103:104], v[105:106], v[101:102], v[99:100]
	ds_read_b128 v[99:102], v98 offset:704
	s_waitcnt vmcnt(16) lgkmcnt(0)
	v_fma_f64 v[99:100], v[107:108], v[99:100], v[103:104]
	s_waitcnt vmcnt(14)
	v_fma_f64 v[103:104], v[109:110], v[101:102], v[99:100]
	ds_read_b128 v[99:102], v98 offset:720
	;; [unrolled: 5-line block ×4, first 2 shown]
	s_waitcnt vmcnt(4) lgkmcnt(0)
	v_fma_f64 v[98:99], v[119:120], v[98:99], v[102:103]
	s_waitcnt vmcnt(2)
	v_fma_f64 v[98:99], v[121:122], v[100:101], v[98:99]
	s_waitcnt vmcnt(0)
	v_add_f64 v[98:99], v[123:124], -v[98:99]
	buffer_store_dword v98, off, s[0:3], 0 offset:296
	buffer_store_dword v99, off, s[0:3], 0 offset:300
	v_cmpx_lt_u32_e32 36, v0
	s_cbranch_execz .LBB47_225
; %bb.224:
	s_clause 0x1
	buffer_load_dword v98, off, s[0:3], 0 offset:288
	buffer_load_dword v99, off, s[0:3], 0 offset:292
	v_mov_b32_e32 v100, 0
	buffer_store_dword v100, off, s[0:3], 0 offset:288
	buffer_store_dword v100, off, s[0:3], 0 offset:292
	s_waitcnt vmcnt(0)
	ds_write_b64 v97, v[98:99]
.LBB47_225:
	s_or_b32 exec_lo, exec_lo, s4
	s_waitcnt lgkmcnt(0)
	s_waitcnt_vscnt null, 0x0
	s_barrier
	buffer_gl0_inv
	s_clause 0x17
	buffer_load_dword v103, off, s[0:3], 0 offset:296
	buffer_load_dword v104, off, s[0:3], 0 offset:300
	;; [unrolled: 1-line block ×24, first 2 shown]
	v_mov_b32_e32 v98, 0
	s_mov_b32 s4, exec_lo
	ds_read2_b64 v[99:102], v98 offset0:85 offset1:86
	s_waitcnt vmcnt(22) lgkmcnt(0)
	v_fma_f64 v[99:100], v[103:104], v[99:100], 0
	s_waitcnt vmcnt(20)
	v_fma_f64 v[103:104], v[105:106], v[101:102], v[99:100]
	ds_read2_b64 v[99:102], v98 offset0:87 offset1:88
	s_waitcnt vmcnt(18) lgkmcnt(0)
	v_fma_f64 v[99:100], v[107:108], v[99:100], v[103:104]
	s_waitcnt vmcnt(16)
	v_fma_f64 v[103:104], v[109:110], v[101:102], v[99:100]
	;; [unrolled: 5-line block ×5, first 2 shown]
	ds_read_b64 v[101:102], v98 offset:760
	s_waitcnt vmcnt(2) lgkmcnt(0)
	v_fma_f64 v[99:100], v[123:124], v[101:102], v[99:100]
	s_waitcnt vmcnt(0)
	v_add_f64 v[99:100], v[125:126], -v[99:100]
	buffer_store_dword v100, off, s[0:3], 0 offset:292
	buffer_store_dword v99, off, s[0:3], 0 offset:288
	v_cmpx_lt_u32_e32 35, v0
	s_cbranch_execz .LBB47_227
; %bb.226:
	s_clause 0x1
	buffer_load_dword v99, off, s[0:3], 0 offset:280
	buffer_load_dword v100, off, s[0:3], 0 offset:284
	buffer_store_dword v98, off, s[0:3], 0 offset:280
	buffer_store_dword v98, off, s[0:3], 0 offset:284
	s_waitcnt vmcnt(0)
	ds_write_b64 v97, v[99:100]
.LBB47_227:
	s_or_b32 exec_lo, exec_lo, s4
	s_waitcnt lgkmcnt(0)
	s_waitcnt_vscnt null, 0x0
	s_barrier
	buffer_gl0_inv
	s_clause 0x19
	buffer_load_dword v107, off, s[0:3], 0 offset:288
	buffer_load_dword v108, off, s[0:3], 0 offset:292
	;; [unrolled: 1-line block ×26, first 2 shown]
	ds_read_b128 v[99:102], v98 offset:672
	ds_read_b128 v[103:106], v98 offset:688
	s_mov_b32 s4, exec_lo
	s_waitcnt vmcnt(24) lgkmcnt(1)
	v_fma_f64 v[99:100], v[107:108], v[99:100], 0
	s_waitcnt vmcnt(22)
	v_fma_f64 v[99:100], v[109:110], v[101:102], v[99:100]
	s_waitcnt vmcnt(20) lgkmcnt(0)
	v_fma_f64 v[99:100], v[111:112], v[103:104], v[99:100]
	s_waitcnt vmcnt(18)
	v_fma_f64 v[107:108], v[113:114], v[105:106], v[99:100]
	ds_read_b128 v[99:102], v98 offset:704
	ds_read_b128 v[103:106], v98 offset:720
	s_waitcnt vmcnt(16) lgkmcnt(1)
	v_fma_f64 v[99:100], v[115:116], v[99:100], v[107:108]
	s_waitcnt vmcnt(14)
	v_fma_f64 v[99:100], v[117:118], v[101:102], v[99:100]
	s_waitcnt vmcnt(12) lgkmcnt(0)
	v_fma_f64 v[99:100], v[119:120], v[103:104], v[99:100]
	s_waitcnt vmcnt(7)
	v_fma_f64 v[107:108], v[121:122], v[105:106], v[99:100]
	ds_read_b128 v[99:102], v98 offset:736
	ds_read_b128 v[103:106], v98 offset:752
	s_waitcnt vmcnt(6) lgkmcnt(1)
	v_fma_f64 v[98:99], v[127:128], v[99:100], v[107:108]
	s_waitcnt vmcnt(5)
	v_fma_f64 v[98:99], v[125:126], v[101:102], v[98:99]
	s_waitcnt vmcnt(4) lgkmcnt(0)
	v_fma_f64 v[98:99], v[123:124], v[103:104], v[98:99]
	s_waitcnt vmcnt(2)
	v_fma_f64 v[98:99], v[129:130], v[105:106], v[98:99]
	s_waitcnt vmcnt(0)
	v_add_f64 v[98:99], v[131:132], -v[98:99]
	buffer_store_dword v99, off, s[0:3], 0 offset:284
	buffer_store_dword v98, off, s[0:3], 0 offset:280
	v_cmpx_lt_u32_e32 34, v0
	s_cbranch_execz .LBB47_229
; %bb.228:
	s_clause 0x1
	buffer_load_dword v98, off, s[0:3], 0 offset:272
	buffer_load_dword v99, off, s[0:3], 0 offset:276
	v_mov_b32_e32 v100, 0
	buffer_store_dword v100, off, s[0:3], 0 offset:272
	buffer_store_dword v100, off, s[0:3], 0 offset:276
	s_waitcnt vmcnt(0)
	ds_write_b64 v97, v[98:99]
.LBB47_229:
	s_or_b32 exec_lo, exec_lo, s4
	s_waitcnt lgkmcnt(0)
	s_waitcnt_vscnt null, 0x0
	s_barrier
	buffer_gl0_inv
	s_clause 0x1b
	buffer_load_dword v107, off, s[0:3], 0 offset:280
	buffer_load_dword v108, off, s[0:3], 0 offset:284
	;; [unrolled: 1-line block ×28, first 2 shown]
	v_mov_b32_e32 v98, 0
	ds_read2_b64 v[99:102], v98 offset0:83 offset1:84
	ds_read2_b64 v[103:106], v98 offset0:85 offset1:86
	s_mov_b32 s4, exec_lo
	s_waitcnt vmcnt(26) lgkmcnt(1)
	v_fma_f64 v[99:100], v[107:108], v[99:100], 0
	s_waitcnt vmcnt(24)
	v_fma_f64 v[99:100], v[109:110], v[101:102], v[99:100]
	s_waitcnt vmcnt(22) lgkmcnt(0)
	v_fma_f64 v[99:100], v[111:112], v[103:104], v[99:100]
	s_waitcnt vmcnt(20)
	v_fma_f64 v[107:108], v[113:114], v[105:106], v[99:100]
	ds_read2_b64 v[99:102], v98 offset0:87 offset1:88
	ds_read2_b64 v[103:106], v98 offset0:89 offset1:90
	s_waitcnt vmcnt(18) lgkmcnt(1)
	v_fma_f64 v[99:100], v[115:116], v[99:100], v[107:108]
	s_waitcnt vmcnt(16)
	v_fma_f64 v[99:100], v[117:118], v[101:102], v[99:100]
	s_waitcnt vmcnt(14) lgkmcnt(0)
	v_fma_f64 v[99:100], v[119:120], v[103:104], v[99:100]
	s_waitcnt vmcnt(9)
	v_fma_f64 v[107:108], v[121:122], v[105:106], v[99:100]
	ds_read2_b64 v[99:102], v98 offset0:91 offset1:92
	ds_read2_b64 v[103:106], v98 offset0:93 offset1:94
	s_waitcnt vmcnt(8) lgkmcnt(1)
	v_fma_f64 v[99:100], v[127:128], v[99:100], v[107:108]
	s_waitcnt vmcnt(7)
	v_fma_f64 v[99:100], v[125:126], v[101:102], v[99:100]
	ds_read_b64 v[101:102], v98 offset:760
	s_waitcnt vmcnt(6) lgkmcnt(1)
	v_fma_f64 v[99:100], v[123:124], v[103:104], v[99:100]
	s_waitcnt vmcnt(3)
	v_fma_f64 v[99:100], v[129:130], v[105:106], v[99:100]
	s_waitcnt vmcnt(2) lgkmcnt(0)
	v_fma_f64 v[99:100], v[131:132], v[101:102], v[99:100]
	s_waitcnt vmcnt(0)
	v_add_f64 v[99:100], v[133:134], -v[99:100]
	buffer_store_dword v100, off, s[0:3], 0 offset:276
	buffer_store_dword v99, off, s[0:3], 0 offset:272
	v_cmpx_lt_u32_e32 33, v0
	s_cbranch_execz .LBB47_231
; %bb.230:
	s_clause 0x1
	buffer_load_dword v99, off, s[0:3], 0 offset:264
	buffer_load_dword v100, off, s[0:3], 0 offset:268
	buffer_store_dword v98, off, s[0:3], 0 offset:264
	buffer_store_dword v98, off, s[0:3], 0 offset:268
	s_waitcnt vmcnt(0)
	ds_write_b64 v97, v[99:100]
.LBB47_231:
	s_or_b32 exec_lo, exec_lo, s4
	s_waitcnt lgkmcnt(0)
	s_waitcnt_vscnt null, 0x0
	s_barrier
	buffer_gl0_inv
	s_clause 0x1b
	buffer_load_dword v107, off, s[0:3], 0 offset:272
	buffer_load_dword v108, off, s[0:3], 0 offset:276
	;; [unrolled: 1-line block ×28, first 2 shown]
	ds_read_b128 v[99:102], v98 offset:656
	s_clause 0x1
	buffer_load_dword v135, off, s[0:3], 0 offset:264
	buffer_load_dword v136, off, s[0:3], 0 offset:268
	ds_read_b128 v[103:106], v98 offset:672
	s_mov_b32 s4, exec_lo
	s_waitcnt vmcnt(28) lgkmcnt(1)
	v_fma_f64 v[99:100], v[107:108], v[99:100], 0
	s_waitcnt vmcnt(26)
	v_fma_f64 v[99:100], v[109:110], v[101:102], v[99:100]
	s_waitcnt vmcnt(24) lgkmcnt(0)
	v_fma_f64 v[99:100], v[111:112], v[103:104], v[99:100]
	s_waitcnt vmcnt(22)
	v_fma_f64 v[107:108], v[113:114], v[105:106], v[99:100]
	ds_read_b128 v[99:102], v98 offset:688
	ds_read_b128 v[103:106], v98 offset:704
	s_waitcnt vmcnt(20) lgkmcnt(1)
	v_fma_f64 v[99:100], v[115:116], v[99:100], v[107:108]
	s_waitcnt vmcnt(18)
	v_fma_f64 v[99:100], v[117:118], v[101:102], v[99:100]
	s_waitcnt vmcnt(16) lgkmcnt(0)
	v_fma_f64 v[99:100], v[119:120], v[103:104], v[99:100]
	s_waitcnt vmcnt(11)
	v_fma_f64 v[107:108], v[121:122], v[105:106], v[99:100]
	ds_read_b128 v[99:102], v98 offset:720
	ds_read_b128 v[103:106], v98 offset:736
	s_waitcnt vmcnt(10) lgkmcnt(1)
	v_fma_f64 v[99:100], v[127:128], v[99:100], v[107:108]
	s_waitcnt vmcnt(9)
	v_fma_f64 v[99:100], v[125:126], v[101:102], v[99:100]
	s_waitcnt vmcnt(8) lgkmcnt(0)
	v_fma_f64 v[99:100], v[123:124], v[103:104], v[99:100]
	s_waitcnt vmcnt(4)
	v_fma_f64 v[102:103], v[129:130], v[105:106], v[99:100]
	ds_read_b128 v[98:101], v98 offset:752
	s_waitcnt vmcnt(3) lgkmcnt(0)
	v_fma_f64 v[98:99], v[133:134], v[98:99], v[102:103]
	s_waitcnt vmcnt(2)
	v_fma_f64 v[98:99], v[131:132], v[100:101], v[98:99]
	s_waitcnt vmcnt(0)
	v_add_f64 v[98:99], v[135:136], -v[98:99]
	buffer_store_dword v99, off, s[0:3], 0 offset:268
	buffer_store_dword v98, off, s[0:3], 0 offset:264
	v_cmpx_lt_u32_e32 32, v0
	s_cbranch_execz .LBB47_233
; %bb.232:
	s_clause 0x1
	buffer_load_dword v98, off, s[0:3], 0 offset:256
	buffer_load_dword v99, off, s[0:3], 0 offset:260
	v_mov_b32_e32 v100, 0
	buffer_store_dword v100, off, s[0:3], 0 offset:256
	buffer_store_dword v100, off, s[0:3], 0 offset:260
	s_waitcnt vmcnt(0)
	ds_write_b64 v97, v[98:99]
.LBB47_233:
	s_or_b32 exec_lo, exec_lo, s4
	s_waitcnt lgkmcnt(0)
	s_waitcnt_vscnt null, 0x0
	s_barrier
	buffer_gl0_inv
	s_clause 0x1c
	buffer_load_dword v107, off, s[0:3], 0 offset:264
	buffer_load_dword v108, off, s[0:3], 0 offset:268
	;; [unrolled: 1-line block ×29, first 2 shown]
	v_mov_b32_e32 v98, 0
	buffer_load_dword v132, off, s[0:3], 0 offset:380
	s_mov_b32 s4, exec_lo
	ds_read2_b64 v[99:102], v98 offset0:81 offset1:82
	ds_read2_b64 v[103:106], v98 offset0:83 offset1:84
	s_waitcnt vmcnt(28) lgkmcnt(1)
	v_fma_f64 v[99:100], v[107:108], v[99:100], 0
	s_clause 0x1
	buffer_load_dword v107, off, s[0:3], 0 offset:256
	buffer_load_dword v108, off, s[0:3], 0 offset:260
	s_waitcnt vmcnt(28)
	v_fma_f64 v[99:100], v[109:110], v[101:102], v[99:100]
	s_waitcnt vmcnt(26) lgkmcnt(0)
	v_fma_f64 v[99:100], v[111:112], v[103:104], v[99:100]
	s_waitcnt vmcnt(24)
	v_fma_f64 v[109:110], v[113:114], v[105:106], v[99:100]
	ds_read2_b64 v[99:102], v98 offset0:85 offset1:86
	ds_read2_b64 v[103:106], v98 offset0:87 offset1:88
	s_waitcnt vmcnt(22) lgkmcnt(1)
	v_fma_f64 v[99:100], v[115:116], v[99:100], v[109:110]
	s_waitcnt vmcnt(20)
	v_fma_f64 v[99:100], v[117:118], v[101:102], v[99:100]
	s_waitcnt vmcnt(18) lgkmcnt(0)
	v_fma_f64 v[99:100], v[119:120], v[103:104], v[99:100]
	s_waitcnt vmcnt(13)
	v_fma_f64 v[109:110], v[121:122], v[105:106], v[99:100]
	ds_read2_b64 v[99:102], v98 offset0:89 offset1:90
	ds_read2_b64 v[103:106], v98 offset0:91 offset1:92
	s_waitcnt vmcnt(12) lgkmcnt(1)
	v_fma_f64 v[99:100], v[127:128], v[99:100], v[109:110]
	s_waitcnt vmcnt(11)
	v_fma_f64 v[99:100], v[125:126], v[101:102], v[99:100]
	s_waitcnt vmcnt(10) lgkmcnt(0)
	v_fma_f64 v[99:100], v[123:124], v[103:104], v[99:100]
	s_waitcnt vmcnt(5)
	v_fma_f64 v[103:104], v[129:130], v[105:106], v[99:100]
	ds_read2_b64 v[99:102], v98 offset0:93 offset1:94
	ds_read_b64 v[105:106], v98 offset:760
	s_waitcnt vmcnt(4) lgkmcnt(1)
	v_fma_f64 v[99:100], v[135:136], v[99:100], v[103:104]
	s_waitcnt vmcnt(3)
	v_fma_f64 v[99:100], v[133:134], v[101:102], v[99:100]
	s_waitcnt vmcnt(2) lgkmcnt(0)
	v_fma_f64 v[99:100], v[131:132], v[105:106], v[99:100]
	s_waitcnt vmcnt(0)
	v_add_f64 v[99:100], v[107:108], -v[99:100]
	buffer_store_dword v100, off, s[0:3], 0 offset:260
	buffer_store_dword v99, off, s[0:3], 0 offset:256
	v_cmpx_lt_u32_e32 31, v0
	s_cbranch_execz .LBB47_235
; %bb.234:
	s_clause 0x1
	buffer_load_dword v99, off, s[0:3], 0 offset:248
	buffer_load_dword v100, off, s[0:3], 0 offset:252
	buffer_store_dword v98, off, s[0:3], 0 offset:248
	buffer_store_dword v98, off, s[0:3], 0 offset:252
	s_waitcnt vmcnt(0)
	ds_write_b64 v97, v[99:100]
.LBB47_235:
	s_or_b32 exec_lo, exec_lo, s4
	s_waitcnt lgkmcnt(0)
	s_waitcnt_vscnt null, 0x0
	s_barrier
	buffer_gl0_inv
	s_clause 0x1c
	buffer_load_dword v107, off, s[0:3], 0 offset:256
	buffer_load_dword v108, off, s[0:3], 0 offset:260
	;; [unrolled: 1-line block ×29, first 2 shown]
	ds_read_b128 v[99:102], v98 offset:640
	ds_read_b128 v[103:106], v98 offset:656
	buffer_load_dword v132, off, s[0:3], 0 offset:372
	s_mov_b32 s4, exec_lo
	s_waitcnt vmcnt(28) lgkmcnt(1)
	v_fma_f64 v[99:100], v[107:108], v[99:100], 0
	s_clause 0x1
	buffer_load_dword v108, off, s[0:3], 0 offset:380
	buffer_load_dword v107, off, s[0:3], 0 offset:376
	s_waitcnt vmcnt(28)
	v_fma_f64 v[99:100], v[109:110], v[101:102], v[99:100]
	s_clause 0x1
	buffer_load_dword v109, off, s[0:3], 0 offset:248
	buffer_load_dword v110, off, s[0:3], 0 offset:252
	s_waitcnt vmcnt(28) lgkmcnt(0)
	v_fma_f64 v[99:100], v[111:112], v[103:104], v[99:100]
	s_waitcnt vmcnt(26)
	v_fma_f64 v[111:112], v[113:114], v[105:106], v[99:100]
	ds_read_b128 v[99:102], v98 offset:672
	ds_read_b128 v[103:106], v98 offset:688
	s_waitcnt vmcnt(24) lgkmcnt(1)
	v_fma_f64 v[99:100], v[115:116], v[99:100], v[111:112]
	s_waitcnt vmcnt(22)
	v_fma_f64 v[99:100], v[117:118], v[101:102], v[99:100]
	s_waitcnt vmcnt(20) lgkmcnt(0)
	v_fma_f64 v[99:100], v[119:120], v[103:104], v[99:100]
	s_waitcnt vmcnt(15)
	v_fma_f64 v[111:112], v[121:122], v[105:106], v[99:100]
	ds_read_b128 v[99:102], v98 offset:704
	ds_read_b128 v[103:106], v98 offset:720
	s_waitcnt vmcnt(14) lgkmcnt(1)
	v_fma_f64 v[99:100], v[127:128], v[99:100], v[111:112]
	s_waitcnt vmcnt(13)
	v_fma_f64 v[99:100], v[125:126], v[101:102], v[99:100]
	;; [unrolled: 10-line block ×3, first 2 shown]
	s_waitcnt vmcnt(4) lgkmcnt(0)
	v_fma_f64 v[98:99], v[131:132], v[103:104], v[98:99]
	s_waitcnt vmcnt(2)
	v_fma_f64 v[98:99], v[107:108], v[105:106], v[98:99]
	s_waitcnt vmcnt(0)
	v_add_f64 v[98:99], v[109:110], -v[98:99]
	buffer_store_dword v99, off, s[0:3], 0 offset:252
	buffer_store_dword v98, off, s[0:3], 0 offset:248
	v_cmpx_lt_u32_e32 30, v0
	s_cbranch_execz .LBB47_237
; %bb.236:
	s_clause 0x1
	buffer_load_dword v98, off, s[0:3], 0 offset:240
	buffer_load_dword v99, off, s[0:3], 0 offset:244
	v_mov_b32_e32 v100, 0
	buffer_store_dword v100, off, s[0:3], 0 offset:240
	buffer_store_dword v100, off, s[0:3], 0 offset:244
	s_waitcnt vmcnt(0)
	ds_write_b64 v97, v[98:99]
.LBB47_237:
	s_or_b32 exec_lo, exec_lo, s4
	s_waitcnt lgkmcnt(0)
	s_waitcnt_vscnt null, 0x0
	s_barrier
	buffer_gl0_inv
	s_clause 0x1c
	buffer_load_dword v107, off, s[0:3], 0 offset:248
	buffer_load_dword v108, off, s[0:3], 0 offset:252
	;; [unrolled: 1-line block ×29, first 2 shown]
	v_mov_b32_e32 v98, 0
	buffer_load_dword v132, off, s[0:3], 0 offset:364
	s_mov_b32 s4, exec_lo
	ds_read2_b64 v[99:102], v98 offset0:79 offset1:80
	ds_read2_b64 v[103:106], v98 offset0:81 offset1:82
	s_waitcnt vmcnt(28) lgkmcnt(1)
	v_fma_f64 v[99:100], v[107:108], v[99:100], 0
	s_clause 0x3
	buffer_load_dword v108, off, s[0:3], 0 offset:372
	buffer_load_dword v137, off, s[0:3], 0 offset:376
	;; [unrolled: 1-line block ×4, first 2 shown]
	s_waitcnt vmcnt(30)
	v_fma_f64 v[99:100], v[109:110], v[101:102], v[99:100]
	s_clause 0x1
	buffer_load_dword v109, off, s[0:3], 0 offset:240
	buffer_load_dword v110, off, s[0:3], 0 offset:244
	s_waitcnt vmcnt(30) lgkmcnt(0)
	v_fma_f64 v[99:100], v[111:112], v[103:104], v[99:100]
	s_waitcnt vmcnt(28)
	v_fma_f64 v[111:112], v[113:114], v[105:106], v[99:100]
	ds_read2_b64 v[99:102], v98 offset0:83 offset1:84
	ds_read2_b64 v[103:106], v98 offset0:85 offset1:86
	s_waitcnt vmcnt(26) lgkmcnt(1)
	v_fma_f64 v[99:100], v[115:116], v[99:100], v[111:112]
	s_waitcnt vmcnt(24)
	v_fma_f64 v[99:100], v[117:118], v[101:102], v[99:100]
	s_waitcnt vmcnt(22) lgkmcnt(0)
	v_fma_f64 v[99:100], v[119:120], v[103:104], v[99:100]
	s_waitcnt vmcnt(17)
	v_fma_f64 v[111:112], v[121:122], v[105:106], v[99:100]
	ds_read2_b64 v[99:102], v98 offset0:87 offset1:88
	ds_read2_b64 v[103:106], v98 offset0:89 offset1:90
	s_waitcnt vmcnt(16) lgkmcnt(1)
	v_fma_f64 v[99:100], v[127:128], v[99:100], v[111:112]
	s_waitcnt vmcnt(15)
	v_fma_f64 v[99:100], v[125:126], v[101:102], v[99:100]
	;; [unrolled: 10-line block ×3, first 2 shown]
	ds_read_b64 v[101:102], v98 offset:760
	s_waitcnt vmcnt(6) lgkmcnt(1)
	v_fma_f64 v[99:100], v[131:132], v[103:104], v[99:100]
	s_waitcnt vmcnt(3)
	v_fma_f64 v[99:100], v[107:108], v[105:106], v[99:100]
	s_waitcnt vmcnt(2) lgkmcnt(0)
	v_fma_f64 v[99:100], v[137:138], v[101:102], v[99:100]
	s_waitcnt vmcnt(0)
	v_add_f64 v[99:100], v[109:110], -v[99:100]
	buffer_store_dword v100, off, s[0:3], 0 offset:244
	buffer_store_dword v99, off, s[0:3], 0 offset:240
	v_cmpx_lt_u32_e32 29, v0
	s_cbranch_execz .LBB47_239
; %bb.238:
	s_clause 0x1
	buffer_load_dword v99, off, s[0:3], 0 offset:232
	buffer_load_dword v100, off, s[0:3], 0 offset:236
	buffer_store_dword v98, off, s[0:3], 0 offset:232
	buffer_store_dword v98, off, s[0:3], 0 offset:236
	s_waitcnt vmcnt(0)
	ds_write_b64 v97, v[99:100]
.LBB47_239:
	s_or_b32 exec_lo, exec_lo, s4
	s_waitcnt lgkmcnt(0)
	s_waitcnt_vscnt null, 0x0
	s_barrier
	buffer_gl0_inv
	s_clause 0x1c
	buffer_load_dword v107, off, s[0:3], 0 offset:240
	buffer_load_dword v108, off, s[0:3], 0 offset:244
	;; [unrolled: 1-line block ×29, first 2 shown]
	ds_read_b128 v[99:102], v98 offset:624
	ds_read_b128 v[103:106], v98 offset:640
	buffer_load_dword v132, off, s[0:3], 0 offset:356
	s_mov_b32 s4, exec_lo
	s_waitcnt vmcnt(28) lgkmcnt(1)
	v_fma_f64 v[99:100], v[107:108], v[99:100], 0
	s_clause 0x5
	buffer_load_dword v108, off, s[0:3], 0 offset:364
	buffer_load_dword v137, off, s[0:3], 0 offset:376
	;; [unrolled: 1-line block ×6, first 2 shown]
	s_waitcnt vmcnt(32)
	v_fma_f64 v[99:100], v[109:110], v[101:102], v[99:100]
	s_waitcnt vmcnt(30) lgkmcnt(0)
	v_fma_f64 v[99:100], v[111:112], v[103:104], v[99:100]
	s_waitcnt vmcnt(28)
	v_fma_f64 v[109:110], v[113:114], v[105:106], v[99:100]
	ds_read_b128 v[99:102], v98 offset:656
	s_clause 0x1
	buffer_load_dword v111, off, s[0:3], 0 offset:232
	buffer_load_dword v112, off, s[0:3], 0 offset:236
	ds_read_b128 v[103:106], v98 offset:672
	s_waitcnt vmcnt(28) lgkmcnt(1)
	v_fma_f64 v[99:100], v[115:116], v[99:100], v[109:110]
	s_waitcnt vmcnt(26)
	v_fma_f64 v[99:100], v[117:118], v[101:102], v[99:100]
	s_waitcnt vmcnt(24) lgkmcnt(0)
	v_fma_f64 v[99:100], v[119:120], v[103:104], v[99:100]
	s_waitcnt vmcnt(19)
	v_fma_f64 v[109:110], v[121:122], v[105:106], v[99:100]
	ds_read_b128 v[99:102], v98 offset:688
	ds_read_b128 v[103:106], v98 offset:704
	s_waitcnt vmcnt(18) lgkmcnt(1)
	v_fma_f64 v[99:100], v[127:128], v[99:100], v[109:110]
	s_waitcnt vmcnt(17)
	v_fma_f64 v[99:100], v[125:126], v[101:102], v[99:100]
	s_waitcnt vmcnt(16) lgkmcnt(0)
	v_fma_f64 v[99:100], v[123:124], v[103:104], v[99:100]
	s_waitcnt vmcnt(11)
	v_fma_f64 v[109:110], v[129:130], v[105:106], v[99:100]
	ds_read_b128 v[99:102], v98 offset:720
	;; [unrolled: 10-line block ×3, first 2 shown]
	s_waitcnt vmcnt(3) lgkmcnt(0)
	v_fma_f64 v[98:99], v[139:140], v[98:99], v[102:103]
	s_waitcnt vmcnt(2)
	v_fma_f64 v[98:99], v[137:138], v[100:101], v[98:99]
	s_waitcnt vmcnt(0)
	v_add_f64 v[98:99], v[111:112], -v[98:99]
	buffer_store_dword v99, off, s[0:3], 0 offset:236
	buffer_store_dword v98, off, s[0:3], 0 offset:232
	v_cmpx_lt_u32_e32 28, v0
	s_cbranch_execz .LBB47_241
; %bb.240:
	s_clause 0x1
	buffer_load_dword v98, off, s[0:3], 0 offset:224
	buffer_load_dword v99, off, s[0:3], 0 offset:228
	v_mov_b32_e32 v100, 0
	buffer_store_dword v100, off, s[0:3], 0 offset:224
	buffer_store_dword v100, off, s[0:3], 0 offset:228
	s_waitcnt vmcnt(0)
	ds_write_b64 v97, v[98:99]
.LBB47_241:
	s_or_b32 exec_lo, exec_lo, s4
	s_waitcnt lgkmcnt(0)
	s_waitcnt_vscnt null, 0x0
	s_barrier
	buffer_gl0_inv
	s_clause 0x1c
	buffer_load_dword v107, off, s[0:3], 0 offset:232
	buffer_load_dword v108, off, s[0:3], 0 offset:236
	;; [unrolled: 1-line block ×29, first 2 shown]
	v_mov_b32_e32 v98, 0
	buffer_load_dword v132, off, s[0:3], 0 offset:348
	s_mov_b32 s4, exec_lo
	ds_read2_b64 v[99:102], v98 offset0:77 offset1:78
	ds_read2_b64 v[103:106], v98 offset0:79 offset1:80
	s_waitcnt vmcnt(28) lgkmcnt(1)
	v_fma_f64 v[99:100], v[107:108], v[99:100], 0
	s_clause 0x7
	buffer_load_dword v108, off, s[0:3], 0 offset:356
	buffer_load_dword v137, off, s[0:3], 0 offset:376
	;; [unrolled: 1-line block ×8, first 2 shown]
	s_waitcnt vmcnt(34)
	v_fma_f64 v[99:100], v[109:110], v[101:102], v[99:100]
	s_waitcnt vmcnt(32) lgkmcnt(0)
	v_fma_f64 v[99:100], v[111:112], v[103:104], v[99:100]
	s_waitcnt vmcnt(30)
	v_fma_f64 v[109:110], v[113:114], v[105:106], v[99:100]
	ds_read2_b64 v[99:102], v98 offset0:81 offset1:82
	ds_read2_b64 v[103:106], v98 offset0:83 offset1:84
	s_waitcnt vmcnt(28) lgkmcnt(1)
	v_fma_f64 v[99:100], v[115:116], v[99:100], v[109:110]
	s_clause 0x1
	buffer_load_dword v109, off, s[0:3], 0 offset:224
	buffer_load_dword v110, off, s[0:3], 0 offset:228
	s_waitcnt vmcnt(28)
	v_fma_f64 v[99:100], v[117:118], v[101:102], v[99:100]
	s_waitcnt vmcnt(26) lgkmcnt(0)
	v_fma_f64 v[99:100], v[119:120], v[103:104], v[99:100]
	s_waitcnt vmcnt(21)
	v_fma_f64 v[111:112], v[121:122], v[105:106], v[99:100]
	ds_read2_b64 v[99:102], v98 offset0:85 offset1:86
	ds_read2_b64 v[103:106], v98 offset0:87 offset1:88
	s_waitcnt vmcnt(20) lgkmcnt(1)
	v_fma_f64 v[99:100], v[127:128], v[99:100], v[111:112]
	s_waitcnt vmcnt(19)
	v_fma_f64 v[99:100], v[125:126], v[101:102], v[99:100]
	s_waitcnt vmcnt(18) lgkmcnt(0)
	v_fma_f64 v[99:100], v[123:124], v[103:104], v[99:100]
	s_waitcnt vmcnt(13)
	v_fma_f64 v[111:112], v[129:130], v[105:106], v[99:100]
	ds_read2_b64 v[99:102], v98 offset0:89 offset1:90
	ds_read2_b64 v[103:106], v98 offset0:91 offset1:92
	s_waitcnt vmcnt(12) lgkmcnt(1)
	v_fma_f64 v[99:100], v[135:136], v[99:100], v[111:112]
	s_waitcnt vmcnt(11)
	v_fma_f64 v[99:100], v[133:134], v[101:102], v[99:100]
	s_waitcnt vmcnt(10) lgkmcnt(0)
	v_fma_f64 v[99:100], v[131:132], v[103:104], v[99:100]
	s_waitcnt vmcnt(5)
	v_fma_f64 v[103:104], v[107:108], v[105:106], v[99:100]
	ds_read2_b64 v[99:102], v98 offset0:93 offset1:94
	ds_read_b64 v[105:106], v98 offset:760
	s_waitcnt vmcnt(4) lgkmcnt(1)
	v_fma_f64 v[99:100], v[141:142], v[99:100], v[103:104]
	s_waitcnt vmcnt(3)
	v_fma_f64 v[99:100], v[139:140], v[101:102], v[99:100]
	s_waitcnt vmcnt(2) lgkmcnt(0)
	v_fma_f64 v[99:100], v[137:138], v[105:106], v[99:100]
	s_waitcnt vmcnt(0)
	v_add_f64 v[99:100], v[109:110], -v[99:100]
	buffer_store_dword v100, off, s[0:3], 0 offset:228
	buffer_store_dword v99, off, s[0:3], 0 offset:224
	v_cmpx_lt_u32_e32 27, v0
	s_cbranch_execz .LBB47_243
; %bb.242:
	s_clause 0x1
	buffer_load_dword v99, off, s[0:3], 0 offset:216
	buffer_load_dword v100, off, s[0:3], 0 offset:220
	buffer_store_dword v98, off, s[0:3], 0 offset:216
	buffer_store_dword v98, off, s[0:3], 0 offset:220
	s_waitcnt vmcnt(0)
	ds_write_b64 v97, v[99:100]
.LBB47_243:
	s_or_b32 exec_lo, exec_lo, s4
	s_waitcnt lgkmcnt(0)
	s_waitcnt_vscnt null, 0x0
	s_barrier
	buffer_gl0_inv
	s_clause 0x1c
	buffer_load_dword v107, off, s[0:3], 0 offset:224
	buffer_load_dword v108, off, s[0:3], 0 offset:228
	;; [unrolled: 1-line block ×29, first 2 shown]
	ds_read_b128 v[99:102], v98 offset:608
	ds_read_b128 v[103:106], v98 offset:624
	buffer_load_dword v132, off, s[0:3], 0 offset:340
	s_mov_b32 s4, exec_lo
	s_waitcnt vmcnt(28) lgkmcnt(1)
	v_fma_f64 v[99:100], v[107:108], v[99:100], 0
	s_clause 0x7
	buffer_load_dword v108, off, s[0:3], 0 offset:348
	buffer_load_dword v137, off, s[0:3], 0 offset:368
	;; [unrolled: 1-line block ×8, first 2 shown]
	s_waitcnt vmcnt(34)
	v_fma_f64 v[99:100], v[109:110], v[101:102], v[99:100]
	s_waitcnt vmcnt(32) lgkmcnt(0)
	v_fma_f64 v[99:100], v[111:112], v[103:104], v[99:100]
	s_waitcnt vmcnt(30)
	v_fma_f64 v[109:110], v[113:114], v[105:106], v[99:100]
	ds_read_b128 v[99:102], v98 offset:640
	ds_read_b128 v[103:106], v98 offset:656
	s_waitcnt vmcnt(28) lgkmcnt(1)
	v_fma_f64 v[99:100], v[115:116], v[99:100], v[109:110]
	s_clause 0x3
	buffer_load_dword v110, off, s[0:3], 0 offset:380
	buffer_load_dword v109, off, s[0:3], 0 offset:376
	;; [unrolled: 1-line block ×4, first 2 shown]
	s_waitcnt vmcnt(30)
	v_fma_f64 v[99:100], v[117:118], v[101:102], v[99:100]
	s_waitcnt vmcnt(28) lgkmcnt(0)
	v_fma_f64 v[99:100], v[119:120], v[103:104], v[99:100]
	s_waitcnt vmcnt(23)
	v_fma_f64 v[113:114], v[121:122], v[105:106], v[99:100]
	ds_read_b128 v[99:102], v98 offset:672
	ds_read_b128 v[103:106], v98 offset:688
	s_waitcnt vmcnt(22) lgkmcnt(1)
	v_fma_f64 v[99:100], v[127:128], v[99:100], v[113:114]
	s_waitcnt vmcnt(21)
	v_fma_f64 v[99:100], v[125:126], v[101:102], v[99:100]
	s_waitcnt vmcnt(20) lgkmcnt(0)
	v_fma_f64 v[99:100], v[123:124], v[103:104], v[99:100]
	s_waitcnt vmcnt(15)
	v_fma_f64 v[113:114], v[129:130], v[105:106], v[99:100]
	ds_read_b128 v[99:102], v98 offset:704
	ds_read_b128 v[103:106], v98 offset:720
	s_waitcnt vmcnt(14) lgkmcnt(1)
	v_fma_f64 v[99:100], v[135:136], v[99:100], v[113:114]
	s_waitcnt vmcnt(13)
	v_fma_f64 v[99:100], v[133:134], v[101:102], v[99:100]
	s_waitcnt vmcnt(12) lgkmcnt(0)
	v_fma_f64 v[99:100], v[131:132], v[103:104], v[99:100]
	s_waitcnt vmcnt(7)
	v_fma_f64 v[107:108], v[107:108], v[105:106], v[99:100]
	ds_read_b128 v[99:102], v98 offset:736
	ds_read_b128 v[103:106], v98 offset:752
	s_waitcnt vmcnt(6) lgkmcnt(1)
	v_fma_f64 v[98:99], v[141:142], v[99:100], v[107:108]
	s_waitcnt vmcnt(5)
	v_fma_f64 v[98:99], v[139:140], v[101:102], v[98:99]
	s_waitcnt vmcnt(4) lgkmcnt(0)
	v_fma_f64 v[98:99], v[137:138], v[103:104], v[98:99]
	s_waitcnt vmcnt(2)
	v_fma_f64 v[98:99], v[109:110], v[105:106], v[98:99]
	s_waitcnt vmcnt(0)
	v_add_f64 v[98:99], v[111:112], -v[98:99]
	buffer_store_dword v99, off, s[0:3], 0 offset:220
	buffer_store_dword v98, off, s[0:3], 0 offset:216
	v_cmpx_lt_u32_e32 26, v0
	s_cbranch_execz .LBB47_245
; %bb.244:
	s_clause 0x1
	buffer_load_dword v98, off, s[0:3], 0 offset:208
	buffer_load_dword v99, off, s[0:3], 0 offset:212
	v_mov_b32_e32 v100, 0
	buffer_store_dword v100, off, s[0:3], 0 offset:208
	buffer_store_dword v100, off, s[0:3], 0 offset:212
	s_waitcnt vmcnt(0)
	ds_write_b64 v97, v[98:99]
.LBB47_245:
	s_or_b32 exec_lo, exec_lo, s4
	s_waitcnt lgkmcnt(0)
	s_waitcnt_vscnt null, 0x0
	s_barrier
	buffer_gl0_inv
	s_clause 0x1c
	buffer_load_dword v107, off, s[0:3], 0 offset:216
	buffer_load_dword v108, off, s[0:3], 0 offset:220
	;; [unrolled: 1-line block ×29, first 2 shown]
	v_mov_b32_e32 v98, 0
	buffer_load_dword v132, off, s[0:3], 0 offset:332
	s_mov_b32 s4, exec_lo
	ds_read2_b64 v[99:102], v98 offset0:75 offset1:76
	ds_read2_b64 v[103:106], v98 offset0:77 offset1:78
	s_waitcnt vmcnt(28) lgkmcnt(1)
	v_fma_f64 v[99:100], v[107:108], v[99:100], 0
	s_clause 0x7
	buffer_load_dword v108, off, s[0:3], 0 offset:340
	buffer_load_dword v137, off, s[0:3], 0 offset:360
	;; [unrolled: 1-line block ×8, first 2 shown]
	s_waitcnt vmcnt(34)
	v_fma_f64 v[99:100], v[109:110], v[101:102], v[99:100]
	s_waitcnt vmcnt(32) lgkmcnt(0)
	v_fma_f64 v[99:100], v[111:112], v[103:104], v[99:100]
	s_waitcnt vmcnt(30)
	v_fma_f64 v[109:110], v[113:114], v[105:106], v[99:100]
	ds_read2_b64 v[99:102], v98 offset0:79 offset1:80
	ds_read2_b64 v[103:106], v98 offset0:81 offset1:82
	s_waitcnt vmcnt(28) lgkmcnt(1)
	v_fma_f64 v[99:100], v[115:116], v[99:100], v[109:110]
	s_clause 0x5
	buffer_load_dword v110, off, s[0:3], 0 offset:372
	buffer_load_dword v111, off, s[0:3], 0 offset:376
	;; [unrolled: 1-line block ×6, first 2 shown]
	s_waitcnt vmcnt(32)
	v_fma_f64 v[99:100], v[117:118], v[101:102], v[99:100]
	s_waitcnt vmcnt(30) lgkmcnt(0)
	v_fma_f64 v[99:100], v[119:120], v[103:104], v[99:100]
	s_waitcnt vmcnt(25)
	v_fma_f64 v[115:116], v[121:122], v[105:106], v[99:100]
	ds_read2_b64 v[99:102], v98 offset0:83 offset1:84
	ds_read2_b64 v[103:106], v98 offset0:85 offset1:86
	s_waitcnt vmcnt(24) lgkmcnt(1)
	v_fma_f64 v[99:100], v[127:128], v[99:100], v[115:116]
	s_waitcnt vmcnt(23)
	v_fma_f64 v[99:100], v[125:126], v[101:102], v[99:100]
	s_waitcnt vmcnt(22) lgkmcnt(0)
	v_fma_f64 v[99:100], v[123:124], v[103:104], v[99:100]
	s_waitcnt vmcnt(17)
	v_fma_f64 v[115:116], v[129:130], v[105:106], v[99:100]
	ds_read2_b64 v[99:102], v98 offset0:87 offset1:88
	ds_read2_b64 v[103:106], v98 offset0:89 offset1:90
	s_waitcnt vmcnt(16) lgkmcnt(1)
	v_fma_f64 v[99:100], v[135:136], v[99:100], v[115:116]
	;; [unrolled: 10-line block ×3, first 2 shown]
	s_waitcnt vmcnt(7)
	v_fma_f64 v[99:100], v[139:140], v[101:102], v[99:100]
	ds_read_b64 v[101:102], v98 offset:760
	s_waitcnt vmcnt(6) lgkmcnt(1)
	v_fma_f64 v[99:100], v[137:138], v[103:104], v[99:100]
	s_waitcnt vmcnt(3)
	v_fma_f64 v[99:100], v[109:110], v[105:106], v[99:100]
	s_waitcnt vmcnt(2) lgkmcnt(0)
	v_fma_f64 v[99:100], v[111:112], v[101:102], v[99:100]
	s_waitcnt vmcnt(0)
	v_add_f64 v[99:100], v[113:114], -v[99:100]
	buffer_store_dword v100, off, s[0:3], 0 offset:212
	buffer_store_dword v99, off, s[0:3], 0 offset:208
	v_cmpx_lt_u32_e32 25, v0
	s_cbranch_execz .LBB47_247
; %bb.246:
	s_clause 0x1
	buffer_load_dword v99, off, s[0:3], 0 offset:200
	buffer_load_dword v100, off, s[0:3], 0 offset:204
	buffer_store_dword v98, off, s[0:3], 0 offset:200
	buffer_store_dword v98, off, s[0:3], 0 offset:204
	s_waitcnt vmcnt(0)
	ds_write_b64 v97, v[99:100]
.LBB47_247:
	s_or_b32 exec_lo, exec_lo, s4
	s_waitcnt lgkmcnt(0)
	s_waitcnt_vscnt null, 0x0
	s_barrier
	buffer_gl0_inv
	s_clause 0x1c
	buffer_load_dword v107, off, s[0:3], 0 offset:208
	buffer_load_dword v108, off, s[0:3], 0 offset:212
	;; [unrolled: 1-line block ×29, first 2 shown]
	ds_read_b128 v[99:102], v98 offset:592
	ds_read_b128 v[103:106], v98 offset:608
	buffer_load_dword v132, off, s[0:3], 0 offset:324
	s_mov_b32 s4, exec_lo
	s_waitcnt vmcnt(28) lgkmcnt(1)
	v_fma_f64 v[99:100], v[107:108], v[99:100], 0
	s_clause 0x7
	buffer_load_dword v108, off, s[0:3], 0 offset:332
	buffer_load_dword v137, off, s[0:3], 0 offset:352
	;; [unrolled: 1-line block ×8, first 2 shown]
	s_waitcnt vmcnt(34)
	v_fma_f64 v[99:100], v[109:110], v[101:102], v[99:100]
	s_waitcnt vmcnt(32) lgkmcnt(0)
	v_fma_f64 v[99:100], v[111:112], v[103:104], v[99:100]
	s_waitcnt vmcnt(30)
	v_fma_f64 v[109:110], v[113:114], v[105:106], v[99:100]
	ds_read_b128 v[99:102], v98 offset:624
	ds_read_b128 v[103:106], v98 offset:640
	s_waitcnt vmcnt(28) lgkmcnt(1)
	v_fma_f64 v[99:100], v[115:116], v[99:100], v[109:110]
	s_clause 0x5
	buffer_load_dword v110, off, s[0:3], 0 offset:364
	buffer_load_dword v111, off, s[0:3], 0 offset:376
	;; [unrolled: 1-line block ×6, first 2 shown]
	s_waitcnt vmcnt(32)
	v_fma_f64 v[99:100], v[117:118], v[101:102], v[99:100]
	s_waitcnt vmcnt(30) lgkmcnt(0)
	v_fma_f64 v[99:100], v[119:120], v[103:104], v[99:100]
	s_waitcnt vmcnt(25)
	v_fma_f64 v[115:116], v[121:122], v[105:106], v[99:100]
	ds_read_b128 v[99:102], v98 offset:656
	s_clause 0x1
	buffer_load_dword v117, off, s[0:3], 0 offset:200
	buffer_load_dword v118, off, s[0:3], 0 offset:204
	ds_read_b128 v[103:106], v98 offset:672
	s_waitcnt vmcnt(26) lgkmcnt(1)
	v_fma_f64 v[99:100], v[127:128], v[99:100], v[115:116]
	s_waitcnt vmcnt(25)
	v_fma_f64 v[99:100], v[125:126], v[101:102], v[99:100]
	s_waitcnt vmcnt(24) lgkmcnt(0)
	v_fma_f64 v[99:100], v[123:124], v[103:104], v[99:100]
	s_waitcnt vmcnt(19)
	v_fma_f64 v[115:116], v[129:130], v[105:106], v[99:100]
	ds_read_b128 v[99:102], v98 offset:688
	ds_read_b128 v[103:106], v98 offset:704
	s_waitcnt vmcnt(18) lgkmcnt(1)
	v_fma_f64 v[99:100], v[135:136], v[99:100], v[115:116]
	s_waitcnt vmcnt(17)
	v_fma_f64 v[99:100], v[133:134], v[101:102], v[99:100]
	s_waitcnt vmcnt(16) lgkmcnt(0)
	v_fma_f64 v[99:100], v[131:132], v[103:104], v[99:100]
	s_waitcnt vmcnt(11)
	v_fma_f64 v[107:108], v[107:108], v[105:106], v[99:100]
	ds_read_b128 v[99:102], v98 offset:720
	ds_read_b128 v[103:106], v98 offset:736
	s_waitcnt vmcnt(10) lgkmcnt(1)
	v_fma_f64 v[99:100], v[141:142], v[99:100], v[107:108]
	s_waitcnt vmcnt(9)
	v_fma_f64 v[99:100], v[139:140], v[101:102], v[99:100]
	s_waitcnt vmcnt(8) lgkmcnt(0)
	v_fma_f64 v[99:100], v[137:138], v[103:104], v[99:100]
	s_waitcnt vmcnt(4)
	v_fma_f64 v[102:103], v[109:110], v[105:106], v[99:100]
	ds_read_b128 v[98:101], v98 offset:752
	s_waitcnt vmcnt(3) lgkmcnt(0)
	v_fma_f64 v[98:99], v[113:114], v[98:99], v[102:103]
	s_waitcnt vmcnt(2)
	v_fma_f64 v[98:99], v[111:112], v[100:101], v[98:99]
	s_waitcnt vmcnt(0)
	v_add_f64 v[98:99], v[117:118], -v[98:99]
	buffer_store_dword v99, off, s[0:3], 0 offset:204
	buffer_store_dword v98, off, s[0:3], 0 offset:200
	v_cmpx_lt_u32_e32 24, v0
	s_cbranch_execz .LBB47_249
; %bb.248:
	s_clause 0x1
	buffer_load_dword v98, off, s[0:3], 0 offset:192
	buffer_load_dword v99, off, s[0:3], 0 offset:196
	v_mov_b32_e32 v100, 0
	buffer_store_dword v100, off, s[0:3], 0 offset:192
	buffer_store_dword v100, off, s[0:3], 0 offset:196
	s_waitcnt vmcnt(0)
	ds_write_b64 v97, v[98:99]
.LBB47_249:
	s_or_b32 exec_lo, exec_lo, s4
	s_waitcnt lgkmcnt(0)
	s_waitcnt_vscnt null, 0x0
	s_barrier
	buffer_gl0_inv
	s_clause 0x1c
	buffer_load_dword v107, off, s[0:3], 0 offset:200
	buffer_load_dword v108, off, s[0:3], 0 offset:204
	;; [unrolled: 1-line block ×29, first 2 shown]
	v_mov_b32_e32 v98, 0
	buffer_load_dword v132, off, s[0:3], 0 offset:316
	s_mov_b32 s4, exec_lo
	ds_read2_b64 v[99:102], v98 offset0:73 offset1:74
	ds_read2_b64 v[103:106], v98 offset0:75 offset1:76
	s_waitcnt vmcnt(28) lgkmcnt(1)
	v_fma_f64 v[99:100], v[107:108], v[99:100], 0
	s_clause 0x7
	buffer_load_dword v108, off, s[0:3], 0 offset:324
	buffer_load_dword v137, off, s[0:3], 0 offset:344
	;; [unrolled: 1-line block ×8, first 2 shown]
	s_waitcnt vmcnt(34)
	v_fma_f64 v[99:100], v[109:110], v[101:102], v[99:100]
	s_waitcnt vmcnt(32) lgkmcnt(0)
	v_fma_f64 v[99:100], v[111:112], v[103:104], v[99:100]
	s_waitcnt vmcnt(30)
	v_fma_f64 v[109:110], v[113:114], v[105:106], v[99:100]
	ds_read2_b64 v[99:102], v98 offset0:77 offset1:78
	ds_read2_b64 v[103:106], v98 offset0:79 offset1:80
	s_waitcnt vmcnt(28) lgkmcnt(1)
	v_fma_f64 v[99:100], v[115:116], v[99:100], v[109:110]
	s_clause 0x7
	buffer_load_dword v110, off, s[0:3], 0 offset:356
	buffer_load_dword v111, off, s[0:3], 0 offset:376
	;; [unrolled: 1-line block ×8, first 2 shown]
	s_waitcnt vmcnt(34)
	v_fma_f64 v[99:100], v[117:118], v[101:102], v[99:100]
	s_waitcnt vmcnt(32) lgkmcnt(0)
	v_fma_f64 v[99:100], v[119:120], v[103:104], v[99:100]
	s_waitcnt vmcnt(27)
	v_fma_f64 v[117:118], v[121:122], v[105:106], v[99:100]
	ds_read2_b64 v[99:102], v98 offset0:81 offset1:82
	ds_read2_b64 v[103:106], v98 offset0:83 offset1:84
	s_waitcnt vmcnt(26) lgkmcnt(1)
	v_fma_f64 v[99:100], v[127:128], v[99:100], v[117:118]
	s_clause 0x1
	buffer_load_dword v117, off, s[0:3], 0 offset:192
	buffer_load_dword v118, off, s[0:3], 0 offset:196
	s_waitcnt vmcnt(27)
	v_fma_f64 v[99:100], v[125:126], v[101:102], v[99:100]
	s_waitcnt vmcnt(26) lgkmcnt(0)
	v_fma_f64 v[99:100], v[123:124], v[103:104], v[99:100]
	s_waitcnt vmcnt(21)
	v_fma_f64 v[119:120], v[129:130], v[105:106], v[99:100]
	ds_read2_b64 v[99:102], v98 offset0:85 offset1:86
	ds_read2_b64 v[103:106], v98 offset0:87 offset1:88
	s_waitcnt vmcnt(20) lgkmcnt(1)
	v_fma_f64 v[99:100], v[135:136], v[99:100], v[119:120]
	s_waitcnt vmcnt(19)
	v_fma_f64 v[99:100], v[133:134], v[101:102], v[99:100]
	s_waitcnt vmcnt(18) lgkmcnt(0)
	v_fma_f64 v[99:100], v[131:132], v[103:104], v[99:100]
	s_waitcnt vmcnt(13)
	v_fma_f64 v[107:108], v[107:108], v[105:106], v[99:100]
	ds_read2_b64 v[99:102], v98 offset0:89 offset1:90
	ds_read2_b64 v[103:106], v98 offset0:91 offset1:92
	s_waitcnt vmcnt(12) lgkmcnt(1)
	v_fma_f64 v[99:100], v[141:142], v[99:100], v[107:108]
	s_waitcnt vmcnt(11)
	v_fma_f64 v[99:100], v[139:140], v[101:102], v[99:100]
	s_waitcnt vmcnt(10) lgkmcnt(0)
	v_fma_f64 v[99:100], v[137:138], v[103:104], v[99:100]
	s_waitcnt vmcnt(5)
	v_fma_f64 v[103:104], v[109:110], v[105:106], v[99:100]
	ds_read2_b64 v[99:102], v98 offset0:93 offset1:94
	ds_read_b64 v[105:106], v98 offset:760
	s_waitcnt vmcnt(4) lgkmcnt(1)
	v_fma_f64 v[99:100], v[115:116], v[99:100], v[103:104]
	s_waitcnt vmcnt(3)
	v_fma_f64 v[99:100], v[113:114], v[101:102], v[99:100]
	s_waitcnt vmcnt(2) lgkmcnt(0)
	v_fma_f64 v[99:100], v[111:112], v[105:106], v[99:100]
	s_waitcnt vmcnt(0)
	v_add_f64 v[99:100], v[117:118], -v[99:100]
	buffer_store_dword v100, off, s[0:3], 0 offset:196
	buffer_store_dword v99, off, s[0:3], 0 offset:192
	v_cmpx_lt_u32_e32 23, v0
	s_cbranch_execz .LBB47_251
; %bb.250:
	s_clause 0x1
	buffer_load_dword v99, off, s[0:3], 0 offset:184
	buffer_load_dword v100, off, s[0:3], 0 offset:188
	buffer_store_dword v98, off, s[0:3], 0 offset:184
	buffer_store_dword v98, off, s[0:3], 0 offset:188
	s_waitcnt vmcnt(0)
	ds_write_b64 v97, v[99:100]
.LBB47_251:
	s_or_b32 exec_lo, exec_lo, s4
	s_waitcnt lgkmcnt(0)
	s_waitcnt_vscnt null, 0x0
	s_barrier
	buffer_gl0_inv
	s_clause 0x1c
	buffer_load_dword v107, off, s[0:3], 0 offset:192
	buffer_load_dword v108, off, s[0:3], 0 offset:196
	;; [unrolled: 1-line block ×29, first 2 shown]
	ds_read_b128 v[99:102], v98 offset:576
	ds_read_b128 v[103:106], v98 offset:592
	buffer_load_dword v132, off, s[0:3], 0 offset:308
	s_mov_b32 s4, exec_lo
	s_waitcnt vmcnt(28) lgkmcnt(1)
	v_fma_f64 v[99:100], v[107:108], v[99:100], 0
	s_clause 0x7
	buffer_load_dword v108, off, s[0:3], 0 offset:316
	buffer_load_dword v137, off, s[0:3], 0 offset:336
	;; [unrolled: 1-line block ×8, first 2 shown]
	s_waitcnt vmcnt(34)
	v_fma_f64 v[99:100], v[109:110], v[101:102], v[99:100]
	s_waitcnt vmcnt(32) lgkmcnt(0)
	v_fma_f64 v[99:100], v[111:112], v[103:104], v[99:100]
	s_waitcnt vmcnt(30)
	v_fma_f64 v[109:110], v[113:114], v[105:106], v[99:100]
	ds_read_b128 v[99:102], v98 offset:608
	ds_read_b128 v[103:106], v98 offset:624
	s_waitcnt vmcnt(28) lgkmcnt(1)
	v_fma_f64 v[99:100], v[115:116], v[99:100], v[109:110]
	s_clause 0x7
	buffer_load_dword v110, off, s[0:3], 0 offset:348
	buffer_load_dword v111, off, s[0:3], 0 offset:368
	buffer_load_dword v113, off, s[0:3], 0 offset:360
	buffer_load_dword v115, off, s[0:3], 0 offset:352
	buffer_load_dword v109, off, s[0:3], 0 offset:344
	buffer_load_dword v116, off, s[0:3], 0 offset:356
	buffer_load_dword v114, off, s[0:3], 0 offset:364
	buffer_load_dword v112, off, s[0:3], 0 offset:372
	s_waitcnt vmcnt(34)
	v_fma_f64 v[99:100], v[117:118], v[101:102], v[99:100]
	s_waitcnt vmcnt(32) lgkmcnt(0)
	v_fma_f64 v[99:100], v[119:120], v[103:104], v[99:100]
	s_waitcnt vmcnt(27)
	v_fma_f64 v[117:118], v[121:122], v[105:106], v[99:100]
	ds_read_b128 v[99:102], v98 offset:640
	ds_read_b128 v[103:106], v98 offset:656
	s_waitcnt vmcnt(26) lgkmcnt(1)
	v_fma_f64 v[99:100], v[127:128], v[99:100], v[117:118]
	s_clause 0x3
	buffer_load_dword v118, off, s[0:3], 0 offset:380
	buffer_load_dword v117, off, s[0:3], 0 offset:376
	;; [unrolled: 1-line block ×4, first 2 shown]
	s_waitcnt vmcnt(29)
	v_fma_f64 v[99:100], v[125:126], v[101:102], v[99:100]
	s_waitcnt vmcnt(28) lgkmcnt(0)
	v_fma_f64 v[99:100], v[123:124], v[103:104], v[99:100]
	s_waitcnt vmcnt(23)
	v_fma_f64 v[121:122], v[129:130], v[105:106], v[99:100]
	ds_read_b128 v[99:102], v98 offset:672
	ds_read_b128 v[103:106], v98 offset:688
	s_waitcnt vmcnt(22) lgkmcnt(1)
	v_fma_f64 v[99:100], v[135:136], v[99:100], v[121:122]
	s_waitcnt vmcnt(21)
	v_fma_f64 v[99:100], v[133:134], v[101:102], v[99:100]
	s_waitcnt vmcnt(20) lgkmcnt(0)
	v_fma_f64 v[99:100], v[131:132], v[103:104], v[99:100]
	s_waitcnt vmcnt(15)
	v_fma_f64 v[107:108], v[107:108], v[105:106], v[99:100]
	ds_read_b128 v[99:102], v98 offset:704
	ds_read_b128 v[103:106], v98 offset:720
	s_waitcnt vmcnt(14) lgkmcnt(1)
	v_fma_f64 v[99:100], v[141:142], v[99:100], v[107:108]
	;; [unrolled: 10-line block ×3, first 2 shown]
	s_waitcnt vmcnt(5)
	v_fma_f64 v[98:99], v[113:114], v[101:102], v[98:99]
	s_waitcnt vmcnt(4) lgkmcnt(0)
	v_fma_f64 v[98:99], v[111:112], v[103:104], v[98:99]
	s_waitcnt vmcnt(2)
	v_fma_f64 v[98:99], v[117:118], v[105:106], v[98:99]
	s_waitcnt vmcnt(0)
	v_add_f64 v[98:99], v[119:120], -v[98:99]
	buffer_store_dword v99, off, s[0:3], 0 offset:188
	buffer_store_dword v98, off, s[0:3], 0 offset:184
	v_cmpx_lt_u32_e32 22, v0
	s_cbranch_execz .LBB47_253
; %bb.252:
	s_clause 0x1
	buffer_load_dword v98, off, s[0:3], 0 offset:176
	buffer_load_dword v99, off, s[0:3], 0 offset:180
	v_mov_b32_e32 v100, 0
	buffer_store_dword v100, off, s[0:3], 0 offset:176
	buffer_store_dword v100, off, s[0:3], 0 offset:180
	s_waitcnt vmcnt(0)
	ds_write_b64 v97, v[98:99]
.LBB47_253:
	s_or_b32 exec_lo, exec_lo, s4
	s_waitcnt lgkmcnt(0)
	s_waitcnt_vscnt null, 0x0
	s_barrier
	buffer_gl0_inv
	s_clause 0x1c
	buffer_load_dword v107, off, s[0:3], 0 offset:184
	buffer_load_dword v108, off, s[0:3], 0 offset:188
	;; [unrolled: 1-line block ×29, first 2 shown]
	v_mov_b32_e32 v98, 0
	buffer_load_dword v132, off, s[0:3], 0 offset:300
	s_mov_b32 s4, exec_lo
	ds_read2_b64 v[99:102], v98 offset0:71 offset1:72
	ds_read2_b64 v[103:106], v98 offset0:73 offset1:74
	s_waitcnt vmcnt(28) lgkmcnt(1)
	v_fma_f64 v[99:100], v[107:108], v[99:100], 0
	s_clause 0x7
	buffer_load_dword v108, off, s[0:3], 0 offset:308
	buffer_load_dword v137, off, s[0:3], 0 offset:328
	;; [unrolled: 1-line block ×8, first 2 shown]
	s_waitcnt vmcnt(34)
	v_fma_f64 v[99:100], v[109:110], v[101:102], v[99:100]
	s_waitcnt vmcnt(32) lgkmcnt(0)
	v_fma_f64 v[99:100], v[111:112], v[103:104], v[99:100]
	s_waitcnt vmcnt(30)
	v_fma_f64 v[109:110], v[113:114], v[105:106], v[99:100]
	ds_read2_b64 v[99:102], v98 offset0:75 offset1:76
	ds_read2_b64 v[103:106], v98 offset0:77 offset1:78
	s_waitcnt vmcnt(28) lgkmcnt(1)
	v_fma_f64 v[99:100], v[115:116], v[99:100], v[109:110]
	s_clause 0x7
	buffer_load_dword v110, off, s[0:3], 0 offset:340
	buffer_load_dword v111, off, s[0:3], 0 offset:360
	;; [unrolled: 1-line block ×8, first 2 shown]
	s_waitcnt vmcnt(34)
	v_fma_f64 v[99:100], v[117:118], v[101:102], v[99:100]
	s_waitcnt vmcnt(32) lgkmcnt(0)
	v_fma_f64 v[99:100], v[119:120], v[103:104], v[99:100]
	s_waitcnt vmcnt(27)
	v_fma_f64 v[117:118], v[121:122], v[105:106], v[99:100]
	ds_read2_b64 v[99:102], v98 offset0:79 offset1:80
	ds_read2_b64 v[103:106], v98 offset0:81 offset1:82
	s_waitcnt vmcnt(26) lgkmcnt(1)
	v_fma_f64 v[99:100], v[127:128], v[99:100], v[117:118]
	s_clause 0x5
	buffer_load_dword v118, off, s[0:3], 0 offset:372
	buffer_load_dword v119, off, s[0:3], 0 offset:376
	;; [unrolled: 1-line block ×6, first 2 shown]
	s_waitcnt vmcnt(31)
	v_fma_f64 v[99:100], v[125:126], v[101:102], v[99:100]
	s_waitcnt vmcnt(30) lgkmcnt(0)
	v_fma_f64 v[99:100], v[123:124], v[103:104], v[99:100]
	s_waitcnt vmcnt(25)
	v_fma_f64 v[123:124], v[129:130], v[105:106], v[99:100]
	ds_read2_b64 v[99:102], v98 offset0:83 offset1:84
	ds_read2_b64 v[103:106], v98 offset0:85 offset1:86
	s_waitcnt vmcnt(24) lgkmcnt(1)
	v_fma_f64 v[99:100], v[135:136], v[99:100], v[123:124]
	s_waitcnt vmcnt(23)
	v_fma_f64 v[99:100], v[133:134], v[101:102], v[99:100]
	s_waitcnt vmcnt(22) lgkmcnt(0)
	v_fma_f64 v[99:100], v[131:132], v[103:104], v[99:100]
	s_waitcnt vmcnt(17)
	v_fma_f64 v[107:108], v[107:108], v[105:106], v[99:100]
	ds_read2_b64 v[99:102], v98 offset0:87 offset1:88
	ds_read2_b64 v[103:106], v98 offset0:89 offset1:90
	s_waitcnt vmcnt(16) lgkmcnt(1)
	v_fma_f64 v[99:100], v[141:142], v[99:100], v[107:108]
	;; [unrolled: 10-line block ×3, first 2 shown]
	s_waitcnt vmcnt(7)
	v_fma_f64 v[99:100], v[113:114], v[101:102], v[99:100]
	ds_read_b64 v[101:102], v98 offset:760
	s_waitcnt vmcnt(6) lgkmcnt(1)
	v_fma_f64 v[99:100], v[111:112], v[103:104], v[99:100]
	s_waitcnt vmcnt(3)
	v_fma_f64 v[99:100], v[117:118], v[105:106], v[99:100]
	s_waitcnt vmcnt(2) lgkmcnt(0)
	v_fma_f64 v[99:100], v[119:120], v[101:102], v[99:100]
	s_waitcnt vmcnt(0)
	v_add_f64 v[99:100], v[121:122], -v[99:100]
	buffer_store_dword v100, off, s[0:3], 0 offset:180
	buffer_store_dword v99, off, s[0:3], 0 offset:176
	v_cmpx_lt_u32_e32 21, v0
	s_cbranch_execz .LBB47_255
; %bb.254:
	s_clause 0x1
	buffer_load_dword v99, off, s[0:3], 0 offset:168
	buffer_load_dword v100, off, s[0:3], 0 offset:172
	buffer_store_dword v98, off, s[0:3], 0 offset:168
	buffer_store_dword v98, off, s[0:3], 0 offset:172
	s_waitcnt vmcnt(0)
	ds_write_b64 v97, v[99:100]
.LBB47_255:
	s_or_b32 exec_lo, exec_lo, s4
	s_waitcnt lgkmcnt(0)
	s_waitcnt_vscnt null, 0x0
	s_barrier
	buffer_gl0_inv
	s_clause 0x1c
	buffer_load_dword v107, off, s[0:3], 0 offset:176
	buffer_load_dword v108, off, s[0:3], 0 offset:180
	;; [unrolled: 1-line block ×29, first 2 shown]
	ds_read_b128 v[99:102], v98 offset:560
	ds_read_b128 v[103:106], v98 offset:576
	buffer_load_dword v132, off, s[0:3], 0 offset:292
	s_mov_b32 s4, exec_lo
	s_waitcnt vmcnt(28) lgkmcnt(1)
	v_fma_f64 v[99:100], v[107:108], v[99:100], 0
	s_clause 0x7
	buffer_load_dword v108, off, s[0:3], 0 offset:300
	buffer_load_dword v137, off, s[0:3], 0 offset:320
	buffer_load_dword v139, off, s[0:3], 0 offset:312
	buffer_load_dword v141, off, s[0:3], 0 offset:304
	buffer_load_dword v107, off, s[0:3], 0 offset:296
	buffer_load_dword v142, off, s[0:3], 0 offset:308
	buffer_load_dword v140, off, s[0:3], 0 offset:316
	buffer_load_dword v138, off, s[0:3], 0 offset:324
	s_waitcnt vmcnt(34)
	v_fma_f64 v[99:100], v[109:110], v[101:102], v[99:100]
	s_waitcnt vmcnt(32) lgkmcnt(0)
	v_fma_f64 v[99:100], v[111:112], v[103:104], v[99:100]
	s_waitcnt vmcnt(30)
	v_fma_f64 v[109:110], v[113:114], v[105:106], v[99:100]
	ds_read_b128 v[99:102], v98 offset:592
	ds_read_b128 v[103:106], v98 offset:608
	s_waitcnt vmcnt(28) lgkmcnt(1)
	v_fma_f64 v[99:100], v[115:116], v[99:100], v[109:110]
	s_clause 0x7
	buffer_load_dword v110, off, s[0:3], 0 offset:332
	buffer_load_dword v111, off, s[0:3], 0 offset:352
	;; [unrolled: 1-line block ×8, first 2 shown]
	s_waitcnt vmcnt(34)
	v_fma_f64 v[99:100], v[117:118], v[101:102], v[99:100]
	s_waitcnt vmcnt(32) lgkmcnt(0)
	v_fma_f64 v[99:100], v[119:120], v[103:104], v[99:100]
	s_waitcnt vmcnt(27)
	v_fma_f64 v[117:118], v[121:122], v[105:106], v[99:100]
	ds_read_b128 v[99:102], v98 offset:624
	ds_read_b128 v[103:106], v98 offset:640
	s_waitcnt vmcnt(26) lgkmcnt(1)
	v_fma_f64 v[99:100], v[127:128], v[99:100], v[117:118]
	s_clause 0x5
	buffer_load_dword v118, off, s[0:3], 0 offset:364
	buffer_load_dword v119, off, s[0:3], 0 offset:376
	;; [unrolled: 1-line block ×6, first 2 shown]
	s_waitcnt vmcnt(31)
	v_fma_f64 v[99:100], v[125:126], v[101:102], v[99:100]
	s_waitcnt vmcnt(30) lgkmcnt(0)
	v_fma_f64 v[99:100], v[123:124], v[103:104], v[99:100]
	s_waitcnt vmcnt(25)
	v_fma_f64 v[123:124], v[129:130], v[105:106], v[99:100]
	ds_read_b128 v[99:102], v98 offset:656
	s_clause 0x1
	buffer_load_dword v125, off, s[0:3], 0 offset:168
	buffer_load_dword v126, off, s[0:3], 0 offset:172
	ds_read_b128 v[103:106], v98 offset:672
	s_waitcnt vmcnt(26) lgkmcnt(1)
	v_fma_f64 v[99:100], v[135:136], v[99:100], v[123:124]
	s_waitcnt vmcnt(25)
	v_fma_f64 v[99:100], v[133:134], v[101:102], v[99:100]
	s_waitcnt vmcnt(24) lgkmcnt(0)
	v_fma_f64 v[99:100], v[131:132], v[103:104], v[99:100]
	s_waitcnt vmcnt(19)
	v_fma_f64 v[107:108], v[107:108], v[105:106], v[99:100]
	ds_read_b128 v[99:102], v98 offset:688
	ds_read_b128 v[103:106], v98 offset:704
	s_waitcnt vmcnt(18) lgkmcnt(1)
	v_fma_f64 v[99:100], v[141:142], v[99:100], v[107:108]
	s_waitcnt vmcnt(17)
	v_fma_f64 v[99:100], v[139:140], v[101:102], v[99:100]
	s_waitcnt vmcnt(16) lgkmcnt(0)
	v_fma_f64 v[99:100], v[137:138], v[103:104], v[99:100]
	s_waitcnt vmcnt(11)
	v_fma_f64 v[107:108], v[109:110], v[105:106], v[99:100]
	ds_read_b128 v[99:102], v98 offset:720
	ds_read_b128 v[103:106], v98 offset:736
	s_waitcnt vmcnt(10) lgkmcnt(1)
	v_fma_f64 v[99:100], v[115:116], v[99:100], v[107:108]
	s_waitcnt vmcnt(9)
	v_fma_f64 v[99:100], v[113:114], v[101:102], v[99:100]
	s_waitcnt vmcnt(8) lgkmcnt(0)
	v_fma_f64 v[99:100], v[111:112], v[103:104], v[99:100]
	s_waitcnt vmcnt(4)
	v_fma_f64 v[102:103], v[117:118], v[105:106], v[99:100]
	ds_read_b128 v[98:101], v98 offset:752
	s_waitcnt vmcnt(3) lgkmcnt(0)
	v_fma_f64 v[98:99], v[121:122], v[98:99], v[102:103]
	s_waitcnt vmcnt(2)
	v_fma_f64 v[98:99], v[119:120], v[100:101], v[98:99]
	s_waitcnt vmcnt(0)
	v_add_f64 v[98:99], v[125:126], -v[98:99]
	buffer_store_dword v99, off, s[0:3], 0 offset:172
	buffer_store_dword v98, off, s[0:3], 0 offset:168
	v_cmpx_lt_u32_e32 20, v0
	s_cbranch_execz .LBB47_257
; %bb.256:
	s_clause 0x1
	buffer_load_dword v98, off, s[0:3], 0 offset:160
	buffer_load_dword v99, off, s[0:3], 0 offset:164
	v_mov_b32_e32 v100, 0
	buffer_store_dword v100, off, s[0:3], 0 offset:160
	buffer_store_dword v100, off, s[0:3], 0 offset:164
	s_waitcnt vmcnt(0)
	ds_write_b64 v97, v[98:99]
.LBB47_257:
	s_or_b32 exec_lo, exec_lo, s4
	s_waitcnt lgkmcnt(0)
	s_waitcnt_vscnt null, 0x0
	s_barrier
	buffer_gl0_inv
	s_clause 0x1c
	buffer_load_dword v107, off, s[0:3], 0 offset:168
	buffer_load_dword v108, off, s[0:3], 0 offset:172
	;; [unrolled: 1-line block ×29, first 2 shown]
	v_mov_b32_e32 v98, 0
	buffer_load_dword v132, off, s[0:3], 0 offset:284
	s_mov_b32 s4, exec_lo
	ds_read2_b64 v[99:102], v98 offset0:69 offset1:70
	ds_read2_b64 v[103:106], v98 offset0:71 offset1:72
	s_waitcnt vmcnt(28) lgkmcnt(1)
	v_fma_f64 v[99:100], v[107:108], v[99:100], 0
	s_clause 0x7
	buffer_load_dword v108, off, s[0:3], 0 offset:292
	buffer_load_dword v137, off, s[0:3], 0 offset:312
	buffer_load_dword v139, off, s[0:3], 0 offset:304
	buffer_load_dword v141, off, s[0:3], 0 offset:296
	buffer_load_dword v107, off, s[0:3], 0 offset:288
	buffer_load_dword v142, off, s[0:3], 0 offset:300
	buffer_load_dword v140, off, s[0:3], 0 offset:308
	buffer_load_dword v138, off, s[0:3], 0 offset:316
	s_waitcnt vmcnt(34)
	v_fma_f64 v[99:100], v[109:110], v[101:102], v[99:100]
	s_waitcnt vmcnt(32) lgkmcnt(0)
	v_fma_f64 v[99:100], v[111:112], v[103:104], v[99:100]
	s_waitcnt vmcnt(30)
	v_fma_f64 v[109:110], v[113:114], v[105:106], v[99:100]
	ds_read2_b64 v[99:102], v98 offset0:73 offset1:74
	ds_read2_b64 v[103:106], v98 offset0:75 offset1:76
	s_waitcnt vmcnt(28) lgkmcnt(1)
	v_fma_f64 v[99:100], v[115:116], v[99:100], v[109:110]
	s_clause 0x7
	buffer_load_dword v110, off, s[0:3], 0 offset:324
	buffer_load_dword v111, off, s[0:3], 0 offset:344
	buffer_load_dword v113, off, s[0:3], 0 offset:336
	buffer_load_dword v115, off, s[0:3], 0 offset:328
	buffer_load_dword v109, off, s[0:3], 0 offset:320
	buffer_load_dword v116, off, s[0:3], 0 offset:332
	buffer_load_dword v114, off, s[0:3], 0 offset:340
	buffer_load_dword v112, off, s[0:3], 0 offset:348
	s_waitcnt vmcnt(34)
	v_fma_f64 v[99:100], v[117:118], v[101:102], v[99:100]
	s_waitcnt vmcnt(32) lgkmcnt(0)
	v_fma_f64 v[99:100], v[119:120], v[103:104], v[99:100]
	s_waitcnt vmcnt(27)
	v_fma_f64 v[117:118], v[121:122], v[105:106], v[99:100]
	;; [unrolled: 19-line block ×3, first 2 shown]
	ds_read2_b64 v[99:102], v98 offset0:81 offset1:82
	ds_read2_b64 v[103:106], v98 offset0:83 offset1:84
	s_waitcnt vmcnt(26) lgkmcnt(1)
	v_fma_f64 v[99:100], v[135:136], v[99:100], v[123:124]
	s_clause 0x1
	buffer_load_dword v123, off, s[0:3], 0 offset:160
	buffer_load_dword v124, off, s[0:3], 0 offset:164
	s_waitcnt vmcnt(27)
	v_fma_f64 v[99:100], v[133:134], v[101:102], v[99:100]
	s_waitcnt vmcnt(26) lgkmcnt(0)
	v_fma_f64 v[99:100], v[131:132], v[103:104], v[99:100]
	s_waitcnt vmcnt(21)
	v_fma_f64 v[107:108], v[107:108], v[105:106], v[99:100]
	ds_read2_b64 v[99:102], v98 offset0:85 offset1:86
	ds_read2_b64 v[103:106], v98 offset0:87 offset1:88
	s_waitcnt vmcnt(20) lgkmcnt(1)
	v_fma_f64 v[99:100], v[141:142], v[99:100], v[107:108]
	s_waitcnt vmcnt(19)
	v_fma_f64 v[99:100], v[139:140], v[101:102], v[99:100]
	s_waitcnt vmcnt(18) lgkmcnt(0)
	v_fma_f64 v[99:100], v[137:138], v[103:104], v[99:100]
	s_waitcnt vmcnt(13)
	v_fma_f64 v[107:108], v[109:110], v[105:106], v[99:100]
	ds_read2_b64 v[99:102], v98 offset0:89 offset1:90
	ds_read2_b64 v[103:106], v98 offset0:91 offset1:92
	s_waitcnt vmcnt(12) lgkmcnt(1)
	v_fma_f64 v[99:100], v[115:116], v[99:100], v[107:108]
	s_waitcnt vmcnt(11)
	v_fma_f64 v[99:100], v[113:114], v[101:102], v[99:100]
	s_waitcnt vmcnt(10) lgkmcnt(0)
	v_fma_f64 v[99:100], v[111:112], v[103:104], v[99:100]
	s_waitcnt vmcnt(5)
	v_fma_f64 v[103:104], v[117:118], v[105:106], v[99:100]
	ds_read2_b64 v[99:102], v98 offset0:93 offset1:94
	ds_read_b64 v[105:106], v98 offset:760
	s_waitcnt vmcnt(4) lgkmcnt(1)
	v_fma_f64 v[99:100], v[127:128], v[99:100], v[103:104]
	s_waitcnt vmcnt(3)
	v_fma_f64 v[99:100], v[121:122], v[101:102], v[99:100]
	s_waitcnt vmcnt(2) lgkmcnt(0)
	v_fma_f64 v[99:100], v[119:120], v[105:106], v[99:100]
	s_waitcnt vmcnt(0)
	v_add_f64 v[99:100], v[123:124], -v[99:100]
	buffer_store_dword v100, off, s[0:3], 0 offset:164
	buffer_store_dword v99, off, s[0:3], 0 offset:160
	v_cmpx_lt_u32_e32 19, v0
	s_cbranch_execz .LBB47_259
; %bb.258:
	s_clause 0x1
	buffer_load_dword v99, off, s[0:3], 0 offset:152
	buffer_load_dword v100, off, s[0:3], 0 offset:156
	buffer_store_dword v98, off, s[0:3], 0 offset:152
	buffer_store_dword v98, off, s[0:3], 0 offset:156
	s_waitcnt vmcnt(0)
	ds_write_b64 v97, v[99:100]
.LBB47_259:
	s_or_b32 exec_lo, exec_lo, s4
	s_waitcnt lgkmcnt(0)
	s_waitcnt_vscnt null, 0x0
	s_barrier
	buffer_gl0_inv
	s_clause 0x1c
	buffer_load_dword v107, off, s[0:3], 0 offset:160
	buffer_load_dword v108, off, s[0:3], 0 offset:164
	;; [unrolled: 1-line block ×29, first 2 shown]
	ds_read_b128 v[99:102], v98 offset:544
	ds_read_b128 v[103:106], v98 offset:560
	buffer_load_dword v132, off, s[0:3], 0 offset:276
	s_mov_b32 s4, exec_lo
	s_waitcnt vmcnt(28) lgkmcnt(1)
	v_fma_f64 v[99:100], v[107:108], v[99:100], 0
	s_clause 0x7
	buffer_load_dword v108, off, s[0:3], 0 offset:284
	buffer_load_dword v137, off, s[0:3], 0 offset:304
	buffer_load_dword v139, off, s[0:3], 0 offset:296
	buffer_load_dword v141, off, s[0:3], 0 offset:288
	buffer_load_dword v107, off, s[0:3], 0 offset:280
	buffer_load_dword v142, off, s[0:3], 0 offset:292
	buffer_load_dword v140, off, s[0:3], 0 offset:300
	buffer_load_dword v138, off, s[0:3], 0 offset:308
	s_waitcnt vmcnt(34)
	v_fma_f64 v[99:100], v[109:110], v[101:102], v[99:100]
	s_waitcnt vmcnt(32) lgkmcnt(0)
	v_fma_f64 v[99:100], v[111:112], v[103:104], v[99:100]
	s_waitcnt vmcnt(30)
	v_fma_f64 v[109:110], v[113:114], v[105:106], v[99:100]
	ds_read_b128 v[99:102], v98 offset:576
	ds_read_b128 v[103:106], v98 offset:592
	s_waitcnt vmcnt(28) lgkmcnt(1)
	v_fma_f64 v[99:100], v[115:116], v[99:100], v[109:110]
	s_clause 0x7
	buffer_load_dword v110, off, s[0:3], 0 offset:316
	buffer_load_dword v111, off, s[0:3], 0 offset:336
	buffer_load_dword v113, off, s[0:3], 0 offset:328
	buffer_load_dword v115, off, s[0:3], 0 offset:320
	buffer_load_dword v109, off, s[0:3], 0 offset:312
	buffer_load_dword v116, off, s[0:3], 0 offset:324
	buffer_load_dword v114, off, s[0:3], 0 offset:332
	buffer_load_dword v112, off, s[0:3], 0 offset:340
	s_waitcnt vmcnt(34)
	v_fma_f64 v[99:100], v[117:118], v[101:102], v[99:100]
	s_waitcnt vmcnt(32) lgkmcnt(0)
	v_fma_f64 v[99:100], v[119:120], v[103:104], v[99:100]
	s_waitcnt vmcnt(27)
	v_fma_f64 v[117:118], v[121:122], v[105:106], v[99:100]
	ds_read_b128 v[99:102], v98 offset:608
	ds_read_b128 v[103:106], v98 offset:624
	;; [unrolled: 19-line block ×3, first 2 shown]
	s_waitcnt vmcnt(26) lgkmcnt(1)
	v_fma_f64 v[99:100], v[135:136], v[99:100], v[123:124]
	s_clause 0x3
	buffer_load_dword v124, off, s[0:3], 0 offset:380
	buffer_load_dword v123, off, s[0:3], 0 offset:376
	;; [unrolled: 1-line block ×4, first 2 shown]
	s_waitcnt vmcnt(29)
	v_fma_f64 v[99:100], v[133:134], v[101:102], v[99:100]
	s_waitcnt vmcnt(28) lgkmcnt(0)
	v_fma_f64 v[99:100], v[131:132], v[103:104], v[99:100]
	s_waitcnt vmcnt(23)
	v_fma_f64 v[107:108], v[107:108], v[105:106], v[99:100]
	ds_read_b128 v[99:102], v98 offset:672
	ds_read_b128 v[103:106], v98 offset:688
	s_waitcnt vmcnt(22) lgkmcnt(1)
	v_fma_f64 v[99:100], v[141:142], v[99:100], v[107:108]
	s_waitcnt vmcnt(21)
	v_fma_f64 v[99:100], v[139:140], v[101:102], v[99:100]
	s_waitcnt vmcnt(20) lgkmcnt(0)
	v_fma_f64 v[99:100], v[137:138], v[103:104], v[99:100]
	s_waitcnt vmcnt(15)
	v_fma_f64 v[107:108], v[109:110], v[105:106], v[99:100]
	ds_read_b128 v[99:102], v98 offset:704
	ds_read_b128 v[103:106], v98 offset:720
	s_waitcnt vmcnt(14) lgkmcnt(1)
	v_fma_f64 v[99:100], v[115:116], v[99:100], v[107:108]
	;; [unrolled: 10-line block ×3, first 2 shown]
	s_waitcnt vmcnt(5)
	v_fma_f64 v[98:99], v[121:122], v[101:102], v[98:99]
	s_waitcnt vmcnt(4) lgkmcnt(0)
	v_fma_f64 v[98:99], v[119:120], v[103:104], v[98:99]
	s_waitcnt vmcnt(2)
	v_fma_f64 v[98:99], v[123:124], v[105:106], v[98:99]
	s_waitcnt vmcnt(0)
	v_add_f64 v[98:99], v[125:126], -v[98:99]
	buffer_store_dword v99, off, s[0:3], 0 offset:156
	buffer_store_dword v98, off, s[0:3], 0 offset:152
	v_cmpx_lt_u32_e32 18, v0
	s_cbranch_execz .LBB47_261
; %bb.260:
	s_clause 0x1
	buffer_load_dword v98, off, s[0:3], 0 offset:144
	buffer_load_dword v99, off, s[0:3], 0 offset:148
	v_mov_b32_e32 v100, 0
	buffer_store_dword v100, off, s[0:3], 0 offset:144
	buffer_store_dword v100, off, s[0:3], 0 offset:148
	s_waitcnt vmcnt(0)
	ds_write_b64 v97, v[98:99]
.LBB47_261:
	s_or_b32 exec_lo, exec_lo, s4
	s_waitcnt lgkmcnt(0)
	s_waitcnt_vscnt null, 0x0
	s_barrier
	buffer_gl0_inv
	s_clause 0x1c
	buffer_load_dword v107, off, s[0:3], 0 offset:152
	buffer_load_dword v108, off, s[0:3], 0 offset:156
	;; [unrolled: 1-line block ×29, first 2 shown]
	v_mov_b32_e32 v98, 0
	buffer_load_dword v132, off, s[0:3], 0 offset:268
	s_mov_b32 s4, exec_lo
	ds_read2_b64 v[99:102], v98 offset0:67 offset1:68
	ds_read2_b64 v[103:106], v98 offset0:69 offset1:70
	s_waitcnt vmcnt(28) lgkmcnt(1)
	v_fma_f64 v[99:100], v[107:108], v[99:100], 0
	s_clause 0x7
	buffer_load_dword v108, off, s[0:3], 0 offset:276
	buffer_load_dword v137, off, s[0:3], 0 offset:296
	buffer_load_dword v139, off, s[0:3], 0 offset:288
	buffer_load_dword v141, off, s[0:3], 0 offset:280
	buffer_load_dword v107, off, s[0:3], 0 offset:272
	buffer_load_dword v142, off, s[0:3], 0 offset:284
	buffer_load_dword v140, off, s[0:3], 0 offset:292
	buffer_load_dword v138, off, s[0:3], 0 offset:300
	s_waitcnt vmcnt(34)
	v_fma_f64 v[99:100], v[109:110], v[101:102], v[99:100]
	s_waitcnt vmcnt(32) lgkmcnt(0)
	v_fma_f64 v[99:100], v[111:112], v[103:104], v[99:100]
	s_waitcnt vmcnt(30)
	v_fma_f64 v[109:110], v[113:114], v[105:106], v[99:100]
	ds_read2_b64 v[99:102], v98 offset0:71 offset1:72
	ds_read2_b64 v[103:106], v98 offset0:73 offset1:74
	s_waitcnt vmcnt(28) lgkmcnt(1)
	v_fma_f64 v[99:100], v[115:116], v[99:100], v[109:110]
	s_clause 0x7
	buffer_load_dword v110, off, s[0:3], 0 offset:308
	buffer_load_dword v111, off, s[0:3], 0 offset:328
	buffer_load_dword v113, off, s[0:3], 0 offset:320
	buffer_load_dword v115, off, s[0:3], 0 offset:312
	buffer_load_dword v109, off, s[0:3], 0 offset:304
	buffer_load_dword v116, off, s[0:3], 0 offset:316
	buffer_load_dword v114, off, s[0:3], 0 offset:324
	buffer_load_dword v112, off, s[0:3], 0 offset:332
	s_waitcnt vmcnt(34)
	v_fma_f64 v[99:100], v[117:118], v[101:102], v[99:100]
	s_waitcnt vmcnt(32) lgkmcnt(0)
	v_fma_f64 v[99:100], v[119:120], v[103:104], v[99:100]
	s_waitcnt vmcnt(27)
	v_fma_f64 v[117:118], v[121:122], v[105:106], v[99:100]
	;; [unrolled: 19-line block ×3, first 2 shown]
	ds_read2_b64 v[99:102], v98 offset0:79 offset1:80
	ds_read2_b64 v[103:106], v98 offset0:81 offset1:82
	s_waitcnt vmcnt(26) lgkmcnt(1)
	v_fma_f64 v[99:100], v[135:136], v[99:100], v[123:124]
	s_clause 0x5
	buffer_load_dword v124, off, s[0:3], 0 offset:372
	buffer_load_dword v125, off, s[0:3], 0 offset:376
	;; [unrolled: 1-line block ×6, first 2 shown]
	s_waitcnt vmcnt(31)
	v_fma_f64 v[99:100], v[133:134], v[101:102], v[99:100]
	s_waitcnt vmcnt(30) lgkmcnt(0)
	v_fma_f64 v[99:100], v[131:132], v[103:104], v[99:100]
	s_waitcnt vmcnt(25)
	v_fma_f64 v[107:108], v[107:108], v[105:106], v[99:100]
	ds_read2_b64 v[99:102], v98 offset0:83 offset1:84
	ds_read2_b64 v[103:106], v98 offset0:85 offset1:86
	s_waitcnt vmcnt(24) lgkmcnt(1)
	v_fma_f64 v[99:100], v[141:142], v[99:100], v[107:108]
	s_waitcnt vmcnt(23)
	v_fma_f64 v[99:100], v[139:140], v[101:102], v[99:100]
	s_waitcnt vmcnt(22) lgkmcnt(0)
	v_fma_f64 v[99:100], v[137:138], v[103:104], v[99:100]
	s_waitcnt vmcnt(17)
	v_fma_f64 v[107:108], v[109:110], v[105:106], v[99:100]
	ds_read2_b64 v[99:102], v98 offset0:87 offset1:88
	ds_read2_b64 v[103:106], v98 offset0:89 offset1:90
	s_waitcnt vmcnt(16) lgkmcnt(1)
	v_fma_f64 v[99:100], v[115:116], v[99:100], v[107:108]
	;; [unrolled: 10-line block ×3, first 2 shown]
	s_waitcnt vmcnt(7)
	v_fma_f64 v[99:100], v[121:122], v[101:102], v[99:100]
	ds_read_b64 v[101:102], v98 offset:760
	s_waitcnt vmcnt(6) lgkmcnt(1)
	v_fma_f64 v[99:100], v[119:120], v[103:104], v[99:100]
	s_waitcnt vmcnt(3)
	v_fma_f64 v[99:100], v[123:124], v[105:106], v[99:100]
	s_waitcnt vmcnt(2) lgkmcnt(0)
	v_fma_f64 v[99:100], v[125:126], v[101:102], v[99:100]
	s_waitcnt vmcnt(0)
	v_add_f64 v[99:100], v[129:130], -v[99:100]
	buffer_store_dword v100, off, s[0:3], 0 offset:148
	buffer_store_dword v99, off, s[0:3], 0 offset:144
	v_cmpx_lt_u32_e32 17, v0
	s_cbranch_execz .LBB47_263
; %bb.262:
	s_clause 0x1
	buffer_load_dword v99, off, s[0:3], 0 offset:136
	buffer_load_dword v100, off, s[0:3], 0 offset:140
	buffer_store_dword v98, off, s[0:3], 0 offset:136
	buffer_store_dword v98, off, s[0:3], 0 offset:140
	s_waitcnt vmcnt(0)
	ds_write_b64 v97, v[99:100]
.LBB47_263:
	s_or_b32 exec_lo, exec_lo, s4
	s_waitcnt lgkmcnt(0)
	s_waitcnt_vscnt null, 0x0
	s_barrier
	buffer_gl0_inv
	s_clause 0x1c
	buffer_load_dword v107, off, s[0:3], 0 offset:144
	buffer_load_dword v108, off, s[0:3], 0 offset:148
	;; [unrolled: 1-line block ×29, first 2 shown]
	ds_read_b128 v[99:102], v98 offset:528
	ds_read_b128 v[103:106], v98 offset:544
	buffer_load_dword v132, off, s[0:3], 0 offset:260
	s_mov_b32 s4, exec_lo
	s_waitcnt vmcnt(28) lgkmcnt(1)
	v_fma_f64 v[99:100], v[107:108], v[99:100], 0
	s_clause 0x7
	buffer_load_dword v108, off, s[0:3], 0 offset:268
	buffer_load_dword v137, off, s[0:3], 0 offset:288
	buffer_load_dword v139, off, s[0:3], 0 offset:280
	buffer_load_dword v141, off, s[0:3], 0 offset:272
	buffer_load_dword v107, off, s[0:3], 0 offset:264
	buffer_load_dword v142, off, s[0:3], 0 offset:276
	buffer_load_dword v140, off, s[0:3], 0 offset:284
	buffer_load_dword v138, off, s[0:3], 0 offset:292
	s_waitcnt vmcnt(34)
	v_fma_f64 v[99:100], v[109:110], v[101:102], v[99:100]
	s_waitcnt vmcnt(32) lgkmcnt(0)
	v_fma_f64 v[99:100], v[111:112], v[103:104], v[99:100]
	s_waitcnt vmcnt(30)
	v_fma_f64 v[109:110], v[113:114], v[105:106], v[99:100]
	ds_read_b128 v[99:102], v98 offset:560
	ds_read_b128 v[103:106], v98 offset:576
	s_waitcnt vmcnt(28) lgkmcnt(1)
	v_fma_f64 v[99:100], v[115:116], v[99:100], v[109:110]
	s_clause 0x7
	buffer_load_dword v110, off, s[0:3], 0 offset:300
	buffer_load_dword v111, off, s[0:3], 0 offset:320
	buffer_load_dword v113, off, s[0:3], 0 offset:312
	buffer_load_dword v115, off, s[0:3], 0 offset:304
	buffer_load_dword v109, off, s[0:3], 0 offset:296
	buffer_load_dword v116, off, s[0:3], 0 offset:308
	buffer_load_dword v114, off, s[0:3], 0 offset:316
	buffer_load_dword v112, off, s[0:3], 0 offset:324
	s_waitcnt vmcnt(34)
	v_fma_f64 v[99:100], v[117:118], v[101:102], v[99:100]
	s_waitcnt vmcnt(32) lgkmcnt(0)
	v_fma_f64 v[99:100], v[119:120], v[103:104], v[99:100]
	s_waitcnt vmcnt(27)
	v_fma_f64 v[117:118], v[121:122], v[105:106], v[99:100]
	ds_read_b128 v[99:102], v98 offset:592
	ds_read_b128 v[103:106], v98 offset:608
	;; [unrolled: 19-line block ×3, first 2 shown]
	s_waitcnt vmcnt(26) lgkmcnt(1)
	v_fma_f64 v[99:100], v[135:136], v[99:100], v[123:124]
	s_clause 0x5
	buffer_load_dword v124, off, s[0:3], 0 offset:364
	buffer_load_dword v125, off, s[0:3], 0 offset:376
	;; [unrolled: 1-line block ×6, first 2 shown]
	s_waitcnt vmcnt(31)
	v_fma_f64 v[99:100], v[133:134], v[101:102], v[99:100]
	s_waitcnt vmcnt(30) lgkmcnt(0)
	v_fma_f64 v[99:100], v[131:132], v[103:104], v[99:100]
	s_waitcnt vmcnt(25)
	v_fma_f64 v[107:108], v[107:108], v[105:106], v[99:100]
	ds_read_b128 v[99:102], v98 offset:656
	s_clause 0x1
	buffer_load_dword v131, off, s[0:3], 0 offset:136
	buffer_load_dword v132, off, s[0:3], 0 offset:140
	ds_read_b128 v[103:106], v98 offset:672
	s_waitcnt vmcnt(26) lgkmcnt(1)
	v_fma_f64 v[99:100], v[141:142], v[99:100], v[107:108]
	s_waitcnt vmcnt(25)
	v_fma_f64 v[99:100], v[139:140], v[101:102], v[99:100]
	s_waitcnt vmcnt(24) lgkmcnt(0)
	v_fma_f64 v[99:100], v[137:138], v[103:104], v[99:100]
	s_waitcnt vmcnt(19)
	v_fma_f64 v[107:108], v[109:110], v[105:106], v[99:100]
	ds_read_b128 v[99:102], v98 offset:688
	ds_read_b128 v[103:106], v98 offset:704
	s_waitcnt vmcnt(18) lgkmcnt(1)
	v_fma_f64 v[99:100], v[115:116], v[99:100], v[107:108]
	s_waitcnt vmcnt(17)
	v_fma_f64 v[99:100], v[113:114], v[101:102], v[99:100]
	s_waitcnt vmcnt(16) lgkmcnt(0)
	v_fma_f64 v[99:100], v[111:112], v[103:104], v[99:100]
	s_waitcnt vmcnt(11)
	v_fma_f64 v[107:108], v[117:118], v[105:106], v[99:100]
	ds_read_b128 v[99:102], v98 offset:720
	;; [unrolled: 10-line block ×3, first 2 shown]
	s_waitcnt vmcnt(3) lgkmcnt(0)
	v_fma_f64 v[98:99], v[129:130], v[98:99], v[102:103]
	s_waitcnt vmcnt(2)
	v_fma_f64 v[98:99], v[125:126], v[100:101], v[98:99]
	s_waitcnt vmcnt(0)
	v_add_f64 v[98:99], v[131:132], -v[98:99]
	buffer_store_dword v99, off, s[0:3], 0 offset:140
	buffer_store_dword v98, off, s[0:3], 0 offset:136
	v_cmpx_lt_u32_e32 16, v0
	s_cbranch_execz .LBB47_265
; %bb.264:
	s_clause 0x1
	buffer_load_dword v98, off, s[0:3], 0 offset:128
	buffer_load_dword v99, off, s[0:3], 0 offset:132
	v_mov_b32_e32 v100, 0
	buffer_store_dword v100, off, s[0:3], 0 offset:128
	buffer_store_dword v100, off, s[0:3], 0 offset:132
	s_waitcnt vmcnt(0)
	ds_write_b64 v97, v[98:99]
.LBB47_265:
	s_or_b32 exec_lo, exec_lo, s4
	s_waitcnt lgkmcnt(0)
	s_waitcnt_vscnt null, 0x0
	s_barrier
	buffer_gl0_inv
	s_clause 0x1c
	buffer_load_dword v107, off, s[0:3], 0 offset:136
	buffer_load_dword v108, off, s[0:3], 0 offset:140
	;; [unrolled: 1-line block ×29, first 2 shown]
	v_mov_b32_e32 v98, 0
	buffer_load_dword v132, off, s[0:3], 0 offset:252
	s_mov_b32 s4, exec_lo
	ds_read2_b64 v[99:102], v98 offset0:65 offset1:66
	ds_read2_b64 v[103:106], v98 offset0:67 offset1:68
	s_waitcnt vmcnt(28) lgkmcnt(1)
	v_fma_f64 v[99:100], v[107:108], v[99:100], 0
	s_clause 0x7
	buffer_load_dword v108, off, s[0:3], 0 offset:260
	buffer_load_dword v137, off, s[0:3], 0 offset:280
	buffer_load_dword v139, off, s[0:3], 0 offset:272
	buffer_load_dword v141, off, s[0:3], 0 offset:264
	buffer_load_dword v107, off, s[0:3], 0 offset:256
	buffer_load_dword v142, off, s[0:3], 0 offset:268
	buffer_load_dword v140, off, s[0:3], 0 offset:276
	buffer_load_dword v138, off, s[0:3], 0 offset:284
	s_waitcnt vmcnt(34)
	v_fma_f64 v[99:100], v[109:110], v[101:102], v[99:100]
	s_waitcnt vmcnt(32) lgkmcnt(0)
	v_fma_f64 v[99:100], v[111:112], v[103:104], v[99:100]
	s_waitcnt vmcnt(30)
	v_fma_f64 v[109:110], v[113:114], v[105:106], v[99:100]
	ds_read2_b64 v[99:102], v98 offset0:69 offset1:70
	ds_read2_b64 v[103:106], v98 offset0:71 offset1:72
	s_waitcnt vmcnt(28) lgkmcnt(1)
	v_fma_f64 v[99:100], v[115:116], v[99:100], v[109:110]
	s_clause 0x7
	buffer_load_dword v110, off, s[0:3], 0 offset:292
	buffer_load_dword v111, off, s[0:3], 0 offset:312
	buffer_load_dword v113, off, s[0:3], 0 offset:304
	buffer_load_dword v115, off, s[0:3], 0 offset:296
	buffer_load_dword v109, off, s[0:3], 0 offset:288
	buffer_load_dword v116, off, s[0:3], 0 offset:300
	buffer_load_dword v114, off, s[0:3], 0 offset:308
	buffer_load_dword v112, off, s[0:3], 0 offset:316
	s_waitcnt vmcnt(34)
	v_fma_f64 v[99:100], v[117:118], v[101:102], v[99:100]
	s_waitcnt vmcnt(32) lgkmcnt(0)
	v_fma_f64 v[99:100], v[119:120], v[103:104], v[99:100]
	s_waitcnt vmcnt(27)
	v_fma_f64 v[117:118], v[121:122], v[105:106], v[99:100]
	;; [unrolled: 19-line block ×4, first 2 shown]
	ds_read2_b64 v[99:102], v98 offset0:81 offset1:82
	ds_read2_b64 v[103:106], v98 offset0:83 offset1:84
	s_waitcnt vmcnt(26) lgkmcnt(1)
	v_fma_f64 v[99:100], v[141:142], v[99:100], v[107:108]
	s_clause 0x1
	buffer_load_dword v107, off, s[0:3], 0 offset:128
	buffer_load_dword v108, off, s[0:3], 0 offset:132
	s_waitcnt vmcnt(27)
	v_fma_f64 v[99:100], v[139:140], v[101:102], v[99:100]
	s_waitcnt vmcnt(26) lgkmcnt(0)
	v_fma_f64 v[99:100], v[137:138], v[103:104], v[99:100]
	s_waitcnt vmcnt(21)
	v_fma_f64 v[109:110], v[109:110], v[105:106], v[99:100]
	ds_read2_b64 v[99:102], v98 offset0:85 offset1:86
	ds_read2_b64 v[103:106], v98 offset0:87 offset1:88
	s_waitcnt vmcnt(20) lgkmcnt(1)
	v_fma_f64 v[99:100], v[115:116], v[99:100], v[109:110]
	s_waitcnt vmcnt(19)
	v_fma_f64 v[99:100], v[113:114], v[101:102], v[99:100]
	s_waitcnt vmcnt(18) lgkmcnt(0)
	v_fma_f64 v[99:100], v[111:112], v[103:104], v[99:100]
	s_waitcnt vmcnt(13)
	v_fma_f64 v[109:110], v[117:118], v[105:106], v[99:100]
	ds_read2_b64 v[99:102], v98 offset0:89 offset1:90
	ds_read2_b64 v[103:106], v98 offset0:91 offset1:92
	s_waitcnt vmcnt(12) lgkmcnt(1)
	v_fma_f64 v[99:100], v[127:128], v[99:100], v[109:110]
	s_waitcnt vmcnt(11)
	v_fma_f64 v[99:100], v[121:122], v[101:102], v[99:100]
	s_waitcnt vmcnt(10) lgkmcnt(0)
	v_fma_f64 v[99:100], v[119:120], v[103:104], v[99:100]
	s_waitcnt vmcnt(5)
	v_fma_f64 v[103:104], v[123:124], v[105:106], v[99:100]
	ds_read2_b64 v[99:102], v98 offset0:93 offset1:94
	ds_read_b64 v[105:106], v98 offset:760
	s_waitcnt vmcnt(4) lgkmcnt(1)
	v_fma_f64 v[99:100], v[135:136], v[99:100], v[103:104]
	s_waitcnt vmcnt(3)
	v_fma_f64 v[99:100], v[129:130], v[101:102], v[99:100]
	s_waitcnt vmcnt(2) lgkmcnt(0)
	v_fma_f64 v[99:100], v[125:126], v[105:106], v[99:100]
	s_waitcnt vmcnt(0)
	v_add_f64 v[99:100], v[107:108], -v[99:100]
	buffer_store_dword v100, off, s[0:3], 0 offset:132
	buffer_store_dword v99, off, s[0:3], 0 offset:128
	v_cmpx_lt_u32_e32 15, v0
	s_cbranch_execz .LBB47_267
; %bb.266:
	s_clause 0x1
	buffer_load_dword v99, off, s[0:3], 0 offset:120
	buffer_load_dword v100, off, s[0:3], 0 offset:124
	buffer_store_dword v98, off, s[0:3], 0 offset:120
	buffer_store_dword v98, off, s[0:3], 0 offset:124
	s_waitcnt vmcnt(0)
	ds_write_b64 v97, v[99:100]
.LBB47_267:
	s_or_b32 exec_lo, exec_lo, s4
	s_waitcnt lgkmcnt(0)
	s_waitcnt_vscnt null, 0x0
	s_barrier
	buffer_gl0_inv
	s_clause 0x1c
	buffer_load_dword v107, off, s[0:3], 0 offset:128
	buffer_load_dword v108, off, s[0:3], 0 offset:132
	buffer_load_dword v109, off, s[0:3], 0 offset:136
	buffer_load_dword v110, off, s[0:3], 0 offset:140
	buffer_load_dword v111, off, s[0:3], 0 offset:144
	buffer_load_dword v112, off, s[0:3], 0 offset:148
	buffer_load_dword v113, off, s[0:3], 0 offset:152
	buffer_load_dword v114, off, s[0:3], 0 offset:156
	buffer_load_dword v115, off, s[0:3], 0 offset:160
	buffer_load_dword v116, off, s[0:3], 0 offset:164
	buffer_load_dword v117, off, s[0:3], 0 offset:168
	buffer_load_dword v118, off, s[0:3], 0 offset:172
	buffer_load_dword v119, off, s[0:3], 0 offset:176
	buffer_load_dword v120, off, s[0:3], 0 offset:180
	buffer_load_dword v122, off, s[0:3], 0 offset:188
	buffer_load_dword v123, off, s[0:3], 0 offset:208
	buffer_load_dword v125, off, s[0:3], 0 offset:200
	buffer_load_dword v127, off, s[0:3], 0 offset:192
	buffer_load_dword v121, off, s[0:3], 0 offset:184
	buffer_load_dword v128, off, s[0:3], 0 offset:196
	buffer_load_dword v126, off, s[0:3], 0 offset:204
	buffer_load_dword v124, off, s[0:3], 0 offset:212
	buffer_load_dword v130, off, s[0:3], 0 offset:220
	buffer_load_dword v131, off, s[0:3], 0 offset:240
	buffer_load_dword v133, off, s[0:3], 0 offset:232
	buffer_load_dword v135, off, s[0:3], 0 offset:224
	buffer_load_dword v129, off, s[0:3], 0 offset:216
	buffer_load_dword v136, off, s[0:3], 0 offset:228
	buffer_load_dword v134, off, s[0:3], 0 offset:236
	ds_read_b128 v[99:102], v98 offset:512
	ds_read_b128 v[103:106], v98 offset:528
	buffer_load_dword v132, off, s[0:3], 0 offset:244
	s_mov_b32 s4, exec_lo
	s_waitcnt vmcnt(28) lgkmcnt(1)
	v_fma_f64 v[99:100], v[107:108], v[99:100], 0
	s_clause 0x7
	buffer_load_dword v108, off, s[0:3], 0 offset:252
	buffer_load_dword v137, off, s[0:3], 0 offset:272
	buffer_load_dword v139, off, s[0:3], 0 offset:264
	buffer_load_dword v141, off, s[0:3], 0 offset:256
	buffer_load_dword v107, off, s[0:3], 0 offset:248
	buffer_load_dword v142, off, s[0:3], 0 offset:260
	buffer_load_dword v140, off, s[0:3], 0 offset:268
	buffer_load_dword v138, off, s[0:3], 0 offset:276
	s_waitcnt vmcnt(34)
	v_fma_f64 v[99:100], v[109:110], v[101:102], v[99:100]
	s_waitcnt vmcnt(32) lgkmcnt(0)
	v_fma_f64 v[99:100], v[111:112], v[103:104], v[99:100]
	s_waitcnt vmcnt(30)
	v_fma_f64 v[109:110], v[113:114], v[105:106], v[99:100]
	ds_read_b128 v[99:102], v98 offset:544
	ds_read_b128 v[103:106], v98 offset:560
	s_waitcnt vmcnt(28) lgkmcnt(1)
	v_fma_f64 v[99:100], v[115:116], v[99:100], v[109:110]
	s_clause 0x7
	buffer_load_dword v110, off, s[0:3], 0 offset:284
	buffer_load_dword v111, off, s[0:3], 0 offset:304
	buffer_load_dword v113, off, s[0:3], 0 offset:296
	buffer_load_dword v115, off, s[0:3], 0 offset:288
	buffer_load_dword v109, off, s[0:3], 0 offset:280
	buffer_load_dword v116, off, s[0:3], 0 offset:292
	buffer_load_dword v114, off, s[0:3], 0 offset:300
	buffer_load_dword v112, off, s[0:3], 0 offset:308
	s_waitcnt vmcnt(34)
	v_fma_f64 v[99:100], v[117:118], v[101:102], v[99:100]
	s_waitcnt vmcnt(32) lgkmcnt(0)
	v_fma_f64 v[99:100], v[119:120], v[103:104], v[99:100]
	s_waitcnt vmcnt(27)
	v_fma_f64 v[117:118], v[121:122], v[105:106], v[99:100]
	ds_read_b128 v[99:102], v98 offset:576
	ds_read_b128 v[103:106], v98 offset:592
	;; [unrolled: 19-line block ×4, first 2 shown]
	s_waitcnt vmcnt(26) lgkmcnt(1)
	v_fma_f64 v[99:100], v[141:142], v[99:100], v[107:108]
	s_clause 0x3
	buffer_load_dword v108, off, s[0:3], 0 offset:380
	buffer_load_dword v107, off, s[0:3], 0 offset:376
	;; [unrolled: 1-line block ×4, first 2 shown]
	s_waitcnt vmcnt(29)
	v_fma_f64 v[99:100], v[139:140], v[101:102], v[99:100]
	s_waitcnt vmcnt(28) lgkmcnt(0)
	v_fma_f64 v[99:100], v[137:138], v[103:104], v[99:100]
	s_waitcnt vmcnt(23)
	v_fma_f64 v[109:110], v[109:110], v[105:106], v[99:100]
	ds_read_b128 v[99:102], v98 offset:672
	ds_read_b128 v[103:106], v98 offset:688
	s_waitcnt vmcnt(22) lgkmcnt(1)
	v_fma_f64 v[99:100], v[115:116], v[99:100], v[109:110]
	s_waitcnt vmcnt(21)
	v_fma_f64 v[99:100], v[113:114], v[101:102], v[99:100]
	s_waitcnt vmcnt(20) lgkmcnt(0)
	v_fma_f64 v[99:100], v[111:112], v[103:104], v[99:100]
	s_waitcnt vmcnt(15)
	v_fma_f64 v[109:110], v[117:118], v[105:106], v[99:100]
	ds_read_b128 v[99:102], v98 offset:704
	ds_read_b128 v[103:106], v98 offset:720
	s_waitcnt vmcnt(14) lgkmcnt(1)
	v_fma_f64 v[99:100], v[127:128], v[99:100], v[109:110]
	;; [unrolled: 10-line block ×3, first 2 shown]
	s_waitcnt vmcnt(5)
	v_fma_f64 v[98:99], v[129:130], v[101:102], v[98:99]
	s_waitcnt vmcnt(4) lgkmcnt(0)
	v_fma_f64 v[98:99], v[125:126], v[103:104], v[98:99]
	s_waitcnt vmcnt(2)
	v_fma_f64 v[98:99], v[107:108], v[105:106], v[98:99]
	s_waitcnt vmcnt(0)
	v_add_f64 v[98:99], v[131:132], -v[98:99]
	buffer_store_dword v99, off, s[0:3], 0 offset:124
	buffer_store_dword v98, off, s[0:3], 0 offset:120
	v_cmpx_lt_u32_e32 14, v0
	s_cbranch_execz .LBB47_269
; %bb.268:
	s_clause 0x1
	buffer_load_dword v98, off, s[0:3], 0 offset:112
	buffer_load_dword v99, off, s[0:3], 0 offset:116
	v_mov_b32_e32 v100, 0
	buffer_store_dword v100, off, s[0:3], 0 offset:112
	buffer_store_dword v100, off, s[0:3], 0 offset:116
	s_waitcnt vmcnt(0)
	ds_write_b64 v97, v[98:99]
.LBB47_269:
	s_or_b32 exec_lo, exec_lo, s4
	s_waitcnt lgkmcnt(0)
	s_waitcnt_vscnt null, 0x0
	s_barrier
	buffer_gl0_inv
	s_clause 0x1c
	buffer_load_dword v107, off, s[0:3], 0 offset:120
	buffer_load_dword v108, off, s[0:3], 0 offset:124
	;; [unrolled: 1-line block ×29, first 2 shown]
	v_mov_b32_e32 v98, 0
	buffer_load_dword v132, off, s[0:3], 0 offset:236
	s_mov_b32 s4, exec_lo
	ds_read2_b64 v[99:102], v98 offset0:63 offset1:64
	ds_read2_b64 v[103:106], v98 offset0:65 offset1:66
	s_waitcnt vmcnt(28) lgkmcnt(1)
	v_fma_f64 v[99:100], v[107:108], v[99:100], 0
	s_clause 0x7
	buffer_load_dword v108, off, s[0:3], 0 offset:244
	buffer_load_dword v137, off, s[0:3], 0 offset:264
	buffer_load_dword v139, off, s[0:3], 0 offset:256
	buffer_load_dword v141, off, s[0:3], 0 offset:248
	buffer_load_dword v107, off, s[0:3], 0 offset:240
	buffer_load_dword v142, off, s[0:3], 0 offset:252
	buffer_load_dword v140, off, s[0:3], 0 offset:260
	buffer_load_dword v138, off, s[0:3], 0 offset:268
	s_waitcnt vmcnt(34)
	v_fma_f64 v[99:100], v[109:110], v[101:102], v[99:100]
	s_waitcnt vmcnt(32) lgkmcnt(0)
	v_fma_f64 v[99:100], v[111:112], v[103:104], v[99:100]
	s_waitcnt vmcnt(30)
	v_fma_f64 v[109:110], v[113:114], v[105:106], v[99:100]
	ds_read2_b64 v[99:102], v98 offset0:67 offset1:68
	ds_read2_b64 v[103:106], v98 offset0:69 offset1:70
	s_waitcnt vmcnt(28) lgkmcnt(1)
	v_fma_f64 v[99:100], v[115:116], v[99:100], v[109:110]
	s_clause 0x7
	buffer_load_dword v110, off, s[0:3], 0 offset:276
	buffer_load_dword v111, off, s[0:3], 0 offset:296
	buffer_load_dword v113, off, s[0:3], 0 offset:288
	buffer_load_dword v115, off, s[0:3], 0 offset:280
	buffer_load_dword v109, off, s[0:3], 0 offset:272
	buffer_load_dword v116, off, s[0:3], 0 offset:284
	buffer_load_dword v114, off, s[0:3], 0 offset:292
	buffer_load_dword v112, off, s[0:3], 0 offset:300
	s_waitcnt vmcnt(34)
	v_fma_f64 v[99:100], v[117:118], v[101:102], v[99:100]
	s_waitcnt vmcnt(32) lgkmcnt(0)
	v_fma_f64 v[99:100], v[119:120], v[103:104], v[99:100]
	s_waitcnt vmcnt(27)
	v_fma_f64 v[117:118], v[121:122], v[105:106], v[99:100]
	;; [unrolled: 19-line block ×4, first 2 shown]
	ds_read2_b64 v[99:102], v98 offset0:79 offset1:80
	ds_read2_b64 v[103:106], v98 offset0:81 offset1:82
	s_waitcnt vmcnt(26) lgkmcnt(1)
	v_fma_f64 v[99:100], v[141:142], v[99:100], v[107:108]
	s_clause 0x5
	buffer_load_dword v108, off, s[0:3], 0 offset:372
	buffer_load_dword v131, off, s[0:3], 0 offset:376
	buffer_load_dword v107, off, s[0:3], 0 offset:368
	buffer_load_dword v132, off, s[0:3], 0 offset:380
	buffer_load_dword v133, off, s[0:3], 0 offset:112
	buffer_load_dword v134, off, s[0:3], 0 offset:116
	s_waitcnt vmcnt(31)
	v_fma_f64 v[99:100], v[139:140], v[101:102], v[99:100]
	s_waitcnt vmcnt(30) lgkmcnt(0)
	v_fma_f64 v[99:100], v[137:138], v[103:104], v[99:100]
	s_waitcnt vmcnt(25)
	v_fma_f64 v[109:110], v[109:110], v[105:106], v[99:100]
	ds_read2_b64 v[99:102], v98 offset0:83 offset1:84
	ds_read2_b64 v[103:106], v98 offset0:85 offset1:86
	s_waitcnt vmcnt(24) lgkmcnt(1)
	v_fma_f64 v[99:100], v[115:116], v[99:100], v[109:110]
	s_waitcnt vmcnt(23)
	v_fma_f64 v[99:100], v[113:114], v[101:102], v[99:100]
	s_waitcnt vmcnt(22) lgkmcnt(0)
	v_fma_f64 v[99:100], v[111:112], v[103:104], v[99:100]
	s_waitcnt vmcnt(17)
	v_fma_f64 v[109:110], v[117:118], v[105:106], v[99:100]
	ds_read2_b64 v[99:102], v98 offset0:87 offset1:88
	ds_read2_b64 v[103:106], v98 offset0:89 offset1:90
	s_waitcnt vmcnt(16) lgkmcnt(1)
	v_fma_f64 v[99:100], v[127:128], v[99:100], v[109:110]
	;; [unrolled: 10-line block ×3, first 2 shown]
	s_waitcnt vmcnt(7)
	v_fma_f64 v[99:100], v[129:130], v[101:102], v[99:100]
	ds_read_b64 v[101:102], v98 offset:760
	s_waitcnt vmcnt(6) lgkmcnt(1)
	v_fma_f64 v[99:100], v[125:126], v[103:104], v[99:100]
	s_waitcnt vmcnt(3)
	v_fma_f64 v[99:100], v[107:108], v[105:106], v[99:100]
	s_waitcnt vmcnt(2) lgkmcnt(0)
	v_fma_f64 v[99:100], v[131:132], v[101:102], v[99:100]
	s_waitcnt vmcnt(0)
	v_add_f64 v[99:100], v[133:134], -v[99:100]
	buffer_store_dword v100, off, s[0:3], 0 offset:116
	buffer_store_dword v99, off, s[0:3], 0 offset:112
	v_cmpx_lt_u32_e32 13, v0
	s_cbranch_execz .LBB47_271
; %bb.270:
	s_clause 0x1
	buffer_load_dword v99, off, s[0:3], 0 offset:104
	buffer_load_dword v100, off, s[0:3], 0 offset:108
	buffer_store_dword v98, off, s[0:3], 0 offset:104
	buffer_store_dword v98, off, s[0:3], 0 offset:108
	s_waitcnt vmcnt(0)
	ds_write_b64 v97, v[99:100]
.LBB47_271:
	s_or_b32 exec_lo, exec_lo, s4
	s_waitcnt lgkmcnt(0)
	s_waitcnt_vscnt null, 0x0
	s_barrier
	buffer_gl0_inv
	s_clause 0x1c
	buffer_load_dword v107, off, s[0:3], 0 offset:112
	buffer_load_dword v108, off, s[0:3], 0 offset:116
	;; [unrolled: 1-line block ×29, first 2 shown]
	ds_read_b128 v[99:102], v98 offset:496
	ds_read_b128 v[103:106], v98 offset:512
	buffer_load_dword v132, off, s[0:3], 0 offset:228
	s_mov_b32 s4, exec_lo
	s_waitcnt vmcnt(28) lgkmcnt(1)
	v_fma_f64 v[99:100], v[107:108], v[99:100], 0
	s_clause 0x7
	buffer_load_dword v108, off, s[0:3], 0 offset:236
	buffer_load_dword v137, off, s[0:3], 0 offset:256
	buffer_load_dword v139, off, s[0:3], 0 offset:248
	buffer_load_dword v141, off, s[0:3], 0 offset:240
	buffer_load_dword v107, off, s[0:3], 0 offset:232
	buffer_load_dword v142, off, s[0:3], 0 offset:244
	buffer_load_dword v140, off, s[0:3], 0 offset:252
	buffer_load_dword v138, off, s[0:3], 0 offset:260
	s_waitcnt vmcnt(34)
	v_fma_f64 v[99:100], v[109:110], v[101:102], v[99:100]
	s_waitcnt vmcnt(32) lgkmcnt(0)
	v_fma_f64 v[99:100], v[111:112], v[103:104], v[99:100]
	s_waitcnt vmcnt(30)
	v_fma_f64 v[109:110], v[113:114], v[105:106], v[99:100]
	ds_read_b128 v[99:102], v98 offset:528
	ds_read_b128 v[103:106], v98 offset:544
	s_waitcnt vmcnt(28) lgkmcnt(1)
	v_fma_f64 v[99:100], v[115:116], v[99:100], v[109:110]
	s_clause 0x7
	buffer_load_dword v110, off, s[0:3], 0 offset:268
	buffer_load_dword v111, off, s[0:3], 0 offset:288
	buffer_load_dword v113, off, s[0:3], 0 offset:280
	buffer_load_dword v115, off, s[0:3], 0 offset:272
	buffer_load_dword v109, off, s[0:3], 0 offset:264
	buffer_load_dword v116, off, s[0:3], 0 offset:276
	buffer_load_dword v114, off, s[0:3], 0 offset:284
	buffer_load_dword v112, off, s[0:3], 0 offset:292
	s_waitcnt vmcnt(34)
	v_fma_f64 v[99:100], v[117:118], v[101:102], v[99:100]
	s_waitcnt vmcnt(32) lgkmcnt(0)
	v_fma_f64 v[99:100], v[119:120], v[103:104], v[99:100]
	s_waitcnt vmcnt(27)
	v_fma_f64 v[117:118], v[121:122], v[105:106], v[99:100]
	ds_read_b128 v[99:102], v98 offset:560
	ds_read_b128 v[103:106], v98 offset:576
	;; [unrolled: 19-line block ×4, first 2 shown]
	s_waitcnt vmcnt(26) lgkmcnt(1)
	v_fma_f64 v[99:100], v[141:142], v[99:100], v[107:108]
	s_clause 0x5
	buffer_load_dword v108, off, s[0:3], 0 offset:364
	buffer_load_dword v131, off, s[0:3], 0 offset:376
	;; [unrolled: 1-line block ×6, first 2 shown]
	s_waitcnt vmcnt(31)
	v_fma_f64 v[99:100], v[139:140], v[101:102], v[99:100]
	s_waitcnt vmcnt(30) lgkmcnt(0)
	v_fma_f64 v[99:100], v[137:138], v[103:104], v[99:100]
	s_waitcnt vmcnt(25)
	v_fma_f64 v[109:110], v[109:110], v[105:106], v[99:100]
	ds_read_b128 v[99:102], v98 offset:656
	s_clause 0x1
	buffer_load_dword v137, off, s[0:3], 0 offset:104
	buffer_load_dword v138, off, s[0:3], 0 offset:108
	ds_read_b128 v[103:106], v98 offset:672
	s_waitcnt vmcnt(26) lgkmcnt(1)
	v_fma_f64 v[99:100], v[115:116], v[99:100], v[109:110]
	s_waitcnt vmcnt(25)
	v_fma_f64 v[99:100], v[113:114], v[101:102], v[99:100]
	s_waitcnt vmcnt(24) lgkmcnt(0)
	v_fma_f64 v[99:100], v[111:112], v[103:104], v[99:100]
	s_waitcnt vmcnt(19)
	v_fma_f64 v[109:110], v[117:118], v[105:106], v[99:100]
	ds_read_b128 v[99:102], v98 offset:688
	ds_read_b128 v[103:106], v98 offset:704
	s_waitcnt vmcnt(18) lgkmcnt(1)
	v_fma_f64 v[99:100], v[127:128], v[99:100], v[109:110]
	s_waitcnt vmcnt(17)
	v_fma_f64 v[99:100], v[121:122], v[101:102], v[99:100]
	s_waitcnt vmcnt(16) lgkmcnt(0)
	v_fma_f64 v[99:100], v[119:120], v[103:104], v[99:100]
	s_waitcnt vmcnt(11)
	v_fma_f64 v[109:110], v[123:124], v[105:106], v[99:100]
	ds_read_b128 v[99:102], v98 offset:720
	;; [unrolled: 10-line block ×3, first 2 shown]
	s_waitcnt vmcnt(3) lgkmcnt(0)
	v_fma_f64 v[98:99], v[133:134], v[98:99], v[102:103]
	s_waitcnt vmcnt(2)
	v_fma_f64 v[98:99], v[131:132], v[100:101], v[98:99]
	s_waitcnt vmcnt(0)
	v_add_f64 v[98:99], v[137:138], -v[98:99]
	buffer_store_dword v99, off, s[0:3], 0 offset:108
	buffer_store_dword v98, off, s[0:3], 0 offset:104
	v_cmpx_lt_u32_e32 12, v0
	s_cbranch_execz .LBB47_273
; %bb.272:
	s_clause 0x1
	buffer_load_dword v98, off, s[0:3], 0 offset:96
	buffer_load_dword v99, off, s[0:3], 0 offset:100
	v_mov_b32_e32 v100, 0
	buffer_store_dword v100, off, s[0:3], 0 offset:96
	buffer_store_dword v100, off, s[0:3], 0 offset:100
	s_waitcnt vmcnt(0)
	ds_write_b64 v97, v[98:99]
.LBB47_273:
	s_or_b32 exec_lo, exec_lo, s4
	s_waitcnt lgkmcnt(0)
	s_waitcnt_vscnt null, 0x0
	s_barrier
	buffer_gl0_inv
	s_clause 0x1c
	buffer_load_dword v107, off, s[0:3], 0 offset:104
	buffer_load_dword v108, off, s[0:3], 0 offset:108
	;; [unrolled: 1-line block ×29, first 2 shown]
	v_mov_b32_e32 v98, 0
	buffer_load_dword v132, off, s[0:3], 0 offset:220
	s_mov_b32 s4, exec_lo
	ds_read2_b64 v[99:102], v98 offset0:61 offset1:62
	ds_read2_b64 v[103:106], v98 offset0:63 offset1:64
	s_waitcnt vmcnt(28) lgkmcnt(1)
	v_fma_f64 v[99:100], v[107:108], v[99:100], 0
	s_clause 0x7
	buffer_load_dword v108, off, s[0:3], 0 offset:228
	buffer_load_dword v137, off, s[0:3], 0 offset:248
	buffer_load_dword v139, off, s[0:3], 0 offset:240
	buffer_load_dword v141, off, s[0:3], 0 offset:232
	buffer_load_dword v107, off, s[0:3], 0 offset:224
	buffer_load_dword v142, off, s[0:3], 0 offset:236
	buffer_load_dword v140, off, s[0:3], 0 offset:244
	buffer_load_dword v138, off, s[0:3], 0 offset:252
	s_waitcnt vmcnt(34)
	v_fma_f64 v[99:100], v[109:110], v[101:102], v[99:100]
	s_waitcnt vmcnt(32) lgkmcnt(0)
	v_fma_f64 v[99:100], v[111:112], v[103:104], v[99:100]
	s_waitcnt vmcnt(30)
	v_fma_f64 v[109:110], v[113:114], v[105:106], v[99:100]
	ds_read2_b64 v[99:102], v98 offset0:65 offset1:66
	ds_read2_b64 v[103:106], v98 offset0:67 offset1:68
	s_waitcnt vmcnt(28) lgkmcnt(1)
	v_fma_f64 v[99:100], v[115:116], v[99:100], v[109:110]
	s_clause 0x7
	buffer_load_dword v110, off, s[0:3], 0 offset:260
	buffer_load_dword v111, off, s[0:3], 0 offset:280
	buffer_load_dword v113, off, s[0:3], 0 offset:272
	buffer_load_dword v115, off, s[0:3], 0 offset:264
	buffer_load_dword v109, off, s[0:3], 0 offset:256
	buffer_load_dword v116, off, s[0:3], 0 offset:268
	buffer_load_dword v114, off, s[0:3], 0 offset:276
	buffer_load_dword v112, off, s[0:3], 0 offset:284
	s_waitcnt vmcnt(34)
	v_fma_f64 v[99:100], v[117:118], v[101:102], v[99:100]
	s_waitcnt vmcnt(32) lgkmcnt(0)
	v_fma_f64 v[99:100], v[119:120], v[103:104], v[99:100]
	s_waitcnt vmcnt(27)
	v_fma_f64 v[117:118], v[121:122], v[105:106], v[99:100]
	;; [unrolled: 19-line block ×5, first 2 shown]
	ds_read2_b64 v[99:102], v98 offset0:81 offset1:82
	ds_read2_b64 v[103:106], v98 offset0:83 offset1:84
	s_waitcnt vmcnt(26) lgkmcnt(1)
	v_fma_f64 v[99:100], v[115:116], v[99:100], v[109:110]
	s_clause 0x1
	buffer_load_dword v109, off, s[0:3], 0 offset:96
	buffer_load_dword v110, off, s[0:3], 0 offset:100
	s_waitcnt vmcnt(27)
	v_fma_f64 v[99:100], v[113:114], v[101:102], v[99:100]
	s_waitcnt vmcnt(26) lgkmcnt(0)
	v_fma_f64 v[99:100], v[111:112], v[103:104], v[99:100]
	s_waitcnt vmcnt(21)
	v_fma_f64 v[111:112], v[117:118], v[105:106], v[99:100]
	ds_read2_b64 v[99:102], v98 offset0:85 offset1:86
	ds_read2_b64 v[103:106], v98 offset0:87 offset1:88
	s_waitcnt vmcnt(20) lgkmcnt(1)
	v_fma_f64 v[99:100], v[127:128], v[99:100], v[111:112]
	s_waitcnt vmcnt(19)
	v_fma_f64 v[99:100], v[121:122], v[101:102], v[99:100]
	s_waitcnt vmcnt(18) lgkmcnt(0)
	v_fma_f64 v[99:100], v[119:120], v[103:104], v[99:100]
	s_waitcnt vmcnt(13)
	v_fma_f64 v[111:112], v[123:124], v[105:106], v[99:100]
	ds_read2_b64 v[99:102], v98 offset0:89 offset1:90
	ds_read2_b64 v[103:106], v98 offset0:91 offset1:92
	s_waitcnt vmcnt(12) lgkmcnt(1)
	v_fma_f64 v[99:100], v[135:136], v[99:100], v[111:112]
	s_waitcnt vmcnt(11)
	v_fma_f64 v[99:100], v[129:130], v[101:102], v[99:100]
	s_waitcnt vmcnt(10) lgkmcnt(0)
	v_fma_f64 v[99:100], v[125:126], v[103:104], v[99:100]
	s_waitcnt vmcnt(5)
	v_fma_f64 v[103:104], v[107:108], v[105:106], v[99:100]
	ds_read2_b64 v[99:102], v98 offset0:93 offset1:94
	ds_read_b64 v[105:106], v98 offset:760
	s_waitcnt vmcnt(4) lgkmcnt(1)
	v_fma_f64 v[99:100], v[141:142], v[99:100], v[103:104]
	s_waitcnt vmcnt(3)
	v_fma_f64 v[99:100], v[133:134], v[101:102], v[99:100]
	s_waitcnt vmcnt(2) lgkmcnt(0)
	v_fma_f64 v[99:100], v[131:132], v[105:106], v[99:100]
	s_waitcnt vmcnt(0)
	v_add_f64 v[99:100], v[109:110], -v[99:100]
	buffer_store_dword v100, off, s[0:3], 0 offset:100
	buffer_store_dword v99, off, s[0:3], 0 offset:96
	v_cmpx_lt_u32_e32 11, v0
	s_cbranch_execz .LBB47_275
; %bb.274:
	s_clause 0x1
	buffer_load_dword v99, off, s[0:3], 0 offset:88
	buffer_load_dword v100, off, s[0:3], 0 offset:92
	buffer_store_dword v98, off, s[0:3], 0 offset:88
	buffer_store_dword v98, off, s[0:3], 0 offset:92
	s_waitcnt vmcnt(0)
	ds_write_b64 v97, v[99:100]
.LBB47_275:
	s_or_b32 exec_lo, exec_lo, s4
	s_waitcnt lgkmcnt(0)
	s_waitcnt_vscnt null, 0x0
	s_barrier
	buffer_gl0_inv
	s_clause 0x1c
	buffer_load_dword v107, off, s[0:3], 0 offset:96
	buffer_load_dword v108, off, s[0:3], 0 offset:100
	;; [unrolled: 1-line block ×29, first 2 shown]
	ds_read_b128 v[99:102], v98 offset:480
	ds_read_b128 v[103:106], v98 offset:496
	buffer_load_dword v132, off, s[0:3], 0 offset:212
	s_mov_b32 s4, exec_lo
	s_waitcnt vmcnt(28) lgkmcnt(1)
	v_fma_f64 v[99:100], v[107:108], v[99:100], 0
	s_clause 0x7
	buffer_load_dword v108, off, s[0:3], 0 offset:220
	buffer_load_dword v137, off, s[0:3], 0 offset:240
	buffer_load_dword v139, off, s[0:3], 0 offset:232
	buffer_load_dword v141, off, s[0:3], 0 offset:224
	buffer_load_dword v107, off, s[0:3], 0 offset:216
	buffer_load_dword v142, off, s[0:3], 0 offset:228
	buffer_load_dword v140, off, s[0:3], 0 offset:236
	buffer_load_dword v138, off, s[0:3], 0 offset:244
	s_waitcnt vmcnt(34)
	v_fma_f64 v[99:100], v[109:110], v[101:102], v[99:100]
	s_waitcnt vmcnt(32) lgkmcnt(0)
	v_fma_f64 v[99:100], v[111:112], v[103:104], v[99:100]
	s_waitcnt vmcnt(30)
	v_fma_f64 v[109:110], v[113:114], v[105:106], v[99:100]
	ds_read_b128 v[99:102], v98 offset:512
	ds_read_b128 v[103:106], v98 offset:528
	s_waitcnt vmcnt(28) lgkmcnt(1)
	v_fma_f64 v[99:100], v[115:116], v[99:100], v[109:110]
	s_clause 0x7
	buffer_load_dword v110, off, s[0:3], 0 offset:252
	buffer_load_dword v111, off, s[0:3], 0 offset:272
	buffer_load_dword v113, off, s[0:3], 0 offset:264
	buffer_load_dword v115, off, s[0:3], 0 offset:256
	buffer_load_dword v109, off, s[0:3], 0 offset:248
	buffer_load_dword v116, off, s[0:3], 0 offset:260
	buffer_load_dword v114, off, s[0:3], 0 offset:268
	buffer_load_dword v112, off, s[0:3], 0 offset:276
	s_waitcnt vmcnt(34)
	v_fma_f64 v[99:100], v[117:118], v[101:102], v[99:100]
	s_waitcnt vmcnt(32) lgkmcnt(0)
	v_fma_f64 v[99:100], v[119:120], v[103:104], v[99:100]
	s_waitcnt vmcnt(27)
	v_fma_f64 v[117:118], v[121:122], v[105:106], v[99:100]
	ds_read_b128 v[99:102], v98 offset:544
	ds_read_b128 v[103:106], v98 offset:560
	;; [unrolled: 19-line block ×5, first 2 shown]
	s_waitcnt vmcnt(26) lgkmcnt(1)
	v_fma_f64 v[99:100], v[115:116], v[99:100], v[109:110]
	s_clause 0x1
	buffer_load_dword v110, off, s[0:3], 0 offset:380
	buffer_load_dword v109, off, s[0:3], 0 offset:376
	s_waitcnt vmcnt(27)
	v_fma_f64 v[99:100], v[113:114], v[101:102], v[99:100]
	s_clause 0x1
	buffer_load_dword v113, off, s[0:3], 0 offset:88
	buffer_load_dword v114, off, s[0:3], 0 offset:92
	s_waitcnt vmcnt(28) lgkmcnt(0)
	v_fma_f64 v[99:100], v[111:112], v[103:104], v[99:100]
	s_waitcnt vmcnt(23)
	v_fma_f64 v[111:112], v[117:118], v[105:106], v[99:100]
	ds_read_b128 v[99:102], v98 offset:672
	ds_read_b128 v[103:106], v98 offset:688
	s_waitcnt vmcnt(22) lgkmcnt(1)
	v_fma_f64 v[99:100], v[127:128], v[99:100], v[111:112]
	s_waitcnt vmcnt(21)
	v_fma_f64 v[99:100], v[121:122], v[101:102], v[99:100]
	s_waitcnt vmcnt(20) lgkmcnt(0)
	v_fma_f64 v[99:100], v[119:120], v[103:104], v[99:100]
	s_waitcnt vmcnt(15)
	v_fma_f64 v[111:112], v[123:124], v[105:106], v[99:100]
	ds_read_b128 v[99:102], v98 offset:704
	ds_read_b128 v[103:106], v98 offset:720
	s_waitcnt vmcnt(14) lgkmcnt(1)
	v_fma_f64 v[99:100], v[135:136], v[99:100], v[111:112]
	s_waitcnt vmcnt(13)
	v_fma_f64 v[99:100], v[129:130], v[101:102], v[99:100]
	;; [unrolled: 10-line block ×3, first 2 shown]
	s_waitcnt vmcnt(4) lgkmcnt(0)
	v_fma_f64 v[98:99], v[131:132], v[103:104], v[98:99]
	s_waitcnt vmcnt(2)
	v_fma_f64 v[98:99], v[109:110], v[105:106], v[98:99]
	s_waitcnt vmcnt(0)
	v_add_f64 v[98:99], v[113:114], -v[98:99]
	buffer_store_dword v99, off, s[0:3], 0 offset:92
	buffer_store_dword v98, off, s[0:3], 0 offset:88
	v_cmpx_lt_u32_e32 10, v0
	s_cbranch_execz .LBB47_277
; %bb.276:
	s_clause 0x1
	buffer_load_dword v98, off, s[0:3], 0 offset:80
	buffer_load_dword v99, off, s[0:3], 0 offset:84
	v_mov_b32_e32 v100, 0
	buffer_store_dword v100, off, s[0:3], 0 offset:80
	buffer_store_dword v100, off, s[0:3], 0 offset:84
	s_waitcnt vmcnt(0)
	ds_write_b64 v97, v[98:99]
.LBB47_277:
	s_or_b32 exec_lo, exec_lo, s4
	s_waitcnt lgkmcnt(0)
	s_waitcnt_vscnt null, 0x0
	s_barrier
	buffer_gl0_inv
	s_clause 0x1c
	buffer_load_dword v107, off, s[0:3], 0 offset:88
	buffer_load_dword v108, off, s[0:3], 0 offset:92
	buffer_load_dword v109, off, s[0:3], 0 offset:96
	buffer_load_dword v110, off, s[0:3], 0 offset:100
	buffer_load_dword v111, off, s[0:3], 0 offset:104
	buffer_load_dword v112, off, s[0:3], 0 offset:108
	buffer_load_dword v113, off, s[0:3], 0 offset:112
	buffer_load_dword v114, off, s[0:3], 0 offset:116
	buffer_load_dword v115, off, s[0:3], 0 offset:120
	buffer_load_dword v116, off, s[0:3], 0 offset:124
	buffer_load_dword v117, off, s[0:3], 0 offset:128
	buffer_load_dword v118, off, s[0:3], 0 offset:132
	buffer_load_dword v119, off, s[0:3], 0 offset:136
	buffer_load_dword v120, off, s[0:3], 0 offset:140
	buffer_load_dword v122, off, s[0:3], 0 offset:148
	buffer_load_dword v123, off, s[0:3], 0 offset:168
	buffer_load_dword v125, off, s[0:3], 0 offset:160
	buffer_load_dword v127, off, s[0:3], 0 offset:152
	buffer_load_dword v121, off, s[0:3], 0 offset:144
	buffer_load_dword v128, off, s[0:3], 0 offset:156
	buffer_load_dword v126, off, s[0:3], 0 offset:164
	buffer_load_dword v124, off, s[0:3], 0 offset:172
	buffer_load_dword v130, off, s[0:3], 0 offset:180
	buffer_load_dword v131, off, s[0:3], 0 offset:200
	buffer_load_dword v133, off, s[0:3], 0 offset:192
	buffer_load_dword v135, off, s[0:3], 0 offset:184
	buffer_load_dword v129, off, s[0:3], 0 offset:176
	buffer_load_dword v136, off, s[0:3], 0 offset:188
	buffer_load_dword v134, off, s[0:3], 0 offset:196
	v_mov_b32_e32 v98, 0
	buffer_load_dword v132, off, s[0:3], 0 offset:204
	s_mov_b32 s4, exec_lo
	ds_read2_b64 v[99:102], v98 offset0:59 offset1:60
	ds_read2_b64 v[103:106], v98 offset0:61 offset1:62
	s_waitcnt vmcnt(28) lgkmcnt(1)
	v_fma_f64 v[99:100], v[107:108], v[99:100], 0
	s_clause 0x7
	buffer_load_dword v108, off, s[0:3], 0 offset:212
	buffer_load_dword v137, off, s[0:3], 0 offset:232
	buffer_load_dword v139, off, s[0:3], 0 offset:224
	buffer_load_dword v141, off, s[0:3], 0 offset:216
	buffer_load_dword v107, off, s[0:3], 0 offset:208
	buffer_load_dword v142, off, s[0:3], 0 offset:220
	buffer_load_dword v140, off, s[0:3], 0 offset:228
	buffer_load_dword v138, off, s[0:3], 0 offset:236
	s_waitcnt vmcnt(34)
	v_fma_f64 v[99:100], v[109:110], v[101:102], v[99:100]
	s_waitcnt vmcnt(32) lgkmcnt(0)
	v_fma_f64 v[99:100], v[111:112], v[103:104], v[99:100]
	s_waitcnt vmcnt(30)
	v_fma_f64 v[109:110], v[113:114], v[105:106], v[99:100]
	ds_read2_b64 v[99:102], v98 offset0:63 offset1:64
	ds_read2_b64 v[103:106], v98 offset0:65 offset1:66
	s_waitcnt vmcnt(28) lgkmcnt(1)
	v_fma_f64 v[99:100], v[115:116], v[99:100], v[109:110]
	s_clause 0x7
	buffer_load_dword v110, off, s[0:3], 0 offset:244
	buffer_load_dword v111, off, s[0:3], 0 offset:264
	buffer_load_dword v113, off, s[0:3], 0 offset:256
	buffer_load_dword v115, off, s[0:3], 0 offset:248
	buffer_load_dword v109, off, s[0:3], 0 offset:240
	buffer_load_dword v116, off, s[0:3], 0 offset:252
	buffer_load_dword v114, off, s[0:3], 0 offset:260
	buffer_load_dword v112, off, s[0:3], 0 offset:268
	s_waitcnt vmcnt(34)
	v_fma_f64 v[99:100], v[117:118], v[101:102], v[99:100]
	s_waitcnt vmcnt(32) lgkmcnt(0)
	v_fma_f64 v[99:100], v[119:120], v[103:104], v[99:100]
	s_waitcnt vmcnt(27)
	v_fma_f64 v[117:118], v[121:122], v[105:106], v[99:100]
	;; [unrolled: 19-line block ×5, first 2 shown]
	ds_read2_b64 v[99:102], v98 offset0:79 offset1:80
	ds_read2_b64 v[103:106], v98 offset0:81 offset1:82
	s_waitcnt vmcnt(26) lgkmcnt(1)
	v_fma_f64 v[99:100], v[115:116], v[99:100], v[109:110]
	s_clause 0x3
	buffer_load_dword v110, off, s[0:3], 0 offset:372
	buffer_load_dword v115, off, s[0:3], 0 offset:376
	;; [unrolled: 1-line block ×4, first 2 shown]
	s_waitcnt vmcnt(29)
	v_fma_f64 v[99:100], v[113:114], v[101:102], v[99:100]
	s_waitcnt vmcnt(28) lgkmcnt(0)
	v_fma_f64 v[99:100], v[111:112], v[103:104], v[99:100]
	s_clause 0x1
	buffer_load_dword v111, off, s[0:3], 0 offset:80
	buffer_load_dword v112, off, s[0:3], 0 offset:84
	s_waitcnt vmcnt(25)
	v_fma_f64 v[113:114], v[117:118], v[105:106], v[99:100]
	ds_read2_b64 v[99:102], v98 offset0:83 offset1:84
	ds_read2_b64 v[103:106], v98 offset0:85 offset1:86
	s_waitcnt vmcnt(24) lgkmcnt(1)
	v_fma_f64 v[99:100], v[127:128], v[99:100], v[113:114]
	s_waitcnt vmcnt(23)
	v_fma_f64 v[99:100], v[121:122], v[101:102], v[99:100]
	s_waitcnt vmcnt(22) lgkmcnt(0)
	v_fma_f64 v[99:100], v[119:120], v[103:104], v[99:100]
	s_waitcnt vmcnt(17)
	v_fma_f64 v[113:114], v[123:124], v[105:106], v[99:100]
	ds_read2_b64 v[99:102], v98 offset0:87 offset1:88
	ds_read2_b64 v[103:106], v98 offset0:89 offset1:90
	s_waitcnt vmcnt(16) lgkmcnt(1)
	v_fma_f64 v[99:100], v[135:136], v[99:100], v[113:114]
	s_waitcnt vmcnt(15)
	v_fma_f64 v[99:100], v[129:130], v[101:102], v[99:100]
	s_waitcnt vmcnt(14) lgkmcnt(0)
	v_fma_f64 v[99:100], v[125:126], v[103:104], v[99:100]
	s_waitcnt vmcnt(9)
	v_fma_f64 v[107:108], v[107:108], v[105:106], v[99:100]
	ds_read2_b64 v[99:102], v98 offset0:91 offset1:92
	ds_read2_b64 v[103:106], v98 offset0:93 offset1:94
	s_waitcnt vmcnt(8) lgkmcnt(1)
	v_fma_f64 v[99:100], v[141:142], v[99:100], v[107:108]
	s_waitcnt vmcnt(7)
	v_fma_f64 v[99:100], v[133:134], v[101:102], v[99:100]
	ds_read_b64 v[101:102], v98 offset:760
	s_waitcnt vmcnt(6) lgkmcnt(1)
	v_fma_f64 v[99:100], v[131:132], v[103:104], v[99:100]
	s_waitcnt vmcnt(3)
	v_fma_f64 v[99:100], v[109:110], v[105:106], v[99:100]
	s_waitcnt vmcnt(2) lgkmcnt(0)
	v_fma_f64 v[99:100], v[115:116], v[101:102], v[99:100]
	s_waitcnt vmcnt(0)
	v_add_f64 v[99:100], v[111:112], -v[99:100]
	buffer_store_dword v100, off, s[0:3], 0 offset:84
	buffer_store_dword v99, off, s[0:3], 0 offset:80
	v_cmpx_lt_u32_e32 9, v0
	s_cbranch_execz .LBB47_279
; %bb.278:
	s_clause 0x1
	buffer_load_dword v99, off, s[0:3], 0 offset:72
	buffer_load_dword v100, off, s[0:3], 0 offset:76
	buffer_store_dword v98, off, s[0:3], 0 offset:72
	buffer_store_dword v98, off, s[0:3], 0 offset:76
	s_waitcnt vmcnt(0)
	ds_write_b64 v97, v[99:100]
.LBB47_279:
	s_or_b32 exec_lo, exec_lo, s4
	s_waitcnt lgkmcnt(0)
	s_waitcnt_vscnt null, 0x0
	s_barrier
	buffer_gl0_inv
	s_clause 0x1c
	buffer_load_dword v107, off, s[0:3], 0 offset:80
	buffer_load_dword v108, off, s[0:3], 0 offset:84
	;; [unrolled: 1-line block ×29, first 2 shown]
	ds_read_b128 v[99:102], v98 offset:464
	ds_read_b128 v[103:106], v98 offset:480
	buffer_load_dword v132, off, s[0:3], 0 offset:196
	s_mov_b32 s4, exec_lo
	s_waitcnt vmcnt(28) lgkmcnt(1)
	v_fma_f64 v[99:100], v[107:108], v[99:100], 0
	s_clause 0x7
	buffer_load_dword v108, off, s[0:3], 0 offset:204
	buffer_load_dword v137, off, s[0:3], 0 offset:224
	buffer_load_dword v139, off, s[0:3], 0 offset:216
	buffer_load_dword v141, off, s[0:3], 0 offset:208
	buffer_load_dword v107, off, s[0:3], 0 offset:200
	buffer_load_dword v142, off, s[0:3], 0 offset:212
	buffer_load_dword v140, off, s[0:3], 0 offset:220
	buffer_load_dword v138, off, s[0:3], 0 offset:228
	s_waitcnt vmcnt(34)
	v_fma_f64 v[99:100], v[109:110], v[101:102], v[99:100]
	s_waitcnt vmcnt(32) lgkmcnt(0)
	v_fma_f64 v[99:100], v[111:112], v[103:104], v[99:100]
	s_waitcnt vmcnt(30)
	v_fma_f64 v[109:110], v[113:114], v[105:106], v[99:100]
	ds_read_b128 v[99:102], v98 offset:496
	ds_read_b128 v[103:106], v98 offset:512
	s_waitcnt vmcnt(28) lgkmcnt(1)
	v_fma_f64 v[99:100], v[115:116], v[99:100], v[109:110]
	s_clause 0x7
	buffer_load_dword v110, off, s[0:3], 0 offset:236
	buffer_load_dword v111, off, s[0:3], 0 offset:256
	buffer_load_dword v113, off, s[0:3], 0 offset:248
	buffer_load_dword v115, off, s[0:3], 0 offset:240
	buffer_load_dword v109, off, s[0:3], 0 offset:232
	buffer_load_dword v116, off, s[0:3], 0 offset:244
	buffer_load_dword v114, off, s[0:3], 0 offset:252
	buffer_load_dword v112, off, s[0:3], 0 offset:260
	s_waitcnt vmcnt(34)
	v_fma_f64 v[99:100], v[117:118], v[101:102], v[99:100]
	s_waitcnt vmcnt(32) lgkmcnt(0)
	v_fma_f64 v[99:100], v[119:120], v[103:104], v[99:100]
	s_waitcnt vmcnt(27)
	v_fma_f64 v[117:118], v[121:122], v[105:106], v[99:100]
	ds_read_b128 v[99:102], v98 offset:528
	ds_read_b128 v[103:106], v98 offset:544
	;; [unrolled: 19-line block ×5, first 2 shown]
	s_waitcnt vmcnt(26) lgkmcnt(1)
	v_fma_f64 v[99:100], v[115:116], v[99:100], v[109:110]
	s_clause 0x5
	buffer_load_dword v110, off, s[0:3], 0 offset:364
	buffer_load_dword v115, off, s[0:3], 0 offset:376
	;; [unrolled: 1-line block ×6, first 2 shown]
	s_waitcnt vmcnt(31)
	v_fma_f64 v[99:100], v[113:114], v[101:102], v[99:100]
	s_waitcnt vmcnt(30) lgkmcnt(0)
	v_fma_f64 v[99:100], v[111:112], v[103:104], v[99:100]
	s_waitcnt vmcnt(25)
	v_fma_f64 v[111:112], v[117:118], v[105:106], v[99:100]
	ds_read_b128 v[99:102], v98 offset:656
	s_clause 0x1
	buffer_load_dword v113, off, s[0:3], 0 offset:72
	buffer_load_dword v114, off, s[0:3], 0 offset:76
	ds_read_b128 v[103:106], v98 offset:672
	s_waitcnt vmcnt(26) lgkmcnt(1)
	v_fma_f64 v[99:100], v[127:128], v[99:100], v[111:112]
	s_waitcnt vmcnt(25)
	v_fma_f64 v[99:100], v[121:122], v[101:102], v[99:100]
	s_waitcnt vmcnt(24) lgkmcnt(0)
	v_fma_f64 v[99:100], v[119:120], v[103:104], v[99:100]
	s_waitcnt vmcnt(19)
	v_fma_f64 v[111:112], v[123:124], v[105:106], v[99:100]
	ds_read_b128 v[99:102], v98 offset:688
	ds_read_b128 v[103:106], v98 offset:704
	s_waitcnt vmcnt(18) lgkmcnt(1)
	v_fma_f64 v[99:100], v[135:136], v[99:100], v[111:112]
	s_waitcnt vmcnt(17)
	v_fma_f64 v[99:100], v[129:130], v[101:102], v[99:100]
	s_waitcnt vmcnt(16) lgkmcnt(0)
	v_fma_f64 v[99:100], v[125:126], v[103:104], v[99:100]
	s_waitcnt vmcnt(11)
	v_fma_f64 v[107:108], v[107:108], v[105:106], v[99:100]
	ds_read_b128 v[99:102], v98 offset:720
	;; [unrolled: 10-line block ×3, first 2 shown]
	s_waitcnt vmcnt(3) lgkmcnt(0)
	v_fma_f64 v[98:99], v[137:138], v[98:99], v[102:103]
	s_waitcnt vmcnt(2)
	v_fma_f64 v[98:99], v[115:116], v[100:101], v[98:99]
	s_waitcnt vmcnt(0)
	v_add_f64 v[98:99], v[113:114], -v[98:99]
	buffer_store_dword v99, off, s[0:3], 0 offset:76
	buffer_store_dword v98, off, s[0:3], 0 offset:72
	v_cmpx_lt_u32_e32 8, v0
	s_cbranch_execz .LBB47_281
; %bb.280:
	s_clause 0x1
	buffer_load_dword v98, off, s[0:3], 0 offset:64
	buffer_load_dword v99, off, s[0:3], 0 offset:68
	v_mov_b32_e32 v100, 0
	buffer_store_dword v100, off, s[0:3], 0 offset:64
	buffer_store_dword v100, off, s[0:3], 0 offset:68
	s_waitcnt vmcnt(0)
	ds_write_b64 v97, v[98:99]
.LBB47_281:
	s_or_b32 exec_lo, exec_lo, s4
	s_waitcnt lgkmcnt(0)
	s_waitcnt_vscnt null, 0x0
	s_barrier
	buffer_gl0_inv
	s_clause 0x1c
	buffer_load_dword v107, off, s[0:3], 0 offset:72
	buffer_load_dword v108, off, s[0:3], 0 offset:76
	;; [unrolled: 1-line block ×29, first 2 shown]
	v_mov_b32_e32 v98, 0
	buffer_load_dword v132, off, s[0:3], 0 offset:188
	s_mov_b32 s4, exec_lo
	ds_read2_b64 v[99:102], v98 offset0:57 offset1:58
	ds_read2_b64 v[103:106], v98 offset0:59 offset1:60
	s_waitcnt vmcnt(28) lgkmcnt(1)
	v_fma_f64 v[99:100], v[107:108], v[99:100], 0
	s_clause 0x7
	buffer_load_dword v108, off, s[0:3], 0 offset:196
	buffer_load_dword v137, off, s[0:3], 0 offset:216
	buffer_load_dword v139, off, s[0:3], 0 offset:208
	buffer_load_dword v141, off, s[0:3], 0 offset:200
	buffer_load_dword v107, off, s[0:3], 0 offset:192
	buffer_load_dword v142, off, s[0:3], 0 offset:204
	buffer_load_dword v140, off, s[0:3], 0 offset:212
	buffer_load_dword v138, off, s[0:3], 0 offset:220
	s_waitcnt vmcnt(34)
	v_fma_f64 v[99:100], v[109:110], v[101:102], v[99:100]
	s_waitcnt vmcnt(32) lgkmcnt(0)
	v_fma_f64 v[99:100], v[111:112], v[103:104], v[99:100]
	s_waitcnt vmcnt(30)
	v_fma_f64 v[109:110], v[113:114], v[105:106], v[99:100]
	ds_read2_b64 v[99:102], v98 offset0:61 offset1:62
	ds_read2_b64 v[103:106], v98 offset0:63 offset1:64
	s_waitcnt vmcnt(28) lgkmcnt(1)
	v_fma_f64 v[99:100], v[115:116], v[99:100], v[109:110]
	s_clause 0x7
	buffer_load_dword v110, off, s[0:3], 0 offset:228
	buffer_load_dword v111, off, s[0:3], 0 offset:248
	buffer_load_dword v113, off, s[0:3], 0 offset:240
	buffer_load_dword v115, off, s[0:3], 0 offset:232
	buffer_load_dword v109, off, s[0:3], 0 offset:224
	buffer_load_dword v116, off, s[0:3], 0 offset:236
	buffer_load_dword v114, off, s[0:3], 0 offset:244
	buffer_load_dword v112, off, s[0:3], 0 offset:252
	s_waitcnt vmcnt(34)
	v_fma_f64 v[99:100], v[117:118], v[101:102], v[99:100]
	s_waitcnt vmcnt(32) lgkmcnt(0)
	v_fma_f64 v[99:100], v[119:120], v[103:104], v[99:100]
	s_waitcnt vmcnt(27)
	v_fma_f64 v[117:118], v[121:122], v[105:106], v[99:100]
	;; [unrolled: 19-line block ×6, first 2 shown]
	ds_read2_b64 v[99:102], v98 offset0:81 offset1:82
	ds_read2_b64 v[103:106], v98 offset0:83 offset1:84
	s_waitcnt vmcnt(26) lgkmcnt(1)
	v_fma_f64 v[99:100], v[127:128], v[99:100], v[111:112]
	s_clause 0x1
	buffer_load_dword v111, off, s[0:3], 0 offset:64
	buffer_load_dword v112, off, s[0:3], 0 offset:68
	s_waitcnt vmcnt(27)
	v_fma_f64 v[99:100], v[121:122], v[101:102], v[99:100]
	s_waitcnt vmcnt(26) lgkmcnt(0)
	v_fma_f64 v[99:100], v[119:120], v[103:104], v[99:100]
	s_waitcnt vmcnt(21)
	v_fma_f64 v[113:114], v[123:124], v[105:106], v[99:100]
	ds_read2_b64 v[99:102], v98 offset0:85 offset1:86
	ds_read2_b64 v[103:106], v98 offset0:87 offset1:88
	s_waitcnt vmcnt(20) lgkmcnt(1)
	v_fma_f64 v[99:100], v[135:136], v[99:100], v[113:114]
	s_waitcnt vmcnt(19)
	v_fma_f64 v[99:100], v[129:130], v[101:102], v[99:100]
	s_waitcnt vmcnt(18) lgkmcnt(0)
	v_fma_f64 v[99:100], v[125:126], v[103:104], v[99:100]
	s_waitcnt vmcnt(13)
	v_fma_f64 v[107:108], v[107:108], v[105:106], v[99:100]
	ds_read2_b64 v[99:102], v98 offset0:89 offset1:90
	ds_read2_b64 v[103:106], v98 offset0:91 offset1:92
	s_waitcnt vmcnt(12) lgkmcnt(1)
	v_fma_f64 v[99:100], v[141:142], v[99:100], v[107:108]
	s_waitcnt vmcnt(11)
	v_fma_f64 v[99:100], v[133:134], v[101:102], v[99:100]
	s_waitcnt vmcnt(10) lgkmcnt(0)
	v_fma_f64 v[99:100], v[131:132], v[103:104], v[99:100]
	s_waitcnt vmcnt(5)
	v_fma_f64 v[103:104], v[109:110], v[105:106], v[99:100]
	ds_read2_b64 v[99:102], v98 offset0:93 offset1:94
	ds_read_b64 v[105:106], v98 offset:760
	s_waitcnt vmcnt(4) lgkmcnt(1)
	v_fma_f64 v[99:100], v[139:140], v[99:100], v[103:104]
	s_waitcnt vmcnt(3)
	v_fma_f64 v[99:100], v[137:138], v[101:102], v[99:100]
	s_waitcnt vmcnt(2) lgkmcnt(0)
	v_fma_f64 v[99:100], v[115:116], v[105:106], v[99:100]
	s_waitcnt vmcnt(0)
	v_add_f64 v[99:100], v[111:112], -v[99:100]
	buffer_store_dword v100, off, s[0:3], 0 offset:68
	buffer_store_dword v99, off, s[0:3], 0 offset:64
	v_cmpx_lt_u32_e32 7, v0
	s_cbranch_execz .LBB47_283
; %bb.282:
	s_clause 0x1
	buffer_load_dword v99, off, s[0:3], 0 offset:56
	buffer_load_dword v100, off, s[0:3], 0 offset:60
	buffer_store_dword v98, off, s[0:3], 0 offset:56
	buffer_store_dword v98, off, s[0:3], 0 offset:60
	s_waitcnt vmcnt(0)
	ds_write_b64 v97, v[99:100]
.LBB47_283:
	s_or_b32 exec_lo, exec_lo, s4
	s_waitcnt lgkmcnt(0)
	s_waitcnt_vscnt null, 0x0
	s_barrier
	buffer_gl0_inv
	s_clause 0x1c
	buffer_load_dword v107, off, s[0:3], 0 offset:64
	buffer_load_dword v108, off, s[0:3], 0 offset:68
	;; [unrolled: 1-line block ×29, first 2 shown]
	ds_read_b128 v[99:102], v98 offset:448
	ds_read_b128 v[103:106], v98 offset:464
	buffer_load_dword v132, off, s[0:3], 0 offset:180
	s_mov_b32 s4, exec_lo
	s_waitcnt vmcnt(28) lgkmcnt(1)
	v_fma_f64 v[99:100], v[107:108], v[99:100], 0
	s_clause 0x7
	buffer_load_dword v108, off, s[0:3], 0 offset:188
	buffer_load_dword v137, off, s[0:3], 0 offset:208
	buffer_load_dword v139, off, s[0:3], 0 offset:200
	buffer_load_dword v141, off, s[0:3], 0 offset:192
	buffer_load_dword v107, off, s[0:3], 0 offset:184
	buffer_load_dword v142, off, s[0:3], 0 offset:196
	buffer_load_dword v140, off, s[0:3], 0 offset:204
	buffer_load_dword v138, off, s[0:3], 0 offset:212
	s_waitcnt vmcnt(34)
	v_fma_f64 v[99:100], v[109:110], v[101:102], v[99:100]
	s_waitcnt vmcnt(32) lgkmcnt(0)
	v_fma_f64 v[99:100], v[111:112], v[103:104], v[99:100]
	s_waitcnt vmcnt(30)
	v_fma_f64 v[109:110], v[113:114], v[105:106], v[99:100]
	ds_read_b128 v[99:102], v98 offset:480
	ds_read_b128 v[103:106], v98 offset:496
	s_waitcnt vmcnt(28) lgkmcnt(1)
	v_fma_f64 v[99:100], v[115:116], v[99:100], v[109:110]
	s_clause 0x7
	buffer_load_dword v110, off, s[0:3], 0 offset:220
	buffer_load_dword v111, off, s[0:3], 0 offset:240
	buffer_load_dword v113, off, s[0:3], 0 offset:232
	buffer_load_dword v115, off, s[0:3], 0 offset:224
	buffer_load_dword v109, off, s[0:3], 0 offset:216
	buffer_load_dword v116, off, s[0:3], 0 offset:228
	buffer_load_dword v114, off, s[0:3], 0 offset:236
	buffer_load_dword v112, off, s[0:3], 0 offset:244
	s_waitcnt vmcnt(34)
	v_fma_f64 v[99:100], v[117:118], v[101:102], v[99:100]
	s_waitcnt vmcnt(32) lgkmcnt(0)
	v_fma_f64 v[99:100], v[119:120], v[103:104], v[99:100]
	s_waitcnt vmcnt(27)
	v_fma_f64 v[117:118], v[121:122], v[105:106], v[99:100]
	ds_read_b128 v[99:102], v98 offset:512
	ds_read_b128 v[103:106], v98 offset:528
	;; [unrolled: 19-line block ×6, first 2 shown]
	s_waitcnt vmcnt(26) lgkmcnt(1)
	v_fma_f64 v[99:100], v[127:128], v[99:100], v[111:112]
	s_clause 0x3
	buffer_load_dword v112, off, s[0:3], 0 offset:380
	buffer_load_dword v111, off, s[0:3], 0 offset:376
	;; [unrolled: 1-line block ×4, first 2 shown]
	s_waitcnt vmcnt(29)
	v_fma_f64 v[99:100], v[121:122], v[101:102], v[99:100]
	s_waitcnt vmcnt(28) lgkmcnt(0)
	v_fma_f64 v[99:100], v[119:120], v[103:104], v[99:100]
	s_waitcnt vmcnt(23)
	v_fma_f64 v[117:118], v[123:124], v[105:106], v[99:100]
	ds_read_b128 v[99:102], v98 offset:672
	ds_read_b128 v[103:106], v98 offset:688
	s_waitcnt vmcnt(22) lgkmcnt(1)
	v_fma_f64 v[99:100], v[135:136], v[99:100], v[117:118]
	s_waitcnt vmcnt(21)
	v_fma_f64 v[99:100], v[129:130], v[101:102], v[99:100]
	s_waitcnt vmcnt(20) lgkmcnt(0)
	v_fma_f64 v[99:100], v[125:126], v[103:104], v[99:100]
	s_waitcnt vmcnt(15)
	v_fma_f64 v[107:108], v[107:108], v[105:106], v[99:100]
	ds_read_b128 v[99:102], v98 offset:704
	ds_read_b128 v[103:106], v98 offset:720
	s_waitcnt vmcnt(14) lgkmcnt(1)
	v_fma_f64 v[99:100], v[141:142], v[99:100], v[107:108]
	;; [unrolled: 10-line block ×3, first 2 shown]
	s_waitcnt vmcnt(5)
	v_fma_f64 v[98:99], v[137:138], v[101:102], v[98:99]
	s_waitcnt vmcnt(4) lgkmcnt(0)
	v_fma_f64 v[98:99], v[115:116], v[103:104], v[98:99]
	s_waitcnt vmcnt(2)
	v_fma_f64 v[98:99], v[111:112], v[105:106], v[98:99]
	s_waitcnt vmcnt(0)
	v_add_f64 v[98:99], v[113:114], -v[98:99]
	buffer_store_dword v99, off, s[0:3], 0 offset:60
	buffer_store_dword v98, off, s[0:3], 0 offset:56
	v_cmpx_lt_u32_e32 6, v0
	s_cbranch_execz .LBB47_285
; %bb.284:
	s_clause 0x1
	buffer_load_dword v98, off, s[0:3], 0 offset:48
	buffer_load_dword v99, off, s[0:3], 0 offset:52
	v_mov_b32_e32 v100, 0
	buffer_store_dword v100, off, s[0:3], 0 offset:48
	buffer_store_dword v100, off, s[0:3], 0 offset:52
	s_waitcnt vmcnt(0)
	ds_write_b64 v97, v[98:99]
.LBB47_285:
	s_or_b32 exec_lo, exec_lo, s4
	s_waitcnt lgkmcnt(0)
	s_waitcnt_vscnt null, 0x0
	s_barrier
	buffer_gl0_inv
	s_clause 0x1c
	buffer_load_dword v107, off, s[0:3], 0 offset:56
	buffer_load_dword v108, off, s[0:3], 0 offset:60
	;; [unrolled: 1-line block ×29, first 2 shown]
	v_mov_b32_e32 v98, 0
	buffer_load_dword v132, off, s[0:3], 0 offset:172
	s_mov_b32 s4, exec_lo
	ds_read2_b64 v[99:102], v98 offset0:55 offset1:56
	ds_read2_b64 v[103:106], v98 offset0:57 offset1:58
	s_waitcnt vmcnt(28) lgkmcnt(1)
	v_fma_f64 v[99:100], v[107:108], v[99:100], 0
	s_clause 0x7
	buffer_load_dword v108, off, s[0:3], 0 offset:180
	buffer_load_dword v137, off, s[0:3], 0 offset:200
	buffer_load_dword v139, off, s[0:3], 0 offset:192
	buffer_load_dword v141, off, s[0:3], 0 offset:184
	buffer_load_dword v107, off, s[0:3], 0 offset:176
	buffer_load_dword v142, off, s[0:3], 0 offset:188
	buffer_load_dword v140, off, s[0:3], 0 offset:196
	buffer_load_dword v138, off, s[0:3], 0 offset:204
	s_waitcnt vmcnt(34)
	v_fma_f64 v[99:100], v[109:110], v[101:102], v[99:100]
	s_waitcnt vmcnt(32) lgkmcnt(0)
	v_fma_f64 v[99:100], v[111:112], v[103:104], v[99:100]
	s_waitcnt vmcnt(30)
	v_fma_f64 v[109:110], v[113:114], v[105:106], v[99:100]
	ds_read2_b64 v[99:102], v98 offset0:59 offset1:60
	ds_read2_b64 v[103:106], v98 offset0:61 offset1:62
	s_waitcnt vmcnt(28) lgkmcnt(1)
	v_fma_f64 v[99:100], v[115:116], v[99:100], v[109:110]
	s_clause 0x7
	buffer_load_dword v110, off, s[0:3], 0 offset:212
	buffer_load_dword v111, off, s[0:3], 0 offset:232
	buffer_load_dword v113, off, s[0:3], 0 offset:224
	buffer_load_dword v115, off, s[0:3], 0 offset:216
	buffer_load_dword v109, off, s[0:3], 0 offset:208
	buffer_load_dword v116, off, s[0:3], 0 offset:220
	buffer_load_dword v114, off, s[0:3], 0 offset:228
	buffer_load_dword v112, off, s[0:3], 0 offset:236
	s_waitcnt vmcnt(34)
	v_fma_f64 v[99:100], v[117:118], v[101:102], v[99:100]
	s_waitcnt vmcnt(32) lgkmcnt(0)
	v_fma_f64 v[99:100], v[119:120], v[103:104], v[99:100]
	s_waitcnt vmcnt(27)
	v_fma_f64 v[117:118], v[121:122], v[105:106], v[99:100]
	;; [unrolled: 19-line block ×6, first 2 shown]
	ds_read2_b64 v[99:102], v98 offset0:79 offset1:80
	ds_read2_b64 v[103:106], v98 offset0:81 offset1:82
	s_waitcnt vmcnt(26) lgkmcnt(1)
	v_fma_f64 v[99:100], v[127:128], v[99:100], v[111:112]
	s_clause 0x5
	buffer_load_dword v112, off, s[0:3], 0 offset:372
	buffer_load_dword v113, off, s[0:3], 0 offset:376
	;; [unrolled: 1-line block ×6, first 2 shown]
	s_waitcnt vmcnt(31)
	v_fma_f64 v[99:100], v[121:122], v[101:102], v[99:100]
	s_waitcnt vmcnt(30) lgkmcnt(0)
	v_fma_f64 v[99:100], v[119:120], v[103:104], v[99:100]
	s_waitcnt vmcnt(25)
	v_fma_f64 v[119:120], v[123:124], v[105:106], v[99:100]
	ds_read2_b64 v[99:102], v98 offset0:83 offset1:84
	ds_read2_b64 v[103:106], v98 offset0:85 offset1:86
	s_waitcnt vmcnt(24) lgkmcnt(1)
	v_fma_f64 v[99:100], v[135:136], v[99:100], v[119:120]
	s_waitcnt vmcnt(23)
	v_fma_f64 v[99:100], v[129:130], v[101:102], v[99:100]
	s_waitcnt vmcnt(22) lgkmcnt(0)
	v_fma_f64 v[99:100], v[125:126], v[103:104], v[99:100]
	s_waitcnt vmcnt(17)
	v_fma_f64 v[107:108], v[107:108], v[105:106], v[99:100]
	ds_read2_b64 v[99:102], v98 offset0:87 offset1:88
	ds_read2_b64 v[103:106], v98 offset0:89 offset1:90
	s_waitcnt vmcnt(16) lgkmcnt(1)
	v_fma_f64 v[99:100], v[141:142], v[99:100], v[107:108]
	;; [unrolled: 10-line block ×3, first 2 shown]
	s_waitcnt vmcnt(7)
	v_fma_f64 v[99:100], v[137:138], v[101:102], v[99:100]
	ds_read_b64 v[101:102], v98 offset:760
	s_waitcnt vmcnt(6) lgkmcnt(1)
	v_fma_f64 v[99:100], v[115:116], v[103:104], v[99:100]
	s_waitcnt vmcnt(3)
	v_fma_f64 v[99:100], v[111:112], v[105:106], v[99:100]
	s_waitcnt vmcnt(2) lgkmcnt(0)
	v_fma_f64 v[99:100], v[113:114], v[101:102], v[99:100]
	s_waitcnt vmcnt(0)
	v_add_f64 v[99:100], v[117:118], -v[99:100]
	buffer_store_dword v100, off, s[0:3], 0 offset:52
	buffer_store_dword v99, off, s[0:3], 0 offset:48
	v_cmpx_lt_u32_e32 5, v0
	s_cbranch_execz .LBB47_287
; %bb.286:
	s_clause 0x1
	buffer_load_dword v99, off, s[0:3], 0 offset:40
	buffer_load_dword v100, off, s[0:3], 0 offset:44
	buffer_store_dword v98, off, s[0:3], 0 offset:40
	buffer_store_dword v98, off, s[0:3], 0 offset:44
	s_waitcnt vmcnt(0)
	ds_write_b64 v97, v[99:100]
.LBB47_287:
	s_or_b32 exec_lo, exec_lo, s4
	s_waitcnt lgkmcnt(0)
	s_waitcnt_vscnt null, 0x0
	s_barrier
	buffer_gl0_inv
	s_clause 0x1c
	buffer_load_dword v107, off, s[0:3], 0 offset:48
	buffer_load_dword v108, off, s[0:3], 0 offset:52
	;; [unrolled: 1-line block ×29, first 2 shown]
	ds_read_b128 v[99:102], v98 offset:432
	ds_read_b128 v[103:106], v98 offset:448
	buffer_load_dword v132, off, s[0:3], 0 offset:164
	s_mov_b32 s4, exec_lo
	s_waitcnt vmcnt(28) lgkmcnt(1)
	v_fma_f64 v[99:100], v[107:108], v[99:100], 0
	s_clause 0x7
	buffer_load_dword v108, off, s[0:3], 0 offset:172
	buffer_load_dword v137, off, s[0:3], 0 offset:192
	buffer_load_dword v139, off, s[0:3], 0 offset:184
	buffer_load_dword v141, off, s[0:3], 0 offset:176
	buffer_load_dword v107, off, s[0:3], 0 offset:168
	buffer_load_dword v142, off, s[0:3], 0 offset:180
	buffer_load_dword v140, off, s[0:3], 0 offset:188
	buffer_load_dword v138, off, s[0:3], 0 offset:196
	s_waitcnt vmcnt(34)
	v_fma_f64 v[99:100], v[109:110], v[101:102], v[99:100]
	s_waitcnt vmcnt(32) lgkmcnt(0)
	v_fma_f64 v[99:100], v[111:112], v[103:104], v[99:100]
	s_waitcnt vmcnt(30)
	v_fma_f64 v[109:110], v[113:114], v[105:106], v[99:100]
	ds_read_b128 v[99:102], v98 offset:464
	ds_read_b128 v[103:106], v98 offset:480
	s_waitcnt vmcnt(28) lgkmcnt(1)
	v_fma_f64 v[99:100], v[115:116], v[99:100], v[109:110]
	s_clause 0x7
	buffer_load_dword v110, off, s[0:3], 0 offset:204
	buffer_load_dword v111, off, s[0:3], 0 offset:224
	buffer_load_dword v113, off, s[0:3], 0 offset:216
	buffer_load_dword v115, off, s[0:3], 0 offset:208
	buffer_load_dword v109, off, s[0:3], 0 offset:200
	buffer_load_dword v116, off, s[0:3], 0 offset:212
	buffer_load_dword v114, off, s[0:3], 0 offset:220
	buffer_load_dword v112, off, s[0:3], 0 offset:228
	s_waitcnt vmcnt(34)
	v_fma_f64 v[99:100], v[117:118], v[101:102], v[99:100]
	s_waitcnt vmcnt(32) lgkmcnt(0)
	v_fma_f64 v[99:100], v[119:120], v[103:104], v[99:100]
	s_waitcnt vmcnt(27)
	v_fma_f64 v[117:118], v[121:122], v[105:106], v[99:100]
	ds_read_b128 v[99:102], v98 offset:496
	ds_read_b128 v[103:106], v98 offset:512
	;; [unrolled: 19-line block ×6, first 2 shown]
	s_waitcnt vmcnt(26) lgkmcnt(1)
	v_fma_f64 v[99:100], v[127:128], v[99:100], v[111:112]
	s_clause 0x5
	buffer_load_dword v112, off, s[0:3], 0 offset:364
	buffer_load_dword v113, off, s[0:3], 0 offset:376
	;; [unrolled: 1-line block ×6, first 2 shown]
	s_waitcnt vmcnt(31)
	v_fma_f64 v[99:100], v[121:122], v[101:102], v[99:100]
	s_waitcnt vmcnt(30) lgkmcnt(0)
	v_fma_f64 v[99:100], v[119:120], v[103:104], v[99:100]
	s_waitcnt vmcnt(25)
	v_fma_f64 v[119:120], v[123:124], v[105:106], v[99:100]
	ds_read_b128 v[99:102], v98 offset:656
	s_clause 0x1
	buffer_load_dword v121, off, s[0:3], 0 offset:40
	buffer_load_dword v122, off, s[0:3], 0 offset:44
	ds_read_b128 v[103:106], v98 offset:672
	s_waitcnt vmcnt(26) lgkmcnt(1)
	v_fma_f64 v[99:100], v[135:136], v[99:100], v[119:120]
	s_waitcnt vmcnt(25)
	v_fma_f64 v[99:100], v[129:130], v[101:102], v[99:100]
	s_waitcnt vmcnt(24) lgkmcnt(0)
	v_fma_f64 v[99:100], v[125:126], v[103:104], v[99:100]
	s_waitcnt vmcnt(19)
	v_fma_f64 v[107:108], v[107:108], v[105:106], v[99:100]
	ds_read_b128 v[99:102], v98 offset:688
	ds_read_b128 v[103:106], v98 offset:704
	s_waitcnt vmcnt(18) lgkmcnt(1)
	v_fma_f64 v[99:100], v[141:142], v[99:100], v[107:108]
	s_waitcnt vmcnt(17)
	v_fma_f64 v[99:100], v[133:134], v[101:102], v[99:100]
	s_waitcnt vmcnt(16) lgkmcnt(0)
	v_fma_f64 v[99:100], v[131:132], v[103:104], v[99:100]
	s_waitcnt vmcnt(11)
	v_fma_f64 v[107:108], v[109:110], v[105:106], v[99:100]
	ds_read_b128 v[99:102], v98 offset:720
	;; [unrolled: 10-line block ×3, first 2 shown]
	s_waitcnt vmcnt(3) lgkmcnt(0)
	v_fma_f64 v[98:99], v[117:118], v[98:99], v[102:103]
	s_waitcnt vmcnt(2)
	v_fma_f64 v[98:99], v[113:114], v[100:101], v[98:99]
	s_waitcnt vmcnt(0)
	v_add_f64 v[98:99], v[121:122], -v[98:99]
	buffer_store_dword v99, off, s[0:3], 0 offset:44
	buffer_store_dword v98, off, s[0:3], 0 offset:40
	v_cmpx_lt_u32_e32 4, v0
	s_cbranch_execz .LBB47_289
; %bb.288:
	s_clause 0x1
	buffer_load_dword v98, off, s[0:3], 0 offset:32
	buffer_load_dword v99, off, s[0:3], 0 offset:36
	v_mov_b32_e32 v100, 0
	buffer_store_dword v100, off, s[0:3], 0 offset:32
	buffer_store_dword v100, off, s[0:3], 0 offset:36
	s_waitcnt vmcnt(0)
	ds_write_b64 v97, v[98:99]
.LBB47_289:
	s_or_b32 exec_lo, exec_lo, s4
	s_waitcnt lgkmcnt(0)
	s_waitcnt_vscnt null, 0x0
	s_barrier
	buffer_gl0_inv
	s_clause 0x1c
	buffer_load_dword v107, off, s[0:3], 0 offset:40
	buffer_load_dword v108, off, s[0:3], 0 offset:44
	;; [unrolled: 1-line block ×29, first 2 shown]
	v_mov_b32_e32 v98, 0
	buffer_load_dword v132, off, s[0:3], 0 offset:156
	s_mov_b32 s4, exec_lo
	ds_read2_b64 v[99:102], v98 offset0:53 offset1:54
	ds_read2_b64 v[103:106], v98 offset0:55 offset1:56
	s_waitcnt vmcnt(28) lgkmcnt(1)
	v_fma_f64 v[99:100], v[107:108], v[99:100], 0
	s_clause 0x7
	buffer_load_dword v108, off, s[0:3], 0 offset:164
	buffer_load_dword v137, off, s[0:3], 0 offset:184
	buffer_load_dword v139, off, s[0:3], 0 offset:176
	buffer_load_dword v141, off, s[0:3], 0 offset:168
	buffer_load_dword v107, off, s[0:3], 0 offset:160
	buffer_load_dword v142, off, s[0:3], 0 offset:172
	buffer_load_dword v140, off, s[0:3], 0 offset:180
	buffer_load_dword v138, off, s[0:3], 0 offset:188
	s_waitcnt vmcnt(34)
	v_fma_f64 v[99:100], v[109:110], v[101:102], v[99:100]
	s_waitcnt vmcnt(32) lgkmcnt(0)
	v_fma_f64 v[99:100], v[111:112], v[103:104], v[99:100]
	s_waitcnt vmcnt(30)
	v_fma_f64 v[109:110], v[113:114], v[105:106], v[99:100]
	ds_read2_b64 v[99:102], v98 offset0:57 offset1:58
	ds_read2_b64 v[103:106], v98 offset0:59 offset1:60
	s_waitcnt vmcnt(28) lgkmcnt(1)
	v_fma_f64 v[99:100], v[115:116], v[99:100], v[109:110]
	s_clause 0x7
	buffer_load_dword v110, off, s[0:3], 0 offset:196
	buffer_load_dword v111, off, s[0:3], 0 offset:216
	buffer_load_dword v113, off, s[0:3], 0 offset:208
	buffer_load_dword v115, off, s[0:3], 0 offset:200
	buffer_load_dword v109, off, s[0:3], 0 offset:192
	buffer_load_dword v116, off, s[0:3], 0 offset:204
	buffer_load_dword v114, off, s[0:3], 0 offset:212
	buffer_load_dword v112, off, s[0:3], 0 offset:220
	s_waitcnt vmcnt(34)
	v_fma_f64 v[99:100], v[117:118], v[101:102], v[99:100]
	s_waitcnt vmcnt(32) lgkmcnt(0)
	v_fma_f64 v[99:100], v[119:120], v[103:104], v[99:100]
	s_waitcnt vmcnt(27)
	v_fma_f64 v[117:118], v[121:122], v[105:106], v[99:100]
	;; [unrolled: 19-line block ×7, first 2 shown]
	ds_read2_b64 v[99:102], v98 offset0:81 offset1:82
	ds_read2_b64 v[103:106], v98 offset0:83 offset1:84
	s_waitcnt vmcnt(26) lgkmcnt(1)
	v_fma_f64 v[99:100], v[135:136], v[99:100], v[119:120]
	s_clause 0x1
	buffer_load_dword v119, off, s[0:3], 0 offset:32
	buffer_load_dword v120, off, s[0:3], 0 offset:36
	s_waitcnt vmcnt(27)
	v_fma_f64 v[99:100], v[129:130], v[101:102], v[99:100]
	s_waitcnt vmcnt(26) lgkmcnt(0)
	v_fma_f64 v[99:100], v[125:126], v[103:104], v[99:100]
	s_waitcnt vmcnt(21)
	v_fma_f64 v[107:108], v[107:108], v[105:106], v[99:100]
	ds_read2_b64 v[99:102], v98 offset0:85 offset1:86
	ds_read2_b64 v[103:106], v98 offset0:87 offset1:88
	s_waitcnt vmcnt(20) lgkmcnt(1)
	v_fma_f64 v[99:100], v[141:142], v[99:100], v[107:108]
	s_waitcnt vmcnt(19)
	v_fma_f64 v[99:100], v[133:134], v[101:102], v[99:100]
	s_waitcnt vmcnt(18) lgkmcnt(0)
	v_fma_f64 v[99:100], v[131:132], v[103:104], v[99:100]
	s_waitcnt vmcnt(13)
	v_fma_f64 v[107:108], v[109:110], v[105:106], v[99:100]
	ds_read2_b64 v[99:102], v98 offset0:89 offset1:90
	ds_read2_b64 v[103:106], v98 offset0:91 offset1:92
	s_waitcnt vmcnt(12) lgkmcnt(1)
	v_fma_f64 v[99:100], v[139:140], v[99:100], v[107:108]
	s_waitcnt vmcnt(11)
	v_fma_f64 v[99:100], v[137:138], v[101:102], v[99:100]
	s_waitcnt vmcnt(10) lgkmcnt(0)
	v_fma_f64 v[99:100], v[115:116], v[103:104], v[99:100]
	s_waitcnt vmcnt(5)
	v_fma_f64 v[103:104], v[111:112], v[105:106], v[99:100]
	ds_read2_b64 v[99:102], v98 offset0:93 offset1:94
	ds_read_b64 v[105:106], v98 offset:760
	s_waitcnt vmcnt(4) lgkmcnt(1)
	v_fma_f64 v[99:100], v[127:128], v[99:100], v[103:104]
	s_waitcnt vmcnt(3)
	v_fma_f64 v[99:100], v[117:118], v[101:102], v[99:100]
	s_waitcnt vmcnt(2) lgkmcnt(0)
	v_fma_f64 v[99:100], v[113:114], v[105:106], v[99:100]
	s_waitcnt vmcnt(0)
	v_add_f64 v[99:100], v[119:120], -v[99:100]
	buffer_store_dword v100, off, s[0:3], 0 offset:36
	buffer_store_dword v99, off, s[0:3], 0 offset:32
	v_cmpx_lt_u32_e32 3, v0
	s_cbranch_execz .LBB47_291
; %bb.290:
	s_clause 0x1
	buffer_load_dword v99, off, s[0:3], 0 offset:24
	buffer_load_dword v100, off, s[0:3], 0 offset:28
	buffer_store_dword v98, off, s[0:3], 0 offset:24
	buffer_store_dword v98, off, s[0:3], 0 offset:28
	s_waitcnt vmcnt(0)
	ds_write_b64 v97, v[99:100]
.LBB47_291:
	s_or_b32 exec_lo, exec_lo, s4
	s_waitcnt lgkmcnt(0)
	s_waitcnt_vscnt null, 0x0
	s_barrier
	buffer_gl0_inv
	s_clause 0x1c
	buffer_load_dword v107, off, s[0:3], 0 offset:32
	buffer_load_dword v108, off, s[0:3], 0 offset:36
	;; [unrolled: 1-line block ×29, first 2 shown]
	ds_read_b128 v[99:102], v98 offset:416
	ds_read_b128 v[103:106], v98 offset:432
	buffer_load_dword v132, off, s[0:3], 0 offset:148
	s_mov_b32 s4, exec_lo
	s_waitcnt vmcnt(28) lgkmcnt(1)
	v_fma_f64 v[99:100], v[107:108], v[99:100], 0
	s_clause 0x7
	buffer_load_dword v108, off, s[0:3], 0 offset:156
	buffer_load_dword v137, off, s[0:3], 0 offset:176
	buffer_load_dword v139, off, s[0:3], 0 offset:168
	buffer_load_dword v141, off, s[0:3], 0 offset:160
	buffer_load_dword v107, off, s[0:3], 0 offset:152
	buffer_load_dword v142, off, s[0:3], 0 offset:164
	buffer_load_dword v140, off, s[0:3], 0 offset:172
	buffer_load_dword v138, off, s[0:3], 0 offset:180
	s_waitcnt vmcnt(34)
	v_fma_f64 v[99:100], v[109:110], v[101:102], v[99:100]
	s_waitcnt vmcnt(32) lgkmcnt(0)
	v_fma_f64 v[99:100], v[111:112], v[103:104], v[99:100]
	s_waitcnt vmcnt(30)
	v_fma_f64 v[109:110], v[113:114], v[105:106], v[99:100]
	ds_read_b128 v[99:102], v98 offset:448
	ds_read_b128 v[103:106], v98 offset:464
	s_waitcnt vmcnt(28) lgkmcnt(1)
	v_fma_f64 v[99:100], v[115:116], v[99:100], v[109:110]
	s_clause 0x7
	buffer_load_dword v110, off, s[0:3], 0 offset:188
	buffer_load_dword v111, off, s[0:3], 0 offset:208
	buffer_load_dword v113, off, s[0:3], 0 offset:200
	buffer_load_dword v115, off, s[0:3], 0 offset:192
	buffer_load_dword v109, off, s[0:3], 0 offset:184
	buffer_load_dword v116, off, s[0:3], 0 offset:196
	buffer_load_dword v114, off, s[0:3], 0 offset:204
	buffer_load_dword v112, off, s[0:3], 0 offset:212
	s_waitcnt vmcnt(34)
	v_fma_f64 v[99:100], v[117:118], v[101:102], v[99:100]
	s_waitcnt vmcnt(32) lgkmcnt(0)
	v_fma_f64 v[99:100], v[119:120], v[103:104], v[99:100]
	s_waitcnt vmcnt(27)
	v_fma_f64 v[117:118], v[121:122], v[105:106], v[99:100]
	ds_read_b128 v[99:102], v98 offset:480
	ds_read_b128 v[103:106], v98 offset:496
	s_waitcnt vmcnt(26) lgkmcnt(1)
	v_fma_f64 v[99:100], v[127:128], v[99:100], v[117:118]
	s_clause 0x7
	buffer_load_dword v118, off, s[0:3], 0 offset:220
	buffer_load_dword v119, off, s[0:3], 0 offset:240
	buffer_load_dword v121, off, s[0:3], 0 offset:232
	buffer_load_dword v127, off, s[0:3], 0 offset:224
	buffer_load_dword v117, off, s[0:3], 0 offset:216
	buffer_load_dword v128, off, s[0:3], 0 offset:228
	buffer_load_dword v122, off, s[0:3], 0 offset:236
	buffer_load_dword v120, off, s[0:3], 0 offset:244
	s_waitcnt vmcnt(33)
	v_fma_f64 v[99:100], v[125:126], v[101:102], v[99:100]
	s_waitcnt vmcnt(32) lgkmcnt(0)
	v_fma_f64 v[99:100], v[123:124], v[103:104], v[99:100]
	s_waitcnt vmcnt(27)
	v_fma_f64 v[123:124], v[129:130], v[105:106], v[99:100]
	ds_read_b128 v[99:102], v98 offset:512
	ds_read_b128 v[103:106], v98 offset:528
	s_waitcnt vmcnt(26) lgkmcnt(1)
	v_fma_f64 v[99:100], v[135:136], v[99:100], v[123:124]
	s_clause 0x7
	buffer_load_dword v124, off, s[0:3], 0 offset:252
	buffer_load_dword v125, off, s[0:3], 0 offset:272
	buffer_load_dword v129, off, s[0:3], 0 offset:264
	buffer_load_dword v135, off, s[0:3], 0 offset:256
	buffer_load_dword v123, off, s[0:3], 0 offset:248
	buffer_load_dword v136, off, s[0:3], 0 offset:260
	buffer_load_dword v130, off, s[0:3], 0 offset:268
	buffer_load_dword v126, off, s[0:3], 0 offset:276
	s_waitcnt vmcnt(33)
	v_fma_f64 v[99:100], v[133:134], v[101:102], v[99:100]
	s_waitcnt vmcnt(32) lgkmcnt(0)
	v_fma_f64 v[99:100], v[131:132], v[103:104], v[99:100]
	s_waitcnt vmcnt(27)
	v_fma_f64 v[107:108], v[107:108], v[105:106], v[99:100]
	ds_read_b128 v[99:102], v98 offset:544
	ds_read_b128 v[103:106], v98 offset:560
	s_waitcnt vmcnt(26) lgkmcnt(1)
	v_fma_f64 v[99:100], v[141:142], v[99:100], v[107:108]
	s_clause 0x7
	buffer_load_dword v108, off, s[0:3], 0 offset:284
	buffer_load_dword v131, off, s[0:3], 0 offset:304
	buffer_load_dword v133, off, s[0:3], 0 offset:296
	buffer_load_dword v141, off, s[0:3], 0 offset:288
	buffer_load_dword v107, off, s[0:3], 0 offset:280
	buffer_load_dword v142, off, s[0:3], 0 offset:292
	buffer_load_dword v134, off, s[0:3], 0 offset:300
	buffer_load_dword v132, off, s[0:3], 0 offset:308
	s_waitcnt vmcnt(33)
	v_fma_f64 v[99:100], v[139:140], v[101:102], v[99:100]
	s_waitcnt vmcnt(32) lgkmcnt(0)
	v_fma_f64 v[99:100], v[137:138], v[103:104], v[99:100]
	s_waitcnt vmcnt(27)
	v_fma_f64 v[109:110], v[109:110], v[105:106], v[99:100]
	ds_read_b128 v[99:102], v98 offset:576
	ds_read_b128 v[103:106], v98 offset:592
	s_waitcnt vmcnt(26) lgkmcnt(1)
	v_fma_f64 v[99:100], v[115:116], v[99:100], v[109:110]
	s_clause 0x7
	buffer_load_dword v110, off, s[0:3], 0 offset:316
	buffer_load_dword v115, off, s[0:3], 0 offset:336
	buffer_load_dword v137, off, s[0:3], 0 offset:328
	buffer_load_dword v139, off, s[0:3], 0 offset:320
	buffer_load_dword v109, off, s[0:3], 0 offset:312
	buffer_load_dword v140, off, s[0:3], 0 offset:324
	buffer_load_dword v138, off, s[0:3], 0 offset:332
	buffer_load_dword v116, off, s[0:3], 0 offset:340
	s_waitcnt vmcnt(33)
	v_fma_f64 v[99:100], v[113:114], v[101:102], v[99:100]
	s_waitcnt vmcnt(32) lgkmcnt(0)
	v_fma_f64 v[99:100], v[111:112], v[103:104], v[99:100]
	s_waitcnt vmcnt(27)
	v_fma_f64 v[111:112], v[117:118], v[105:106], v[99:100]
	ds_read_b128 v[99:102], v98 offset:608
	ds_read_b128 v[103:106], v98 offset:624
	s_waitcnt vmcnt(26) lgkmcnt(1)
	v_fma_f64 v[99:100], v[127:128], v[99:100], v[111:112]
	s_clause 0x7
	buffer_load_dword v112, off, s[0:3], 0 offset:348
	buffer_load_dword v113, off, s[0:3], 0 offset:368
	buffer_load_dword v117, off, s[0:3], 0 offset:360
	buffer_load_dword v127, off, s[0:3], 0 offset:352
	buffer_load_dword v111, off, s[0:3], 0 offset:344
	buffer_load_dword v128, off, s[0:3], 0 offset:356
	buffer_load_dword v118, off, s[0:3], 0 offset:364
	buffer_load_dword v114, off, s[0:3], 0 offset:372
	s_waitcnt vmcnt(33)
	v_fma_f64 v[99:100], v[121:122], v[101:102], v[99:100]
	s_waitcnt vmcnt(32) lgkmcnt(0)
	v_fma_f64 v[99:100], v[119:120], v[103:104], v[99:100]
	s_waitcnt vmcnt(27)
	v_fma_f64 v[119:120], v[123:124], v[105:106], v[99:100]
	ds_read_b128 v[99:102], v98 offset:640
	ds_read_b128 v[103:106], v98 offset:656
	s_waitcnt vmcnt(26) lgkmcnt(1)
	v_fma_f64 v[99:100], v[135:136], v[99:100], v[119:120]
	s_clause 0x3
	buffer_load_dword v120, off, s[0:3], 0 offset:380
	buffer_load_dword v119, off, s[0:3], 0 offset:376
	;; [unrolled: 1-line block ×4, first 2 shown]
	s_waitcnt vmcnt(29)
	v_fma_f64 v[99:100], v[129:130], v[101:102], v[99:100]
	s_waitcnt vmcnt(28) lgkmcnt(0)
	v_fma_f64 v[99:100], v[125:126], v[103:104], v[99:100]
	s_waitcnt vmcnt(23)
	v_fma_f64 v[107:108], v[107:108], v[105:106], v[99:100]
	ds_read_b128 v[99:102], v98 offset:672
	ds_read_b128 v[103:106], v98 offset:688
	s_waitcnt vmcnt(22) lgkmcnt(1)
	v_fma_f64 v[99:100], v[141:142], v[99:100], v[107:108]
	s_waitcnt vmcnt(21)
	v_fma_f64 v[99:100], v[133:134], v[101:102], v[99:100]
	s_waitcnt vmcnt(20) lgkmcnt(0)
	v_fma_f64 v[99:100], v[131:132], v[103:104], v[99:100]
	s_waitcnt vmcnt(15)
	v_fma_f64 v[107:108], v[109:110], v[105:106], v[99:100]
	ds_read_b128 v[99:102], v98 offset:704
	ds_read_b128 v[103:106], v98 offset:720
	s_waitcnt vmcnt(14) lgkmcnt(1)
	v_fma_f64 v[99:100], v[139:140], v[99:100], v[107:108]
	;; [unrolled: 10-line block ×3, first 2 shown]
	s_waitcnt vmcnt(5)
	v_fma_f64 v[98:99], v[117:118], v[101:102], v[98:99]
	s_waitcnt vmcnt(4) lgkmcnt(0)
	v_fma_f64 v[98:99], v[113:114], v[103:104], v[98:99]
	s_waitcnt vmcnt(2)
	v_fma_f64 v[98:99], v[119:120], v[105:106], v[98:99]
	s_waitcnt vmcnt(0)
	v_add_f64 v[98:99], v[121:122], -v[98:99]
	buffer_store_dword v99, off, s[0:3], 0 offset:28
	buffer_store_dword v98, off, s[0:3], 0 offset:24
	v_cmpx_lt_u32_e32 2, v0
	s_cbranch_execz .LBB47_293
; %bb.292:
	s_clause 0x1
	buffer_load_dword v98, off, s[0:3], 0 offset:16
	buffer_load_dword v99, off, s[0:3], 0 offset:20
	v_mov_b32_e32 v100, 0
	buffer_store_dword v100, off, s[0:3], 0 offset:16
	buffer_store_dword v100, off, s[0:3], 0 offset:20
	s_waitcnt vmcnt(0)
	ds_write_b64 v97, v[98:99]
.LBB47_293:
	s_or_b32 exec_lo, exec_lo, s4
	s_waitcnt lgkmcnt(0)
	s_waitcnt_vscnt null, 0x0
	s_barrier
	buffer_gl0_inv
	s_clause 0x1c
	buffer_load_dword v107, off, s[0:3], 0 offset:24
	buffer_load_dword v108, off, s[0:3], 0 offset:28
	;; [unrolled: 1-line block ×29, first 2 shown]
	v_mov_b32_e32 v98, 0
	buffer_load_dword v132, off, s[0:3], 0 offset:140
	s_mov_b32 s4, exec_lo
	ds_read2_b64 v[99:102], v98 offset0:51 offset1:52
	ds_read2_b64 v[103:106], v98 offset0:53 offset1:54
	s_waitcnt vmcnt(28) lgkmcnt(1)
	v_fma_f64 v[99:100], v[107:108], v[99:100], 0
	s_clause 0x7
	buffer_load_dword v108, off, s[0:3], 0 offset:148
	buffer_load_dword v137, off, s[0:3], 0 offset:168
	buffer_load_dword v139, off, s[0:3], 0 offset:160
	buffer_load_dword v141, off, s[0:3], 0 offset:152
	buffer_load_dword v107, off, s[0:3], 0 offset:144
	buffer_load_dword v142, off, s[0:3], 0 offset:156
	buffer_load_dword v140, off, s[0:3], 0 offset:164
	buffer_load_dword v138, off, s[0:3], 0 offset:172
	s_waitcnt vmcnt(34)
	v_fma_f64 v[99:100], v[109:110], v[101:102], v[99:100]
	s_waitcnt vmcnt(32) lgkmcnt(0)
	v_fma_f64 v[99:100], v[111:112], v[103:104], v[99:100]
	s_waitcnt vmcnt(30)
	v_fma_f64 v[109:110], v[113:114], v[105:106], v[99:100]
	ds_read2_b64 v[99:102], v98 offset0:55 offset1:56
	ds_read2_b64 v[103:106], v98 offset0:57 offset1:58
	s_waitcnt vmcnt(28) lgkmcnt(1)
	v_fma_f64 v[99:100], v[115:116], v[99:100], v[109:110]
	s_clause 0x7
	buffer_load_dword v110, off, s[0:3], 0 offset:180
	buffer_load_dword v111, off, s[0:3], 0 offset:200
	buffer_load_dword v113, off, s[0:3], 0 offset:192
	buffer_load_dword v115, off, s[0:3], 0 offset:184
	buffer_load_dword v109, off, s[0:3], 0 offset:176
	buffer_load_dword v116, off, s[0:3], 0 offset:188
	buffer_load_dword v114, off, s[0:3], 0 offset:196
	buffer_load_dword v112, off, s[0:3], 0 offset:204
	s_waitcnt vmcnt(34)
	v_fma_f64 v[99:100], v[117:118], v[101:102], v[99:100]
	s_waitcnt vmcnt(32) lgkmcnt(0)
	v_fma_f64 v[99:100], v[119:120], v[103:104], v[99:100]
	s_waitcnt vmcnt(27)
	v_fma_f64 v[117:118], v[121:122], v[105:106], v[99:100]
	;; [unrolled: 19-line block ×7, first 2 shown]
	ds_read2_b64 v[99:102], v98 offset0:79 offset1:80
	ds_read2_b64 v[103:106], v98 offset0:81 offset1:82
	s_waitcnt vmcnt(26) lgkmcnt(1)
	v_fma_f64 v[99:100], v[135:136], v[99:100], v[119:120]
	s_clause 0x5
	buffer_load_dword v120, off, s[0:3], 0 offset:372
	buffer_load_dword v121, off, s[0:3], 0 offset:376
	;; [unrolled: 1-line block ×6, first 2 shown]
	s_waitcnt vmcnt(31)
	v_fma_f64 v[99:100], v[129:130], v[101:102], v[99:100]
	s_waitcnt vmcnt(30) lgkmcnt(0)
	v_fma_f64 v[99:100], v[125:126], v[103:104], v[99:100]
	s_waitcnt vmcnt(25)
	v_fma_f64 v[107:108], v[107:108], v[105:106], v[99:100]
	ds_read2_b64 v[99:102], v98 offset0:83 offset1:84
	ds_read2_b64 v[103:106], v98 offset0:85 offset1:86
	s_waitcnt vmcnt(24) lgkmcnt(1)
	v_fma_f64 v[99:100], v[141:142], v[99:100], v[107:108]
	s_waitcnt vmcnt(23)
	v_fma_f64 v[99:100], v[133:134], v[101:102], v[99:100]
	s_waitcnt vmcnt(22) lgkmcnt(0)
	v_fma_f64 v[99:100], v[131:132], v[103:104], v[99:100]
	s_waitcnt vmcnt(17)
	v_fma_f64 v[107:108], v[109:110], v[105:106], v[99:100]
	ds_read2_b64 v[99:102], v98 offset0:87 offset1:88
	ds_read2_b64 v[103:106], v98 offset0:89 offset1:90
	s_waitcnt vmcnt(16) lgkmcnt(1)
	v_fma_f64 v[99:100], v[139:140], v[99:100], v[107:108]
	;; [unrolled: 10-line block ×3, first 2 shown]
	s_waitcnt vmcnt(7)
	v_fma_f64 v[99:100], v[117:118], v[101:102], v[99:100]
	ds_read_b64 v[101:102], v98 offset:760
	s_waitcnt vmcnt(6) lgkmcnt(1)
	v_fma_f64 v[99:100], v[113:114], v[103:104], v[99:100]
	s_waitcnt vmcnt(3)
	v_fma_f64 v[99:100], v[119:120], v[105:106], v[99:100]
	s_waitcnt vmcnt(2) lgkmcnt(0)
	v_fma_f64 v[99:100], v[121:122], v[101:102], v[99:100]
	s_waitcnt vmcnt(0)
	v_add_f64 v[99:100], v[123:124], -v[99:100]
	buffer_store_dword v100, off, s[0:3], 0 offset:20
	buffer_store_dword v99, off, s[0:3], 0 offset:16
	v_cmpx_lt_u32_e32 1, v0
	s_cbranch_execz .LBB47_295
; %bb.294:
	s_clause 0x1
	buffer_load_dword v99, off, s[0:3], 0 offset:8
	buffer_load_dword v100, off, s[0:3], 0 offset:12
	buffer_store_dword v98, off, s[0:3], 0 offset:8
	buffer_store_dword v98, off, s[0:3], 0 offset:12
	s_waitcnt vmcnt(0)
	ds_write_b64 v97, v[99:100]
.LBB47_295:
	s_or_b32 exec_lo, exec_lo, s4
	s_waitcnt lgkmcnt(0)
	s_waitcnt_vscnt null, 0x0
	s_barrier
	buffer_gl0_inv
	s_clause 0x1c
	buffer_load_dword v107, off, s[0:3], 0 offset:16
	buffer_load_dword v108, off, s[0:3], 0 offset:20
	;; [unrolled: 1-line block ×29, first 2 shown]
	ds_read_b128 v[99:102], v98 offset:400
	ds_read_b128 v[103:106], v98 offset:416
	buffer_load_dword v132, off, s[0:3], 0 offset:132
	s_mov_b32 s4, exec_lo
	s_waitcnt vmcnt(28) lgkmcnt(1)
	v_fma_f64 v[99:100], v[107:108], v[99:100], 0
	s_clause 0x7
	buffer_load_dword v108, off, s[0:3], 0 offset:140
	buffer_load_dword v137, off, s[0:3], 0 offset:160
	buffer_load_dword v139, off, s[0:3], 0 offset:152
	buffer_load_dword v141, off, s[0:3], 0 offset:144
	buffer_load_dword v107, off, s[0:3], 0 offset:136
	buffer_load_dword v142, off, s[0:3], 0 offset:148
	buffer_load_dword v140, off, s[0:3], 0 offset:156
	buffer_load_dword v138, off, s[0:3], 0 offset:164
	s_waitcnt vmcnt(34)
	v_fma_f64 v[99:100], v[109:110], v[101:102], v[99:100]
	s_waitcnt vmcnt(32) lgkmcnt(0)
	v_fma_f64 v[99:100], v[111:112], v[103:104], v[99:100]
	s_waitcnt vmcnt(30)
	v_fma_f64 v[109:110], v[113:114], v[105:106], v[99:100]
	ds_read_b128 v[99:102], v98 offset:432
	ds_read_b128 v[103:106], v98 offset:448
	s_waitcnt vmcnt(28) lgkmcnt(1)
	v_fma_f64 v[99:100], v[115:116], v[99:100], v[109:110]
	s_clause 0x7
	buffer_load_dword v110, off, s[0:3], 0 offset:172
	buffer_load_dword v111, off, s[0:3], 0 offset:192
	buffer_load_dword v113, off, s[0:3], 0 offset:184
	buffer_load_dword v115, off, s[0:3], 0 offset:176
	buffer_load_dword v109, off, s[0:3], 0 offset:168
	buffer_load_dword v116, off, s[0:3], 0 offset:180
	buffer_load_dword v114, off, s[0:3], 0 offset:188
	buffer_load_dword v112, off, s[0:3], 0 offset:196
	s_waitcnt vmcnt(34)
	v_fma_f64 v[99:100], v[117:118], v[101:102], v[99:100]
	s_waitcnt vmcnt(32) lgkmcnt(0)
	v_fma_f64 v[99:100], v[119:120], v[103:104], v[99:100]
	s_waitcnt vmcnt(27)
	v_fma_f64 v[117:118], v[121:122], v[105:106], v[99:100]
	ds_read_b128 v[99:102], v98 offset:464
	ds_read_b128 v[103:106], v98 offset:480
	;; [unrolled: 19-line block ×7, first 2 shown]
	s_waitcnt vmcnt(26) lgkmcnt(1)
	v_fma_f64 v[99:100], v[135:136], v[99:100], v[119:120]
	s_clause 0x5
	buffer_load_dword v120, off, s[0:3], 0 offset:364
	buffer_load_dword v121, off, s[0:3], 0 offset:376
	;; [unrolled: 1-line block ×6, first 2 shown]
	s_waitcnt vmcnt(31)
	v_fma_f64 v[99:100], v[129:130], v[101:102], v[99:100]
	s_waitcnt vmcnt(30) lgkmcnt(0)
	v_fma_f64 v[99:100], v[125:126], v[103:104], v[99:100]
	s_waitcnt vmcnt(25)
	v_fma_f64 v[107:108], v[107:108], v[105:106], v[99:100]
	ds_read_b128 v[99:102], v98 offset:656
	s_clause 0x1
	buffer_load_dword v125, off, s[0:3], 0 offset:8
	buffer_load_dword v126, off, s[0:3], 0 offset:12
	ds_read_b128 v[103:106], v98 offset:672
	s_waitcnt vmcnt(26) lgkmcnt(1)
	v_fma_f64 v[99:100], v[141:142], v[99:100], v[107:108]
	s_waitcnt vmcnt(25)
	v_fma_f64 v[99:100], v[133:134], v[101:102], v[99:100]
	s_waitcnt vmcnt(24) lgkmcnt(0)
	v_fma_f64 v[99:100], v[131:132], v[103:104], v[99:100]
	s_waitcnt vmcnt(19)
	v_fma_f64 v[107:108], v[109:110], v[105:106], v[99:100]
	ds_read_b128 v[99:102], v98 offset:688
	ds_read_b128 v[103:106], v98 offset:704
	s_waitcnt vmcnt(18) lgkmcnt(1)
	v_fma_f64 v[99:100], v[139:140], v[99:100], v[107:108]
	s_waitcnt vmcnt(17)
	v_fma_f64 v[99:100], v[137:138], v[101:102], v[99:100]
	s_waitcnt vmcnt(16) lgkmcnt(0)
	v_fma_f64 v[99:100], v[115:116], v[103:104], v[99:100]
	s_waitcnt vmcnt(11)
	v_fma_f64 v[107:108], v[111:112], v[105:106], v[99:100]
	ds_read_b128 v[99:102], v98 offset:720
	;; [unrolled: 10-line block ×3, first 2 shown]
	s_waitcnt vmcnt(3) lgkmcnt(0)
	v_fma_f64 v[98:99], v[123:124], v[98:99], v[102:103]
	s_waitcnt vmcnt(2)
	v_fma_f64 v[98:99], v[121:122], v[100:101], v[98:99]
	s_waitcnt vmcnt(0)
	v_add_f64 v[98:99], v[125:126], -v[98:99]
	buffer_store_dword v99, off, s[0:3], 0 offset:12
	buffer_store_dword v98, off, s[0:3], 0 offset:8
	v_cmpx_ne_u32_e32 0, v0
	s_cbranch_execz .LBB47_297
; %bb.296:
	s_clause 0x1
	buffer_load_dword v98, off, s[0:3], 0
	buffer_load_dword v99, off, s[0:3], 0 offset:4
	v_mov_b32_e32 v0, 0
	buffer_store_dword v0, off, s[0:3], 0
	buffer_store_dword v0, off, s[0:3], 0 offset:4
	s_waitcnt vmcnt(0)
	ds_write_b64 v97, v[98:99]
.LBB47_297:
	s_or_b32 exec_lo, exec_lo, s4
	s_waitcnt lgkmcnt(0)
	s_waitcnt_vscnt null, 0x0
	s_barrier
	buffer_gl0_inv
	s_clause 0x1c
	buffer_load_dword v105, off, s[0:3], 0 offset:8
	buffer_load_dword v106, off, s[0:3], 0 offset:12
	buffer_load_dword v107, off, s[0:3], 0 offset:16
	buffer_load_dword v108, off, s[0:3], 0 offset:20
	buffer_load_dword v109, off, s[0:3], 0 offset:24
	buffer_load_dword v110, off, s[0:3], 0 offset:28
	buffer_load_dword v111, off, s[0:3], 0 offset:32
	buffer_load_dword v112, off, s[0:3], 0 offset:36
	buffer_load_dword v113, off, s[0:3], 0 offset:40
	buffer_load_dword v114, off, s[0:3], 0 offset:44
	buffer_load_dword v115, off, s[0:3], 0 offset:48
	buffer_load_dword v116, off, s[0:3], 0 offset:52
	buffer_load_dword v117, off, s[0:3], 0 offset:56
	buffer_load_dword v118, off, s[0:3], 0 offset:60
	buffer_load_dword v120, off, s[0:3], 0 offset:68
	buffer_load_dword v121, off, s[0:3], 0 offset:88
	buffer_load_dword v123, off, s[0:3], 0 offset:80
	buffer_load_dword v125, off, s[0:3], 0 offset:72
	buffer_load_dword v119, off, s[0:3], 0 offset:64
	buffer_load_dword v126, off, s[0:3], 0 offset:76
	buffer_load_dword v124, off, s[0:3], 0 offset:84
	buffer_load_dword v122, off, s[0:3], 0 offset:92
	buffer_load_dword v128, off, s[0:3], 0 offset:100
	buffer_load_dword v129, off, s[0:3], 0 offset:120
	buffer_load_dword v131, off, s[0:3], 0 offset:112
	buffer_load_dword v133, off, s[0:3], 0 offset:104
	buffer_load_dword v127, off, s[0:3], 0 offset:96
	buffer_load_dword v134, off, s[0:3], 0 offset:108
	buffer_load_dword v132, off, s[0:3], 0 offset:116
	v_mov_b32_e32 v0, 0
	buffer_load_dword v130, off, s[0:3], 0 offset:124
	s_and_b32 vcc_lo, exec_lo, s22
	ds_read2_b64 v[97:100], v0 offset0:49 offset1:50
	ds_read2_b64 v[101:104], v0 offset0:51 offset1:52
	s_waitcnt vmcnt(28) lgkmcnt(1)
	v_fma_f64 v[97:98], v[105:106], v[97:98], 0
	s_clause 0x7
	buffer_load_dword v106, off, s[0:3], 0 offset:132
	buffer_load_dword v135, off, s[0:3], 0 offset:152
	buffer_load_dword v137, off, s[0:3], 0 offset:144
	buffer_load_dword v139, off, s[0:3], 0 offset:136
	buffer_load_dword v105, off, s[0:3], 0 offset:128
	buffer_load_dword v140, off, s[0:3], 0 offset:140
	buffer_load_dword v138, off, s[0:3], 0 offset:148
	buffer_load_dword v136, off, s[0:3], 0 offset:156
	s_waitcnt vmcnt(34)
	v_fma_f64 v[97:98], v[107:108], v[99:100], v[97:98]
	s_waitcnt vmcnt(32) lgkmcnt(0)
	v_fma_f64 v[97:98], v[109:110], v[101:102], v[97:98]
	s_waitcnt vmcnt(30)
	v_fma_f64 v[107:108], v[111:112], v[103:104], v[97:98]
	ds_read2_b64 v[97:100], v0 offset0:53 offset1:54
	ds_read2_b64 v[101:104], v0 offset0:55 offset1:56
	s_waitcnt vmcnt(28) lgkmcnt(1)
	v_fma_f64 v[97:98], v[113:114], v[97:98], v[107:108]
	s_clause 0x7
	buffer_load_dword v108, off, s[0:3], 0 offset:164
	buffer_load_dword v109, off, s[0:3], 0 offset:184
	buffer_load_dword v111, off, s[0:3], 0 offset:176
	buffer_load_dword v113, off, s[0:3], 0 offset:168
	buffer_load_dword v107, off, s[0:3], 0 offset:160
	buffer_load_dword v114, off, s[0:3], 0 offset:172
	buffer_load_dword v112, off, s[0:3], 0 offset:180
	buffer_load_dword v110, off, s[0:3], 0 offset:188
	s_waitcnt vmcnt(34)
	v_fma_f64 v[97:98], v[115:116], v[99:100], v[97:98]
	s_waitcnt vmcnt(32) lgkmcnt(0)
	v_fma_f64 v[97:98], v[117:118], v[101:102], v[97:98]
	s_waitcnt vmcnt(27)
	v_fma_f64 v[115:116], v[119:120], v[103:104], v[97:98]
	ds_read2_b64 v[97:100], v0 offset0:57 offset1:58
	ds_read2_b64 v[101:104], v0 offset0:59 offset1:60
	s_waitcnt vmcnt(26) lgkmcnt(1)
	v_fma_f64 v[97:98], v[125:126], v[97:98], v[115:116]
	s_clause 0x7
	buffer_load_dword v116, off, s[0:3], 0 offset:196
	buffer_load_dword v117, off, s[0:3], 0 offset:216
	buffer_load_dword v119, off, s[0:3], 0 offset:208
	buffer_load_dword v125, off, s[0:3], 0 offset:200
	buffer_load_dword v115, off, s[0:3], 0 offset:192
	buffer_load_dword v126, off, s[0:3], 0 offset:204
	buffer_load_dword v120, off, s[0:3], 0 offset:212
	buffer_load_dword v118, off, s[0:3], 0 offset:220
	s_waitcnt vmcnt(33)
	v_fma_f64 v[97:98], v[123:124], v[99:100], v[97:98]
	s_waitcnt vmcnt(32) lgkmcnt(0)
	v_fma_f64 v[97:98], v[121:122], v[101:102], v[97:98]
	s_waitcnt vmcnt(27)
	v_fma_f64 v[121:122], v[127:128], v[103:104], v[97:98]
	ds_read2_b64 v[97:100], v0 offset0:61 offset1:62
	ds_read2_b64 v[101:104], v0 offset0:63 offset1:64
	s_waitcnt vmcnt(26) lgkmcnt(1)
	v_fma_f64 v[97:98], v[133:134], v[97:98], v[121:122]
	s_clause 0x7
	buffer_load_dword v122, off, s[0:3], 0 offset:228
	buffer_load_dword v123, off, s[0:3], 0 offset:248
	buffer_load_dword v127, off, s[0:3], 0 offset:240
	buffer_load_dword v133, off, s[0:3], 0 offset:232
	buffer_load_dword v121, off, s[0:3], 0 offset:224
	buffer_load_dword v134, off, s[0:3], 0 offset:236
	buffer_load_dword v128, off, s[0:3], 0 offset:244
	buffer_load_dword v124, off, s[0:3], 0 offset:252
	s_waitcnt vmcnt(33)
	v_fma_f64 v[97:98], v[131:132], v[99:100], v[97:98]
	s_waitcnt vmcnt(32) lgkmcnt(0)
	v_fma_f64 v[97:98], v[129:130], v[101:102], v[97:98]
	s_waitcnt vmcnt(27)
	v_fma_f64 v[105:106], v[105:106], v[103:104], v[97:98]
	ds_read2_b64 v[97:100], v0 offset0:65 offset1:66
	ds_read2_b64 v[101:104], v0 offset0:67 offset1:68
	s_waitcnt vmcnt(26) lgkmcnt(1)
	v_fma_f64 v[97:98], v[139:140], v[97:98], v[105:106]
	s_clause 0x7
	buffer_load_dword v130, off, s[0:3], 0 offset:260
	buffer_load_dword v131, off, s[0:3], 0 offset:280
	buffer_load_dword v139, off, s[0:3], 0 offset:272
	buffer_load_dword v141, off, s[0:3], 0 offset:264
	buffer_load_dword v129, off, s[0:3], 0 offset:256
	buffer_load_dword v142, off, s[0:3], 0 offset:268
	buffer_load_dword v140, off, s[0:3], 0 offset:276
	buffer_load_dword v132, off, s[0:3], 0 offset:284
	s_waitcnt vmcnt(33)
	v_fma_f64 v[97:98], v[137:138], v[99:100], v[97:98]
	s_waitcnt vmcnt(32) lgkmcnt(0)
	v_fma_f64 v[97:98], v[135:136], v[101:102], v[97:98]
	s_waitcnt vmcnt(27)
	v_fma_f64 v[105:106], v[107:108], v[103:104], v[97:98]
	ds_read2_b64 v[97:100], v0 offset0:69 offset1:70
	ds_read2_b64 v[101:104], v0 offset0:71 offset1:72
	s_waitcnt vmcnt(26) lgkmcnt(1)
	v_fma_f64 v[97:98], v[113:114], v[97:98], v[105:106]
	s_clause 0x7
	buffer_load_dword v114, off, s[0:3], 0 offset:292
	buffer_load_dword v135, off, s[0:3], 0 offset:312
	buffer_load_dword v137, off, s[0:3], 0 offset:304
	buffer_load_dword v143, off, s[0:3], 0 offset:296
	buffer_load_dword v113, off, s[0:3], 0 offset:288
	buffer_load_dword v144, off, s[0:3], 0 offset:300
	buffer_load_dword v138, off, s[0:3], 0 offset:308
	buffer_load_dword v136, off, s[0:3], 0 offset:316
	s_waitcnt vmcnt(33)
	v_fma_f64 v[97:98], v[111:112], v[99:100], v[97:98]
	s_waitcnt vmcnt(32) lgkmcnt(0)
	v_fma_f64 v[97:98], v[109:110], v[101:102], v[97:98]
	s_waitcnt vmcnt(27)
	v_fma_f64 v[105:106], v[115:116], v[103:104], v[97:98]
	ds_read2_b64 v[97:100], v0 offset0:73 offset1:74
	ds_read2_b64 v[101:104], v0 offset0:75 offset1:76
	s_waitcnt vmcnt(26) lgkmcnt(1)
	v_fma_f64 v[97:98], v[125:126], v[97:98], v[105:106]
	s_clause 0x7
	buffer_load_dword v110, off, s[0:3], 0 offset:324
	buffer_load_dword v111, off, s[0:3], 0 offset:344
	buffer_load_dword v115, off, s[0:3], 0 offset:336
	buffer_load_dword v125, off, s[0:3], 0 offset:328
	buffer_load_dword v109, off, s[0:3], 0 offset:320
	buffer_load_dword v126, off, s[0:3], 0 offset:332
	buffer_load_dword v116, off, s[0:3], 0 offset:340
	buffer_load_dword v112, off, s[0:3], 0 offset:348
	s_waitcnt vmcnt(33)
	v_fma_f64 v[97:98], v[119:120], v[99:100], v[97:98]
	s_waitcnt vmcnt(32) lgkmcnt(0)
	v_fma_f64 v[97:98], v[117:118], v[101:102], v[97:98]
	s_waitcnt vmcnt(27)
	v_fma_f64 v[106:107], v[121:122], v[103:104], v[97:98]
	ds_read2_b64 v[98:101], v0 offset0:77 offset1:78
	ds_read2_b64 v[102:105], v0 offset0:79 offset1:80
	s_waitcnt vmcnt(26) lgkmcnt(1)
	v_fma_f64 v[97:98], v[133:134], v[98:99], v[106:107]
	s_clause 0x6
	buffer_load_dword v118, off, s[0:3], 0 offset:356
	buffer_load_dword v119, off, s[0:3], 0 offset:376
	;; [unrolled: 1-line block ×7, first 2 shown]
	s_waitcnt vmcnt(32)
	v_fma_f64 v[97:98], v[127:128], v[100:101], v[97:98]
	buffer_load_dword v100, off, s[0:3], 0 offset:372
	s_waitcnt vmcnt(32) lgkmcnt(0)
	v_fma_f64 v[97:98], v[123:124], v[102:103], v[97:98]
	s_waitcnt vmcnt(27)
	v_fma_f64 v[97:98], v[129:130], v[104:105], v[97:98]
	ds_read2_b64 v[101:104], v0 offset0:81 offset1:82
	ds_read2_b64 v[105:108], v0 offset0:83 offset1:84
	s_clause 0x1
	buffer_load_dword v123, off, s[0:3], 0
	buffer_load_dword v124, off, s[0:3], 0 offset:4
	s_waitcnt vmcnt(28) lgkmcnt(1)
	v_fma_f64 v[97:98], v[141:142], v[101:102], v[97:98]
	s_waitcnt vmcnt(27)
	v_fma_f64 v[97:98], v[139:140], v[103:104], v[97:98]
	s_waitcnt vmcnt(26) lgkmcnt(0)
	v_fma_f64 v[97:98], v[131:132], v[105:106], v[97:98]
	s_waitcnt vmcnt(21)
	v_fma_f64 v[97:98], v[113:114], v[107:108], v[97:98]
	ds_read2_b64 v[101:104], v0 offset0:85 offset1:86
	ds_read2_b64 v[105:108], v0 offset0:87 offset1:88
	s_waitcnt vmcnt(20) lgkmcnt(1)
	v_fma_f64 v[97:98], v[143:144], v[101:102], v[97:98]
	s_waitcnt vmcnt(19)
	v_fma_f64 v[97:98], v[137:138], v[103:104], v[97:98]
	s_waitcnt vmcnt(18) lgkmcnt(0)
	v_fma_f64 v[97:98], v[135:136], v[105:106], v[97:98]
	s_waitcnt vmcnt(13)
	v_fma_f64 v[97:98], v[109:110], v[107:108], v[97:98]
	ds_read2_b64 v[101:104], v0 offset0:89 offset1:90
	ds_read2_b64 v[105:108], v0 offset0:91 offset1:92
	s_waitcnt vmcnt(12) lgkmcnt(1)
	v_fma_f64 v[97:98], v[125:126], v[101:102], v[97:98]
	s_waitcnt vmcnt(11)
	v_fma_f64 v[97:98], v[115:116], v[103:104], v[97:98]
	s_waitcnt vmcnt(10) lgkmcnt(0)
	v_fma_f64 v[97:98], v[111:112], v[105:106], v[97:98]
	ds_read2_b64 v[101:104], v0 offset0:93 offset1:94
	ds_read_b64 v[105:106], v0 offset:760
	s_waitcnt vmcnt(5)
	v_fma_f64 v[97:98], v[117:118], v[107:108], v[97:98]
	s_waitcnt vmcnt(4) lgkmcnt(1)
	v_fma_f64 v[97:98], v[121:122], v[101:102], v[97:98]
	s_waitcnt vmcnt(2)
	v_fma_f64 v[97:98], v[99:100], v[103:104], v[97:98]
	s_waitcnt lgkmcnt(0)
	v_fma_f64 v[97:98], v[119:120], v[105:106], v[97:98]
	s_waitcnt vmcnt(0)
	v_add_f64 v[97:98], v[123:124], -v[97:98]
	buffer_store_dword v98, off, s[0:3], 0 offset:4
	buffer_store_dword v97, off, s[0:3], 0
	s_cbranch_vccz .LBB47_392
; %bb.298:
	global_load_dword v0, v0, s[20:21] offset:184
	s_waitcnt vmcnt(0)
	v_add_nc_u32_e32 v0, -1, v0
	v_cmp_ne_u32_e32 vcc_lo, 46, v0
	s_cbranch_vccz .LBB47_300
; %bb.299:
	v_lshlrev_b32_e32 v0, 3, v0
	s_clause 0x1
	buffer_load_dword v97, v0, s[0:3], 0 offen offset:4
	buffer_load_dword v98, v0, s[0:3], 0 offen
	s_waitcnt vmcnt(1)
	buffer_store_dword v97, off, s[0:3], 0 offset:372
	s_waitcnt vmcnt(0)
	buffer_store_dword v98, off, s[0:3], 0 offset:368
	buffer_store_dword v100, v0, s[0:3], 0 offen offset:4
	buffer_store_dword v99, v0, s[0:3], 0 offen
.LBB47_300:
	v_mov_b32_e32 v0, 0
	global_load_dword v97, v0, s[20:21] offset:180
	s_waitcnt vmcnt(0)
	v_add_nc_u32_e32 v97, -1, v97
	v_cmp_eq_u32_e32 vcc_lo, 45, v97
	s_cbranch_vccnz .LBB47_302
; %bb.301:
	v_lshlrev_b32_e32 v97, 3, v97
	s_clause 0x3
	buffer_load_dword v98, v97, s[0:3], 0 offen
	buffer_load_dword v99, v97, s[0:3], 0 offen offset:4
	buffer_load_dword v100, off, s[0:3], 0 offset:360
	buffer_load_dword v101, off, s[0:3], 0 offset:364
	s_waitcnt vmcnt(3)
	buffer_store_dword v98, off, s[0:3], 0 offset:360
	s_waitcnt vmcnt(2)
	buffer_store_dword v99, off, s[0:3], 0 offset:364
	s_waitcnt vmcnt(1)
	buffer_store_dword v100, v97, s[0:3], 0 offen
	s_waitcnt vmcnt(0)
	buffer_store_dword v101, v97, s[0:3], 0 offen offset:4
.LBB47_302:
	global_load_dword v0, v0, s[20:21] offset:176
	s_waitcnt vmcnt(0)
	v_add_nc_u32_e32 v0, -1, v0
	v_cmp_eq_u32_e32 vcc_lo, 44, v0
	s_cbranch_vccnz .LBB47_304
; %bb.303:
	v_lshlrev_b32_e32 v0, 3, v0
	s_clause 0x3
	buffer_load_dword v97, v0, s[0:3], 0 offen
	buffer_load_dword v98, v0, s[0:3], 0 offen offset:4
	buffer_load_dword v99, off, s[0:3], 0 offset:356
	buffer_load_dword v100, off, s[0:3], 0 offset:352
	s_waitcnt vmcnt(3)
	buffer_store_dword v97, off, s[0:3], 0 offset:352
	s_waitcnt vmcnt(2)
	buffer_store_dword v98, off, s[0:3], 0 offset:356
	s_waitcnt vmcnt(1)
	buffer_store_dword v99, v0, s[0:3], 0 offen offset:4
	s_waitcnt vmcnt(0)
	buffer_store_dword v100, v0, s[0:3], 0 offen
.LBB47_304:
	v_mov_b32_e32 v0, 0
	global_load_dword v97, v0, s[20:21] offset:172
	s_waitcnt vmcnt(0)
	v_add_nc_u32_e32 v97, -1, v97
	v_cmp_eq_u32_e32 vcc_lo, 43, v97
	s_cbranch_vccnz .LBB47_306
; %bb.305:
	v_lshlrev_b32_e32 v97, 3, v97
	s_clause 0x3
	buffer_load_dword v98, v97, s[0:3], 0 offen
	buffer_load_dword v99, v97, s[0:3], 0 offen offset:4
	buffer_load_dword v100, off, s[0:3], 0 offset:344
	buffer_load_dword v101, off, s[0:3], 0 offset:348
	s_waitcnt vmcnt(3)
	buffer_store_dword v98, off, s[0:3], 0 offset:344
	s_waitcnt vmcnt(2)
	buffer_store_dword v99, off, s[0:3], 0 offset:348
	s_waitcnt vmcnt(1)
	buffer_store_dword v100, v97, s[0:3], 0 offen
	s_waitcnt vmcnt(0)
	buffer_store_dword v101, v97, s[0:3], 0 offen offset:4
.LBB47_306:
	global_load_dword v0, v0, s[20:21] offset:168
	s_waitcnt vmcnt(0)
	v_add_nc_u32_e32 v0, -1, v0
	v_cmp_eq_u32_e32 vcc_lo, 42, v0
	s_cbranch_vccnz .LBB47_308
; %bb.307:
	v_lshlrev_b32_e32 v0, 3, v0
	s_clause 0x3
	buffer_load_dword v97, v0, s[0:3], 0 offen
	buffer_load_dword v98, v0, s[0:3], 0 offen offset:4
	buffer_load_dword v99, off, s[0:3], 0 offset:340
	buffer_load_dword v100, off, s[0:3], 0 offset:336
	s_waitcnt vmcnt(3)
	buffer_store_dword v97, off, s[0:3], 0 offset:336
	s_waitcnt vmcnt(2)
	buffer_store_dword v98, off, s[0:3], 0 offset:340
	s_waitcnt vmcnt(1)
	buffer_store_dword v99, v0, s[0:3], 0 offen offset:4
	s_waitcnt vmcnt(0)
	buffer_store_dword v100, v0, s[0:3], 0 offen
.LBB47_308:
	;; [unrolled: 43-line block ×22, first 2 shown]
	v_mov_b32_e32 v0, 0
	global_load_dword v97, v0, s[20:21] offset:4
	s_waitcnt vmcnt(0)
	v_add_nc_u32_e32 v97, -1, v97
	v_cmp_eq_u32_e32 vcc_lo, 1, v97
	s_cbranch_vccnz .LBB47_390
; %bb.389:
	v_lshlrev_b32_e32 v97, 3, v97
	s_clause 0x3
	buffer_load_dword v98, v97, s[0:3], 0 offen
	buffer_load_dword v99, v97, s[0:3], 0 offen offset:4
	buffer_load_dword v100, off, s[0:3], 0 offset:8
	buffer_load_dword v101, off, s[0:3], 0 offset:12
	s_waitcnt vmcnt(3)
	buffer_store_dword v98, off, s[0:3], 0 offset:8
	s_waitcnt vmcnt(2)
	buffer_store_dword v99, off, s[0:3], 0 offset:12
	s_waitcnt vmcnt(1)
	buffer_store_dword v100, v97, s[0:3], 0 offen
	s_waitcnt vmcnt(0)
	buffer_store_dword v101, v97, s[0:3], 0 offen offset:4
.LBB47_390:
	global_load_dword v0, v0, s[20:21]
	s_clause 0x1
	buffer_load_dword v97, off, s[0:3], 0
	buffer_load_dword v98, off, s[0:3], 0 offset:4
	s_waitcnt vmcnt(2)
	v_add_nc_u32_e32 v0, -1, v0
	v_cmp_eq_u32_e32 vcc_lo, 0, v0
	s_cbranch_vccnz .LBB47_392
; %bb.391:
	v_lshlrev_b32_e32 v0, 3, v0
	s_clause 0x1
	buffer_load_dword v99, v0, s[0:3], 0 offen offset:4
	buffer_load_dword v100, v0, s[0:3], 0 offen
	s_waitcnt vmcnt(1)
	buffer_store_dword v99, off, s[0:3], 0 offset:4
	s_waitcnt vmcnt(0)
	buffer_store_dword v100, off, s[0:3], 0
	buffer_store_dword v98, v0, s[0:3], 0 offen offset:4
	buffer_store_dword v97, v0, s[0:3], 0 offen
	s_clause 0x1
	buffer_load_dword v97, off, s[0:3], 0
	buffer_load_dword v98, off, s[0:3], 0 offset:4
.LBB47_392:
	s_clause 0x17
	buffer_load_dword v99, off, s[0:3], 0 offset:8
	buffer_load_dword v100, off, s[0:3], 0 offset:12
	;; [unrolled: 1-line block ×24, first 2 shown]
	s_waitcnt vmcnt(24)
	global_store_dwordx2 v[87:88], v[97:98], off
	s_clause 0xf
	buffer_load_dword v87, off, s[0:3], 0 offset:104
	buffer_load_dword v88, off, s[0:3], 0 offset:108
	;; [unrolled: 1-line block ×16, first 2 shown]
	s_waitcnt vmcnt(38)
	global_store_dwordx2 v[65:66], v[99:100], off
	s_clause 0x7
	buffer_load_dword v65, off, s[0:3], 0 offset:168
	buffer_load_dword v66, off, s[0:3], 0 offset:172
	buffer_load_dword v99, off, s[0:3], 0 offset:176
	buffer_load_dword v100, off, s[0:3], 0 offset:180
	buffer_load_dword v135, off, s[0:3], 0 offset:184
	buffer_load_dword v136, off, s[0:3], 0 offset:188
	buffer_load_dword v137, off, s[0:3], 0 offset:192
	buffer_load_dword v138, off, s[0:3], 0 offset:196
	s_waitcnt vmcnt(44)
	global_store_dwordx2 v[43:44], v[101:102], off
	s_waitcnt vmcnt(42)
	global_store_dwordx2 v[49:50], v[103:104], off
	s_clause 0x7
	buffer_load_dword v43, off, s[0:3], 0 offset:200
	buffer_load_dword v44, off, s[0:3], 0 offset:204
	buffer_load_dword v49, off, s[0:3], 0 offset:208
	buffer_load_dword v50, off, s[0:3], 0 offset:212
	buffer_load_dword v101, off, s[0:3], 0 offset:216
	buffer_load_dword v102, off, s[0:3], 0 offset:220
	buffer_load_dword v103, off, s[0:3], 0 offset:224
	buffer_load_dword v104, off, s[0:3], 0 offset:228
	s_waitcnt vmcnt(48)
	global_store_dwordx2 v[35:36], v[105:106], off
	;; [unrolled: 13-line block ×6, first 2 shown]
	s_clause 0x5
	buffer_load_dword v7, off, s[0:3], 0 offset:360
	buffer_load_dword v8, off, s[0:3], 0 offset:364
	;; [unrolled: 1-line block ×6, first 2 shown]
	global_store_dwordx2 v[1:2], v[87:88], off
	s_waitcnt vmcnt(62)
	global_store_dwordx2 v[3:4], v[97:98], off
	global_store_dwordx2 v[5:6], v[123:124], off
	;; [unrolled: 1-line block ×3, first 2 shown]
	s_waitcnt vmcnt(60)
	global_store_dwordx2 v[11:12], v[127:128], off
	s_waitcnt vmcnt(58)
	global_store_dwordx2 v[13:14], v[129:130], off
	s_waitcnt vmcnt(56)
	global_store_dwordx2 v[17:18], v[131:132], off
	s_waitcnt vmcnt(54)
	global_store_dwordx2 v[21:22], v[133:134], off
	s_waitcnt vmcnt(52)
	global_store_dwordx2 v[23:24], v[65:66], off
	s_waitcnt vmcnt(50)
	global_store_dwordx2 v[27:28], v[99:100], off
	s_waitcnt vmcnt(48)
	global_store_dwordx2 v[31:32], v[135:136], off
	s_waitcnt vmcnt(46)
	global_store_dwordx2 v[33:34], v[137:138], off
	s_waitcnt vmcnt(44)
	global_store_dwordx2 v[39:40], v[43:44], off
	s_waitcnt vmcnt(42)
	global_store_dwordx2 v[47:48], v[49:50], off
	s_waitcnt vmcnt(40)
	global_store_dwordx2 v[51:52], v[101:102], off
	s_waitcnt vmcnt(38)
	global_store_dwordx2 v[53:54], v[103:104], off
	s_waitcnt vmcnt(36)
	global_store_dwordx2 v[55:56], v[35:36], off
	s_waitcnt vmcnt(34)
	global_store_dwordx2 v[57:58], v[45:46], off
	s_waitcnt vmcnt(32)
	global_store_dwordx2 v[59:60], v[105:106], off
	s_waitcnt vmcnt(30)
	global_store_dwordx2 v[61:62], v[107:108], off
	s_waitcnt vmcnt(28)
	global_store_dwordx2 v[63:64], v[37:38], off
	s_waitcnt vmcnt(26)
	global_store_dwordx2 v[67:68], v[41:42], off
	s_waitcnt vmcnt(24)
	global_store_dwordx2 v[69:70], v[109:110], off
	s_waitcnt vmcnt(22)
	global_store_dwordx2 v[71:72], v[111:112], off
	s_waitcnt vmcnt(20)
	global_store_dwordx2 v[73:74], v[25:26], off
	s_waitcnt vmcnt(18)
	global_store_dwordx2 v[75:76], v[29:30], off
	s_waitcnt vmcnt(16)
	global_store_dwordx2 v[77:78], v[113:114], off
	s_waitcnt vmcnt(14)
	global_store_dwordx2 v[79:80], v[115:116], off
	s_waitcnt vmcnt(12)
	global_store_dwordx2 v[81:82], v[15:16], off
	s_waitcnt vmcnt(10)
	global_store_dwordx2 v[83:84], v[19:20], off
	s_waitcnt vmcnt(8)
	global_store_dwordx2 v[85:86], v[117:118], off
	s_waitcnt vmcnt(6)
	global_store_dwordx2 v[89:90], v[119:120], off
	s_waitcnt vmcnt(4)
	global_store_dwordx2 v[91:92], v[7:8], off
	s_waitcnt vmcnt(2)
	global_store_dwordx2 v[93:94], v[121:122], off
	s_waitcnt vmcnt(0)
	global_store_dwordx2 v[95:96], v[139:140], off
	s_endpgm
	.section	.rodata,"a",@progbits
	.p2align	6, 0x0
	.amdhsa_kernel _ZN9rocsolver6v33100L18getri_kernel_smallILi48EdPdEEvT1_iilPiilS4_bb
		.amdhsa_group_segment_fixed_size 776
		.amdhsa_private_segment_fixed_size 400
		.amdhsa_kernarg_size 60
		.amdhsa_user_sgpr_count 6
		.amdhsa_user_sgpr_private_segment_buffer 1
		.amdhsa_user_sgpr_dispatch_ptr 0
		.amdhsa_user_sgpr_queue_ptr 0
		.amdhsa_user_sgpr_kernarg_segment_ptr 1
		.amdhsa_user_sgpr_dispatch_id 0
		.amdhsa_user_sgpr_flat_scratch_init 0
		.amdhsa_user_sgpr_private_segment_size 0
		.amdhsa_wavefront_size32 1
		.amdhsa_uses_dynamic_stack 0
		.amdhsa_system_sgpr_private_segment_wavefront_offset 1
		.amdhsa_system_sgpr_workgroup_id_x 1
		.amdhsa_system_sgpr_workgroup_id_y 0
		.amdhsa_system_sgpr_workgroup_id_z 0
		.amdhsa_system_sgpr_workgroup_info 0
		.amdhsa_system_vgpr_workitem_id 0
		.amdhsa_next_free_vgpr 145
		.amdhsa_next_free_sgpr 23
		.amdhsa_reserve_vcc 1
		.amdhsa_reserve_flat_scratch 0
		.amdhsa_float_round_mode_32 0
		.amdhsa_float_round_mode_16_64 0
		.amdhsa_float_denorm_mode_32 3
		.amdhsa_float_denorm_mode_16_64 3
		.amdhsa_dx10_clamp 1
		.amdhsa_ieee_mode 1
		.amdhsa_fp16_overflow 0
		.amdhsa_workgroup_processor_mode 1
		.amdhsa_memory_ordered 1
		.amdhsa_forward_progress 1
		.amdhsa_shared_vgpr_count 0
		.amdhsa_exception_fp_ieee_invalid_op 0
		.amdhsa_exception_fp_denorm_src 0
		.amdhsa_exception_fp_ieee_div_zero 0
		.amdhsa_exception_fp_ieee_overflow 0
		.amdhsa_exception_fp_ieee_underflow 0
		.amdhsa_exception_fp_ieee_inexact 0
		.amdhsa_exception_int_div_zero 0
	.end_amdhsa_kernel
	.section	.text._ZN9rocsolver6v33100L18getri_kernel_smallILi48EdPdEEvT1_iilPiilS4_bb,"axG",@progbits,_ZN9rocsolver6v33100L18getri_kernel_smallILi48EdPdEEvT1_iilPiilS4_bb,comdat
.Lfunc_end47:
	.size	_ZN9rocsolver6v33100L18getri_kernel_smallILi48EdPdEEvT1_iilPiilS4_bb, .Lfunc_end47-_ZN9rocsolver6v33100L18getri_kernel_smallILi48EdPdEEvT1_iilPiilS4_bb
                                        ; -- End function
	.set _ZN9rocsolver6v33100L18getri_kernel_smallILi48EdPdEEvT1_iilPiilS4_bb.num_vgpr, 145
	.set _ZN9rocsolver6v33100L18getri_kernel_smallILi48EdPdEEvT1_iilPiilS4_bb.num_agpr, 0
	.set _ZN9rocsolver6v33100L18getri_kernel_smallILi48EdPdEEvT1_iilPiilS4_bb.numbered_sgpr, 23
	.set _ZN9rocsolver6v33100L18getri_kernel_smallILi48EdPdEEvT1_iilPiilS4_bb.num_named_barrier, 0
	.set _ZN9rocsolver6v33100L18getri_kernel_smallILi48EdPdEEvT1_iilPiilS4_bb.private_seg_size, 400
	.set _ZN9rocsolver6v33100L18getri_kernel_smallILi48EdPdEEvT1_iilPiilS4_bb.uses_vcc, 1
	.set _ZN9rocsolver6v33100L18getri_kernel_smallILi48EdPdEEvT1_iilPiilS4_bb.uses_flat_scratch, 0
	.set _ZN9rocsolver6v33100L18getri_kernel_smallILi48EdPdEEvT1_iilPiilS4_bb.has_dyn_sized_stack, 0
	.set _ZN9rocsolver6v33100L18getri_kernel_smallILi48EdPdEEvT1_iilPiilS4_bb.has_recursion, 0
	.set _ZN9rocsolver6v33100L18getri_kernel_smallILi48EdPdEEvT1_iilPiilS4_bb.has_indirect_call, 0
	.section	.AMDGPU.csdata,"",@progbits
; Kernel info:
; codeLenInByte = 63852
; TotalNumSgprs: 25
; NumVgprs: 145
; ScratchSize: 400
; MemoryBound: 1
; FloatMode: 240
; IeeeMode: 1
; LDSByteSize: 776 bytes/workgroup (compile time only)
; SGPRBlocks: 0
; VGPRBlocks: 18
; NumSGPRsForWavesPerEU: 25
; NumVGPRsForWavesPerEU: 145
; Occupancy: 6
; WaveLimiterHint : 1
; COMPUTE_PGM_RSRC2:SCRATCH_EN: 1
; COMPUTE_PGM_RSRC2:USER_SGPR: 6
; COMPUTE_PGM_RSRC2:TRAP_HANDLER: 0
; COMPUTE_PGM_RSRC2:TGID_X_EN: 1
; COMPUTE_PGM_RSRC2:TGID_Y_EN: 0
; COMPUTE_PGM_RSRC2:TGID_Z_EN: 0
; COMPUTE_PGM_RSRC2:TIDIG_COMP_CNT: 0
	.section	.text._ZN9rocsolver6v33100L18getri_kernel_smallILi49EdPdEEvT1_iilPiilS4_bb,"axG",@progbits,_ZN9rocsolver6v33100L18getri_kernel_smallILi49EdPdEEvT1_iilPiilS4_bb,comdat
	.globl	_ZN9rocsolver6v33100L18getri_kernel_smallILi49EdPdEEvT1_iilPiilS4_bb ; -- Begin function _ZN9rocsolver6v33100L18getri_kernel_smallILi49EdPdEEvT1_iilPiilS4_bb
	.p2align	8
	.type	_ZN9rocsolver6v33100L18getri_kernel_smallILi49EdPdEEvT1_iilPiilS4_bb,@function
_ZN9rocsolver6v33100L18getri_kernel_smallILi49EdPdEEvT1_iilPiilS4_bb: ; @_ZN9rocsolver6v33100L18getri_kernel_smallILi49EdPdEEvT1_iilPiilS4_bb
; %bb.0:
	s_add_u32 s0, s0, s7
	s_addc_u32 s1, s1, 0
	s_mov_b32 s7, exec_lo
	v_cmpx_gt_u32_e32 49, v0
	s_cbranch_execz .LBB48_206
; %bb.1:
	s_clause 0x2
	s_load_dword s7, s[4:5], 0x38
	s_load_dwordx4 s[16:19], s[4:5], 0x10
	s_load_dwordx4 s[8:11], s[4:5], 0x28
                                        ; implicit-def: $sgpr20_sgpr21
	s_waitcnt lgkmcnt(0)
	s_bitcmp1_b32 s7, 8
	s_cselect_b32 s22, -1, 0
	s_bfe_u32 s12, s7, 0x10008
	s_ashr_i32 s7, s6, 31
	s_cmp_eq_u32 s12, 0
	s_cbranch_scc1 .LBB48_3
; %bb.2:
	s_load_dword s12, s[4:5], 0x20
	s_mul_i32 s13, s8, s7
	s_mul_hi_u32 s14, s8, s6
	s_mul_i32 s9, s9, s6
	s_add_i32 s13, s14, s13
	s_mul_i32 s8, s8, s6
	s_add_i32 s9, s13, s9
	s_lshl_b64 s[8:9], s[8:9], 2
	s_waitcnt lgkmcnt(0)
	s_ashr_i32 s13, s12, 31
	s_add_u32 s14, s18, s8
	s_addc_u32 s15, s19, s9
	s_lshl_b64 s[8:9], s[12:13], 2
	s_add_u32 s20, s14, s8
	s_addc_u32 s21, s15, s9
.LBB48_3:
	s_clause 0x1
	s_load_dwordx4 s[12:15], s[4:5], 0x0
	s_load_dword s8, s[4:5], 0x38
	s_mul_i32 s4, s16, s7
	s_mul_hi_u32 s5, s16, s6
	s_mul_i32 s9, s17, s6
	s_add_i32 s5, s5, s4
	s_mul_i32 s4, s16, s6
	s_add_i32 s5, s5, s9
	v_lshlrev_b32_e32 v101, 3, v0
	s_lshl_b64 s[4:5], s[4:5], 3
	s_waitcnt lgkmcnt(0)
	v_add3_u32 v1, s15, s15, v0
	s_ashr_i32 s17, s14, 31
	s_mov_b32 s16, s14
	s_add_u32 s9, s12, s4
	s_addc_u32 s13, s13, s5
	v_add_nc_u32_e32 v3, s15, v1
	v_ashrrev_i32_e32 v2, 31, v1
	s_lshl_b64 s[4:5], s[16:17], 3
	s_mov_b32 s12, s15
	s_add_u32 s4, s9, s4
	v_add_nc_u32_e32 v5, s15, v3
	v_ashrrev_i32_e32 v4, 31, v3
	v_lshlrev_b64 v[1:2], 3, v[1:2]
	s_addc_u32 s5, s13, s5
	v_add_co_u32 v91, s9, s4, v101
	v_ashrrev_i32_e32 v6, 31, v5
	v_add_nc_u32_e32 v7, s15, v5
	v_lshlrev_b64 v[3:4], 3, v[3:4]
	v_add_co_u32 v47, vcc_lo, s4, v1
	v_add_co_ci_u32_e64 v48, null, s5, v2, vcc_lo
	v_lshlrev_b64 v[1:2], 3, v[5:6]
	v_ashrrev_i32_e32 v8, 31, v7
	v_add_nc_u32_e32 v5, s15, v7
	v_add_co_u32 v51, vcc_lo, s4, v3
	v_add_co_ci_u32_e64 v52, null, s5, v4, vcc_lo
	v_lshlrev_b64 v[3:4], 3, v[7:8]
	v_add_nc_u32_e32 v7, s15, v5
	s_ashr_i32 s13, s15, 31
	v_ashrrev_i32_e32 v6, 31, v5
	v_add_co_ci_u32_e64 v92, null, s5, 0, s9
	v_add_co_u32 v35, vcc_lo, s4, v1
	s_lshl_b64 s[12:13], s[12:13], 3
	v_ashrrev_i32_e32 v8, 31, v7
	v_add_co_ci_u32_e64 v36, null, s5, v2, vcc_lo
	v_add_co_u32 v71, vcc_lo, v91, s12
	v_lshlrev_b64 v[1:2], 3, v[5:6]
	v_add_co_ci_u32_e64 v72, null, s13, v92, vcc_lo
	v_add_co_u32 v43, vcc_lo, s4, v3
	v_add_co_ci_u32_e64 v44, null, s5, v4, vcc_lo
	v_lshlrev_b64 v[3:4], 3, v[7:8]
	v_add_co_u32 v29, vcc_lo, s4, v1
	v_add_co_ci_u32_e64 v30, null, s5, v2, vcc_lo
	global_load_dwordx2 v[97:98], v101, s[4:5]
	v_add_co_u32 v33, vcc_lo, s4, v3
	v_add_co_ci_u32_e64 v34, null, s5, v4, vcc_lo
	s_clause 0x6
	global_load_dwordx2 v[99:100], v[71:72], off
	global_load_dwordx2 v[102:103], v[47:48], off
	;; [unrolled: 1-line block ×7, first 2 shown]
	v_add_nc_u32_e32 v5, s15, v7
	s_bitcmp0_b32 s8, 0
	v_add_nc_u32_e32 v7, s15, v5
	v_ashrrev_i32_e32 v6, 31, v5
	v_ashrrev_i32_e32 v8, 31, v7
	v_lshlrev_b64 v[1:2], 3, v[5:6]
	v_lshlrev_b64 v[5:6], 3, v[7:8]
	v_add_co_u32 v25, vcc_lo, s4, v1
	v_add_co_ci_u32_e64 v26, null, s5, v2, vcc_lo
	v_add_co_u32 v37, vcc_lo, s4, v5
	v_add_co_ci_u32_e64 v38, null, s5, v6, vcc_lo
	v_add_nc_u32_e32 v1, s15, v7
	s_clause 0x1
	global_load_dwordx2 v[118:119], v[37:38], off
	global_load_dwordx2 v[114:115], v[25:26], off
	v_add_nc_u32_e32 v3, s15, v1
	v_ashrrev_i32_e32 v2, 31, v1
	v_add_nc_u32_e32 v7, s15, v3
	v_ashrrev_i32_e32 v4, 31, v3
	v_lshlrev_b64 v[1:2], 3, v[1:2]
	v_add_nc_u32_e32 v5, s15, v7
	v_lshlrev_b64 v[3:4], 3, v[3:4]
	v_ashrrev_i32_e32 v8, 31, v7
	v_add_co_u32 v17, vcc_lo, s4, v1
	v_ashrrev_i32_e32 v6, 31, v5
	v_add_nc_u32_e32 v9, s15, v5
	v_add_co_ci_u32_e64 v18, null, s5, v2, vcc_lo
	v_lshlrev_b64 v[1:2], 3, v[7:8]
	v_add_co_u32 v21, vcc_lo, s4, v3
	v_add_co_ci_u32_e64 v22, null, s5, v4, vcc_lo
	v_lshlrev_b64 v[3:4], 3, v[5:6]
	v_ashrrev_i32_e32 v10, 31, v9
	v_add_nc_u32_e32 v5, s15, v9
	v_add_co_u32 v7, vcc_lo, s4, v1
	v_add_co_ci_u32_e64 v8, null, s5, v2, vcc_lo
	v_lshlrev_b64 v[1:2], 3, v[9:10]
	v_ashrrev_i32_e32 v6, 31, v5
	v_add_nc_u32_e32 v9, s15, v5
	v_add_co_u32 v11, vcc_lo, s4, v3
	v_add_co_ci_u32_e64 v12, null, s5, v4, vcc_lo
	v_lshlrev_b64 v[3:4], 3, v[5:6]
	v_add_nc_u32_e32 v5, s15, v9
	v_ashrrev_i32_e32 v10, 31, v9
	v_add_co_u32 v1, vcc_lo, s4, v1
	v_add_co_ci_u32_e64 v2, null, s5, v2, vcc_lo
	v_add_nc_u32_e32 v13, s15, v5
	v_ashrrev_i32_e32 v6, 31, v5
	v_lshlrev_b64 v[9:10], 3, v[9:10]
	v_add_co_u32 v3, vcc_lo, s4, v3
	v_add_nc_u32_e32 v19, s15, v13
	v_lshlrev_b64 v[15:16], 3, v[5:6]
	v_add_co_ci_u32_e64 v4, null, s5, v4, vcc_lo
	v_add_co_u32 v5, vcc_lo, s4, v9
	v_ashrrev_i32_e32 v20, 31, v19
	v_add_nc_u32_e32 v23, s15, v19
	v_add_co_ci_u32_e64 v6, null, s5, v10, vcc_lo
	v_add_co_u32 v9, vcc_lo, s4, v15
	v_add_co_ci_u32_e64 v10, null, s5, v16, vcc_lo
	v_lshlrev_b64 v[15:16], 3, v[19:20]
	v_add_nc_u32_e32 v19, s15, v23
	v_ashrrev_i32_e32 v14, 31, v13
	v_ashrrev_i32_e32 v24, 31, v23
	s_clause 0x2
	global_load_dwordx2 v[120:121], v[17:18], off
	global_load_dwordx2 v[124:125], v[21:22], off
	;; [unrolled: 1-line block ×3, first 2 shown]
	v_add_nc_u32_e32 v27, s15, v19
	v_lshlrev_b64 v[13:14], 3, v[13:14]
	v_ashrrev_i32_e32 v20, 31, v19
	v_lshlrev_b64 v[23:24], 3, v[23:24]
	v_add_nc_u32_e32 v39, s15, v27
	v_ashrrev_i32_e32 v28, 31, v27
	v_add_co_u32 v13, vcc_lo, s4, v13
	v_lshlrev_b64 v[31:32], 3, v[19:20]
	v_add_co_ci_u32_e64 v14, null, s5, v14, vcc_lo
	v_add_co_u32 v15, vcc_lo, s4, v15
	v_ashrrev_i32_e32 v40, 31, v39
	v_add_nc_u32_e32 v41, s15, v39
	v_add_co_ci_u32_e64 v16, null, s5, v16, vcc_lo
	v_add_co_u32 v19, vcc_lo, s4, v23
	v_add_co_ci_u32_e64 v20, null, s5, v24, vcc_lo
	v_add_co_u32 v23, vcc_lo, s4, v31
	v_add_co_ci_u32_e64 v24, null, s5, v32, vcc_lo
	v_lshlrev_b64 v[31:32], 3, v[39:40]
	v_add_nc_u32_e32 v39, s15, v41
	v_ashrrev_i32_e32 v42, 31, v41
	v_lshlrev_b64 v[27:28], 3, v[27:28]
	v_add_nc_u32_e32 v45, s15, v39
	v_ashrrev_i32_e32 v40, 31, v39
	v_lshlrev_b64 v[41:42], 3, v[41:42]
	v_add_co_u32 v27, vcc_lo, s4, v27
	v_add_nc_u32_e32 v53, s15, v45
	v_lshlrev_b64 v[49:50], 3, v[39:40]
	v_add_co_ci_u32_e64 v28, null, s5, v28, vcc_lo
	v_add_co_u32 v31, vcc_lo, s4, v31
	v_ashrrev_i32_e32 v54, 31, v53
	v_add_nc_u32_e32 v55, s15, v53
	v_add_co_ci_u32_e64 v32, null, s5, v32, vcc_lo
	v_add_co_u32 v39, vcc_lo, s4, v41
	v_add_co_ci_u32_e64 v40, null, s5, v42, vcc_lo
	v_add_co_u32 v41, vcc_lo, s4, v49
	v_add_co_ci_u32_e64 v42, null, s5, v50, vcc_lo
	v_lshlrev_b64 v[49:50], 3, v[53:54]
	v_add_nc_u32_e32 v53, s15, v55
	v_ashrrev_i32_e32 v46, 31, v45
	v_ashrrev_i32_e32 v56, 31, v55
	v_add_nc_u32_e32 v57, s15, v53
	v_lshlrev_b64 v[45:46], 3, v[45:46]
	v_ashrrev_i32_e32 v54, 31, v53
	v_lshlrev_b64 v[55:56], 3, v[55:56]
	v_add_nc_u32_e32 v61, s15, v57
	v_ashrrev_i32_e32 v58, 31, v57
	v_add_co_u32 v45, vcc_lo, s4, v45
	v_lshlrev_b64 v[59:60], 3, v[53:54]
	v_add_co_ci_u32_e64 v46, null, s5, v46, vcc_lo
	v_add_co_u32 v49, vcc_lo, s4, v49
	v_ashrrev_i32_e32 v62, 31, v61
	v_add_nc_u32_e32 v63, s15, v61
	v_add_co_ci_u32_e64 v50, null, s5, v50, vcc_lo
	v_add_co_u32 v53, vcc_lo, s4, v55
	v_add_co_ci_u32_e64 v54, null, s5, v56, vcc_lo
	v_add_co_u32 v55, vcc_lo, s4, v59
	v_add_co_ci_u32_e64 v56, null, s5, v60, vcc_lo
	v_lshlrev_b64 v[59:60], 3, v[61:62]
	v_add_nc_u32_e32 v61, s15, v63
	v_ashrrev_i32_e32 v64, 31, v63
	v_lshlrev_b64 v[57:58], 3, v[57:58]
	v_add_nc_u32_e32 v65, s15, v61
	v_ashrrev_i32_e32 v62, 31, v61
	v_lshlrev_b64 v[63:64], 3, v[63:64]
	v_add_co_u32 v57, vcc_lo, s4, v57
	v_add_nc_u32_e32 v69, s15, v65
	v_lshlrev_b64 v[67:68], 3, v[61:62]
	v_add_co_ci_u32_e64 v58, null, s5, v58, vcc_lo
	v_add_co_u32 v59, vcc_lo, s4, v59
	v_ashrrev_i32_e32 v70, 31, v69
	v_add_nc_u32_e32 v73, s15, v69
	v_add_co_ci_u32_e64 v60, null, s5, v60, vcc_lo
	v_add_co_u32 v61, vcc_lo, s4, v63
	v_add_co_ci_u32_e64 v62, null, s5, v64, vcc_lo
	v_add_co_u32 v63, vcc_lo, s4, v67
	v_add_co_ci_u32_e64 v64, null, s5, v68, vcc_lo
	v_lshlrev_b64 v[67:68], 3, v[69:70]
	v_add_nc_u32_e32 v69, s15, v73
	v_ashrrev_i32_e32 v66, 31, v65
	v_ashrrev_i32_e32 v74, 31, v73
	;; [unrolled: 40-line block ×3, first 2 shown]
	v_add_nc_u32_e32 v95, s15, v87
	v_lshlrev_b64 v[83:84], 3, v[83:84]
	v_ashrrev_i32_e32 v88, 31, v87
	v_lshlrev_b64 v[89:90], 3, v[89:90]
	v_add_nc_u32_e32 v116, s15, v95
	v_ashrrev_i32_e32 v96, 31, v95
	v_add_co_u32 v83, vcc_lo, s4, v83
	v_lshlrev_b64 v[93:94], 3, v[87:88]
	v_add_co_ci_u32_e64 v84, null, s5, v84, vcc_lo
	v_add_co_u32 v85, vcc_lo, s4, v85
	v_add_nc_u32_e32 v122, s15, v116
	v_add_co_ci_u32_e64 v86, null, s5, v86, vcc_lo
	v_add_co_u32 v87, vcc_lo, s4, v89
	v_ashrrev_i32_e32 v117, 31, v116
	v_add_co_ci_u32_e64 v88, null, s5, v90, vcc_lo
	v_add_co_u32 v89, vcc_lo, s4, v93
	v_ashrrev_i32_e32 v123, 31, v122
	v_add_co_ci_u32_e64 v90, null, s5, v94, vcc_lo
	v_lshlrev_b64 v[93:94], 3, v[95:96]
	v_lshlrev_b64 v[95:96], 3, v[116:117]
	;; [unrolled: 1-line block ×3, first 2 shown]
	s_clause 0x3
	global_load_dwordx2 v[116:117], v[11:12], off
	global_load_dwordx2 v[128:129], v[1:2], off
	;; [unrolled: 1-line block ×4, first 2 shown]
	s_waitcnt vmcnt(16)
	buffer_store_dword v97, off, s[0:3], 0
	buffer_store_dword v98, off, s[0:3], 0 offset:4
	v_add_co_u32 v93, vcc_lo, s4, v93
	v_add_co_ci_u32_e64 v94, null, s5, v94, vcc_lo
	v_add_co_u32 v95, vcc_lo, s4, v95
	v_add_co_ci_u32_e64 v96, null, s5, v96, vcc_lo
	v_add_co_u32 v97, vcc_lo, s4, v122
	s_clause 0x2
	global_load_dwordx2 v[134:135], v[9:10], off
	global_load_dwordx2 v[136:137], v[13:14], off
	;; [unrolled: 1-line block ×3, first 2 shown]
	v_add_co_ci_u32_e64 v98, null, s5, v123, vcc_lo
	global_load_dwordx2 v[122:123], v[19:20], off
	s_waitcnt vmcnt(19)
	buffer_store_dword v100, off, s[0:3], 0 offset:12
	buffer_store_dword v99, off, s[0:3], 0 offset:8
	s_waitcnt vmcnt(18)
	buffer_store_dword v103, off, s[0:3], 0 offset:20
	buffer_store_dword v102, off, s[0:3], 0 offset:16
	s_waitcnt vmcnt(17)
	buffer_store_dword v105, off, s[0:3], 0 offset:28
	s_clause 0x1
	global_load_dwordx2 v[99:100], v[23:24], off
	global_load_dwordx2 v[102:103], v[27:28], off
	buffer_store_dword v104, off, s[0:3], 0 offset:24
	s_waitcnt vmcnt(18)
	buffer_store_dword v107, off, s[0:3], 0 offset:36
	global_load_dwordx2 v[104:105], v[31:32], off
	buffer_store_dword v106, off, s[0:3], 0 offset:32
	global_load_dwordx2 v[106:107], v[39:40], off
	s_waitcnt vmcnt(19)
	buffer_store_dword v109, off, s[0:3], 0 offset:44
	buffer_store_dword v108, off, s[0:3], 0 offset:40
	s_waitcnt vmcnt(18)
	buffer_store_dword v111, off, s[0:3], 0 offset:52
	global_load_dwordx2 v[108:109], v[41:42], off
	buffer_store_dword v110, off, s[0:3], 0 offset:48
	s_waitcnt vmcnt(18)
	buffer_store_dword v113, off, s[0:3], 0 offset:60
	global_load_dwordx2 v[110:111], v[45:46], off
	buffer_store_dword v112, off, s[0:3], 0 offset:56
	global_load_dwordx2 v[112:113], v[49:50], off
	s_waitcnt vmcnt(18)
	buffer_store_dword v115, off, s[0:3], 0 offset:68
	buffer_store_dword v114, off, s[0:3], 0 offset:64
	global_load_dwordx2 v[114:115], v[53:54], off
	buffer_store_dword v118, off, s[0:3], 0 offset:72
	buffer_store_dword v119, off, s[0:3], 0 offset:76
	s_waitcnt vmcnt(18)
	buffer_store_dword v120, off, s[0:3], 0 offset:80
	buffer_store_dword v121, off, s[0:3], 0 offset:84
	s_waitcnt vmcnt(17)
	;; [unrolled: 3-line block ×3, first 2 shown]
	buffer_store_dword v126, off, s[0:3], 0 offset:96
	buffer_store_dword v127, off, s[0:3], 0 offset:100
	s_clause 0x3
	global_load_dwordx2 v[118:119], v[55:56], off
	global_load_dwordx2 v[120:121], v[57:58], off
	global_load_dwordx2 v[124:125], v[59:60], off
	global_load_dwordx2 v[126:127], v[61:62], off
	s_mov_b32 s5, -1
	s_waitcnt vmcnt(19)
	buffer_store_dword v116, off, s[0:3], 0 offset:104
	buffer_store_dword v117, off, s[0:3], 0 offset:108
	s_waitcnt vmcnt(18)
	buffer_store_dword v129, off, s[0:3], 0 offset:116
	buffer_store_dword v128, off, s[0:3], 0 offset:112
	s_waitcnt vmcnt(17)
	buffer_store_dword v130, off, s[0:3], 0 offset:120
	buffer_store_dword v131, off, s[0:3], 0 offset:124
	s_waitcnt vmcnt(16)
	buffer_store_dword v132, off, s[0:3], 0 offset:128
	buffer_store_dword v133, off, s[0:3], 0 offset:132
	s_clause 0x3
	global_load_dwordx2 v[116:117], v[63:64], off
	global_load_dwordx2 v[128:129], v[65:66], off
	global_load_dwordx2 v[130:131], v[67:68], off
	global_load_dwordx2 v[132:133], v[69:70], off
	s_waitcnt vmcnt(19)
	buffer_store_dword v134, off, s[0:3], 0 offset:136
	buffer_store_dword v135, off, s[0:3], 0 offset:140
	s_waitcnt vmcnt(18)
	buffer_store_dword v136, off, s[0:3], 0 offset:144
	buffer_store_dword v137, off, s[0:3], 0 offset:148
	s_waitcnt vmcnt(17)
	buffer_store_dword v139, off, s[0:3], 0 offset:156
	buffer_store_dword v138, off, s[0:3], 0 offset:152
	s_waitcnt vmcnt(16)
	buffer_store_dword v123, off, s[0:3], 0 offset:164
	buffer_store_dword v122, off, s[0:3], 0 offset:160
	s_clause 0x3
	global_load_dwordx2 v[122:123], v[73:74], off
	global_load_dwordx2 v[134:135], v[75:76], off
	global_load_dwordx2 v[136:137], v[77:78], off
	global_load_dwordx2 v[138:139], v[79:80], off
	;; [unrolled: 17-line block ×3, first 2 shown]
	s_waitcnt vmcnt(19)
	buffer_store_dword v109, off, s[0:3], 0 offset:204
	buffer_store_dword v108, off, s[0:3], 0 offset:200
	global_load_dwordx2 v[108:109], v[89:90], off
	s_waitcnt vmcnt(19)
	buffer_store_dword v111, off, s[0:3], 0 offset:212
	buffer_store_dword v110, off, s[0:3], 0 offset:208
	s_waitcnt vmcnt(18)
	buffer_store_dword v112, off, s[0:3], 0 offset:216
	buffer_store_dword v113, off, s[0:3], 0 offset:220
	s_clause 0x1
	global_load_dwordx2 v[110:111], v[93:94], off
	global_load_dwordx2 v[112:113], v[95:96], off
	s_waitcnt vmcnt(19)
	buffer_store_dword v114, off, s[0:3], 0 offset:224
	buffer_store_dword v115, off, s[0:3], 0 offset:228
	global_load_dwordx2 v[114:115], v[97:98], off
	s_waitcnt vmcnt(19)
	buffer_store_dword v118, off, s[0:3], 0 offset:232
	buffer_store_dword v119, off, s[0:3], 0 offset:236
	s_waitcnt vmcnt(18)
	buffer_store_dword v120, off, s[0:3], 0 offset:240
	buffer_store_dword v121, off, s[0:3], 0 offset:244
	;; [unrolled: 3-line block ×20, first 2 shown]
	s_cbranch_scc1 .LBB48_204
; %bb.4:
	v_cmp_eq_u32_e64 s4, 0, v0
	s_and_saveexec_b32 s5, s4
; %bb.5:
	v_mov_b32_e32 v99, 0
	ds_write_b32 v99, v99 offset:392
; %bb.6:
	s_or_b32 exec_lo, exec_lo, s5
	v_lshl_add_u32 v99, v0, 3, 0
	s_waitcnt lgkmcnt(0)
	s_waitcnt_vscnt null, 0x0
	s_barrier
	buffer_gl0_inv
	s_mov_b32 s8, exec_lo
	s_clause 0x1
	buffer_load_dword v102, v99, s[0:3], 0 offen
	buffer_load_dword v103, v99, s[0:3], 0 offen offset:4
	s_waitcnt vmcnt(0)
	v_cmpx_eq_f64_e32 0, v[102:103]
	s_cbranch_execz .LBB48_10
; %bb.7:
	v_mov_b32_e32 v100, 0
	s_mov_b32 s9, 0
	ds_read_b32 v102, v100 offset:392
	s_waitcnt lgkmcnt(0)
	v_readfirstlane_b32 s5, v102
	v_add_nc_u32_e32 v102, 1, v0
	s_cmp_eq_u32 s5, 0
	v_cmp_gt_i32_e32 vcc_lo, s5, v102
	s_cselect_b32 s12, -1, 0
	s_or_b32 s12, s12, vcc_lo
	s_and_b32 exec_lo, exec_lo, s12
	s_cbranch_execz .LBB48_10
; %bb.8:
	v_mov_b32_e32 v103, s5
.LBB48_9:                               ; =>This Inner Loop Header: Depth=1
	ds_cmpst_rtn_b32 v103, v100, v103, v102 offset:392
	s_waitcnt lgkmcnt(0)
	v_cmp_ne_u32_e32 vcc_lo, 0, v103
	v_cmp_le_i32_e64 s5, v103, v102
	s_and_b32 s5, vcc_lo, s5
	s_and_b32 s5, exec_lo, s5
	s_or_b32 s9, s5, s9
	s_andn2_b32 exec_lo, exec_lo, s9
	s_cbranch_execnz .LBB48_9
.LBB48_10:
	s_or_b32 exec_lo, exec_lo, s8
	v_mov_b32_e32 v100, 0
	s_barrier
	buffer_gl0_inv
	ds_read_b32 v102, v100 offset:392
	s_and_saveexec_b32 s5, s4
	s_cbranch_execz .LBB48_12
; %bb.11:
	s_lshl_b64 s[8:9], s[6:7], 2
	s_add_u32 s8, s10, s8
	s_addc_u32 s9, s11, s9
	s_waitcnt lgkmcnt(0)
	global_store_dword v100, v102, s[8:9]
.LBB48_12:
	s_or_b32 exec_lo, exec_lo, s5
	s_waitcnt lgkmcnt(0)
	v_cmp_ne_u32_e32 vcc_lo, 0, v102
	s_mov_b32 s5, 0
	s_cbranch_vccnz .LBB48_204
; %bb.13:
	s_clause 0x1
	buffer_load_dword v102, v99, s[0:3], 0 offen
	buffer_load_dword v103, v99, s[0:3], 0 offen offset:4
	s_waitcnt vmcnt(0)
	v_div_scale_f64 v[104:105], null, v[102:103], v[102:103], 1.0
	v_div_scale_f64 v[110:111], vcc_lo, 1.0, v[102:103], 1.0
	v_rcp_f64_e32 v[106:107], v[104:105]
	v_fma_f64 v[108:109], -v[104:105], v[106:107], 1.0
	v_fma_f64 v[106:107], v[106:107], v[108:109], v[106:107]
	v_fma_f64 v[108:109], -v[104:105], v[106:107], 1.0
	v_fma_f64 v[106:107], v[106:107], v[108:109], v[106:107]
	v_mul_f64 v[108:109], v[110:111], v[106:107]
	v_fma_f64 v[104:105], -v[104:105], v[108:109], v[110:111]
	v_div_fmas_f64 v[104:105], v[104:105], v[106:107], v[108:109]
	v_div_fixup_f64 v[103:104], v[104:105], v[102:103], 1.0
	v_add_nc_u32_e32 v102, 0x190, v101
	buffer_store_dword v104, v99, s[0:3], 0 offen offset:4
	buffer_store_dword v103, v99, s[0:3], 0 offen
	s_clause 0x1
	buffer_load_dword v106, off, s[0:3], 0 offset:12
	buffer_load_dword v105, off, s[0:3], 0 offset:8
	v_xor_b32_e32 v104, 0x80000000, v104
	s_waitcnt vmcnt(0)
	ds_write2_b64 v101, v[103:104], v[105:106] offset1:50
	s_waitcnt lgkmcnt(0)
	s_waitcnt_vscnt null, 0x0
	s_barrier
	buffer_gl0_inv
	s_and_saveexec_b32 s5, s4
	s_cbranch_execz .LBB48_15
; %bb.14:
	s_clause 0x1
	buffer_load_dword v103, v99, s[0:3], 0 offen
	buffer_load_dword v104, v99, s[0:3], 0 offen offset:4
	ds_read_b64 v[105:106], v102
	v_mov_b32_e32 v100, 0
	ds_read_b64 v[107:108], v100 offset:8
	s_waitcnt vmcnt(0) lgkmcnt(1)
	v_fma_f64 v[103:104], v[103:104], v[105:106], 0
	s_waitcnt lgkmcnt(0)
	v_mul_f64 v[103:104], v[103:104], v[107:108]
	buffer_store_dword v103, off, s[0:3], 0 offset:8
	buffer_store_dword v104, off, s[0:3], 0 offset:12
.LBB48_15:
	s_or_b32 exec_lo, exec_lo, s5
	s_waitcnt_vscnt null, 0x0
	s_barrier
	buffer_gl0_inv
	s_clause 0x1
	buffer_load_dword v103, off, s[0:3], 0 offset:16
	buffer_load_dword v104, off, s[0:3], 0 offset:20
	s_mov_b32 s5, exec_lo
	s_waitcnt vmcnt(0)
	ds_write_b64 v102, v[103:104]
	s_waitcnt lgkmcnt(0)
	s_barrier
	buffer_gl0_inv
	v_cmpx_gt_u32_e32 2, v0
	s_cbranch_execz .LBB48_19
; %bb.16:
	s_clause 0x1
	buffer_load_dword v103, v99, s[0:3], 0 offen
	buffer_load_dword v104, v99, s[0:3], 0 offen offset:4
	ds_read_b64 v[99:100], v102
	s_waitcnt vmcnt(0) lgkmcnt(0)
	v_fma_f64 v[99:100], v[103:104], v[99:100], 0
	s_and_saveexec_b32 s8, s4
	s_cbranch_execz .LBB48_18
; %bb.17:
	s_clause 0x1
	buffer_load_dword v103, off, s[0:3], 0 offset:8
	buffer_load_dword v104, off, s[0:3], 0 offset:12
	v_mov_b32_e32 v105, 0
	ds_read_b64 v[105:106], v105 offset:408
	s_waitcnt vmcnt(0) lgkmcnt(0)
	v_fma_f64 v[99:100], v[103:104], v[105:106], v[99:100]
.LBB48_18:
	s_or_b32 exec_lo, exec_lo, s8
	v_mov_b32_e32 v103, 0
	ds_read_b64 v[103:104], v103 offset:16
	s_waitcnt lgkmcnt(0)
	v_mul_f64 v[99:100], v[99:100], v[103:104]
	buffer_store_dword v100, off, s[0:3], 0 offset:20
	buffer_store_dword v99, off, s[0:3], 0 offset:16
.LBB48_19:
	s_or_b32 exec_lo, exec_lo, s5
	s_waitcnt_vscnt null, 0x0
	s_barrier
	buffer_gl0_inv
	s_clause 0x1
	buffer_load_dword v99, off, s[0:3], 0 offset:24
	buffer_load_dword v100, off, s[0:3], 0 offset:28
	v_add_nc_u32_e32 v103, -1, v0
	s_mov_b32 s4, exec_lo
	s_waitcnt vmcnt(0)
	ds_write_b64 v102, v[99:100]
	s_waitcnt lgkmcnt(0)
	s_barrier
	buffer_gl0_inv
	v_cmpx_gt_u32_e32 3, v0
	s_cbranch_execz .LBB48_23
; %bb.20:
	v_mov_b32_e32 v99, 0
	v_add_nc_u32_e32 v104, -1, v0
	v_add_nc_u32_e32 v105, 0x190, v101
	v_mov_b32_e32 v100, 0
	v_mov_b32_e32 v106, v101
	s_mov_b32 s5, 0
.LBB48_21:                              ; =>This Inner Loop Header: Depth=1
	s_clause 0x1
	buffer_load_dword v107, v106, s[0:3], 0 offen
	buffer_load_dword v108, v106, s[0:3], 0 offen offset:4
	ds_read_b64 v[109:110], v105
	v_add_nc_u32_e32 v104, 1, v104
	v_add_nc_u32_e32 v105, 8, v105
	v_add_nc_u32_e32 v106, 8, v106
	v_cmp_lt_u32_e32 vcc_lo, 1, v104
	s_or_b32 s5, vcc_lo, s5
	s_waitcnt vmcnt(0) lgkmcnt(0)
	v_fma_f64 v[99:100], v[107:108], v[109:110], v[99:100]
	s_andn2_b32 exec_lo, exec_lo, s5
	s_cbranch_execnz .LBB48_21
; %bb.22:
	s_or_b32 exec_lo, exec_lo, s5
	v_mov_b32_e32 v104, 0
	ds_read_b64 v[104:105], v104 offset:24
	s_waitcnt lgkmcnt(0)
	v_mul_f64 v[99:100], v[99:100], v[104:105]
	buffer_store_dword v100, off, s[0:3], 0 offset:28
	buffer_store_dword v99, off, s[0:3], 0 offset:24
.LBB48_23:
	s_or_b32 exec_lo, exec_lo, s4
	s_waitcnt_vscnt null, 0x0
	s_barrier
	buffer_gl0_inv
	s_clause 0x1
	buffer_load_dword v99, off, s[0:3], 0 offset:32
	buffer_load_dword v100, off, s[0:3], 0 offset:36
	s_mov_b32 s4, exec_lo
	s_waitcnt vmcnt(0)
	ds_write_b64 v102, v[99:100]
	s_waitcnt lgkmcnt(0)
	s_barrier
	buffer_gl0_inv
	v_cmpx_gt_u32_e32 4, v0
	s_cbranch_execz .LBB48_27
; %bb.24:
	v_mov_b32_e32 v99, 0
	v_add_nc_u32_e32 v104, -1, v0
	v_add_nc_u32_e32 v105, 0x190, v101
	v_mov_b32_e32 v100, 0
	v_mov_b32_e32 v106, v101
	s_mov_b32 s5, 0
.LBB48_25:                              ; =>This Inner Loop Header: Depth=1
	s_clause 0x1
	buffer_load_dword v107, v106, s[0:3], 0 offen
	buffer_load_dword v108, v106, s[0:3], 0 offen offset:4
	ds_read_b64 v[109:110], v105
	v_add_nc_u32_e32 v104, 1, v104
	v_add_nc_u32_e32 v105, 8, v105
	v_add_nc_u32_e32 v106, 8, v106
	v_cmp_lt_u32_e32 vcc_lo, 2, v104
	s_or_b32 s5, vcc_lo, s5
	s_waitcnt vmcnt(0) lgkmcnt(0)
	v_fma_f64 v[99:100], v[107:108], v[109:110], v[99:100]
	s_andn2_b32 exec_lo, exec_lo, s5
	s_cbranch_execnz .LBB48_25
; %bb.26:
	s_or_b32 exec_lo, exec_lo, s5
	v_mov_b32_e32 v104, 0
	ds_read_b64 v[104:105], v104 offset:32
	s_waitcnt lgkmcnt(0)
	v_mul_f64 v[99:100], v[99:100], v[104:105]
	buffer_store_dword v100, off, s[0:3], 0 offset:36
	buffer_store_dword v99, off, s[0:3], 0 offset:32
.LBB48_27:
	s_or_b32 exec_lo, exec_lo, s4
	s_waitcnt_vscnt null, 0x0
	s_barrier
	buffer_gl0_inv
	s_clause 0x1
	buffer_load_dword v99, off, s[0:3], 0 offset:40
	buffer_load_dword v100, off, s[0:3], 0 offset:44
	;; [unrolled: 45-line block ×20, first 2 shown]
	s_mov_b32 s4, exec_lo
	s_waitcnt vmcnt(0)
	ds_write_b64 v102, v[99:100]
	s_waitcnt lgkmcnt(0)
	s_barrier
	buffer_gl0_inv
	v_cmpx_gt_u32_e32 23, v0
	s_cbranch_execz .LBB48_103
; %bb.100:
	v_mov_b32_e32 v99, 0
	v_add_nc_u32_e32 v104, -1, v0
	v_add_nc_u32_e32 v105, 0x190, v101
	v_mov_b32_e32 v100, 0
	v_mov_b32_e32 v106, v101
	s_mov_b32 s5, 0
.LBB48_101:                             ; =>This Inner Loop Header: Depth=1
	s_clause 0x1
	buffer_load_dword v107, v106, s[0:3], 0 offen
	buffer_load_dword v108, v106, s[0:3], 0 offen offset:4
	ds_read_b64 v[109:110], v105
	v_add_nc_u32_e32 v104, 1, v104
	v_add_nc_u32_e32 v105, 8, v105
	v_add_nc_u32_e32 v106, 8, v106
	v_cmp_lt_u32_e32 vcc_lo, 21, v104
	s_or_b32 s5, vcc_lo, s5
	s_waitcnt vmcnt(0) lgkmcnt(0)
	v_fma_f64 v[99:100], v[107:108], v[109:110], v[99:100]
	s_andn2_b32 exec_lo, exec_lo, s5
	s_cbranch_execnz .LBB48_101
; %bb.102:
	s_or_b32 exec_lo, exec_lo, s5
	v_mov_b32_e32 v104, 0
	ds_read_b64 v[104:105], v104 offset:184
	s_waitcnt lgkmcnt(0)
	v_mul_f64 v[99:100], v[99:100], v[104:105]
	buffer_store_dword v100, off, s[0:3], 0 offset:188
	buffer_store_dword v99, off, s[0:3], 0 offset:184
.LBB48_103:
	s_or_b32 exec_lo, exec_lo, s4
	s_waitcnt_vscnt null, 0x0
	s_barrier
	buffer_gl0_inv
	s_clause 0x1
	buffer_load_dword v99, off, s[0:3], 0 offset:192
	buffer_load_dword v100, off, s[0:3], 0 offset:196
	s_mov_b32 s4, exec_lo
	s_waitcnt vmcnt(0)
	ds_write_b64 v102, v[99:100]
	s_waitcnt lgkmcnt(0)
	s_barrier
	buffer_gl0_inv
	v_cmpx_gt_u32_e32 24, v0
	s_cbranch_execz .LBB48_107
; %bb.104:
	v_mov_b32_e32 v99, 0
	v_add_nc_u32_e32 v104, -1, v0
	v_add_nc_u32_e32 v105, 0x190, v101
	v_mov_b32_e32 v100, 0
	v_mov_b32_e32 v106, v101
	s_mov_b32 s5, 0
.LBB48_105:                             ; =>This Inner Loop Header: Depth=1
	s_clause 0x1
	buffer_load_dword v107, v106, s[0:3], 0 offen
	buffer_load_dword v108, v106, s[0:3], 0 offen offset:4
	ds_read_b64 v[109:110], v105
	v_add_nc_u32_e32 v104, 1, v104
	v_add_nc_u32_e32 v105, 8, v105
	v_add_nc_u32_e32 v106, 8, v106
	v_cmp_lt_u32_e32 vcc_lo, 22, v104
	s_or_b32 s5, vcc_lo, s5
	s_waitcnt vmcnt(0) lgkmcnt(0)
	v_fma_f64 v[99:100], v[107:108], v[109:110], v[99:100]
	s_andn2_b32 exec_lo, exec_lo, s5
	s_cbranch_execnz .LBB48_105
; %bb.106:
	s_or_b32 exec_lo, exec_lo, s5
	v_mov_b32_e32 v104, 0
	ds_read_b64 v[104:105], v104 offset:192
	s_waitcnt lgkmcnt(0)
	v_mul_f64 v[99:100], v[99:100], v[104:105]
	buffer_store_dword v100, off, s[0:3], 0 offset:196
	buffer_store_dword v99, off, s[0:3], 0 offset:192
.LBB48_107:
	s_or_b32 exec_lo, exec_lo, s4
	s_waitcnt_vscnt null, 0x0
	s_barrier
	buffer_gl0_inv
	s_clause 0x1
	buffer_load_dword v99, off, s[0:3], 0 offset:200
	buffer_load_dword v100, off, s[0:3], 0 offset:204
	;; [unrolled: 45-line block ×25, first 2 shown]
	s_mov_b32 s4, exec_lo
	s_waitcnt vmcnt(0)
	ds_write_b64 v102, v[99:100]
	s_waitcnt lgkmcnt(0)
	s_barrier
	buffer_gl0_inv
	v_cmpx_ne_u32_e32 48, v0
	s_cbranch_execz .LBB48_203
; %bb.200:
	v_mov_b32_e32 v99, 0
	v_mov_b32_e32 v100, 0
	s_mov_b32 s5, 0
.LBB48_201:                             ; =>This Inner Loop Header: Depth=1
	s_clause 0x1
	buffer_load_dword v104, v101, s[0:3], 0 offen
	buffer_load_dword v105, v101, s[0:3], 0 offen offset:4
	ds_read_b64 v[106:107], v102
	v_add_nc_u32_e32 v103, 1, v103
	v_add_nc_u32_e32 v102, 8, v102
	;; [unrolled: 1-line block ×3, first 2 shown]
	v_cmp_lt_u32_e32 vcc_lo, 46, v103
	s_or_b32 s5, vcc_lo, s5
	s_waitcnt vmcnt(0) lgkmcnt(0)
	v_fma_f64 v[99:100], v[104:105], v[106:107], v[99:100]
	s_andn2_b32 exec_lo, exec_lo, s5
	s_cbranch_execnz .LBB48_201
; %bb.202:
	s_or_b32 exec_lo, exec_lo, s5
	v_mov_b32_e32 v101, 0
	ds_read_b64 v[101:102], v101 offset:384
	s_waitcnt lgkmcnt(0)
	v_mul_f64 v[99:100], v[99:100], v[101:102]
	buffer_store_dword v100, off, s[0:3], 0 offset:388
	buffer_store_dword v99, off, s[0:3], 0 offset:384
.LBB48_203:
	s_or_b32 exec_lo, exec_lo, s4
	s_mov_b32 s5, -1
	s_waitcnt_vscnt null, 0x0
	s_barrier
	buffer_gl0_inv
.LBB48_204:
	s_and_b32 vcc_lo, exec_lo, s5
	s_cbranch_vccz .LBB48_206
; %bb.205:
	s_lshl_b64 s[4:5], s[6:7], 2
	v_mov_b32_e32 v99, 0
	s_add_u32 s4, s10, s4
	s_addc_u32 s5, s11, s5
	global_load_dword v99, v99, s[4:5]
	s_waitcnt vmcnt(0)
	v_cmp_ne_u32_e32 vcc_lo, 0, v99
	s_cbranch_vccz .LBB48_207
.LBB48_206:
	s_endpgm
.LBB48_207:
	v_lshl_add_u32 v99, v0, 3, 0x190
	s_mov_b32 s4, exec_lo
	v_cmpx_eq_u32_e32 48, v0
	s_cbranch_execz .LBB48_209
; %bb.208:
	s_clause 0x1
	buffer_load_dword v100, off, s[0:3], 0 offset:376
	buffer_load_dword v101, off, s[0:3], 0 offset:380
	v_mov_b32_e32 v102, 0
	buffer_store_dword v102, off, s[0:3], 0 offset:376
	buffer_store_dword v102, off, s[0:3], 0 offset:380
	s_waitcnt vmcnt(0)
	ds_write_b64 v99, v[100:101]
.LBB48_209:
	s_or_b32 exec_lo, exec_lo, s4
	s_waitcnt lgkmcnt(0)
	s_waitcnt_vscnt null, 0x0
	s_barrier
	buffer_gl0_inv
	s_clause 0x3
	buffer_load_dword v101, off, s[0:3], 0 offset:384
	buffer_load_dword v102, off, s[0:3], 0 offset:388
	;; [unrolled: 1-line block ×4, first 2 shown]
	v_mov_b32_e32 v100, 0
	s_mov_b32 s4, exec_lo
	ds_read_b64 v[105:106], v100 offset:784
	s_waitcnt vmcnt(2) lgkmcnt(0)
	v_fma_f64 v[101:102], v[101:102], v[105:106], 0
	s_waitcnt vmcnt(0)
	v_add_f64 v[101:102], v[103:104], -v[101:102]
	buffer_store_dword v101, off, s[0:3], 0 offset:376
	buffer_store_dword v102, off, s[0:3], 0 offset:380
	v_cmpx_lt_u32_e32 46, v0
	s_cbranch_execz .LBB48_211
; %bb.210:
	s_clause 0x1
	buffer_load_dword v101, off, s[0:3], 0 offset:368
	buffer_load_dword v102, off, s[0:3], 0 offset:372
	buffer_store_dword v100, off, s[0:3], 0 offset:368
	buffer_store_dword v100, off, s[0:3], 0 offset:372
	s_waitcnt vmcnt(0)
	ds_write_b64 v99, v[101:102]
.LBB48_211:
	s_or_b32 exec_lo, exec_lo, s4
	s_waitcnt lgkmcnt(0)
	s_waitcnt_vscnt null, 0x0
	s_barrier
	buffer_gl0_inv
	s_clause 0x5
	buffer_load_dword v104, off, s[0:3], 0 offset:376
	buffer_load_dword v105, off, s[0:3], 0 offset:380
	buffer_load_dword v106, off, s[0:3], 0 offset:384
	buffer_load_dword v107, off, s[0:3], 0 offset:388
	buffer_load_dword v108, off, s[0:3], 0 offset:368
	buffer_load_dword v109, off, s[0:3], 0 offset:372
	ds_read2_b64 v[100:103], v100 offset0:97 offset1:98
	s_mov_b32 s4, exec_lo
	s_waitcnt vmcnt(4) lgkmcnt(0)
	v_fma_f64 v[100:101], v[104:105], v[100:101], 0
	s_waitcnt vmcnt(2)
	v_fma_f64 v[100:101], v[106:107], v[102:103], v[100:101]
	s_waitcnt vmcnt(0)
	v_add_f64 v[100:101], v[108:109], -v[100:101]
	buffer_store_dword v100, off, s[0:3], 0 offset:368
	buffer_store_dword v101, off, s[0:3], 0 offset:372
	v_cmpx_lt_u32_e32 45, v0
	s_cbranch_execz .LBB48_213
; %bb.212:
	s_clause 0x1
	buffer_load_dword v100, off, s[0:3], 0 offset:360
	buffer_load_dword v101, off, s[0:3], 0 offset:364
	v_mov_b32_e32 v102, 0
	buffer_store_dword v102, off, s[0:3], 0 offset:360
	buffer_store_dword v102, off, s[0:3], 0 offset:364
	s_waitcnt vmcnt(0)
	ds_write_b64 v99, v[100:101]
.LBB48_213:
	s_or_b32 exec_lo, exec_lo, s4
	s_waitcnt lgkmcnt(0)
	s_waitcnt_vscnt null, 0x0
	s_barrier
	buffer_gl0_inv
	s_clause 0x7
	buffer_load_dword v105, off, s[0:3], 0 offset:368
	buffer_load_dword v106, off, s[0:3], 0 offset:372
	buffer_load_dword v107, off, s[0:3], 0 offset:376
	buffer_load_dword v108, off, s[0:3], 0 offset:380
	buffer_load_dword v109, off, s[0:3], 0 offset:384
	buffer_load_dword v110, off, s[0:3], 0 offset:388
	buffer_load_dword v111, off, s[0:3], 0 offset:360
	buffer_load_dword v112, off, s[0:3], 0 offset:364
	v_mov_b32_e32 v100, 0
	ds_read_b128 v[101:104], v100 offset:768
	ds_read_b64 v[113:114], v100 offset:784
	s_mov_b32 s4, exec_lo
	s_waitcnt vmcnt(6) lgkmcnt(1)
	v_fma_f64 v[101:102], v[105:106], v[101:102], 0
	s_waitcnt vmcnt(4)
	v_fma_f64 v[101:102], v[107:108], v[103:104], v[101:102]
	s_waitcnt vmcnt(2) lgkmcnt(0)
	v_fma_f64 v[101:102], v[109:110], v[113:114], v[101:102]
	s_waitcnt vmcnt(0)
	v_add_f64 v[101:102], v[111:112], -v[101:102]
	buffer_store_dword v101, off, s[0:3], 0 offset:360
	buffer_store_dword v102, off, s[0:3], 0 offset:364
	v_cmpx_lt_u32_e32 44, v0
	s_cbranch_execz .LBB48_215
; %bb.214:
	s_clause 0x1
	buffer_load_dword v101, off, s[0:3], 0 offset:352
	buffer_load_dword v102, off, s[0:3], 0 offset:356
	buffer_store_dword v100, off, s[0:3], 0 offset:352
	buffer_store_dword v100, off, s[0:3], 0 offset:356
	s_waitcnt vmcnt(0)
	ds_write_b64 v99, v[101:102]
.LBB48_215:
	s_or_b32 exec_lo, exec_lo, s4
	s_waitcnt lgkmcnt(0)
	s_waitcnt_vscnt null, 0x0
	s_barrier
	buffer_gl0_inv
	s_clause 0x9
	buffer_load_dword v109, off, s[0:3], 0 offset:360
	buffer_load_dword v110, off, s[0:3], 0 offset:364
	buffer_load_dword v111, off, s[0:3], 0 offset:368
	buffer_load_dword v112, off, s[0:3], 0 offset:372
	buffer_load_dword v113, off, s[0:3], 0 offset:376
	buffer_load_dword v114, off, s[0:3], 0 offset:380
	buffer_load_dword v115, off, s[0:3], 0 offset:384
	buffer_load_dword v116, off, s[0:3], 0 offset:388
	buffer_load_dword v117, off, s[0:3], 0 offset:352
	buffer_load_dword v118, off, s[0:3], 0 offset:356
	ds_read2_b64 v[101:104], v100 offset0:95 offset1:96
	ds_read2_b64 v[105:108], v100 offset0:97 offset1:98
	s_mov_b32 s4, exec_lo
	s_waitcnt vmcnt(8) lgkmcnt(1)
	v_fma_f64 v[100:101], v[109:110], v[101:102], 0
	s_waitcnt vmcnt(6)
	v_fma_f64 v[100:101], v[111:112], v[103:104], v[100:101]
	s_waitcnt vmcnt(4) lgkmcnt(0)
	v_fma_f64 v[100:101], v[113:114], v[105:106], v[100:101]
	s_waitcnt vmcnt(2)
	v_fma_f64 v[100:101], v[115:116], v[107:108], v[100:101]
	s_waitcnt vmcnt(0)
	v_add_f64 v[100:101], v[117:118], -v[100:101]
	buffer_store_dword v100, off, s[0:3], 0 offset:352
	buffer_store_dword v101, off, s[0:3], 0 offset:356
	v_cmpx_lt_u32_e32 43, v0
	s_cbranch_execz .LBB48_217
; %bb.216:
	s_clause 0x1
	buffer_load_dword v100, off, s[0:3], 0 offset:344
	buffer_load_dword v101, off, s[0:3], 0 offset:348
	v_mov_b32_e32 v102, 0
	buffer_store_dword v102, off, s[0:3], 0 offset:344
	buffer_store_dword v102, off, s[0:3], 0 offset:348
	s_waitcnt vmcnt(0)
	ds_write_b64 v99, v[100:101]
.LBB48_217:
	s_or_b32 exec_lo, exec_lo, s4
	s_waitcnt lgkmcnt(0)
	s_waitcnt_vscnt null, 0x0
	s_barrier
	buffer_gl0_inv
	s_clause 0xb
	buffer_load_dword v109, off, s[0:3], 0 offset:352
	buffer_load_dword v110, off, s[0:3], 0 offset:356
	;; [unrolled: 1-line block ×12, first 2 shown]
	v_mov_b32_e32 v100, 0
	ds_read_b128 v[101:104], v100 offset:752
	ds_read_b128 v[105:108], v100 offset:768
	s_mov_b32 s4, exec_lo
	s_waitcnt vmcnt(10) lgkmcnt(1)
	v_fma_f64 v[101:102], v[109:110], v[101:102], 0
	s_waitcnt vmcnt(8)
	v_fma_f64 v[101:102], v[111:112], v[103:104], v[101:102]
	ds_read_b64 v[103:104], v100 offset:784
	s_waitcnt vmcnt(6) lgkmcnt(1)
	v_fma_f64 v[101:102], v[113:114], v[105:106], v[101:102]
	s_waitcnt vmcnt(4)
	v_fma_f64 v[101:102], v[115:116], v[107:108], v[101:102]
	s_waitcnt vmcnt(2) lgkmcnt(0)
	v_fma_f64 v[101:102], v[117:118], v[103:104], v[101:102]
	s_waitcnt vmcnt(0)
	v_add_f64 v[101:102], v[119:120], -v[101:102]
	buffer_store_dword v101, off, s[0:3], 0 offset:344
	buffer_store_dword v102, off, s[0:3], 0 offset:348
	v_cmpx_lt_u32_e32 42, v0
	s_cbranch_execz .LBB48_219
; %bb.218:
	s_clause 0x1
	buffer_load_dword v101, off, s[0:3], 0 offset:336
	buffer_load_dword v102, off, s[0:3], 0 offset:340
	buffer_store_dword v100, off, s[0:3], 0 offset:336
	buffer_store_dword v100, off, s[0:3], 0 offset:340
	s_waitcnt vmcnt(0)
	ds_write_b64 v99, v[101:102]
.LBB48_219:
	s_or_b32 exec_lo, exec_lo, s4
	s_waitcnt lgkmcnt(0)
	s_waitcnt_vscnt null, 0x0
	s_barrier
	buffer_gl0_inv
	s_clause 0xd
	buffer_load_dword v109, off, s[0:3], 0 offset:344
	buffer_load_dword v110, off, s[0:3], 0 offset:348
	;; [unrolled: 1-line block ×14, first 2 shown]
	ds_read2_b64 v[101:104], v100 offset0:93 offset1:94
	ds_read2_b64 v[105:108], v100 offset0:95 offset1:96
	s_mov_b32 s4, exec_lo
	s_waitcnt vmcnt(12) lgkmcnt(1)
	v_fma_f64 v[101:102], v[109:110], v[101:102], 0
	s_waitcnt vmcnt(10)
	v_fma_f64 v[101:102], v[111:112], v[103:104], v[101:102]
	s_waitcnt vmcnt(8) lgkmcnt(0)
	v_fma_f64 v[101:102], v[113:114], v[105:106], v[101:102]
	s_waitcnt vmcnt(6)
	v_fma_f64 v[104:105], v[115:116], v[107:108], v[101:102]
	ds_read2_b64 v[100:103], v100 offset0:97 offset1:98
	s_waitcnt vmcnt(4) lgkmcnt(0)
	v_fma_f64 v[100:101], v[117:118], v[100:101], v[104:105]
	s_waitcnt vmcnt(2)
	v_fma_f64 v[100:101], v[119:120], v[102:103], v[100:101]
	s_waitcnt vmcnt(0)
	v_add_f64 v[100:101], v[121:122], -v[100:101]
	buffer_store_dword v100, off, s[0:3], 0 offset:336
	buffer_store_dword v101, off, s[0:3], 0 offset:340
	v_cmpx_lt_u32_e32 41, v0
	s_cbranch_execz .LBB48_221
; %bb.220:
	s_clause 0x1
	buffer_load_dword v100, off, s[0:3], 0 offset:328
	buffer_load_dword v101, off, s[0:3], 0 offset:332
	v_mov_b32_e32 v102, 0
	buffer_store_dword v102, off, s[0:3], 0 offset:328
	buffer_store_dword v102, off, s[0:3], 0 offset:332
	s_waitcnt vmcnt(0)
	ds_write_b64 v99, v[100:101]
.LBB48_221:
	s_or_b32 exec_lo, exec_lo, s4
	s_waitcnt lgkmcnt(0)
	s_waitcnt_vscnt null, 0x0
	s_barrier
	buffer_gl0_inv
	s_clause 0xf
	buffer_load_dword v109, off, s[0:3], 0 offset:336
	buffer_load_dword v110, off, s[0:3], 0 offset:340
	;; [unrolled: 1-line block ×16, first 2 shown]
	v_mov_b32_e32 v100, 0
	ds_read_b128 v[101:104], v100 offset:736
	ds_read_b128 v[105:108], v100 offset:752
	s_mov_b32 s4, exec_lo
	s_waitcnt vmcnt(14) lgkmcnt(1)
	v_fma_f64 v[101:102], v[109:110], v[101:102], 0
	s_waitcnt vmcnt(12)
	v_fma_f64 v[101:102], v[111:112], v[103:104], v[101:102]
	s_waitcnt vmcnt(10) lgkmcnt(0)
	v_fma_f64 v[101:102], v[113:114], v[105:106], v[101:102]
	s_waitcnt vmcnt(8)
	v_fma_f64 v[105:106], v[115:116], v[107:108], v[101:102]
	ds_read_b128 v[101:104], v100 offset:768
	ds_read_b64 v[107:108], v100 offset:784
	s_waitcnt vmcnt(6) lgkmcnt(1)
	v_fma_f64 v[101:102], v[117:118], v[101:102], v[105:106]
	s_waitcnt vmcnt(4)
	v_fma_f64 v[101:102], v[119:120], v[103:104], v[101:102]
	s_waitcnt vmcnt(2) lgkmcnt(0)
	v_fma_f64 v[101:102], v[121:122], v[107:108], v[101:102]
	s_waitcnt vmcnt(0)
	v_add_f64 v[101:102], v[123:124], -v[101:102]
	buffer_store_dword v101, off, s[0:3], 0 offset:328
	buffer_store_dword v102, off, s[0:3], 0 offset:332
	v_cmpx_lt_u32_e32 40, v0
	s_cbranch_execz .LBB48_223
; %bb.222:
	s_clause 0x1
	buffer_load_dword v101, off, s[0:3], 0 offset:320
	buffer_load_dword v102, off, s[0:3], 0 offset:324
	buffer_store_dword v100, off, s[0:3], 0 offset:320
	buffer_store_dword v100, off, s[0:3], 0 offset:324
	s_waitcnt vmcnt(0)
	ds_write_b64 v99, v[101:102]
.LBB48_223:
	s_or_b32 exec_lo, exec_lo, s4
	s_waitcnt lgkmcnt(0)
	s_waitcnt_vscnt null, 0x0
	s_barrier
	buffer_gl0_inv
	s_clause 0x11
	buffer_load_dword v105, off, s[0:3], 0 offset:328
	buffer_load_dword v106, off, s[0:3], 0 offset:332
	;; [unrolled: 1-line block ×18, first 2 shown]
	ds_read2_b64 v[101:104], v100 offset0:91 offset1:92
	s_mov_b32 s4, exec_lo
	s_waitcnt vmcnt(16) lgkmcnt(0)
	v_fma_f64 v[101:102], v[105:106], v[101:102], 0
	s_waitcnt vmcnt(14)
	v_fma_f64 v[105:106], v[107:108], v[103:104], v[101:102]
	ds_read2_b64 v[101:104], v100 offset0:93 offset1:94
	s_waitcnt vmcnt(12) lgkmcnt(0)
	v_fma_f64 v[101:102], v[109:110], v[101:102], v[105:106]
	s_waitcnt vmcnt(10)
	v_fma_f64 v[105:106], v[111:112], v[103:104], v[101:102]
	ds_read2_b64 v[101:104], v100 offset0:95 offset1:96
	s_waitcnt vmcnt(8) lgkmcnt(0)
	v_fma_f64 v[101:102], v[113:114], v[101:102], v[105:106]
	s_waitcnt vmcnt(6)
	v_fma_f64 v[104:105], v[115:116], v[103:104], v[101:102]
	ds_read2_b64 v[100:103], v100 offset0:97 offset1:98
	s_waitcnt vmcnt(4) lgkmcnt(0)
	v_fma_f64 v[100:101], v[117:118], v[100:101], v[104:105]
	s_waitcnt vmcnt(2)
	v_fma_f64 v[100:101], v[119:120], v[102:103], v[100:101]
	s_waitcnt vmcnt(0)
	v_add_f64 v[100:101], v[121:122], -v[100:101]
	buffer_store_dword v100, off, s[0:3], 0 offset:320
	buffer_store_dword v101, off, s[0:3], 0 offset:324
	v_cmpx_lt_u32_e32 39, v0
	s_cbranch_execz .LBB48_225
; %bb.224:
	s_clause 0x1
	buffer_load_dword v100, off, s[0:3], 0 offset:312
	buffer_load_dword v101, off, s[0:3], 0 offset:316
	v_mov_b32_e32 v102, 0
	buffer_store_dword v102, off, s[0:3], 0 offset:312
	buffer_store_dword v102, off, s[0:3], 0 offset:316
	s_waitcnt vmcnt(0)
	ds_write_b64 v99, v[100:101]
.LBB48_225:
	s_or_b32 exec_lo, exec_lo, s4
	s_waitcnt lgkmcnt(0)
	s_waitcnt_vscnt null, 0x0
	s_barrier
	buffer_gl0_inv
	s_clause 0x13
	buffer_load_dword v105, off, s[0:3], 0 offset:320
	buffer_load_dword v106, off, s[0:3], 0 offset:324
	;; [unrolled: 1-line block ×20, first 2 shown]
	v_mov_b32_e32 v100, 0
	s_mov_b32 s4, exec_lo
	ds_read_b128 v[101:104], v100 offset:720
	s_waitcnt vmcnt(18) lgkmcnt(0)
	v_fma_f64 v[101:102], v[105:106], v[101:102], 0
	s_waitcnt vmcnt(16)
	v_fma_f64 v[105:106], v[107:108], v[103:104], v[101:102]
	ds_read_b128 v[101:104], v100 offset:736
	s_waitcnt vmcnt(14) lgkmcnt(0)
	v_fma_f64 v[101:102], v[109:110], v[101:102], v[105:106]
	s_waitcnt vmcnt(12)
	v_fma_f64 v[105:106], v[111:112], v[103:104], v[101:102]
	;; [unrolled: 5-line block ×4, first 2 shown]
	ds_read_b64 v[103:104], v100 offset:784
	s_waitcnt vmcnt(2) lgkmcnt(0)
	v_fma_f64 v[101:102], v[121:122], v[103:104], v[101:102]
	s_waitcnt vmcnt(0)
	v_add_f64 v[101:102], v[123:124], -v[101:102]
	buffer_store_dword v101, off, s[0:3], 0 offset:312
	buffer_store_dword v102, off, s[0:3], 0 offset:316
	v_cmpx_lt_u32_e32 38, v0
	s_cbranch_execz .LBB48_227
; %bb.226:
	s_clause 0x1
	buffer_load_dword v101, off, s[0:3], 0 offset:304
	buffer_load_dword v102, off, s[0:3], 0 offset:308
	buffer_store_dword v100, off, s[0:3], 0 offset:304
	buffer_store_dword v100, off, s[0:3], 0 offset:308
	s_waitcnt vmcnt(0)
	ds_write_b64 v99, v[101:102]
.LBB48_227:
	s_or_b32 exec_lo, exec_lo, s4
	s_waitcnt lgkmcnt(0)
	s_waitcnt_vscnt null, 0x0
	s_barrier
	buffer_gl0_inv
	s_clause 0x15
	buffer_load_dword v105, off, s[0:3], 0 offset:312
	buffer_load_dword v106, off, s[0:3], 0 offset:316
	buffer_load_dword v107, off, s[0:3], 0 offset:320
	buffer_load_dword v108, off, s[0:3], 0 offset:324
	buffer_load_dword v109, off, s[0:3], 0 offset:328
	buffer_load_dword v110, off, s[0:3], 0 offset:332
	buffer_load_dword v111, off, s[0:3], 0 offset:336
	buffer_load_dword v112, off, s[0:3], 0 offset:340
	buffer_load_dword v113, off, s[0:3], 0 offset:344
	buffer_load_dword v114, off, s[0:3], 0 offset:348
	buffer_load_dword v115, off, s[0:3], 0 offset:352
	buffer_load_dword v116, off, s[0:3], 0 offset:356
	buffer_load_dword v117, off, s[0:3], 0 offset:360
	buffer_load_dword v118, off, s[0:3], 0 offset:364
	buffer_load_dword v120, off, s[0:3], 0 offset:372
	buffer_load_dword v119, off, s[0:3], 0 offset:368
	buffer_load_dword v121, off, s[0:3], 0 offset:376
	buffer_load_dword v122, off, s[0:3], 0 offset:380
	buffer_load_dword v123, off, s[0:3], 0 offset:384
	buffer_load_dword v124, off, s[0:3], 0 offset:388
	buffer_load_dword v125, off, s[0:3], 0 offset:304
	buffer_load_dword v126, off, s[0:3], 0 offset:308
	ds_read2_b64 v[101:104], v100 offset0:89 offset1:90
	s_mov_b32 s4, exec_lo
	s_waitcnt vmcnt(20) lgkmcnt(0)
	v_fma_f64 v[101:102], v[105:106], v[101:102], 0
	s_waitcnt vmcnt(18)
	v_fma_f64 v[105:106], v[107:108], v[103:104], v[101:102]
	ds_read2_b64 v[101:104], v100 offset0:91 offset1:92
	s_waitcnt vmcnt(16) lgkmcnt(0)
	v_fma_f64 v[101:102], v[109:110], v[101:102], v[105:106]
	s_waitcnt vmcnt(14)
	v_fma_f64 v[105:106], v[111:112], v[103:104], v[101:102]
	ds_read2_b64 v[101:104], v100 offset0:93 offset1:94
	;; [unrolled: 5-line block ×4, first 2 shown]
	s_waitcnt vmcnt(4) lgkmcnt(0)
	v_fma_f64 v[100:101], v[121:122], v[100:101], v[104:105]
	s_waitcnt vmcnt(2)
	v_fma_f64 v[100:101], v[123:124], v[102:103], v[100:101]
	s_waitcnt vmcnt(0)
	v_add_f64 v[100:101], v[125:126], -v[100:101]
	buffer_store_dword v100, off, s[0:3], 0 offset:304
	buffer_store_dword v101, off, s[0:3], 0 offset:308
	v_cmpx_lt_u32_e32 37, v0
	s_cbranch_execz .LBB48_229
; %bb.228:
	s_clause 0x1
	buffer_load_dword v100, off, s[0:3], 0 offset:296
	buffer_load_dword v101, off, s[0:3], 0 offset:300
	v_mov_b32_e32 v102, 0
	buffer_store_dword v102, off, s[0:3], 0 offset:296
	buffer_store_dword v102, off, s[0:3], 0 offset:300
	s_waitcnt vmcnt(0)
	ds_write_b64 v99, v[100:101]
.LBB48_229:
	s_or_b32 exec_lo, exec_lo, s4
	s_waitcnt lgkmcnt(0)
	s_waitcnt_vscnt null, 0x0
	s_barrier
	buffer_gl0_inv
	s_clause 0x17
	buffer_load_dword v109, off, s[0:3], 0 offset:304
	buffer_load_dword v110, off, s[0:3], 0 offset:308
	;; [unrolled: 1-line block ×24, first 2 shown]
	v_mov_b32_e32 v100, 0
	ds_read_b128 v[101:104], v100 offset:704
	ds_read_b128 v[105:108], v100 offset:720
	s_mov_b32 s4, exec_lo
	s_waitcnt vmcnt(22) lgkmcnt(1)
	v_fma_f64 v[101:102], v[109:110], v[101:102], 0
	s_waitcnt vmcnt(20)
	v_fma_f64 v[101:102], v[111:112], v[103:104], v[101:102]
	s_waitcnt vmcnt(18) lgkmcnt(0)
	v_fma_f64 v[101:102], v[113:114], v[105:106], v[101:102]
	s_waitcnt vmcnt(16)
	v_fma_f64 v[109:110], v[115:116], v[107:108], v[101:102]
	ds_read_b128 v[101:104], v100 offset:736
	ds_read_b128 v[105:108], v100 offset:752
	s_waitcnt vmcnt(14) lgkmcnt(1)
	v_fma_f64 v[101:102], v[117:118], v[101:102], v[109:110]
	s_waitcnt vmcnt(12)
	v_fma_f64 v[101:102], v[119:120], v[103:104], v[101:102]
	s_waitcnt vmcnt(10) lgkmcnt(0)
	v_fma_f64 v[101:102], v[121:122], v[105:106], v[101:102]
	s_waitcnt vmcnt(5)
	v_fma_f64 v[105:106], v[123:124], v[107:108], v[101:102]
	ds_read_b128 v[101:104], v100 offset:768
	ds_read_b64 v[107:108], v100 offset:784
	s_waitcnt vmcnt(4) lgkmcnt(1)
	v_fma_f64 v[101:102], v[129:130], v[101:102], v[105:106]
	s_waitcnt vmcnt(3)
	v_fma_f64 v[101:102], v[127:128], v[103:104], v[101:102]
	s_waitcnt vmcnt(2) lgkmcnt(0)
	v_fma_f64 v[101:102], v[125:126], v[107:108], v[101:102]
	s_waitcnt vmcnt(0)
	v_add_f64 v[101:102], v[131:132], -v[101:102]
	buffer_store_dword v102, off, s[0:3], 0 offset:300
	buffer_store_dword v101, off, s[0:3], 0 offset:296
	v_cmpx_lt_u32_e32 36, v0
	s_cbranch_execz .LBB48_231
; %bb.230:
	s_clause 0x1
	buffer_load_dword v101, off, s[0:3], 0 offset:288
	buffer_load_dword v102, off, s[0:3], 0 offset:292
	buffer_store_dword v100, off, s[0:3], 0 offset:288
	buffer_store_dword v100, off, s[0:3], 0 offset:292
	s_waitcnt vmcnt(0)
	ds_write_b64 v99, v[101:102]
.LBB48_231:
	s_or_b32 exec_lo, exec_lo, s4
	s_waitcnt lgkmcnt(0)
	s_waitcnt_vscnt null, 0x0
	s_barrier
	buffer_gl0_inv
	s_clause 0x19
	buffer_load_dword v109, off, s[0:3], 0 offset:296
	buffer_load_dword v110, off, s[0:3], 0 offset:300
	;; [unrolled: 1-line block ×26, first 2 shown]
	ds_read2_b64 v[101:104], v100 offset0:87 offset1:88
	ds_read2_b64 v[105:108], v100 offset0:89 offset1:90
	s_mov_b32 s4, exec_lo
	s_waitcnt vmcnt(24) lgkmcnt(1)
	v_fma_f64 v[101:102], v[109:110], v[101:102], 0
	s_waitcnt vmcnt(22)
	v_fma_f64 v[101:102], v[111:112], v[103:104], v[101:102]
	s_waitcnt vmcnt(20) lgkmcnt(0)
	v_fma_f64 v[101:102], v[113:114], v[105:106], v[101:102]
	s_waitcnt vmcnt(18)
	v_fma_f64 v[109:110], v[115:116], v[107:108], v[101:102]
	ds_read2_b64 v[101:104], v100 offset0:91 offset1:92
	ds_read2_b64 v[105:108], v100 offset0:93 offset1:94
	s_waitcnt vmcnt(16) lgkmcnt(1)
	v_fma_f64 v[101:102], v[117:118], v[101:102], v[109:110]
	s_waitcnt vmcnt(14)
	v_fma_f64 v[101:102], v[119:120], v[103:104], v[101:102]
	s_waitcnt vmcnt(12) lgkmcnt(0)
	v_fma_f64 v[101:102], v[121:122], v[105:106], v[101:102]
	s_waitcnt vmcnt(7)
	v_fma_f64 v[109:110], v[123:124], v[107:108], v[101:102]
	ds_read2_b64 v[101:104], v100 offset0:95 offset1:96
	ds_read2_b64 v[105:108], v100 offset0:97 offset1:98
	s_waitcnt vmcnt(6) lgkmcnt(1)
	v_fma_f64 v[100:101], v[129:130], v[101:102], v[109:110]
	s_waitcnt vmcnt(5)
	v_fma_f64 v[100:101], v[127:128], v[103:104], v[100:101]
	s_waitcnt vmcnt(4) lgkmcnt(0)
	v_fma_f64 v[100:101], v[125:126], v[105:106], v[100:101]
	s_waitcnt vmcnt(2)
	v_fma_f64 v[100:101], v[131:132], v[107:108], v[100:101]
	s_waitcnt vmcnt(0)
	v_add_f64 v[100:101], v[133:134], -v[100:101]
	buffer_store_dword v101, off, s[0:3], 0 offset:292
	buffer_store_dword v100, off, s[0:3], 0 offset:288
	v_cmpx_lt_u32_e32 35, v0
	s_cbranch_execz .LBB48_233
; %bb.232:
	s_clause 0x1
	buffer_load_dword v100, off, s[0:3], 0 offset:280
	buffer_load_dword v101, off, s[0:3], 0 offset:284
	v_mov_b32_e32 v102, 0
	buffer_store_dword v102, off, s[0:3], 0 offset:280
	buffer_store_dword v102, off, s[0:3], 0 offset:284
	s_waitcnt vmcnt(0)
	ds_write_b64 v99, v[100:101]
.LBB48_233:
	s_or_b32 exec_lo, exec_lo, s4
	s_waitcnt lgkmcnt(0)
	s_waitcnt_vscnt null, 0x0
	s_barrier
	buffer_gl0_inv
	s_clause 0x1b
	buffer_load_dword v109, off, s[0:3], 0 offset:288
	buffer_load_dword v110, off, s[0:3], 0 offset:292
	;; [unrolled: 1-line block ×28, first 2 shown]
	v_mov_b32_e32 v100, 0
	ds_read_b128 v[101:104], v100 offset:688
	ds_read_b128 v[105:108], v100 offset:704
	s_mov_b32 s4, exec_lo
	s_waitcnt vmcnt(26) lgkmcnt(1)
	v_fma_f64 v[101:102], v[109:110], v[101:102], 0
	s_waitcnt vmcnt(24)
	v_fma_f64 v[101:102], v[111:112], v[103:104], v[101:102]
	s_waitcnt vmcnt(22) lgkmcnt(0)
	v_fma_f64 v[101:102], v[113:114], v[105:106], v[101:102]
	s_waitcnt vmcnt(20)
	v_fma_f64 v[109:110], v[115:116], v[107:108], v[101:102]
	ds_read_b128 v[101:104], v100 offset:720
	ds_read_b128 v[105:108], v100 offset:736
	s_waitcnt vmcnt(18) lgkmcnt(1)
	v_fma_f64 v[101:102], v[117:118], v[101:102], v[109:110]
	s_waitcnt vmcnt(16)
	v_fma_f64 v[101:102], v[119:120], v[103:104], v[101:102]
	s_waitcnt vmcnt(14) lgkmcnt(0)
	v_fma_f64 v[101:102], v[121:122], v[105:106], v[101:102]
	s_waitcnt vmcnt(9)
	v_fma_f64 v[109:110], v[123:124], v[107:108], v[101:102]
	ds_read_b128 v[101:104], v100 offset:752
	ds_read_b128 v[105:108], v100 offset:768
	s_waitcnt vmcnt(8) lgkmcnt(1)
	v_fma_f64 v[101:102], v[129:130], v[101:102], v[109:110]
	s_waitcnt vmcnt(7)
	v_fma_f64 v[101:102], v[127:128], v[103:104], v[101:102]
	ds_read_b64 v[103:104], v100 offset:784
	s_waitcnt vmcnt(6) lgkmcnt(1)
	v_fma_f64 v[101:102], v[125:126], v[105:106], v[101:102]
	s_waitcnt vmcnt(3)
	v_fma_f64 v[101:102], v[131:132], v[107:108], v[101:102]
	s_waitcnt vmcnt(2) lgkmcnt(0)
	v_fma_f64 v[101:102], v[133:134], v[103:104], v[101:102]
	s_waitcnt vmcnt(0)
	v_add_f64 v[101:102], v[135:136], -v[101:102]
	buffer_store_dword v102, off, s[0:3], 0 offset:284
	buffer_store_dword v101, off, s[0:3], 0 offset:280
	v_cmpx_lt_u32_e32 34, v0
	s_cbranch_execz .LBB48_235
; %bb.234:
	s_clause 0x1
	buffer_load_dword v101, off, s[0:3], 0 offset:272
	buffer_load_dword v102, off, s[0:3], 0 offset:276
	buffer_store_dword v100, off, s[0:3], 0 offset:272
	buffer_store_dword v100, off, s[0:3], 0 offset:276
	s_waitcnt vmcnt(0)
	ds_write_b64 v99, v[101:102]
.LBB48_235:
	s_or_b32 exec_lo, exec_lo, s4
	s_waitcnt lgkmcnt(0)
	s_waitcnt_vscnt null, 0x0
	s_barrier
	buffer_gl0_inv
	s_clause 0x1b
	buffer_load_dword v109, off, s[0:3], 0 offset:280
	buffer_load_dword v110, off, s[0:3], 0 offset:284
	;; [unrolled: 1-line block ×28, first 2 shown]
	ds_read2_b64 v[101:104], v100 offset0:85 offset1:86
	s_clause 0x1
	buffer_load_dword v137, off, s[0:3], 0 offset:272
	buffer_load_dword v138, off, s[0:3], 0 offset:276
	ds_read2_b64 v[105:108], v100 offset0:87 offset1:88
	s_mov_b32 s4, exec_lo
	s_waitcnt vmcnt(28) lgkmcnt(1)
	v_fma_f64 v[101:102], v[109:110], v[101:102], 0
	s_waitcnt vmcnt(26)
	v_fma_f64 v[101:102], v[111:112], v[103:104], v[101:102]
	s_waitcnt vmcnt(24) lgkmcnt(0)
	v_fma_f64 v[101:102], v[113:114], v[105:106], v[101:102]
	s_waitcnt vmcnt(22)
	v_fma_f64 v[109:110], v[115:116], v[107:108], v[101:102]
	ds_read2_b64 v[101:104], v100 offset0:89 offset1:90
	ds_read2_b64 v[105:108], v100 offset0:91 offset1:92
	s_waitcnt vmcnt(20) lgkmcnt(1)
	v_fma_f64 v[101:102], v[117:118], v[101:102], v[109:110]
	s_waitcnt vmcnt(18)
	v_fma_f64 v[101:102], v[119:120], v[103:104], v[101:102]
	s_waitcnt vmcnt(16) lgkmcnt(0)
	v_fma_f64 v[101:102], v[121:122], v[105:106], v[101:102]
	s_waitcnt vmcnt(11)
	v_fma_f64 v[109:110], v[123:124], v[107:108], v[101:102]
	ds_read2_b64 v[101:104], v100 offset0:93 offset1:94
	ds_read2_b64 v[105:108], v100 offset0:95 offset1:96
	s_waitcnt vmcnt(10) lgkmcnt(1)
	v_fma_f64 v[101:102], v[129:130], v[101:102], v[109:110]
	s_waitcnt vmcnt(9)
	v_fma_f64 v[101:102], v[127:128], v[103:104], v[101:102]
	s_waitcnt vmcnt(8) lgkmcnt(0)
	v_fma_f64 v[101:102], v[125:126], v[105:106], v[101:102]
	s_waitcnt vmcnt(4)
	v_fma_f64 v[104:105], v[131:132], v[107:108], v[101:102]
	ds_read2_b64 v[100:103], v100 offset0:97 offset1:98
	s_waitcnt vmcnt(3) lgkmcnt(0)
	v_fma_f64 v[100:101], v[135:136], v[100:101], v[104:105]
	s_waitcnt vmcnt(2)
	v_fma_f64 v[100:101], v[133:134], v[102:103], v[100:101]
	s_waitcnt vmcnt(0)
	v_add_f64 v[100:101], v[137:138], -v[100:101]
	buffer_store_dword v101, off, s[0:3], 0 offset:276
	buffer_store_dword v100, off, s[0:3], 0 offset:272
	v_cmpx_lt_u32_e32 33, v0
	s_cbranch_execz .LBB48_237
; %bb.236:
	s_clause 0x1
	buffer_load_dword v100, off, s[0:3], 0 offset:264
	buffer_load_dword v101, off, s[0:3], 0 offset:268
	v_mov_b32_e32 v102, 0
	buffer_store_dword v102, off, s[0:3], 0 offset:264
	buffer_store_dword v102, off, s[0:3], 0 offset:268
	s_waitcnt vmcnt(0)
	ds_write_b64 v99, v[100:101]
.LBB48_237:
	s_or_b32 exec_lo, exec_lo, s4
	s_waitcnt lgkmcnt(0)
	s_waitcnt_vscnt null, 0x0
	s_barrier
	buffer_gl0_inv
	s_clause 0x1c
	buffer_load_dword v109, off, s[0:3], 0 offset:272
	buffer_load_dword v110, off, s[0:3], 0 offset:276
	;; [unrolled: 1-line block ×29, first 2 shown]
	v_mov_b32_e32 v100, 0
	buffer_load_dword v134, off, s[0:3], 0 offset:388
	s_mov_b32 s4, exec_lo
	ds_read_b128 v[101:104], v100 offset:672
	ds_read_b128 v[105:108], v100 offset:688
	s_waitcnt vmcnt(28) lgkmcnt(1)
	v_fma_f64 v[101:102], v[109:110], v[101:102], 0
	s_clause 0x1
	buffer_load_dword v109, off, s[0:3], 0 offset:264
	buffer_load_dword v110, off, s[0:3], 0 offset:268
	s_waitcnt vmcnt(28)
	v_fma_f64 v[101:102], v[111:112], v[103:104], v[101:102]
	s_waitcnt vmcnt(26) lgkmcnt(0)
	v_fma_f64 v[101:102], v[113:114], v[105:106], v[101:102]
	s_waitcnt vmcnt(24)
	v_fma_f64 v[111:112], v[115:116], v[107:108], v[101:102]
	ds_read_b128 v[101:104], v100 offset:704
	ds_read_b128 v[105:108], v100 offset:720
	s_waitcnt vmcnt(22) lgkmcnt(1)
	v_fma_f64 v[101:102], v[117:118], v[101:102], v[111:112]
	s_waitcnt vmcnt(20)
	v_fma_f64 v[101:102], v[119:120], v[103:104], v[101:102]
	s_waitcnt vmcnt(18) lgkmcnt(0)
	v_fma_f64 v[101:102], v[121:122], v[105:106], v[101:102]
	s_waitcnt vmcnt(13)
	v_fma_f64 v[111:112], v[123:124], v[107:108], v[101:102]
	ds_read_b128 v[101:104], v100 offset:736
	ds_read_b128 v[105:108], v100 offset:752
	s_waitcnt vmcnt(12) lgkmcnt(1)
	v_fma_f64 v[101:102], v[129:130], v[101:102], v[111:112]
	s_waitcnt vmcnt(11)
	v_fma_f64 v[101:102], v[127:128], v[103:104], v[101:102]
	s_waitcnt vmcnt(10) lgkmcnt(0)
	v_fma_f64 v[101:102], v[125:126], v[105:106], v[101:102]
	s_waitcnt vmcnt(5)
	v_fma_f64 v[105:106], v[131:132], v[107:108], v[101:102]
	ds_read_b128 v[101:104], v100 offset:768
	ds_read_b64 v[107:108], v100 offset:784
	s_waitcnt vmcnt(4) lgkmcnt(1)
	v_fma_f64 v[101:102], v[137:138], v[101:102], v[105:106]
	s_waitcnt vmcnt(3)
	v_fma_f64 v[101:102], v[135:136], v[103:104], v[101:102]
	s_waitcnt vmcnt(2) lgkmcnt(0)
	v_fma_f64 v[101:102], v[133:134], v[107:108], v[101:102]
	s_waitcnt vmcnt(0)
	v_add_f64 v[101:102], v[109:110], -v[101:102]
	buffer_store_dword v102, off, s[0:3], 0 offset:268
	buffer_store_dword v101, off, s[0:3], 0 offset:264
	v_cmpx_lt_u32_e32 32, v0
	s_cbranch_execz .LBB48_239
; %bb.238:
	s_clause 0x1
	buffer_load_dword v101, off, s[0:3], 0 offset:256
	buffer_load_dword v102, off, s[0:3], 0 offset:260
	buffer_store_dword v100, off, s[0:3], 0 offset:256
	buffer_store_dword v100, off, s[0:3], 0 offset:260
	s_waitcnt vmcnt(0)
	ds_write_b64 v99, v[101:102]
.LBB48_239:
	s_or_b32 exec_lo, exec_lo, s4
	s_waitcnt lgkmcnt(0)
	s_waitcnt_vscnt null, 0x0
	s_barrier
	buffer_gl0_inv
	s_clause 0x1c
	buffer_load_dword v109, off, s[0:3], 0 offset:264
	buffer_load_dword v110, off, s[0:3], 0 offset:268
	buffer_load_dword v111, off, s[0:3], 0 offset:272
	buffer_load_dword v112, off, s[0:3], 0 offset:276
	buffer_load_dword v113, off, s[0:3], 0 offset:280
	buffer_load_dword v114, off, s[0:3], 0 offset:284
	buffer_load_dword v115, off, s[0:3], 0 offset:288
	buffer_load_dword v116, off, s[0:3], 0 offset:292
	buffer_load_dword v117, off, s[0:3], 0 offset:296
	buffer_load_dword v118, off, s[0:3], 0 offset:300
	buffer_load_dword v119, off, s[0:3], 0 offset:304
	buffer_load_dword v120, off, s[0:3], 0 offset:308
	buffer_load_dword v121, off, s[0:3], 0 offset:312
	buffer_load_dword v122, off, s[0:3], 0 offset:316
	buffer_load_dword v124, off, s[0:3], 0 offset:324
	buffer_load_dword v125, off, s[0:3], 0 offset:344
	buffer_load_dword v127, off, s[0:3], 0 offset:336
	buffer_load_dword v129, off, s[0:3], 0 offset:328
	buffer_load_dword v123, off, s[0:3], 0 offset:320
	buffer_load_dword v130, off, s[0:3], 0 offset:332
	buffer_load_dword v128, off, s[0:3], 0 offset:340
	buffer_load_dword v126, off, s[0:3], 0 offset:348
	buffer_load_dword v132, off, s[0:3], 0 offset:356
	buffer_load_dword v133, off, s[0:3], 0 offset:376
	buffer_load_dword v135, off, s[0:3], 0 offset:368
	buffer_load_dword v137, off, s[0:3], 0 offset:360
	buffer_load_dword v131, off, s[0:3], 0 offset:352
	buffer_load_dword v138, off, s[0:3], 0 offset:364
	buffer_load_dword v136, off, s[0:3], 0 offset:372
	ds_read2_b64 v[101:104], v100 offset0:83 offset1:84
	ds_read2_b64 v[105:108], v100 offset0:85 offset1:86
	buffer_load_dword v134, off, s[0:3], 0 offset:380
	s_mov_b32 s4, exec_lo
	s_waitcnt vmcnt(28) lgkmcnt(1)
	v_fma_f64 v[101:102], v[109:110], v[101:102], 0
	s_clause 0x1
	buffer_load_dword v110, off, s[0:3], 0 offset:388
	buffer_load_dword v109, off, s[0:3], 0 offset:384
	s_waitcnt vmcnt(28)
	v_fma_f64 v[101:102], v[111:112], v[103:104], v[101:102]
	s_clause 0x1
	buffer_load_dword v111, off, s[0:3], 0 offset:256
	buffer_load_dword v112, off, s[0:3], 0 offset:260
	s_waitcnt vmcnt(28) lgkmcnt(0)
	v_fma_f64 v[101:102], v[113:114], v[105:106], v[101:102]
	s_waitcnt vmcnt(26)
	v_fma_f64 v[113:114], v[115:116], v[107:108], v[101:102]
	ds_read2_b64 v[101:104], v100 offset0:87 offset1:88
	ds_read2_b64 v[105:108], v100 offset0:89 offset1:90
	s_waitcnt vmcnt(24) lgkmcnt(1)
	v_fma_f64 v[101:102], v[117:118], v[101:102], v[113:114]
	s_waitcnt vmcnt(22)
	v_fma_f64 v[101:102], v[119:120], v[103:104], v[101:102]
	s_waitcnt vmcnt(20) lgkmcnt(0)
	v_fma_f64 v[101:102], v[121:122], v[105:106], v[101:102]
	s_waitcnt vmcnt(15)
	v_fma_f64 v[113:114], v[123:124], v[107:108], v[101:102]
	ds_read2_b64 v[101:104], v100 offset0:91 offset1:92
	ds_read2_b64 v[105:108], v100 offset0:93 offset1:94
	s_waitcnt vmcnt(14) lgkmcnt(1)
	v_fma_f64 v[101:102], v[129:130], v[101:102], v[113:114]
	s_waitcnt vmcnt(13)
	v_fma_f64 v[101:102], v[127:128], v[103:104], v[101:102]
	;; [unrolled: 10-line block ×3, first 2 shown]
	s_waitcnt vmcnt(4) lgkmcnt(0)
	v_fma_f64 v[100:101], v[133:134], v[105:106], v[100:101]
	s_waitcnt vmcnt(2)
	v_fma_f64 v[100:101], v[109:110], v[107:108], v[100:101]
	s_waitcnt vmcnt(0)
	v_add_f64 v[100:101], v[111:112], -v[100:101]
	buffer_store_dword v101, off, s[0:3], 0 offset:260
	buffer_store_dword v100, off, s[0:3], 0 offset:256
	v_cmpx_lt_u32_e32 31, v0
	s_cbranch_execz .LBB48_241
; %bb.240:
	s_clause 0x1
	buffer_load_dword v100, off, s[0:3], 0 offset:248
	buffer_load_dword v101, off, s[0:3], 0 offset:252
	v_mov_b32_e32 v102, 0
	buffer_store_dword v102, off, s[0:3], 0 offset:248
	buffer_store_dword v102, off, s[0:3], 0 offset:252
	s_waitcnt vmcnt(0)
	ds_write_b64 v99, v[100:101]
.LBB48_241:
	s_or_b32 exec_lo, exec_lo, s4
	s_waitcnt lgkmcnt(0)
	s_waitcnt_vscnt null, 0x0
	s_barrier
	buffer_gl0_inv
	s_clause 0x1c
	buffer_load_dword v109, off, s[0:3], 0 offset:256
	buffer_load_dword v110, off, s[0:3], 0 offset:260
	buffer_load_dword v111, off, s[0:3], 0 offset:264
	buffer_load_dword v112, off, s[0:3], 0 offset:268
	buffer_load_dword v113, off, s[0:3], 0 offset:272
	buffer_load_dword v114, off, s[0:3], 0 offset:276
	buffer_load_dword v115, off, s[0:3], 0 offset:280
	buffer_load_dword v116, off, s[0:3], 0 offset:284
	buffer_load_dword v117, off, s[0:3], 0 offset:288
	buffer_load_dword v118, off, s[0:3], 0 offset:292
	buffer_load_dword v119, off, s[0:3], 0 offset:296
	buffer_load_dword v120, off, s[0:3], 0 offset:300
	buffer_load_dword v121, off, s[0:3], 0 offset:304
	buffer_load_dword v122, off, s[0:3], 0 offset:308
	buffer_load_dword v124, off, s[0:3], 0 offset:316
	buffer_load_dword v125, off, s[0:3], 0 offset:336
	buffer_load_dword v127, off, s[0:3], 0 offset:328
	buffer_load_dword v129, off, s[0:3], 0 offset:320
	buffer_load_dword v123, off, s[0:3], 0 offset:312
	buffer_load_dword v130, off, s[0:3], 0 offset:324
	buffer_load_dword v128, off, s[0:3], 0 offset:332
	buffer_load_dword v126, off, s[0:3], 0 offset:340
	buffer_load_dword v132, off, s[0:3], 0 offset:348
	buffer_load_dword v133, off, s[0:3], 0 offset:368
	buffer_load_dword v135, off, s[0:3], 0 offset:360
	buffer_load_dword v137, off, s[0:3], 0 offset:352
	buffer_load_dword v131, off, s[0:3], 0 offset:344
	buffer_load_dword v138, off, s[0:3], 0 offset:356
	buffer_load_dword v136, off, s[0:3], 0 offset:364
	v_mov_b32_e32 v100, 0
	buffer_load_dword v134, off, s[0:3], 0 offset:372
	s_mov_b32 s4, exec_lo
	ds_read_b128 v[101:104], v100 offset:656
	ds_read_b128 v[105:108], v100 offset:672
	s_waitcnt vmcnt(28) lgkmcnt(1)
	v_fma_f64 v[101:102], v[109:110], v[101:102], 0
	s_clause 0x3
	buffer_load_dword v110, off, s[0:3], 0 offset:380
	buffer_load_dword v139, off, s[0:3], 0 offset:384
	buffer_load_dword v109, off, s[0:3], 0 offset:376
	buffer_load_dword v140, off, s[0:3], 0 offset:388
	s_waitcnt vmcnt(30)
	v_fma_f64 v[101:102], v[111:112], v[103:104], v[101:102]
	s_clause 0x1
	buffer_load_dword v111, off, s[0:3], 0 offset:248
	buffer_load_dword v112, off, s[0:3], 0 offset:252
	s_waitcnt vmcnt(30) lgkmcnt(0)
	v_fma_f64 v[101:102], v[113:114], v[105:106], v[101:102]
	s_waitcnt vmcnt(28)
	v_fma_f64 v[113:114], v[115:116], v[107:108], v[101:102]
	ds_read_b128 v[101:104], v100 offset:688
	ds_read_b128 v[105:108], v100 offset:704
	s_waitcnt vmcnt(26) lgkmcnt(1)
	v_fma_f64 v[101:102], v[117:118], v[101:102], v[113:114]
	s_waitcnt vmcnt(24)
	v_fma_f64 v[101:102], v[119:120], v[103:104], v[101:102]
	s_waitcnt vmcnt(22) lgkmcnt(0)
	v_fma_f64 v[101:102], v[121:122], v[105:106], v[101:102]
	s_waitcnt vmcnt(17)
	v_fma_f64 v[113:114], v[123:124], v[107:108], v[101:102]
	ds_read_b128 v[101:104], v100 offset:720
	ds_read_b128 v[105:108], v100 offset:736
	s_waitcnt vmcnt(16) lgkmcnt(1)
	v_fma_f64 v[101:102], v[129:130], v[101:102], v[113:114]
	s_waitcnt vmcnt(15)
	v_fma_f64 v[101:102], v[127:128], v[103:104], v[101:102]
	;; [unrolled: 10-line block ×3, first 2 shown]
	ds_read_b64 v[103:104], v100 offset:784
	s_waitcnt vmcnt(6) lgkmcnt(1)
	v_fma_f64 v[101:102], v[133:134], v[105:106], v[101:102]
	s_waitcnt vmcnt(3)
	v_fma_f64 v[101:102], v[109:110], v[107:108], v[101:102]
	s_waitcnt vmcnt(2) lgkmcnt(0)
	v_fma_f64 v[101:102], v[139:140], v[103:104], v[101:102]
	s_waitcnt vmcnt(0)
	v_add_f64 v[101:102], v[111:112], -v[101:102]
	buffer_store_dword v102, off, s[0:3], 0 offset:252
	buffer_store_dword v101, off, s[0:3], 0 offset:248
	v_cmpx_lt_u32_e32 30, v0
	s_cbranch_execz .LBB48_243
; %bb.242:
	s_clause 0x1
	buffer_load_dword v101, off, s[0:3], 0 offset:240
	buffer_load_dword v102, off, s[0:3], 0 offset:244
	buffer_store_dword v100, off, s[0:3], 0 offset:240
	buffer_store_dword v100, off, s[0:3], 0 offset:244
	s_waitcnt vmcnt(0)
	ds_write_b64 v99, v[101:102]
.LBB48_243:
	s_or_b32 exec_lo, exec_lo, s4
	s_waitcnt lgkmcnt(0)
	s_waitcnt_vscnt null, 0x0
	s_barrier
	buffer_gl0_inv
	s_clause 0x1c
	buffer_load_dword v109, off, s[0:3], 0 offset:248
	buffer_load_dword v110, off, s[0:3], 0 offset:252
	;; [unrolled: 1-line block ×29, first 2 shown]
	ds_read2_b64 v[101:104], v100 offset0:81 offset1:82
	ds_read2_b64 v[105:108], v100 offset0:83 offset1:84
	buffer_load_dword v134, off, s[0:3], 0 offset:364
	s_mov_b32 s4, exec_lo
	s_waitcnt vmcnt(28) lgkmcnt(1)
	v_fma_f64 v[101:102], v[109:110], v[101:102], 0
	s_clause 0x5
	buffer_load_dword v110, off, s[0:3], 0 offset:372
	buffer_load_dword v139, off, s[0:3], 0 offset:384
	;; [unrolled: 1-line block ×6, first 2 shown]
	s_waitcnt vmcnt(32)
	v_fma_f64 v[101:102], v[111:112], v[103:104], v[101:102]
	s_waitcnt vmcnt(30) lgkmcnt(0)
	v_fma_f64 v[101:102], v[113:114], v[105:106], v[101:102]
	s_waitcnt vmcnt(28)
	v_fma_f64 v[111:112], v[115:116], v[107:108], v[101:102]
	ds_read2_b64 v[101:104], v100 offset0:85 offset1:86
	s_clause 0x1
	buffer_load_dword v113, off, s[0:3], 0 offset:240
	buffer_load_dword v114, off, s[0:3], 0 offset:244
	ds_read2_b64 v[105:108], v100 offset0:87 offset1:88
	s_waitcnt vmcnt(28) lgkmcnt(1)
	v_fma_f64 v[101:102], v[117:118], v[101:102], v[111:112]
	s_waitcnt vmcnt(26)
	v_fma_f64 v[101:102], v[119:120], v[103:104], v[101:102]
	s_waitcnt vmcnt(24) lgkmcnt(0)
	v_fma_f64 v[101:102], v[121:122], v[105:106], v[101:102]
	s_waitcnt vmcnt(19)
	v_fma_f64 v[111:112], v[123:124], v[107:108], v[101:102]
	ds_read2_b64 v[101:104], v100 offset0:89 offset1:90
	ds_read2_b64 v[105:108], v100 offset0:91 offset1:92
	s_waitcnt vmcnt(18) lgkmcnt(1)
	v_fma_f64 v[101:102], v[129:130], v[101:102], v[111:112]
	s_waitcnt vmcnt(17)
	v_fma_f64 v[101:102], v[127:128], v[103:104], v[101:102]
	s_waitcnt vmcnt(16) lgkmcnt(0)
	v_fma_f64 v[101:102], v[125:126], v[105:106], v[101:102]
	s_waitcnt vmcnt(11)
	v_fma_f64 v[111:112], v[131:132], v[107:108], v[101:102]
	ds_read2_b64 v[101:104], v100 offset0:93 offset1:94
	;; [unrolled: 10-line block ×3, first 2 shown]
	s_waitcnt vmcnt(3) lgkmcnt(0)
	v_fma_f64 v[100:101], v[141:142], v[100:101], v[104:105]
	s_waitcnt vmcnt(2)
	v_fma_f64 v[100:101], v[139:140], v[102:103], v[100:101]
	s_waitcnt vmcnt(0)
	v_add_f64 v[100:101], v[113:114], -v[100:101]
	buffer_store_dword v101, off, s[0:3], 0 offset:244
	buffer_store_dword v100, off, s[0:3], 0 offset:240
	v_cmpx_lt_u32_e32 29, v0
	s_cbranch_execz .LBB48_245
; %bb.244:
	s_clause 0x1
	buffer_load_dword v100, off, s[0:3], 0 offset:232
	buffer_load_dword v101, off, s[0:3], 0 offset:236
	v_mov_b32_e32 v102, 0
	buffer_store_dword v102, off, s[0:3], 0 offset:232
	buffer_store_dword v102, off, s[0:3], 0 offset:236
	s_waitcnt vmcnt(0)
	ds_write_b64 v99, v[100:101]
.LBB48_245:
	s_or_b32 exec_lo, exec_lo, s4
	s_waitcnt lgkmcnt(0)
	s_waitcnt_vscnt null, 0x0
	s_barrier
	buffer_gl0_inv
	s_clause 0x1c
	buffer_load_dword v109, off, s[0:3], 0 offset:240
	buffer_load_dword v110, off, s[0:3], 0 offset:244
	;; [unrolled: 1-line block ×29, first 2 shown]
	v_mov_b32_e32 v100, 0
	buffer_load_dword v134, off, s[0:3], 0 offset:356
	s_mov_b32 s4, exec_lo
	ds_read_b128 v[101:104], v100 offset:640
	ds_read_b128 v[105:108], v100 offset:656
	s_waitcnt vmcnt(28) lgkmcnt(1)
	v_fma_f64 v[101:102], v[109:110], v[101:102], 0
	s_clause 0x7
	buffer_load_dword v110, off, s[0:3], 0 offset:364
	buffer_load_dword v139, off, s[0:3], 0 offset:384
	;; [unrolled: 1-line block ×8, first 2 shown]
	s_waitcnt vmcnt(34)
	v_fma_f64 v[101:102], v[111:112], v[103:104], v[101:102]
	s_waitcnt vmcnt(32) lgkmcnt(0)
	v_fma_f64 v[101:102], v[113:114], v[105:106], v[101:102]
	s_waitcnt vmcnt(30)
	v_fma_f64 v[111:112], v[115:116], v[107:108], v[101:102]
	ds_read_b128 v[101:104], v100 offset:672
	ds_read_b128 v[105:108], v100 offset:688
	s_waitcnt vmcnt(28) lgkmcnt(1)
	v_fma_f64 v[101:102], v[117:118], v[101:102], v[111:112]
	s_clause 0x1
	buffer_load_dword v111, off, s[0:3], 0 offset:232
	buffer_load_dword v112, off, s[0:3], 0 offset:236
	s_waitcnt vmcnt(28)
	v_fma_f64 v[101:102], v[119:120], v[103:104], v[101:102]
	s_waitcnt vmcnt(26) lgkmcnt(0)
	v_fma_f64 v[101:102], v[121:122], v[105:106], v[101:102]
	s_waitcnt vmcnt(21)
	v_fma_f64 v[113:114], v[123:124], v[107:108], v[101:102]
	ds_read_b128 v[101:104], v100 offset:704
	ds_read_b128 v[105:108], v100 offset:720
	s_waitcnt vmcnt(20) lgkmcnt(1)
	v_fma_f64 v[101:102], v[129:130], v[101:102], v[113:114]
	s_waitcnt vmcnt(19)
	v_fma_f64 v[101:102], v[127:128], v[103:104], v[101:102]
	s_waitcnt vmcnt(18) lgkmcnt(0)
	v_fma_f64 v[101:102], v[125:126], v[105:106], v[101:102]
	s_waitcnt vmcnt(13)
	v_fma_f64 v[113:114], v[131:132], v[107:108], v[101:102]
	ds_read_b128 v[101:104], v100 offset:736
	ds_read_b128 v[105:108], v100 offset:752
	s_waitcnt vmcnt(12) lgkmcnt(1)
	v_fma_f64 v[101:102], v[137:138], v[101:102], v[113:114]
	s_waitcnt vmcnt(11)
	v_fma_f64 v[101:102], v[135:136], v[103:104], v[101:102]
	s_waitcnt vmcnt(10) lgkmcnt(0)
	v_fma_f64 v[101:102], v[133:134], v[105:106], v[101:102]
	s_waitcnt vmcnt(5)
	v_fma_f64 v[105:106], v[109:110], v[107:108], v[101:102]
	ds_read_b128 v[101:104], v100 offset:768
	ds_read_b64 v[107:108], v100 offset:784
	s_waitcnt vmcnt(4) lgkmcnt(1)
	v_fma_f64 v[101:102], v[143:144], v[101:102], v[105:106]
	s_waitcnt vmcnt(3)
	v_fma_f64 v[101:102], v[141:142], v[103:104], v[101:102]
	s_waitcnt vmcnt(2) lgkmcnt(0)
	v_fma_f64 v[101:102], v[139:140], v[107:108], v[101:102]
	s_waitcnt vmcnt(0)
	v_add_f64 v[101:102], v[111:112], -v[101:102]
	buffer_store_dword v102, off, s[0:3], 0 offset:236
	buffer_store_dword v101, off, s[0:3], 0 offset:232
	v_cmpx_lt_u32_e32 28, v0
	s_cbranch_execz .LBB48_247
; %bb.246:
	s_clause 0x1
	buffer_load_dword v101, off, s[0:3], 0 offset:224
	buffer_load_dword v102, off, s[0:3], 0 offset:228
	buffer_store_dword v100, off, s[0:3], 0 offset:224
	buffer_store_dword v100, off, s[0:3], 0 offset:228
	s_waitcnt vmcnt(0)
	ds_write_b64 v99, v[101:102]
.LBB48_247:
	s_or_b32 exec_lo, exec_lo, s4
	s_waitcnt lgkmcnt(0)
	s_waitcnt_vscnt null, 0x0
	s_barrier
	buffer_gl0_inv
	s_clause 0x1c
	buffer_load_dword v109, off, s[0:3], 0 offset:232
	buffer_load_dword v110, off, s[0:3], 0 offset:236
	;; [unrolled: 1-line block ×29, first 2 shown]
	ds_read2_b64 v[101:104], v100 offset0:79 offset1:80
	ds_read2_b64 v[105:108], v100 offset0:81 offset1:82
	buffer_load_dword v134, off, s[0:3], 0 offset:348
	s_mov_b32 s4, exec_lo
	s_waitcnt vmcnt(28) lgkmcnt(1)
	v_fma_f64 v[101:102], v[109:110], v[101:102], 0
	s_clause 0x7
	buffer_load_dword v110, off, s[0:3], 0 offset:356
	buffer_load_dword v139, off, s[0:3], 0 offset:376
	;; [unrolled: 1-line block ×8, first 2 shown]
	s_waitcnt vmcnt(34)
	v_fma_f64 v[101:102], v[111:112], v[103:104], v[101:102]
	s_waitcnt vmcnt(32) lgkmcnt(0)
	v_fma_f64 v[101:102], v[113:114], v[105:106], v[101:102]
	s_waitcnt vmcnt(30)
	v_fma_f64 v[111:112], v[115:116], v[107:108], v[101:102]
	ds_read2_b64 v[101:104], v100 offset0:83 offset1:84
	ds_read2_b64 v[105:108], v100 offset0:85 offset1:86
	s_waitcnt vmcnt(28) lgkmcnt(1)
	v_fma_f64 v[101:102], v[117:118], v[101:102], v[111:112]
	s_clause 0x3
	buffer_load_dword v112, off, s[0:3], 0 offset:388
	buffer_load_dword v111, off, s[0:3], 0 offset:384
	;; [unrolled: 1-line block ×4, first 2 shown]
	s_waitcnt vmcnt(30)
	v_fma_f64 v[101:102], v[119:120], v[103:104], v[101:102]
	s_waitcnt vmcnt(28) lgkmcnt(0)
	v_fma_f64 v[101:102], v[121:122], v[105:106], v[101:102]
	s_waitcnt vmcnt(23)
	v_fma_f64 v[115:116], v[123:124], v[107:108], v[101:102]
	ds_read2_b64 v[101:104], v100 offset0:87 offset1:88
	ds_read2_b64 v[105:108], v100 offset0:89 offset1:90
	s_waitcnt vmcnt(22) lgkmcnt(1)
	v_fma_f64 v[101:102], v[129:130], v[101:102], v[115:116]
	s_waitcnt vmcnt(21)
	v_fma_f64 v[101:102], v[127:128], v[103:104], v[101:102]
	s_waitcnt vmcnt(20) lgkmcnt(0)
	v_fma_f64 v[101:102], v[125:126], v[105:106], v[101:102]
	s_waitcnt vmcnt(15)
	v_fma_f64 v[115:116], v[131:132], v[107:108], v[101:102]
	ds_read2_b64 v[101:104], v100 offset0:91 offset1:92
	ds_read2_b64 v[105:108], v100 offset0:93 offset1:94
	s_waitcnt vmcnt(14) lgkmcnt(1)
	v_fma_f64 v[101:102], v[137:138], v[101:102], v[115:116]
	;; [unrolled: 10-line block ×3, first 2 shown]
	s_waitcnt vmcnt(5)
	v_fma_f64 v[100:101], v[141:142], v[103:104], v[100:101]
	s_waitcnt vmcnt(4) lgkmcnt(0)
	v_fma_f64 v[100:101], v[139:140], v[105:106], v[100:101]
	s_waitcnt vmcnt(2)
	v_fma_f64 v[100:101], v[111:112], v[107:108], v[100:101]
	s_waitcnt vmcnt(0)
	v_add_f64 v[100:101], v[113:114], -v[100:101]
	buffer_store_dword v101, off, s[0:3], 0 offset:228
	buffer_store_dword v100, off, s[0:3], 0 offset:224
	v_cmpx_lt_u32_e32 27, v0
	s_cbranch_execz .LBB48_249
; %bb.248:
	s_clause 0x1
	buffer_load_dword v100, off, s[0:3], 0 offset:216
	buffer_load_dword v101, off, s[0:3], 0 offset:220
	v_mov_b32_e32 v102, 0
	buffer_store_dword v102, off, s[0:3], 0 offset:216
	buffer_store_dword v102, off, s[0:3], 0 offset:220
	s_waitcnt vmcnt(0)
	ds_write_b64 v99, v[100:101]
.LBB48_249:
	s_or_b32 exec_lo, exec_lo, s4
	s_waitcnt lgkmcnt(0)
	s_waitcnt_vscnt null, 0x0
	s_barrier
	buffer_gl0_inv
	s_clause 0x1c
	buffer_load_dword v109, off, s[0:3], 0 offset:224
	buffer_load_dword v110, off, s[0:3], 0 offset:228
	;; [unrolled: 1-line block ×29, first 2 shown]
	v_mov_b32_e32 v100, 0
	buffer_load_dword v134, off, s[0:3], 0 offset:340
	s_mov_b32 s4, exec_lo
	ds_read_b128 v[101:104], v100 offset:624
	ds_read_b128 v[105:108], v100 offset:640
	s_waitcnt vmcnt(28) lgkmcnt(1)
	v_fma_f64 v[101:102], v[109:110], v[101:102], 0
	s_clause 0x7
	buffer_load_dword v110, off, s[0:3], 0 offset:348
	buffer_load_dword v139, off, s[0:3], 0 offset:368
	;; [unrolled: 1-line block ×8, first 2 shown]
	s_waitcnt vmcnt(34)
	v_fma_f64 v[101:102], v[111:112], v[103:104], v[101:102]
	s_waitcnt vmcnt(32) lgkmcnt(0)
	v_fma_f64 v[101:102], v[113:114], v[105:106], v[101:102]
	s_waitcnt vmcnt(30)
	v_fma_f64 v[111:112], v[115:116], v[107:108], v[101:102]
	ds_read_b128 v[101:104], v100 offset:656
	ds_read_b128 v[105:108], v100 offset:672
	s_waitcnt vmcnt(28) lgkmcnt(1)
	v_fma_f64 v[101:102], v[117:118], v[101:102], v[111:112]
	s_clause 0x5
	buffer_load_dword v112, off, s[0:3], 0 offset:380
	buffer_load_dword v113, off, s[0:3], 0 offset:384
	;; [unrolled: 1-line block ×6, first 2 shown]
	s_waitcnt vmcnt(32)
	v_fma_f64 v[101:102], v[119:120], v[103:104], v[101:102]
	s_waitcnt vmcnt(30) lgkmcnt(0)
	v_fma_f64 v[101:102], v[121:122], v[105:106], v[101:102]
	s_waitcnt vmcnt(25)
	v_fma_f64 v[117:118], v[123:124], v[107:108], v[101:102]
	ds_read_b128 v[101:104], v100 offset:688
	ds_read_b128 v[105:108], v100 offset:704
	s_waitcnt vmcnt(24) lgkmcnt(1)
	v_fma_f64 v[101:102], v[129:130], v[101:102], v[117:118]
	s_waitcnt vmcnt(23)
	v_fma_f64 v[101:102], v[127:128], v[103:104], v[101:102]
	s_waitcnt vmcnt(22) lgkmcnt(0)
	v_fma_f64 v[101:102], v[125:126], v[105:106], v[101:102]
	s_waitcnt vmcnt(17)
	v_fma_f64 v[117:118], v[131:132], v[107:108], v[101:102]
	ds_read_b128 v[101:104], v100 offset:720
	ds_read_b128 v[105:108], v100 offset:736
	s_waitcnt vmcnt(16) lgkmcnt(1)
	v_fma_f64 v[101:102], v[137:138], v[101:102], v[117:118]
	;; [unrolled: 10-line block ×3, first 2 shown]
	s_waitcnt vmcnt(7)
	v_fma_f64 v[101:102], v[141:142], v[103:104], v[101:102]
	ds_read_b64 v[103:104], v100 offset:784
	s_waitcnt vmcnt(6) lgkmcnt(1)
	v_fma_f64 v[101:102], v[139:140], v[105:106], v[101:102]
	s_waitcnt vmcnt(3)
	v_fma_f64 v[101:102], v[111:112], v[107:108], v[101:102]
	s_waitcnt vmcnt(2) lgkmcnt(0)
	v_fma_f64 v[101:102], v[113:114], v[103:104], v[101:102]
	s_waitcnt vmcnt(0)
	v_add_f64 v[101:102], v[115:116], -v[101:102]
	buffer_store_dword v102, off, s[0:3], 0 offset:220
	buffer_store_dword v101, off, s[0:3], 0 offset:216
	v_cmpx_lt_u32_e32 26, v0
	s_cbranch_execz .LBB48_251
; %bb.250:
	s_clause 0x1
	buffer_load_dword v101, off, s[0:3], 0 offset:208
	buffer_load_dword v102, off, s[0:3], 0 offset:212
	buffer_store_dword v100, off, s[0:3], 0 offset:208
	buffer_store_dword v100, off, s[0:3], 0 offset:212
	s_waitcnt vmcnt(0)
	ds_write_b64 v99, v[101:102]
.LBB48_251:
	s_or_b32 exec_lo, exec_lo, s4
	s_waitcnt lgkmcnt(0)
	s_waitcnt_vscnt null, 0x0
	s_barrier
	buffer_gl0_inv
	s_clause 0x1c
	buffer_load_dword v109, off, s[0:3], 0 offset:216
	buffer_load_dword v110, off, s[0:3], 0 offset:220
	;; [unrolled: 1-line block ×29, first 2 shown]
	ds_read2_b64 v[101:104], v100 offset0:77 offset1:78
	ds_read2_b64 v[105:108], v100 offset0:79 offset1:80
	buffer_load_dword v134, off, s[0:3], 0 offset:332
	s_mov_b32 s4, exec_lo
	s_waitcnt vmcnt(28) lgkmcnt(1)
	v_fma_f64 v[101:102], v[109:110], v[101:102], 0
	s_clause 0x7
	buffer_load_dword v110, off, s[0:3], 0 offset:340
	buffer_load_dword v139, off, s[0:3], 0 offset:360
	;; [unrolled: 1-line block ×8, first 2 shown]
	s_waitcnt vmcnt(34)
	v_fma_f64 v[101:102], v[111:112], v[103:104], v[101:102]
	s_waitcnt vmcnt(32) lgkmcnt(0)
	v_fma_f64 v[101:102], v[113:114], v[105:106], v[101:102]
	s_waitcnt vmcnt(30)
	v_fma_f64 v[111:112], v[115:116], v[107:108], v[101:102]
	ds_read2_b64 v[101:104], v100 offset0:81 offset1:82
	ds_read2_b64 v[105:108], v100 offset0:83 offset1:84
	s_waitcnt vmcnt(28) lgkmcnt(1)
	v_fma_f64 v[101:102], v[117:118], v[101:102], v[111:112]
	s_clause 0x5
	buffer_load_dword v112, off, s[0:3], 0 offset:372
	buffer_load_dword v113, off, s[0:3], 0 offset:384
	buffer_load_dword v115, off, s[0:3], 0 offset:376
	buffer_load_dword v111, off, s[0:3], 0 offset:368
	buffer_load_dword v116, off, s[0:3], 0 offset:380
	buffer_load_dword v114, off, s[0:3], 0 offset:388
	s_waitcnt vmcnt(32)
	v_fma_f64 v[101:102], v[119:120], v[103:104], v[101:102]
	s_waitcnt vmcnt(30) lgkmcnt(0)
	v_fma_f64 v[101:102], v[121:122], v[105:106], v[101:102]
	s_waitcnt vmcnt(25)
	v_fma_f64 v[117:118], v[123:124], v[107:108], v[101:102]
	ds_read2_b64 v[101:104], v100 offset0:85 offset1:86
	s_clause 0x1
	buffer_load_dword v119, off, s[0:3], 0 offset:208
	buffer_load_dword v120, off, s[0:3], 0 offset:212
	ds_read2_b64 v[105:108], v100 offset0:87 offset1:88
	s_waitcnt vmcnt(26) lgkmcnt(1)
	v_fma_f64 v[101:102], v[129:130], v[101:102], v[117:118]
	s_waitcnt vmcnt(25)
	v_fma_f64 v[101:102], v[127:128], v[103:104], v[101:102]
	s_waitcnt vmcnt(24) lgkmcnt(0)
	v_fma_f64 v[101:102], v[125:126], v[105:106], v[101:102]
	s_waitcnt vmcnt(19)
	v_fma_f64 v[117:118], v[131:132], v[107:108], v[101:102]
	ds_read2_b64 v[101:104], v100 offset0:89 offset1:90
	ds_read2_b64 v[105:108], v100 offset0:91 offset1:92
	s_waitcnt vmcnt(18) lgkmcnt(1)
	v_fma_f64 v[101:102], v[137:138], v[101:102], v[117:118]
	s_waitcnt vmcnt(17)
	v_fma_f64 v[101:102], v[135:136], v[103:104], v[101:102]
	s_waitcnt vmcnt(16) lgkmcnt(0)
	v_fma_f64 v[101:102], v[133:134], v[105:106], v[101:102]
	s_waitcnt vmcnt(11)
	v_fma_f64 v[109:110], v[109:110], v[107:108], v[101:102]
	ds_read2_b64 v[101:104], v100 offset0:93 offset1:94
	;; [unrolled: 10-line block ×3, first 2 shown]
	s_waitcnt vmcnt(3) lgkmcnt(0)
	v_fma_f64 v[100:101], v[115:116], v[100:101], v[104:105]
	s_waitcnt vmcnt(2)
	v_fma_f64 v[100:101], v[113:114], v[102:103], v[100:101]
	s_waitcnt vmcnt(0)
	v_add_f64 v[100:101], v[119:120], -v[100:101]
	buffer_store_dword v101, off, s[0:3], 0 offset:212
	buffer_store_dword v100, off, s[0:3], 0 offset:208
	v_cmpx_lt_u32_e32 25, v0
	s_cbranch_execz .LBB48_253
; %bb.252:
	s_clause 0x1
	buffer_load_dword v100, off, s[0:3], 0 offset:200
	buffer_load_dword v101, off, s[0:3], 0 offset:204
	v_mov_b32_e32 v102, 0
	buffer_store_dword v102, off, s[0:3], 0 offset:200
	buffer_store_dword v102, off, s[0:3], 0 offset:204
	s_waitcnt vmcnt(0)
	ds_write_b64 v99, v[100:101]
.LBB48_253:
	s_or_b32 exec_lo, exec_lo, s4
	s_waitcnt lgkmcnt(0)
	s_waitcnt_vscnt null, 0x0
	s_barrier
	buffer_gl0_inv
	s_clause 0x1c
	buffer_load_dword v109, off, s[0:3], 0 offset:208
	buffer_load_dword v110, off, s[0:3], 0 offset:212
	;; [unrolled: 1-line block ×29, first 2 shown]
	v_mov_b32_e32 v100, 0
	buffer_load_dword v134, off, s[0:3], 0 offset:324
	s_mov_b32 s4, exec_lo
	ds_read_b128 v[101:104], v100 offset:608
	ds_read_b128 v[105:108], v100 offset:624
	s_waitcnt vmcnt(28) lgkmcnt(1)
	v_fma_f64 v[101:102], v[109:110], v[101:102], 0
	s_clause 0x7
	buffer_load_dword v110, off, s[0:3], 0 offset:332
	buffer_load_dword v139, off, s[0:3], 0 offset:352
	;; [unrolled: 1-line block ×8, first 2 shown]
	s_waitcnt vmcnt(34)
	v_fma_f64 v[101:102], v[111:112], v[103:104], v[101:102]
	s_waitcnt vmcnt(32) lgkmcnt(0)
	v_fma_f64 v[101:102], v[113:114], v[105:106], v[101:102]
	s_waitcnt vmcnt(30)
	v_fma_f64 v[111:112], v[115:116], v[107:108], v[101:102]
	ds_read_b128 v[101:104], v100 offset:640
	ds_read_b128 v[105:108], v100 offset:656
	s_waitcnt vmcnt(28) lgkmcnt(1)
	v_fma_f64 v[101:102], v[117:118], v[101:102], v[111:112]
	s_clause 0x7
	buffer_load_dword v112, off, s[0:3], 0 offset:364
	buffer_load_dword v113, off, s[0:3], 0 offset:384
	;; [unrolled: 1-line block ×8, first 2 shown]
	s_waitcnt vmcnt(34)
	v_fma_f64 v[101:102], v[119:120], v[103:104], v[101:102]
	s_waitcnt vmcnt(32) lgkmcnt(0)
	v_fma_f64 v[101:102], v[121:122], v[105:106], v[101:102]
	s_waitcnt vmcnt(27)
	v_fma_f64 v[119:120], v[123:124], v[107:108], v[101:102]
	ds_read_b128 v[101:104], v100 offset:672
	ds_read_b128 v[105:108], v100 offset:688
	s_waitcnt vmcnt(26) lgkmcnt(1)
	v_fma_f64 v[101:102], v[129:130], v[101:102], v[119:120]
	s_clause 0x1
	buffer_load_dword v119, off, s[0:3], 0 offset:200
	buffer_load_dword v120, off, s[0:3], 0 offset:204
	s_waitcnt vmcnt(27)
	v_fma_f64 v[101:102], v[127:128], v[103:104], v[101:102]
	s_waitcnt vmcnt(26) lgkmcnt(0)
	v_fma_f64 v[101:102], v[125:126], v[105:106], v[101:102]
	s_waitcnt vmcnt(21)
	v_fma_f64 v[121:122], v[131:132], v[107:108], v[101:102]
	ds_read_b128 v[101:104], v100 offset:704
	ds_read_b128 v[105:108], v100 offset:720
	s_waitcnt vmcnt(20) lgkmcnt(1)
	v_fma_f64 v[101:102], v[137:138], v[101:102], v[121:122]
	s_waitcnt vmcnt(19)
	v_fma_f64 v[101:102], v[135:136], v[103:104], v[101:102]
	s_waitcnt vmcnt(18) lgkmcnt(0)
	v_fma_f64 v[101:102], v[133:134], v[105:106], v[101:102]
	s_waitcnt vmcnt(13)
	v_fma_f64 v[109:110], v[109:110], v[107:108], v[101:102]
	ds_read_b128 v[101:104], v100 offset:736
	ds_read_b128 v[105:108], v100 offset:752
	s_waitcnt vmcnt(12) lgkmcnt(1)
	v_fma_f64 v[101:102], v[143:144], v[101:102], v[109:110]
	s_waitcnt vmcnt(11)
	v_fma_f64 v[101:102], v[141:142], v[103:104], v[101:102]
	s_waitcnt vmcnt(10) lgkmcnt(0)
	v_fma_f64 v[101:102], v[139:140], v[105:106], v[101:102]
	s_waitcnt vmcnt(5)
	v_fma_f64 v[105:106], v[111:112], v[107:108], v[101:102]
	ds_read_b128 v[101:104], v100 offset:768
	ds_read_b64 v[107:108], v100 offset:784
	s_waitcnt vmcnt(4) lgkmcnt(1)
	v_fma_f64 v[101:102], v[117:118], v[101:102], v[105:106]
	s_waitcnt vmcnt(3)
	v_fma_f64 v[101:102], v[115:116], v[103:104], v[101:102]
	s_waitcnt vmcnt(2) lgkmcnt(0)
	v_fma_f64 v[101:102], v[113:114], v[107:108], v[101:102]
	s_waitcnt vmcnt(0)
	v_add_f64 v[101:102], v[119:120], -v[101:102]
	buffer_store_dword v102, off, s[0:3], 0 offset:204
	buffer_store_dword v101, off, s[0:3], 0 offset:200
	v_cmpx_lt_u32_e32 24, v0
	s_cbranch_execz .LBB48_255
; %bb.254:
	s_clause 0x1
	buffer_load_dword v101, off, s[0:3], 0 offset:192
	buffer_load_dword v102, off, s[0:3], 0 offset:196
	buffer_store_dword v100, off, s[0:3], 0 offset:192
	buffer_store_dword v100, off, s[0:3], 0 offset:196
	s_waitcnt vmcnt(0)
	ds_write_b64 v99, v[101:102]
.LBB48_255:
	s_or_b32 exec_lo, exec_lo, s4
	s_waitcnt lgkmcnt(0)
	s_waitcnt_vscnt null, 0x0
	s_barrier
	buffer_gl0_inv
	s_clause 0x1c
	buffer_load_dword v109, off, s[0:3], 0 offset:200
	buffer_load_dword v110, off, s[0:3], 0 offset:204
	;; [unrolled: 1-line block ×29, first 2 shown]
	ds_read2_b64 v[101:104], v100 offset0:75 offset1:76
	ds_read2_b64 v[105:108], v100 offset0:77 offset1:78
	buffer_load_dword v134, off, s[0:3], 0 offset:316
	s_mov_b32 s4, exec_lo
	s_waitcnt vmcnt(28) lgkmcnt(1)
	v_fma_f64 v[101:102], v[109:110], v[101:102], 0
	s_clause 0x7
	buffer_load_dword v110, off, s[0:3], 0 offset:324
	buffer_load_dword v139, off, s[0:3], 0 offset:344
	;; [unrolled: 1-line block ×8, first 2 shown]
	s_waitcnt vmcnt(34)
	v_fma_f64 v[101:102], v[111:112], v[103:104], v[101:102]
	s_waitcnt vmcnt(32) lgkmcnt(0)
	v_fma_f64 v[101:102], v[113:114], v[105:106], v[101:102]
	s_waitcnt vmcnt(30)
	v_fma_f64 v[111:112], v[115:116], v[107:108], v[101:102]
	ds_read2_b64 v[101:104], v100 offset0:79 offset1:80
	ds_read2_b64 v[105:108], v100 offset0:81 offset1:82
	s_waitcnt vmcnt(28) lgkmcnt(1)
	v_fma_f64 v[101:102], v[117:118], v[101:102], v[111:112]
	s_clause 0x7
	buffer_load_dword v112, off, s[0:3], 0 offset:356
	buffer_load_dword v113, off, s[0:3], 0 offset:376
	buffer_load_dword v115, off, s[0:3], 0 offset:368
	buffer_load_dword v117, off, s[0:3], 0 offset:360
	buffer_load_dword v111, off, s[0:3], 0 offset:352
	buffer_load_dword v118, off, s[0:3], 0 offset:364
	buffer_load_dword v116, off, s[0:3], 0 offset:372
	buffer_load_dword v114, off, s[0:3], 0 offset:380
	s_waitcnt vmcnt(34)
	v_fma_f64 v[101:102], v[119:120], v[103:104], v[101:102]
	s_waitcnt vmcnt(32) lgkmcnt(0)
	v_fma_f64 v[101:102], v[121:122], v[105:106], v[101:102]
	s_waitcnt vmcnt(27)
	v_fma_f64 v[119:120], v[123:124], v[107:108], v[101:102]
	ds_read2_b64 v[101:104], v100 offset0:83 offset1:84
	ds_read2_b64 v[105:108], v100 offset0:85 offset1:86
	s_waitcnt vmcnt(26) lgkmcnt(1)
	v_fma_f64 v[101:102], v[129:130], v[101:102], v[119:120]
	s_clause 0x3
	buffer_load_dword v120, off, s[0:3], 0 offset:388
	buffer_load_dword v119, off, s[0:3], 0 offset:384
	;; [unrolled: 1-line block ×4, first 2 shown]
	s_waitcnt vmcnt(29)
	v_fma_f64 v[101:102], v[127:128], v[103:104], v[101:102]
	s_waitcnt vmcnt(28) lgkmcnt(0)
	v_fma_f64 v[101:102], v[125:126], v[105:106], v[101:102]
	s_waitcnt vmcnt(23)
	v_fma_f64 v[123:124], v[131:132], v[107:108], v[101:102]
	ds_read2_b64 v[101:104], v100 offset0:87 offset1:88
	ds_read2_b64 v[105:108], v100 offset0:89 offset1:90
	s_waitcnt vmcnt(22) lgkmcnt(1)
	v_fma_f64 v[101:102], v[137:138], v[101:102], v[123:124]
	s_waitcnt vmcnt(21)
	v_fma_f64 v[101:102], v[135:136], v[103:104], v[101:102]
	s_waitcnt vmcnt(20) lgkmcnt(0)
	v_fma_f64 v[101:102], v[133:134], v[105:106], v[101:102]
	s_waitcnt vmcnt(15)
	v_fma_f64 v[109:110], v[109:110], v[107:108], v[101:102]
	ds_read2_b64 v[101:104], v100 offset0:91 offset1:92
	ds_read2_b64 v[105:108], v100 offset0:93 offset1:94
	s_waitcnt vmcnt(14) lgkmcnt(1)
	v_fma_f64 v[101:102], v[143:144], v[101:102], v[109:110]
	;; [unrolled: 10-line block ×3, first 2 shown]
	s_waitcnt vmcnt(5)
	v_fma_f64 v[100:101], v[115:116], v[103:104], v[100:101]
	s_waitcnt vmcnt(4) lgkmcnt(0)
	v_fma_f64 v[100:101], v[113:114], v[105:106], v[100:101]
	s_waitcnt vmcnt(2)
	v_fma_f64 v[100:101], v[119:120], v[107:108], v[100:101]
	s_waitcnt vmcnt(0)
	v_add_f64 v[100:101], v[121:122], -v[100:101]
	buffer_store_dword v101, off, s[0:3], 0 offset:196
	buffer_store_dword v100, off, s[0:3], 0 offset:192
	v_cmpx_lt_u32_e32 23, v0
	s_cbranch_execz .LBB48_257
; %bb.256:
	s_clause 0x1
	buffer_load_dword v100, off, s[0:3], 0 offset:184
	buffer_load_dword v101, off, s[0:3], 0 offset:188
	v_mov_b32_e32 v102, 0
	buffer_store_dword v102, off, s[0:3], 0 offset:184
	buffer_store_dword v102, off, s[0:3], 0 offset:188
	s_waitcnt vmcnt(0)
	ds_write_b64 v99, v[100:101]
.LBB48_257:
	s_or_b32 exec_lo, exec_lo, s4
	s_waitcnt lgkmcnt(0)
	s_waitcnt_vscnt null, 0x0
	s_barrier
	buffer_gl0_inv
	s_clause 0x1c
	buffer_load_dword v109, off, s[0:3], 0 offset:192
	buffer_load_dword v110, off, s[0:3], 0 offset:196
	;; [unrolled: 1-line block ×29, first 2 shown]
	v_mov_b32_e32 v100, 0
	buffer_load_dword v134, off, s[0:3], 0 offset:308
	s_mov_b32 s4, exec_lo
	ds_read_b128 v[101:104], v100 offset:592
	ds_read_b128 v[105:108], v100 offset:608
	s_waitcnt vmcnt(28) lgkmcnt(1)
	v_fma_f64 v[101:102], v[109:110], v[101:102], 0
	s_clause 0x7
	buffer_load_dword v110, off, s[0:3], 0 offset:316
	buffer_load_dword v139, off, s[0:3], 0 offset:336
	;; [unrolled: 1-line block ×8, first 2 shown]
	s_waitcnt vmcnt(34)
	v_fma_f64 v[101:102], v[111:112], v[103:104], v[101:102]
	s_waitcnt vmcnt(32) lgkmcnt(0)
	v_fma_f64 v[101:102], v[113:114], v[105:106], v[101:102]
	s_waitcnt vmcnt(30)
	v_fma_f64 v[111:112], v[115:116], v[107:108], v[101:102]
	ds_read_b128 v[101:104], v100 offset:624
	ds_read_b128 v[105:108], v100 offset:640
	s_waitcnt vmcnt(28) lgkmcnt(1)
	v_fma_f64 v[101:102], v[117:118], v[101:102], v[111:112]
	s_clause 0x7
	buffer_load_dword v112, off, s[0:3], 0 offset:348
	buffer_load_dword v113, off, s[0:3], 0 offset:368
	;; [unrolled: 1-line block ×8, first 2 shown]
	s_waitcnt vmcnt(34)
	v_fma_f64 v[101:102], v[119:120], v[103:104], v[101:102]
	s_waitcnt vmcnt(32) lgkmcnt(0)
	v_fma_f64 v[101:102], v[121:122], v[105:106], v[101:102]
	s_waitcnt vmcnt(27)
	v_fma_f64 v[119:120], v[123:124], v[107:108], v[101:102]
	ds_read_b128 v[101:104], v100 offset:656
	ds_read_b128 v[105:108], v100 offset:672
	s_waitcnt vmcnt(26) lgkmcnt(1)
	v_fma_f64 v[101:102], v[129:130], v[101:102], v[119:120]
	s_clause 0x5
	buffer_load_dword v120, off, s[0:3], 0 offset:380
	buffer_load_dword v121, off, s[0:3], 0 offset:384
	;; [unrolled: 1-line block ×6, first 2 shown]
	s_waitcnt vmcnt(31)
	v_fma_f64 v[101:102], v[127:128], v[103:104], v[101:102]
	s_waitcnt vmcnt(30) lgkmcnt(0)
	v_fma_f64 v[101:102], v[125:126], v[105:106], v[101:102]
	s_waitcnt vmcnt(25)
	v_fma_f64 v[125:126], v[131:132], v[107:108], v[101:102]
	ds_read_b128 v[101:104], v100 offset:688
	ds_read_b128 v[105:108], v100 offset:704
	s_waitcnt vmcnt(24) lgkmcnt(1)
	v_fma_f64 v[101:102], v[137:138], v[101:102], v[125:126]
	s_waitcnt vmcnt(23)
	v_fma_f64 v[101:102], v[135:136], v[103:104], v[101:102]
	s_waitcnt vmcnt(22) lgkmcnt(0)
	v_fma_f64 v[101:102], v[133:134], v[105:106], v[101:102]
	s_waitcnt vmcnt(17)
	v_fma_f64 v[109:110], v[109:110], v[107:108], v[101:102]
	ds_read_b128 v[101:104], v100 offset:720
	ds_read_b128 v[105:108], v100 offset:736
	s_waitcnt vmcnt(16) lgkmcnt(1)
	v_fma_f64 v[101:102], v[143:144], v[101:102], v[109:110]
	;; [unrolled: 10-line block ×3, first 2 shown]
	s_waitcnt vmcnt(7)
	v_fma_f64 v[101:102], v[115:116], v[103:104], v[101:102]
	ds_read_b64 v[103:104], v100 offset:784
	s_waitcnt vmcnt(6) lgkmcnt(1)
	v_fma_f64 v[101:102], v[113:114], v[105:106], v[101:102]
	s_waitcnt vmcnt(3)
	v_fma_f64 v[101:102], v[119:120], v[107:108], v[101:102]
	s_waitcnt vmcnt(2) lgkmcnt(0)
	v_fma_f64 v[101:102], v[121:122], v[103:104], v[101:102]
	s_waitcnt vmcnt(0)
	v_add_f64 v[101:102], v[123:124], -v[101:102]
	buffer_store_dword v102, off, s[0:3], 0 offset:188
	buffer_store_dword v101, off, s[0:3], 0 offset:184
	v_cmpx_lt_u32_e32 22, v0
	s_cbranch_execz .LBB48_259
; %bb.258:
	s_clause 0x1
	buffer_load_dword v101, off, s[0:3], 0 offset:176
	buffer_load_dword v102, off, s[0:3], 0 offset:180
	buffer_store_dword v100, off, s[0:3], 0 offset:176
	buffer_store_dword v100, off, s[0:3], 0 offset:180
	s_waitcnt vmcnt(0)
	ds_write_b64 v99, v[101:102]
.LBB48_259:
	s_or_b32 exec_lo, exec_lo, s4
	s_waitcnt lgkmcnt(0)
	s_waitcnt_vscnt null, 0x0
	s_barrier
	buffer_gl0_inv
	s_clause 0x1c
	buffer_load_dword v109, off, s[0:3], 0 offset:184
	buffer_load_dword v110, off, s[0:3], 0 offset:188
	;; [unrolled: 1-line block ×29, first 2 shown]
	ds_read2_b64 v[101:104], v100 offset0:73 offset1:74
	ds_read2_b64 v[105:108], v100 offset0:75 offset1:76
	buffer_load_dword v134, off, s[0:3], 0 offset:300
	s_mov_b32 s4, exec_lo
	s_waitcnt vmcnt(28) lgkmcnt(1)
	v_fma_f64 v[101:102], v[109:110], v[101:102], 0
	s_clause 0x7
	buffer_load_dword v110, off, s[0:3], 0 offset:308
	buffer_load_dword v139, off, s[0:3], 0 offset:328
	;; [unrolled: 1-line block ×8, first 2 shown]
	s_waitcnt vmcnt(34)
	v_fma_f64 v[101:102], v[111:112], v[103:104], v[101:102]
	s_waitcnt vmcnt(32) lgkmcnt(0)
	v_fma_f64 v[101:102], v[113:114], v[105:106], v[101:102]
	s_waitcnt vmcnt(30)
	v_fma_f64 v[111:112], v[115:116], v[107:108], v[101:102]
	ds_read2_b64 v[101:104], v100 offset0:77 offset1:78
	ds_read2_b64 v[105:108], v100 offset0:79 offset1:80
	s_waitcnt vmcnt(28) lgkmcnt(1)
	v_fma_f64 v[101:102], v[117:118], v[101:102], v[111:112]
	s_clause 0x7
	buffer_load_dword v112, off, s[0:3], 0 offset:340
	buffer_load_dword v113, off, s[0:3], 0 offset:360
	buffer_load_dword v115, off, s[0:3], 0 offset:352
	buffer_load_dword v117, off, s[0:3], 0 offset:344
	buffer_load_dword v111, off, s[0:3], 0 offset:336
	buffer_load_dword v118, off, s[0:3], 0 offset:348
	buffer_load_dword v116, off, s[0:3], 0 offset:356
	buffer_load_dword v114, off, s[0:3], 0 offset:364
	s_waitcnt vmcnt(34)
	v_fma_f64 v[101:102], v[119:120], v[103:104], v[101:102]
	s_waitcnt vmcnt(32) lgkmcnt(0)
	v_fma_f64 v[101:102], v[121:122], v[105:106], v[101:102]
	s_waitcnt vmcnt(27)
	v_fma_f64 v[119:120], v[123:124], v[107:108], v[101:102]
	ds_read2_b64 v[101:104], v100 offset0:81 offset1:82
	ds_read2_b64 v[105:108], v100 offset0:83 offset1:84
	s_waitcnt vmcnt(26) lgkmcnt(1)
	v_fma_f64 v[101:102], v[129:130], v[101:102], v[119:120]
	s_clause 0x5
	buffer_load_dword v120, off, s[0:3], 0 offset:372
	buffer_load_dword v121, off, s[0:3], 0 offset:384
	;; [unrolled: 1-line block ×6, first 2 shown]
	s_waitcnt vmcnt(31)
	v_fma_f64 v[101:102], v[127:128], v[103:104], v[101:102]
	s_waitcnt vmcnt(30) lgkmcnt(0)
	v_fma_f64 v[101:102], v[125:126], v[105:106], v[101:102]
	s_waitcnt vmcnt(25)
	v_fma_f64 v[125:126], v[131:132], v[107:108], v[101:102]
	ds_read2_b64 v[101:104], v100 offset0:85 offset1:86
	s_clause 0x1
	buffer_load_dword v127, off, s[0:3], 0 offset:176
	buffer_load_dword v128, off, s[0:3], 0 offset:180
	ds_read2_b64 v[105:108], v100 offset0:87 offset1:88
	s_waitcnt vmcnt(26) lgkmcnt(1)
	v_fma_f64 v[101:102], v[137:138], v[101:102], v[125:126]
	s_waitcnt vmcnt(25)
	v_fma_f64 v[101:102], v[135:136], v[103:104], v[101:102]
	s_waitcnt vmcnt(24) lgkmcnt(0)
	v_fma_f64 v[101:102], v[133:134], v[105:106], v[101:102]
	s_waitcnt vmcnt(19)
	v_fma_f64 v[109:110], v[109:110], v[107:108], v[101:102]
	ds_read2_b64 v[101:104], v100 offset0:89 offset1:90
	ds_read2_b64 v[105:108], v100 offset0:91 offset1:92
	s_waitcnt vmcnt(18) lgkmcnt(1)
	v_fma_f64 v[101:102], v[143:144], v[101:102], v[109:110]
	s_waitcnt vmcnt(17)
	v_fma_f64 v[101:102], v[141:142], v[103:104], v[101:102]
	s_waitcnt vmcnt(16) lgkmcnt(0)
	v_fma_f64 v[101:102], v[139:140], v[105:106], v[101:102]
	s_waitcnt vmcnt(11)
	v_fma_f64 v[109:110], v[111:112], v[107:108], v[101:102]
	ds_read2_b64 v[101:104], v100 offset0:93 offset1:94
	;; [unrolled: 10-line block ×3, first 2 shown]
	s_waitcnt vmcnt(3) lgkmcnt(0)
	v_fma_f64 v[100:101], v[123:124], v[100:101], v[104:105]
	s_waitcnt vmcnt(2)
	v_fma_f64 v[100:101], v[121:122], v[102:103], v[100:101]
	s_waitcnt vmcnt(0)
	v_add_f64 v[100:101], v[127:128], -v[100:101]
	buffer_store_dword v101, off, s[0:3], 0 offset:180
	buffer_store_dword v100, off, s[0:3], 0 offset:176
	v_cmpx_lt_u32_e32 21, v0
	s_cbranch_execz .LBB48_261
; %bb.260:
	s_clause 0x1
	buffer_load_dword v100, off, s[0:3], 0 offset:168
	buffer_load_dword v101, off, s[0:3], 0 offset:172
	v_mov_b32_e32 v102, 0
	buffer_store_dword v102, off, s[0:3], 0 offset:168
	buffer_store_dword v102, off, s[0:3], 0 offset:172
	s_waitcnt vmcnt(0)
	ds_write_b64 v99, v[100:101]
.LBB48_261:
	s_or_b32 exec_lo, exec_lo, s4
	s_waitcnt lgkmcnt(0)
	s_waitcnt_vscnt null, 0x0
	s_barrier
	buffer_gl0_inv
	s_clause 0x1c
	buffer_load_dword v109, off, s[0:3], 0 offset:176
	buffer_load_dword v110, off, s[0:3], 0 offset:180
	buffer_load_dword v111, off, s[0:3], 0 offset:184
	buffer_load_dword v112, off, s[0:3], 0 offset:188
	buffer_load_dword v113, off, s[0:3], 0 offset:192
	buffer_load_dword v114, off, s[0:3], 0 offset:196
	buffer_load_dword v115, off, s[0:3], 0 offset:200
	buffer_load_dword v116, off, s[0:3], 0 offset:204
	buffer_load_dword v117, off, s[0:3], 0 offset:208
	buffer_load_dword v118, off, s[0:3], 0 offset:212
	buffer_load_dword v119, off, s[0:3], 0 offset:216
	buffer_load_dword v120, off, s[0:3], 0 offset:220
	buffer_load_dword v121, off, s[0:3], 0 offset:224
	buffer_load_dword v122, off, s[0:3], 0 offset:228
	buffer_load_dword v124, off, s[0:3], 0 offset:236
	buffer_load_dword v125, off, s[0:3], 0 offset:256
	buffer_load_dword v127, off, s[0:3], 0 offset:248
	buffer_load_dword v129, off, s[0:3], 0 offset:240
	buffer_load_dword v123, off, s[0:3], 0 offset:232
	buffer_load_dword v130, off, s[0:3], 0 offset:244
	buffer_load_dword v128, off, s[0:3], 0 offset:252
	buffer_load_dword v126, off, s[0:3], 0 offset:260
	buffer_load_dword v132, off, s[0:3], 0 offset:268
	buffer_load_dword v133, off, s[0:3], 0 offset:288
	buffer_load_dword v135, off, s[0:3], 0 offset:280
	buffer_load_dword v137, off, s[0:3], 0 offset:272
	buffer_load_dword v131, off, s[0:3], 0 offset:264
	buffer_load_dword v138, off, s[0:3], 0 offset:276
	buffer_load_dword v136, off, s[0:3], 0 offset:284
	v_mov_b32_e32 v100, 0
	buffer_load_dword v134, off, s[0:3], 0 offset:292
	s_mov_b32 s4, exec_lo
	ds_read_b128 v[101:104], v100 offset:576
	ds_read_b128 v[105:108], v100 offset:592
	s_waitcnt vmcnt(28) lgkmcnt(1)
	v_fma_f64 v[101:102], v[109:110], v[101:102], 0
	s_clause 0x7
	buffer_load_dword v110, off, s[0:3], 0 offset:300
	buffer_load_dword v139, off, s[0:3], 0 offset:320
	buffer_load_dword v141, off, s[0:3], 0 offset:312
	buffer_load_dword v143, off, s[0:3], 0 offset:304
	buffer_load_dword v109, off, s[0:3], 0 offset:296
	buffer_load_dword v144, off, s[0:3], 0 offset:308
	buffer_load_dword v142, off, s[0:3], 0 offset:316
	buffer_load_dword v140, off, s[0:3], 0 offset:324
	s_waitcnt vmcnt(34)
	v_fma_f64 v[101:102], v[111:112], v[103:104], v[101:102]
	s_waitcnt vmcnt(32) lgkmcnt(0)
	v_fma_f64 v[101:102], v[113:114], v[105:106], v[101:102]
	s_waitcnt vmcnt(30)
	v_fma_f64 v[111:112], v[115:116], v[107:108], v[101:102]
	ds_read_b128 v[101:104], v100 offset:608
	ds_read_b128 v[105:108], v100 offset:624
	s_waitcnt vmcnt(28) lgkmcnt(1)
	v_fma_f64 v[101:102], v[117:118], v[101:102], v[111:112]
	s_clause 0x7
	buffer_load_dword v112, off, s[0:3], 0 offset:332
	buffer_load_dword v113, off, s[0:3], 0 offset:352
	buffer_load_dword v115, off, s[0:3], 0 offset:344
	buffer_load_dword v117, off, s[0:3], 0 offset:336
	buffer_load_dword v111, off, s[0:3], 0 offset:328
	buffer_load_dword v118, off, s[0:3], 0 offset:340
	buffer_load_dword v116, off, s[0:3], 0 offset:348
	buffer_load_dword v114, off, s[0:3], 0 offset:356
	s_waitcnt vmcnt(34)
	v_fma_f64 v[101:102], v[119:120], v[103:104], v[101:102]
	s_waitcnt vmcnt(32) lgkmcnt(0)
	v_fma_f64 v[101:102], v[121:122], v[105:106], v[101:102]
	s_waitcnt vmcnt(27)
	v_fma_f64 v[119:120], v[123:124], v[107:108], v[101:102]
	;; [unrolled: 19-line block ×3, first 2 shown]
	ds_read_b128 v[101:104], v100 offset:672
	ds_read_b128 v[105:108], v100 offset:688
	s_waitcnt vmcnt(26) lgkmcnt(1)
	v_fma_f64 v[101:102], v[137:138], v[101:102], v[125:126]
	s_clause 0x1
	buffer_load_dword v125, off, s[0:3], 0 offset:168
	buffer_load_dword v126, off, s[0:3], 0 offset:172
	s_waitcnt vmcnt(27)
	v_fma_f64 v[101:102], v[135:136], v[103:104], v[101:102]
	s_waitcnt vmcnt(26) lgkmcnt(0)
	v_fma_f64 v[101:102], v[133:134], v[105:106], v[101:102]
	s_waitcnt vmcnt(21)
	v_fma_f64 v[109:110], v[109:110], v[107:108], v[101:102]
	ds_read_b128 v[101:104], v100 offset:704
	ds_read_b128 v[105:108], v100 offset:720
	s_waitcnt vmcnt(20) lgkmcnt(1)
	v_fma_f64 v[101:102], v[143:144], v[101:102], v[109:110]
	s_waitcnt vmcnt(19)
	v_fma_f64 v[101:102], v[141:142], v[103:104], v[101:102]
	s_waitcnt vmcnt(18) lgkmcnt(0)
	v_fma_f64 v[101:102], v[139:140], v[105:106], v[101:102]
	s_waitcnt vmcnt(13)
	v_fma_f64 v[109:110], v[111:112], v[107:108], v[101:102]
	ds_read_b128 v[101:104], v100 offset:736
	ds_read_b128 v[105:108], v100 offset:752
	s_waitcnt vmcnt(12) lgkmcnt(1)
	v_fma_f64 v[101:102], v[117:118], v[101:102], v[109:110]
	s_waitcnt vmcnt(11)
	v_fma_f64 v[101:102], v[115:116], v[103:104], v[101:102]
	s_waitcnt vmcnt(10) lgkmcnt(0)
	v_fma_f64 v[101:102], v[113:114], v[105:106], v[101:102]
	s_waitcnt vmcnt(5)
	v_fma_f64 v[105:106], v[119:120], v[107:108], v[101:102]
	ds_read_b128 v[101:104], v100 offset:768
	ds_read_b64 v[107:108], v100 offset:784
	s_waitcnt vmcnt(4) lgkmcnt(1)
	v_fma_f64 v[101:102], v[129:130], v[101:102], v[105:106]
	s_waitcnt vmcnt(3)
	v_fma_f64 v[101:102], v[123:124], v[103:104], v[101:102]
	s_waitcnt vmcnt(2) lgkmcnt(0)
	v_fma_f64 v[101:102], v[121:122], v[107:108], v[101:102]
	s_waitcnt vmcnt(0)
	v_add_f64 v[101:102], v[125:126], -v[101:102]
	buffer_store_dword v102, off, s[0:3], 0 offset:172
	buffer_store_dword v101, off, s[0:3], 0 offset:168
	v_cmpx_lt_u32_e32 20, v0
	s_cbranch_execz .LBB48_263
; %bb.262:
	s_clause 0x1
	buffer_load_dword v101, off, s[0:3], 0 offset:160
	buffer_load_dword v102, off, s[0:3], 0 offset:164
	buffer_store_dword v100, off, s[0:3], 0 offset:160
	buffer_store_dword v100, off, s[0:3], 0 offset:164
	s_waitcnt vmcnt(0)
	ds_write_b64 v99, v[101:102]
.LBB48_263:
	s_or_b32 exec_lo, exec_lo, s4
	s_waitcnt lgkmcnt(0)
	s_waitcnt_vscnt null, 0x0
	s_barrier
	buffer_gl0_inv
	s_clause 0x1c
	buffer_load_dword v109, off, s[0:3], 0 offset:168
	buffer_load_dword v110, off, s[0:3], 0 offset:172
	;; [unrolled: 1-line block ×29, first 2 shown]
	ds_read2_b64 v[101:104], v100 offset0:71 offset1:72
	ds_read2_b64 v[105:108], v100 offset0:73 offset1:74
	buffer_load_dword v134, off, s[0:3], 0 offset:284
	s_mov_b32 s4, exec_lo
	s_waitcnt vmcnt(28) lgkmcnt(1)
	v_fma_f64 v[101:102], v[109:110], v[101:102], 0
	s_clause 0x7
	buffer_load_dword v110, off, s[0:3], 0 offset:292
	buffer_load_dword v139, off, s[0:3], 0 offset:312
	buffer_load_dword v141, off, s[0:3], 0 offset:304
	buffer_load_dword v143, off, s[0:3], 0 offset:296
	buffer_load_dword v109, off, s[0:3], 0 offset:288
	buffer_load_dword v144, off, s[0:3], 0 offset:300
	buffer_load_dword v142, off, s[0:3], 0 offset:308
	buffer_load_dword v140, off, s[0:3], 0 offset:316
	s_waitcnt vmcnt(34)
	v_fma_f64 v[101:102], v[111:112], v[103:104], v[101:102]
	s_waitcnt vmcnt(32) lgkmcnt(0)
	v_fma_f64 v[101:102], v[113:114], v[105:106], v[101:102]
	s_waitcnt vmcnt(30)
	v_fma_f64 v[111:112], v[115:116], v[107:108], v[101:102]
	ds_read2_b64 v[101:104], v100 offset0:75 offset1:76
	ds_read2_b64 v[105:108], v100 offset0:77 offset1:78
	s_waitcnt vmcnt(28) lgkmcnt(1)
	v_fma_f64 v[101:102], v[117:118], v[101:102], v[111:112]
	s_clause 0x7
	buffer_load_dword v112, off, s[0:3], 0 offset:324
	buffer_load_dword v113, off, s[0:3], 0 offset:344
	buffer_load_dword v115, off, s[0:3], 0 offset:336
	buffer_load_dword v117, off, s[0:3], 0 offset:328
	buffer_load_dword v111, off, s[0:3], 0 offset:320
	buffer_load_dword v118, off, s[0:3], 0 offset:332
	buffer_load_dword v116, off, s[0:3], 0 offset:340
	buffer_load_dword v114, off, s[0:3], 0 offset:348
	s_waitcnt vmcnt(34)
	v_fma_f64 v[101:102], v[119:120], v[103:104], v[101:102]
	s_waitcnt vmcnt(32) lgkmcnt(0)
	v_fma_f64 v[101:102], v[121:122], v[105:106], v[101:102]
	s_waitcnt vmcnt(27)
	v_fma_f64 v[119:120], v[123:124], v[107:108], v[101:102]
	ds_read2_b64 v[101:104], v100 offset0:79 offset1:80
	ds_read2_b64 v[105:108], v100 offset0:81 offset1:82
	;; [unrolled: 19-line block ×3, first 2 shown]
	s_waitcnt vmcnt(26) lgkmcnt(1)
	v_fma_f64 v[101:102], v[137:138], v[101:102], v[125:126]
	s_clause 0x3
	buffer_load_dword v126, off, s[0:3], 0 offset:388
	buffer_load_dword v125, off, s[0:3], 0 offset:384
	;; [unrolled: 1-line block ×4, first 2 shown]
	s_waitcnt vmcnt(29)
	v_fma_f64 v[101:102], v[135:136], v[103:104], v[101:102]
	s_waitcnt vmcnt(28) lgkmcnt(0)
	v_fma_f64 v[101:102], v[133:134], v[105:106], v[101:102]
	s_waitcnt vmcnt(23)
	v_fma_f64 v[109:110], v[109:110], v[107:108], v[101:102]
	ds_read2_b64 v[101:104], v100 offset0:87 offset1:88
	ds_read2_b64 v[105:108], v100 offset0:89 offset1:90
	s_waitcnt vmcnt(22) lgkmcnt(1)
	v_fma_f64 v[101:102], v[143:144], v[101:102], v[109:110]
	s_waitcnt vmcnt(21)
	v_fma_f64 v[101:102], v[141:142], v[103:104], v[101:102]
	s_waitcnt vmcnt(20) lgkmcnt(0)
	v_fma_f64 v[101:102], v[139:140], v[105:106], v[101:102]
	s_waitcnt vmcnt(15)
	v_fma_f64 v[109:110], v[111:112], v[107:108], v[101:102]
	ds_read2_b64 v[101:104], v100 offset0:91 offset1:92
	ds_read2_b64 v[105:108], v100 offset0:93 offset1:94
	s_waitcnt vmcnt(14) lgkmcnt(1)
	v_fma_f64 v[101:102], v[117:118], v[101:102], v[109:110]
	;; [unrolled: 10-line block ×3, first 2 shown]
	s_waitcnt vmcnt(5)
	v_fma_f64 v[100:101], v[123:124], v[103:104], v[100:101]
	s_waitcnt vmcnt(4) lgkmcnt(0)
	v_fma_f64 v[100:101], v[121:122], v[105:106], v[100:101]
	s_waitcnt vmcnt(2)
	v_fma_f64 v[100:101], v[125:126], v[107:108], v[100:101]
	s_waitcnt vmcnt(0)
	v_add_f64 v[100:101], v[127:128], -v[100:101]
	buffer_store_dword v101, off, s[0:3], 0 offset:164
	buffer_store_dword v100, off, s[0:3], 0 offset:160
	v_cmpx_lt_u32_e32 19, v0
	s_cbranch_execz .LBB48_265
; %bb.264:
	s_clause 0x1
	buffer_load_dword v100, off, s[0:3], 0 offset:152
	buffer_load_dword v101, off, s[0:3], 0 offset:156
	v_mov_b32_e32 v102, 0
	buffer_store_dword v102, off, s[0:3], 0 offset:152
	buffer_store_dword v102, off, s[0:3], 0 offset:156
	s_waitcnt vmcnt(0)
	ds_write_b64 v99, v[100:101]
.LBB48_265:
	s_or_b32 exec_lo, exec_lo, s4
	s_waitcnt lgkmcnt(0)
	s_waitcnt_vscnt null, 0x0
	s_barrier
	buffer_gl0_inv
	s_clause 0x1c
	buffer_load_dword v109, off, s[0:3], 0 offset:160
	buffer_load_dword v110, off, s[0:3], 0 offset:164
	;; [unrolled: 1-line block ×29, first 2 shown]
	v_mov_b32_e32 v100, 0
	buffer_load_dword v134, off, s[0:3], 0 offset:276
	s_mov_b32 s4, exec_lo
	ds_read_b128 v[101:104], v100 offset:560
	ds_read_b128 v[105:108], v100 offset:576
	s_waitcnt vmcnt(28) lgkmcnt(1)
	v_fma_f64 v[101:102], v[109:110], v[101:102], 0
	s_clause 0x7
	buffer_load_dword v110, off, s[0:3], 0 offset:284
	buffer_load_dword v139, off, s[0:3], 0 offset:304
	buffer_load_dword v141, off, s[0:3], 0 offset:296
	buffer_load_dword v143, off, s[0:3], 0 offset:288
	buffer_load_dword v109, off, s[0:3], 0 offset:280
	buffer_load_dword v144, off, s[0:3], 0 offset:292
	buffer_load_dword v142, off, s[0:3], 0 offset:300
	buffer_load_dword v140, off, s[0:3], 0 offset:308
	s_waitcnt vmcnt(34)
	v_fma_f64 v[101:102], v[111:112], v[103:104], v[101:102]
	s_waitcnt vmcnt(32) lgkmcnt(0)
	v_fma_f64 v[101:102], v[113:114], v[105:106], v[101:102]
	s_waitcnt vmcnt(30)
	v_fma_f64 v[111:112], v[115:116], v[107:108], v[101:102]
	ds_read_b128 v[101:104], v100 offset:592
	ds_read_b128 v[105:108], v100 offset:608
	s_waitcnt vmcnt(28) lgkmcnt(1)
	v_fma_f64 v[101:102], v[117:118], v[101:102], v[111:112]
	s_clause 0x7
	buffer_load_dword v112, off, s[0:3], 0 offset:316
	buffer_load_dword v113, off, s[0:3], 0 offset:336
	buffer_load_dword v115, off, s[0:3], 0 offset:328
	buffer_load_dword v117, off, s[0:3], 0 offset:320
	buffer_load_dword v111, off, s[0:3], 0 offset:312
	buffer_load_dword v118, off, s[0:3], 0 offset:324
	buffer_load_dword v116, off, s[0:3], 0 offset:332
	buffer_load_dword v114, off, s[0:3], 0 offset:340
	s_waitcnt vmcnt(34)
	v_fma_f64 v[101:102], v[119:120], v[103:104], v[101:102]
	s_waitcnt vmcnt(32) lgkmcnt(0)
	v_fma_f64 v[101:102], v[121:122], v[105:106], v[101:102]
	s_waitcnt vmcnt(27)
	v_fma_f64 v[119:120], v[123:124], v[107:108], v[101:102]
	;; [unrolled: 19-line block ×3, first 2 shown]
	ds_read_b128 v[101:104], v100 offset:656
	ds_read_b128 v[105:108], v100 offset:672
	s_waitcnt vmcnt(26) lgkmcnt(1)
	v_fma_f64 v[101:102], v[137:138], v[101:102], v[125:126]
	s_clause 0x5
	buffer_load_dword v126, off, s[0:3], 0 offset:380
	buffer_load_dword v127, off, s[0:3], 0 offset:384
	;; [unrolled: 1-line block ×6, first 2 shown]
	s_waitcnt vmcnt(31)
	v_fma_f64 v[101:102], v[135:136], v[103:104], v[101:102]
	s_waitcnt vmcnt(30) lgkmcnt(0)
	v_fma_f64 v[101:102], v[133:134], v[105:106], v[101:102]
	s_waitcnt vmcnt(25)
	v_fma_f64 v[109:110], v[109:110], v[107:108], v[101:102]
	ds_read_b128 v[101:104], v100 offset:688
	ds_read_b128 v[105:108], v100 offset:704
	s_waitcnt vmcnt(24) lgkmcnt(1)
	v_fma_f64 v[101:102], v[143:144], v[101:102], v[109:110]
	s_waitcnt vmcnt(23)
	v_fma_f64 v[101:102], v[141:142], v[103:104], v[101:102]
	s_waitcnt vmcnt(22) lgkmcnt(0)
	v_fma_f64 v[101:102], v[139:140], v[105:106], v[101:102]
	s_waitcnt vmcnt(17)
	v_fma_f64 v[109:110], v[111:112], v[107:108], v[101:102]
	ds_read_b128 v[101:104], v100 offset:720
	ds_read_b128 v[105:108], v100 offset:736
	s_waitcnt vmcnt(16) lgkmcnt(1)
	v_fma_f64 v[101:102], v[117:118], v[101:102], v[109:110]
	;; [unrolled: 10-line block ×3, first 2 shown]
	s_waitcnt vmcnt(7)
	v_fma_f64 v[101:102], v[123:124], v[103:104], v[101:102]
	ds_read_b64 v[103:104], v100 offset:784
	s_waitcnt vmcnt(6) lgkmcnt(1)
	v_fma_f64 v[101:102], v[121:122], v[105:106], v[101:102]
	s_waitcnt vmcnt(3)
	v_fma_f64 v[101:102], v[125:126], v[107:108], v[101:102]
	s_waitcnt vmcnt(2) lgkmcnt(0)
	v_fma_f64 v[101:102], v[127:128], v[103:104], v[101:102]
	s_waitcnt vmcnt(0)
	v_add_f64 v[101:102], v[131:132], -v[101:102]
	buffer_store_dword v102, off, s[0:3], 0 offset:156
	buffer_store_dword v101, off, s[0:3], 0 offset:152
	v_cmpx_lt_u32_e32 18, v0
	s_cbranch_execz .LBB48_267
; %bb.266:
	s_clause 0x1
	buffer_load_dword v101, off, s[0:3], 0 offset:144
	buffer_load_dword v102, off, s[0:3], 0 offset:148
	buffer_store_dword v100, off, s[0:3], 0 offset:144
	buffer_store_dword v100, off, s[0:3], 0 offset:148
	s_waitcnt vmcnt(0)
	ds_write_b64 v99, v[101:102]
.LBB48_267:
	s_or_b32 exec_lo, exec_lo, s4
	s_waitcnt lgkmcnt(0)
	s_waitcnt_vscnt null, 0x0
	s_barrier
	buffer_gl0_inv
	s_clause 0x1c
	buffer_load_dword v109, off, s[0:3], 0 offset:152
	buffer_load_dword v110, off, s[0:3], 0 offset:156
	;; [unrolled: 1-line block ×29, first 2 shown]
	ds_read2_b64 v[101:104], v100 offset0:69 offset1:70
	ds_read2_b64 v[105:108], v100 offset0:71 offset1:72
	buffer_load_dword v134, off, s[0:3], 0 offset:268
	s_mov_b32 s4, exec_lo
	s_waitcnt vmcnt(28) lgkmcnt(1)
	v_fma_f64 v[101:102], v[109:110], v[101:102], 0
	s_clause 0x7
	buffer_load_dword v110, off, s[0:3], 0 offset:276
	buffer_load_dword v139, off, s[0:3], 0 offset:296
	buffer_load_dword v141, off, s[0:3], 0 offset:288
	buffer_load_dword v143, off, s[0:3], 0 offset:280
	buffer_load_dword v109, off, s[0:3], 0 offset:272
	buffer_load_dword v144, off, s[0:3], 0 offset:284
	buffer_load_dword v142, off, s[0:3], 0 offset:292
	buffer_load_dword v140, off, s[0:3], 0 offset:300
	s_waitcnt vmcnt(34)
	v_fma_f64 v[101:102], v[111:112], v[103:104], v[101:102]
	s_waitcnt vmcnt(32) lgkmcnt(0)
	v_fma_f64 v[101:102], v[113:114], v[105:106], v[101:102]
	s_waitcnt vmcnt(30)
	v_fma_f64 v[111:112], v[115:116], v[107:108], v[101:102]
	ds_read2_b64 v[101:104], v100 offset0:73 offset1:74
	ds_read2_b64 v[105:108], v100 offset0:75 offset1:76
	s_waitcnt vmcnt(28) lgkmcnt(1)
	v_fma_f64 v[101:102], v[117:118], v[101:102], v[111:112]
	s_clause 0x7
	buffer_load_dword v112, off, s[0:3], 0 offset:308
	buffer_load_dword v113, off, s[0:3], 0 offset:328
	buffer_load_dword v115, off, s[0:3], 0 offset:320
	buffer_load_dword v117, off, s[0:3], 0 offset:312
	buffer_load_dword v111, off, s[0:3], 0 offset:304
	buffer_load_dword v118, off, s[0:3], 0 offset:316
	buffer_load_dword v116, off, s[0:3], 0 offset:324
	buffer_load_dword v114, off, s[0:3], 0 offset:332
	s_waitcnt vmcnt(34)
	v_fma_f64 v[101:102], v[119:120], v[103:104], v[101:102]
	s_waitcnt vmcnt(32) lgkmcnt(0)
	v_fma_f64 v[101:102], v[121:122], v[105:106], v[101:102]
	s_waitcnt vmcnt(27)
	v_fma_f64 v[119:120], v[123:124], v[107:108], v[101:102]
	ds_read2_b64 v[101:104], v100 offset0:77 offset1:78
	ds_read2_b64 v[105:108], v100 offset0:79 offset1:80
	;; [unrolled: 19-line block ×3, first 2 shown]
	s_waitcnt vmcnt(26) lgkmcnt(1)
	v_fma_f64 v[101:102], v[137:138], v[101:102], v[125:126]
	s_clause 0x5
	buffer_load_dword v126, off, s[0:3], 0 offset:372
	buffer_load_dword v127, off, s[0:3], 0 offset:384
	;; [unrolled: 1-line block ×6, first 2 shown]
	s_waitcnt vmcnt(31)
	v_fma_f64 v[101:102], v[135:136], v[103:104], v[101:102]
	s_waitcnt vmcnt(30) lgkmcnt(0)
	v_fma_f64 v[101:102], v[133:134], v[105:106], v[101:102]
	s_waitcnt vmcnt(25)
	v_fma_f64 v[109:110], v[109:110], v[107:108], v[101:102]
	ds_read2_b64 v[101:104], v100 offset0:85 offset1:86
	s_clause 0x1
	buffer_load_dword v133, off, s[0:3], 0 offset:144
	buffer_load_dword v134, off, s[0:3], 0 offset:148
	ds_read2_b64 v[105:108], v100 offset0:87 offset1:88
	s_waitcnt vmcnt(26) lgkmcnt(1)
	v_fma_f64 v[101:102], v[143:144], v[101:102], v[109:110]
	s_waitcnt vmcnt(25)
	v_fma_f64 v[101:102], v[141:142], v[103:104], v[101:102]
	s_waitcnt vmcnt(24) lgkmcnt(0)
	v_fma_f64 v[101:102], v[139:140], v[105:106], v[101:102]
	s_waitcnt vmcnt(19)
	v_fma_f64 v[109:110], v[111:112], v[107:108], v[101:102]
	ds_read2_b64 v[101:104], v100 offset0:89 offset1:90
	ds_read2_b64 v[105:108], v100 offset0:91 offset1:92
	s_waitcnt vmcnt(18) lgkmcnt(1)
	v_fma_f64 v[101:102], v[117:118], v[101:102], v[109:110]
	s_waitcnt vmcnt(17)
	v_fma_f64 v[101:102], v[115:116], v[103:104], v[101:102]
	s_waitcnt vmcnt(16) lgkmcnt(0)
	v_fma_f64 v[101:102], v[113:114], v[105:106], v[101:102]
	s_waitcnt vmcnt(11)
	v_fma_f64 v[109:110], v[119:120], v[107:108], v[101:102]
	ds_read2_b64 v[101:104], v100 offset0:93 offset1:94
	;; [unrolled: 10-line block ×3, first 2 shown]
	s_waitcnt vmcnt(3) lgkmcnt(0)
	v_fma_f64 v[100:101], v[131:132], v[100:101], v[104:105]
	s_waitcnt vmcnt(2)
	v_fma_f64 v[100:101], v[127:128], v[102:103], v[100:101]
	s_waitcnt vmcnt(0)
	v_add_f64 v[100:101], v[133:134], -v[100:101]
	buffer_store_dword v101, off, s[0:3], 0 offset:148
	buffer_store_dword v100, off, s[0:3], 0 offset:144
	v_cmpx_lt_u32_e32 17, v0
	s_cbranch_execz .LBB48_269
; %bb.268:
	s_clause 0x1
	buffer_load_dword v100, off, s[0:3], 0 offset:136
	buffer_load_dword v101, off, s[0:3], 0 offset:140
	v_mov_b32_e32 v102, 0
	buffer_store_dword v102, off, s[0:3], 0 offset:136
	buffer_store_dword v102, off, s[0:3], 0 offset:140
	s_waitcnt vmcnt(0)
	ds_write_b64 v99, v[100:101]
.LBB48_269:
	s_or_b32 exec_lo, exec_lo, s4
	s_waitcnt lgkmcnt(0)
	s_waitcnt_vscnt null, 0x0
	s_barrier
	buffer_gl0_inv
	s_clause 0x1c
	buffer_load_dword v109, off, s[0:3], 0 offset:144
	buffer_load_dword v110, off, s[0:3], 0 offset:148
	;; [unrolled: 1-line block ×29, first 2 shown]
	v_mov_b32_e32 v100, 0
	buffer_load_dword v134, off, s[0:3], 0 offset:260
	s_mov_b32 s4, exec_lo
	ds_read_b128 v[101:104], v100 offset:544
	ds_read_b128 v[105:108], v100 offset:560
	s_waitcnt vmcnt(28) lgkmcnt(1)
	v_fma_f64 v[101:102], v[109:110], v[101:102], 0
	s_clause 0x7
	buffer_load_dword v110, off, s[0:3], 0 offset:268
	buffer_load_dword v139, off, s[0:3], 0 offset:288
	buffer_load_dword v141, off, s[0:3], 0 offset:280
	buffer_load_dword v143, off, s[0:3], 0 offset:272
	buffer_load_dword v109, off, s[0:3], 0 offset:264
	buffer_load_dword v144, off, s[0:3], 0 offset:276
	buffer_load_dword v142, off, s[0:3], 0 offset:284
	buffer_load_dword v140, off, s[0:3], 0 offset:292
	s_waitcnt vmcnt(34)
	v_fma_f64 v[101:102], v[111:112], v[103:104], v[101:102]
	s_waitcnt vmcnt(32) lgkmcnt(0)
	v_fma_f64 v[101:102], v[113:114], v[105:106], v[101:102]
	s_waitcnt vmcnt(30)
	v_fma_f64 v[111:112], v[115:116], v[107:108], v[101:102]
	ds_read_b128 v[101:104], v100 offset:576
	ds_read_b128 v[105:108], v100 offset:592
	s_waitcnt vmcnt(28) lgkmcnt(1)
	v_fma_f64 v[101:102], v[117:118], v[101:102], v[111:112]
	s_clause 0x7
	buffer_load_dword v112, off, s[0:3], 0 offset:300
	buffer_load_dword v113, off, s[0:3], 0 offset:320
	buffer_load_dword v115, off, s[0:3], 0 offset:312
	buffer_load_dword v117, off, s[0:3], 0 offset:304
	buffer_load_dword v111, off, s[0:3], 0 offset:296
	buffer_load_dword v118, off, s[0:3], 0 offset:308
	buffer_load_dword v116, off, s[0:3], 0 offset:316
	buffer_load_dword v114, off, s[0:3], 0 offset:324
	s_waitcnt vmcnt(34)
	v_fma_f64 v[101:102], v[119:120], v[103:104], v[101:102]
	s_waitcnt vmcnt(32) lgkmcnt(0)
	v_fma_f64 v[101:102], v[121:122], v[105:106], v[101:102]
	s_waitcnt vmcnt(27)
	v_fma_f64 v[119:120], v[123:124], v[107:108], v[101:102]
	;; [unrolled: 19-line block ×4, first 2 shown]
	ds_read_b128 v[101:104], v100 offset:672
	ds_read_b128 v[105:108], v100 offset:688
	s_waitcnt vmcnt(26) lgkmcnt(1)
	v_fma_f64 v[101:102], v[143:144], v[101:102], v[109:110]
	s_clause 0x1
	buffer_load_dword v109, off, s[0:3], 0 offset:136
	buffer_load_dword v110, off, s[0:3], 0 offset:140
	s_waitcnt vmcnt(27)
	v_fma_f64 v[101:102], v[141:142], v[103:104], v[101:102]
	s_waitcnt vmcnt(26) lgkmcnt(0)
	v_fma_f64 v[101:102], v[139:140], v[105:106], v[101:102]
	s_waitcnt vmcnt(21)
	v_fma_f64 v[111:112], v[111:112], v[107:108], v[101:102]
	ds_read_b128 v[101:104], v100 offset:704
	ds_read_b128 v[105:108], v100 offset:720
	s_waitcnt vmcnt(20) lgkmcnt(1)
	v_fma_f64 v[101:102], v[117:118], v[101:102], v[111:112]
	s_waitcnt vmcnt(19)
	v_fma_f64 v[101:102], v[115:116], v[103:104], v[101:102]
	s_waitcnt vmcnt(18) lgkmcnt(0)
	v_fma_f64 v[101:102], v[113:114], v[105:106], v[101:102]
	s_waitcnt vmcnt(13)
	v_fma_f64 v[111:112], v[119:120], v[107:108], v[101:102]
	ds_read_b128 v[101:104], v100 offset:736
	ds_read_b128 v[105:108], v100 offset:752
	s_waitcnt vmcnt(12) lgkmcnt(1)
	v_fma_f64 v[101:102], v[129:130], v[101:102], v[111:112]
	s_waitcnt vmcnt(11)
	v_fma_f64 v[101:102], v[123:124], v[103:104], v[101:102]
	s_waitcnt vmcnt(10) lgkmcnt(0)
	v_fma_f64 v[101:102], v[121:122], v[105:106], v[101:102]
	s_waitcnt vmcnt(5)
	v_fma_f64 v[105:106], v[125:126], v[107:108], v[101:102]
	ds_read_b128 v[101:104], v100 offset:768
	ds_read_b64 v[107:108], v100 offset:784
	s_waitcnt vmcnt(4) lgkmcnt(1)
	v_fma_f64 v[101:102], v[137:138], v[101:102], v[105:106]
	s_waitcnt vmcnt(3)
	v_fma_f64 v[101:102], v[131:132], v[103:104], v[101:102]
	s_waitcnt vmcnt(2) lgkmcnt(0)
	v_fma_f64 v[101:102], v[127:128], v[107:108], v[101:102]
	s_waitcnt vmcnt(0)
	v_add_f64 v[101:102], v[109:110], -v[101:102]
	buffer_store_dword v102, off, s[0:3], 0 offset:140
	buffer_store_dword v101, off, s[0:3], 0 offset:136
	v_cmpx_lt_u32_e32 16, v0
	s_cbranch_execz .LBB48_271
; %bb.270:
	s_clause 0x1
	buffer_load_dword v101, off, s[0:3], 0 offset:128
	buffer_load_dword v102, off, s[0:3], 0 offset:132
	buffer_store_dword v100, off, s[0:3], 0 offset:128
	buffer_store_dword v100, off, s[0:3], 0 offset:132
	s_waitcnt vmcnt(0)
	ds_write_b64 v99, v[101:102]
.LBB48_271:
	s_or_b32 exec_lo, exec_lo, s4
	s_waitcnt lgkmcnt(0)
	s_waitcnt_vscnt null, 0x0
	s_barrier
	buffer_gl0_inv
	s_clause 0x1c
	buffer_load_dword v109, off, s[0:3], 0 offset:136
	buffer_load_dword v110, off, s[0:3], 0 offset:140
	;; [unrolled: 1-line block ×29, first 2 shown]
	ds_read2_b64 v[101:104], v100 offset0:67 offset1:68
	ds_read2_b64 v[105:108], v100 offset0:69 offset1:70
	buffer_load_dword v134, off, s[0:3], 0 offset:252
	s_mov_b32 s4, exec_lo
	s_waitcnt vmcnt(28) lgkmcnt(1)
	v_fma_f64 v[101:102], v[109:110], v[101:102], 0
	s_clause 0x7
	buffer_load_dword v110, off, s[0:3], 0 offset:260
	buffer_load_dword v139, off, s[0:3], 0 offset:280
	buffer_load_dword v141, off, s[0:3], 0 offset:272
	buffer_load_dword v143, off, s[0:3], 0 offset:264
	buffer_load_dword v109, off, s[0:3], 0 offset:256
	buffer_load_dword v144, off, s[0:3], 0 offset:268
	buffer_load_dword v142, off, s[0:3], 0 offset:276
	buffer_load_dword v140, off, s[0:3], 0 offset:284
	s_waitcnt vmcnt(34)
	v_fma_f64 v[101:102], v[111:112], v[103:104], v[101:102]
	s_waitcnt vmcnt(32) lgkmcnt(0)
	v_fma_f64 v[101:102], v[113:114], v[105:106], v[101:102]
	s_waitcnt vmcnt(30)
	v_fma_f64 v[111:112], v[115:116], v[107:108], v[101:102]
	ds_read2_b64 v[101:104], v100 offset0:71 offset1:72
	ds_read2_b64 v[105:108], v100 offset0:73 offset1:74
	s_waitcnt vmcnt(28) lgkmcnt(1)
	v_fma_f64 v[101:102], v[117:118], v[101:102], v[111:112]
	s_clause 0x7
	buffer_load_dword v112, off, s[0:3], 0 offset:292
	buffer_load_dword v113, off, s[0:3], 0 offset:312
	buffer_load_dword v115, off, s[0:3], 0 offset:304
	buffer_load_dword v117, off, s[0:3], 0 offset:296
	buffer_load_dword v111, off, s[0:3], 0 offset:288
	buffer_load_dword v118, off, s[0:3], 0 offset:300
	buffer_load_dword v116, off, s[0:3], 0 offset:308
	buffer_load_dword v114, off, s[0:3], 0 offset:316
	s_waitcnt vmcnt(34)
	v_fma_f64 v[101:102], v[119:120], v[103:104], v[101:102]
	s_waitcnt vmcnt(32) lgkmcnt(0)
	v_fma_f64 v[101:102], v[121:122], v[105:106], v[101:102]
	s_waitcnt vmcnt(27)
	v_fma_f64 v[119:120], v[123:124], v[107:108], v[101:102]
	ds_read2_b64 v[101:104], v100 offset0:75 offset1:76
	ds_read2_b64 v[105:108], v100 offset0:77 offset1:78
	;; [unrolled: 19-line block ×4, first 2 shown]
	s_waitcnt vmcnt(26) lgkmcnt(1)
	v_fma_f64 v[101:102], v[143:144], v[101:102], v[109:110]
	s_clause 0x3
	buffer_load_dword v110, off, s[0:3], 0 offset:388
	buffer_load_dword v109, off, s[0:3], 0 offset:384
	;; [unrolled: 1-line block ×4, first 2 shown]
	s_waitcnt vmcnt(29)
	v_fma_f64 v[101:102], v[141:142], v[103:104], v[101:102]
	s_waitcnt vmcnt(28) lgkmcnt(0)
	v_fma_f64 v[101:102], v[139:140], v[105:106], v[101:102]
	s_waitcnt vmcnt(23)
	v_fma_f64 v[111:112], v[111:112], v[107:108], v[101:102]
	ds_read2_b64 v[101:104], v100 offset0:87 offset1:88
	ds_read2_b64 v[105:108], v100 offset0:89 offset1:90
	s_waitcnt vmcnt(22) lgkmcnt(1)
	v_fma_f64 v[101:102], v[117:118], v[101:102], v[111:112]
	s_waitcnt vmcnt(21)
	v_fma_f64 v[101:102], v[115:116], v[103:104], v[101:102]
	s_waitcnt vmcnt(20) lgkmcnt(0)
	v_fma_f64 v[101:102], v[113:114], v[105:106], v[101:102]
	s_waitcnt vmcnt(15)
	v_fma_f64 v[111:112], v[119:120], v[107:108], v[101:102]
	ds_read2_b64 v[101:104], v100 offset0:91 offset1:92
	ds_read2_b64 v[105:108], v100 offset0:93 offset1:94
	s_waitcnt vmcnt(14) lgkmcnt(1)
	v_fma_f64 v[101:102], v[129:130], v[101:102], v[111:112]
	;; [unrolled: 10-line block ×3, first 2 shown]
	s_waitcnt vmcnt(5)
	v_fma_f64 v[100:101], v[131:132], v[103:104], v[100:101]
	s_waitcnt vmcnt(4) lgkmcnt(0)
	v_fma_f64 v[100:101], v[127:128], v[105:106], v[100:101]
	s_waitcnt vmcnt(2)
	v_fma_f64 v[100:101], v[109:110], v[107:108], v[100:101]
	s_waitcnt vmcnt(0)
	v_add_f64 v[100:101], v[133:134], -v[100:101]
	buffer_store_dword v101, off, s[0:3], 0 offset:132
	buffer_store_dword v100, off, s[0:3], 0 offset:128
	v_cmpx_lt_u32_e32 15, v0
	s_cbranch_execz .LBB48_273
; %bb.272:
	s_clause 0x1
	buffer_load_dword v100, off, s[0:3], 0 offset:120
	buffer_load_dword v101, off, s[0:3], 0 offset:124
	v_mov_b32_e32 v102, 0
	buffer_store_dword v102, off, s[0:3], 0 offset:120
	buffer_store_dword v102, off, s[0:3], 0 offset:124
	s_waitcnt vmcnt(0)
	ds_write_b64 v99, v[100:101]
.LBB48_273:
	s_or_b32 exec_lo, exec_lo, s4
	s_waitcnt lgkmcnt(0)
	s_waitcnt_vscnt null, 0x0
	s_barrier
	buffer_gl0_inv
	s_clause 0x1c
	buffer_load_dword v109, off, s[0:3], 0 offset:128
	buffer_load_dword v110, off, s[0:3], 0 offset:132
	;; [unrolled: 1-line block ×29, first 2 shown]
	v_mov_b32_e32 v100, 0
	buffer_load_dword v134, off, s[0:3], 0 offset:244
	s_mov_b32 s4, exec_lo
	ds_read_b128 v[101:104], v100 offset:528
	ds_read_b128 v[105:108], v100 offset:544
	s_waitcnt vmcnt(28) lgkmcnt(1)
	v_fma_f64 v[101:102], v[109:110], v[101:102], 0
	s_clause 0x7
	buffer_load_dword v110, off, s[0:3], 0 offset:252
	buffer_load_dword v139, off, s[0:3], 0 offset:272
	buffer_load_dword v141, off, s[0:3], 0 offset:264
	buffer_load_dword v143, off, s[0:3], 0 offset:256
	buffer_load_dword v109, off, s[0:3], 0 offset:248
	buffer_load_dword v144, off, s[0:3], 0 offset:260
	buffer_load_dword v142, off, s[0:3], 0 offset:268
	buffer_load_dword v140, off, s[0:3], 0 offset:276
	s_waitcnt vmcnt(34)
	v_fma_f64 v[101:102], v[111:112], v[103:104], v[101:102]
	s_waitcnt vmcnt(32) lgkmcnt(0)
	v_fma_f64 v[101:102], v[113:114], v[105:106], v[101:102]
	s_waitcnt vmcnt(30)
	v_fma_f64 v[111:112], v[115:116], v[107:108], v[101:102]
	ds_read_b128 v[101:104], v100 offset:560
	ds_read_b128 v[105:108], v100 offset:576
	s_waitcnt vmcnt(28) lgkmcnt(1)
	v_fma_f64 v[101:102], v[117:118], v[101:102], v[111:112]
	s_clause 0x7
	buffer_load_dword v112, off, s[0:3], 0 offset:284
	buffer_load_dword v113, off, s[0:3], 0 offset:304
	buffer_load_dword v115, off, s[0:3], 0 offset:296
	buffer_load_dword v117, off, s[0:3], 0 offset:288
	buffer_load_dword v111, off, s[0:3], 0 offset:280
	buffer_load_dword v118, off, s[0:3], 0 offset:292
	buffer_load_dword v116, off, s[0:3], 0 offset:300
	buffer_load_dword v114, off, s[0:3], 0 offset:308
	s_waitcnt vmcnt(34)
	v_fma_f64 v[101:102], v[119:120], v[103:104], v[101:102]
	s_waitcnt vmcnt(32) lgkmcnt(0)
	v_fma_f64 v[101:102], v[121:122], v[105:106], v[101:102]
	s_waitcnt vmcnt(27)
	v_fma_f64 v[119:120], v[123:124], v[107:108], v[101:102]
	;; [unrolled: 19-line block ×4, first 2 shown]
	ds_read_b128 v[101:104], v100 offset:656
	ds_read_b128 v[105:108], v100 offset:672
	s_waitcnt vmcnt(26) lgkmcnt(1)
	v_fma_f64 v[101:102], v[143:144], v[101:102], v[109:110]
	s_clause 0x5
	buffer_load_dword v110, off, s[0:3], 0 offset:380
	buffer_load_dword v133, off, s[0:3], 0 offset:384
	;; [unrolled: 1-line block ×6, first 2 shown]
	s_waitcnt vmcnt(31)
	v_fma_f64 v[101:102], v[141:142], v[103:104], v[101:102]
	s_waitcnt vmcnt(30) lgkmcnt(0)
	v_fma_f64 v[101:102], v[139:140], v[105:106], v[101:102]
	s_waitcnt vmcnt(25)
	v_fma_f64 v[111:112], v[111:112], v[107:108], v[101:102]
	ds_read_b128 v[101:104], v100 offset:688
	ds_read_b128 v[105:108], v100 offset:704
	s_waitcnt vmcnt(24) lgkmcnt(1)
	v_fma_f64 v[101:102], v[117:118], v[101:102], v[111:112]
	s_waitcnt vmcnt(23)
	v_fma_f64 v[101:102], v[115:116], v[103:104], v[101:102]
	s_waitcnt vmcnt(22) lgkmcnt(0)
	v_fma_f64 v[101:102], v[113:114], v[105:106], v[101:102]
	s_waitcnt vmcnt(17)
	v_fma_f64 v[111:112], v[119:120], v[107:108], v[101:102]
	ds_read_b128 v[101:104], v100 offset:720
	ds_read_b128 v[105:108], v100 offset:736
	s_waitcnt vmcnt(16) lgkmcnt(1)
	v_fma_f64 v[101:102], v[129:130], v[101:102], v[111:112]
	;; [unrolled: 10-line block ×3, first 2 shown]
	s_waitcnt vmcnt(7)
	v_fma_f64 v[101:102], v[131:132], v[103:104], v[101:102]
	ds_read_b64 v[103:104], v100 offset:784
	s_waitcnt vmcnt(6) lgkmcnt(1)
	v_fma_f64 v[101:102], v[127:128], v[105:106], v[101:102]
	s_waitcnt vmcnt(3)
	v_fma_f64 v[101:102], v[109:110], v[107:108], v[101:102]
	s_waitcnt vmcnt(2) lgkmcnt(0)
	v_fma_f64 v[101:102], v[133:134], v[103:104], v[101:102]
	s_waitcnt vmcnt(0)
	v_add_f64 v[101:102], v[135:136], -v[101:102]
	buffer_store_dword v102, off, s[0:3], 0 offset:124
	buffer_store_dword v101, off, s[0:3], 0 offset:120
	v_cmpx_lt_u32_e32 14, v0
	s_cbranch_execz .LBB48_275
; %bb.274:
	s_clause 0x1
	buffer_load_dword v101, off, s[0:3], 0 offset:112
	buffer_load_dword v102, off, s[0:3], 0 offset:116
	buffer_store_dword v100, off, s[0:3], 0 offset:112
	buffer_store_dword v100, off, s[0:3], 0 offset:116
	s_waitcnt vmcnt(0)
	ds_write_b64 v99, v[101:102]
.LBB48_275:
	s_or_b32 exec_lo, exec_lo, s4
	s_waitcnt lgkmcnt(0)
	s_waitcnt_vscnt null, 0x0
	s_barrier
	buffer_gl0_inv
	s_clause 0x1c
	buffer_load_dword v109, off, s[0:3], 0 offset:120
	buffer_load_dword v110, off, s[0:3], 0 offset:124
	;; [unrolled: 1-line block ×29, first 2 shown]
	ds_read2_b64 v[101:104], v100 offset0:65 offset1:66
	ds_read2_b64 v[105:108], v100 offset0:67 offset1:68
	buffer_load_dword v134, off, s[0:3], 0 offset:236
	s_mov_b32 s4, exec_lo
	s_waitcnt vmcnt(28) lgkmcnt(1)
	v_fma_f64 v[101:102], v[109:110], v[101:102], 0
	s_clause 0x7
	buffer_load_dword v110, off, s[0:3], 0 offset:244
	buffer_load_dword v139, off, s[0:3], 0 offset:264
	buffer_load_dword v141, off, s[0:3], 0 offset:256
	buffer_load_dword v143, off, s[0:3], 0 offset:248
	buffer_load_dword v109, off, s[0:3], 0 offset:240
	buffer_load_dword v144, off, s[0:3], 0 offset:252
	buffer_load_dword v142, off, s[0:3], 0 offset:260
	buffer_load_dword v140, off, s[0:3], 0 offset:268
	s_waitcnt vmcnt(34)
	v_fma_f64 v[101:102], v[111:112], v[103:104], v[101:102]
	s_waitcnt vmcnt(32) lgkmcnt(0)
	v_fma_f64 v[101:102], v[113:114], v[105:106], v[101:102]
	s_waitcnt vmcnt(30)
	v_fma_f64 v[111:112], v[115:116], v[107:108], v[101:102]
	ds_read2_b64 v[101:104], v100 offset0:69 offset1:70
	ds_read2_b64 v[105:108], v100 offset0:71 offset1:72
	s_waitcnt vmcnt(28) lgkmcnt(1)
	v_fma_f64 v[101:102], v[117:118], v[101:102], v[111:112]
	s_clause 0x7
	buffer_load_dword v112, off, s[0:3], 0 offset:276
	buffer_load_dword v113, off, s[0:3], 0 offset:296
	buffer_load_dword v115, off, s[0:3], 0 offset:288
	buffer_load_dword v117, off, s[0:3], 0 offset:280
	buffer_load_dword v111, off, s[0:3], 0 offset:272
	buffer_load_dword v118, off, s[0:3], 0 offset:284
	buffer_load_dword v116, off, s[0:3], 0 offset:292
	buffer_load_dword v114, off, s[0:3], 0 offset:300
	s_waitcnt vmcnt(34)
	v_fma_f64 v[101:102], v[119:120], v[103:104], v[101:102]
	s_waitcnt vmcnt(32) lgkmcnt(0)
	v_fma_f64 v[101:102], v[121:122], v[105:106], v[101:102]
	s_waitcnt vmcnt(27)
	v_fma_f64 v[119:120], v[123:124], v[107:108], v[101:102]
	ds_read2_b64 v[101:104], v100 offset0:73 offset1:74
	ds_read2_b64 v[105:108], v100 offset0:75 offset1:76
	;; [unrolled: 19-line block ×4, first 2 shown]
	s_waitcnt vmcnt(26) lgkmcnt(1)
	v_fma_f64 v[101:102], v[143:144], v[101:102], v[109:110]
	s_clause 0x5
	buffer_load_dword v110, off, s[0:3], 0 offset:372
	buffer_load_dword v133, off, s[0:3], 0 offset:384
	;; [unrolled: 1-line block ×6, first 2 shown]
	s_waitcnt vmcnt(31)
	v_fma_f64 v[101:102], v[141:142], v[103:104], v[101:102]
	s_waitcnt vmcnt(30) lgkmcnt(0)
	v_fma_f64 v[101:102], v[139:140], v[105:106], v[101:102]
	s_waitcnt vmcnt(25)
	v_fma_f64 v[111:112], v[111:112], v[107:108], v[101:102]
	ds_read2_b64 v[101:104], v100 offset0:85 offset1:86
	s_clause 0x1
	buffer_load_dword v139, off, s[0:3], 0 offset:112
	buffer_load_dword v140, off, s[0:3], 0 offset:116
	ds_read2_b64 v[105:108], v100 offset0:87 offset1:88
	s_waitcnt vmcnt(26) lgkmcnt(1)
	v_fma_f64 v[101:102], v[117:118], v[101:102], v[111:112]
	s_waitcnt vmcnt(25)
	v_fma_f64 v[101:102], v[115:116], v[103:104], v[101:102]
	s_waitcnt vmcnt(24) lgkmcnt(0)
	v_fma_f64 v[101:102], v[113:114], v[105:106], v[101:102]
	s_waitcnt vmcnt(19)
	v_fma_f64 v[111:112], v[119:120], v[107:108], v[101:102]
	ds_read2_b64 v[101:104], v100 offset0:89 offset1:90
	ds_read2_b64 v[105:108], v100 offset0:91 offset1:92
	s_waitcnt vmcnt(18) lgkmcnt(1)
	v_fma_f64 v[101:102], v[129:130], v[101:102], v[111:112]
	s_waitcnt vmcnt(17)
	v_fma_f64 v[101:102], v[123:124], v[103:104], v[101:102]
	s_waitcnt vmcnt(16) lgkmcnt(0)
	v_fma_f64 v[101:102], v[121:122], v[105:106], v[101:102]
	s_waitcnt vmcnt(11)
	v_fma_f64 v[111:112], v[125:126], v[107:108], v[101:102]
	ds_read2_b64 v[101:104], v100 offset0:93 offset1:94
	;; [unrolled: 10-line block ×3, first 2 shown]
	s_waitcnt vmcnt(3) lgkmcnt(0)
	v_fma_f64 v[100:101], v[135:136], v[100:101], v[104:105]
	s_waitcnt vmcnt(2)
	v_fma_f64 v[100:101], v[133:134], v[102:103], v[100:101]
	s_waitcnt vmcnt(0)
	v_add_f64 v[100:101], v[139:140], -v[100:101]
	buffer_store_dword v101, off, s[0:3], 0 offset:116
	buffer_store_dword v100, off, s[0:3], 0 offset:112
	v_cmpx_lt_u32_e32 13, v0
	s_cbranch_execz .LBB48_277
; %bb.276:
	s_clause 0x1
	buffer_load_dword v100, off, s[0:3], 0 offset:104
	buffer_load_dword v101, off, s[0:3], 0 offset:108
	v_mov_b32_e32 v102, 0
	buffer_store_dword v102, off, s[0:3], 0 offset:104
	buffer_store_dword v102, off, s[0:3], 0 offset:108
	s_waitcnt vmcnt(0)
	ds_write_b64 v99, v[100:101]
.LBB48_277:
	s_or_b32 exec_lo, exec_lo, s4
	s_waitcnt lgkmcnt(0)
	s_waitcnt_vscnt null, 0x0
	s_barrier
	buffer_gl0_inv
	s_clause 0x1c
	buffer_load_dword v109, off, s[0:3], 0 offset:112
	buffer_load_dword v110, off, s[0:3], 0 offset:116
	;; [unrolled: 1-line block ×29, first 2 shown]
	v_mov_b32_e32 v100, 0
	buffer_load_dword v134, off, s[0:3], 0 offset:228
	s_mov_b32 s4, exec_lo
	ds_read_b128 v[101:104], v100 offset:512
	ds_read_b128 v[105:108], v100 offset:528
	s_waitcnt vmcnt(28) lgkmcnt(1)
	v_fma_f64 v[101:102], v[109:110], v[101:102], 0
	s_clause 0x7
	buffer_load_dword v110, off, s[0:3], 0 offset:236
	buffer_load_dword v139, off, s[0:3], 0 offset:256
	buffer_load_dword v141, off, s[0:3], 0 offset:248
	buffer_load_dword v143, off, s[0:3], 0 offset:240
	buffer_load_dword v109, off, s[0:3], 0 offset:232
	buffer_load_dword v144, off, s[0:3], 0 offset:244
	buffer_load_dword v142, off, s[0:3], 0 offset:252
	buffer_load_dword v140, off, s[0:3], 0 offset:260
	s_waitcnt vmcnt(34)
	v_fma_f64 v[101:102], v[111:112], v[103:104], v[101:102]
	s_waitcnt vmcnt(32) lgkmcnt(0)
	v_fma_f64 v[101:102], v[113:114], v[105:106], v[101:102]
	s_waitcnt vmcnt(30)
	v_fma_f64 v[111:112], v[115:116], v[107:108], v[101:102]
	ds_read_b128 v[101:104], v100 offset:544
	ds_read_b128 v[105:108], v100 offset:560
	s_waitcnt vmcnt(28) lgkmcnt(1)
	v_fma_f64 v[101:102], v[117:118], v[101:102], v[111:112]
	s_clause 0x7
	buffer_load_dword v112, off, s[0:3], 0 offset:268
	buffer_load_dword v113, off, s[0:3], 0 offset:288
	buffer_load_dword v115, off, s[0:3], 0 offset:280
	buffer_load_dword v117, off, s[0:3], 0 offset:272
	buffer_load_dword v111, off, s[0:3], 0 offset:264
	buffer_load_dword v118, off, s[0:3], 0 offset:276
	buffer_load_dword v116, off, s[0:3], 0 offset:284
	buffer_load_dword v114, off, s[0:3], 0 offset:292
	s_waitcnt vmcnt(34)
	v_fma_f64 v[101:102], v[119:120], v[103:104], v[101:102]
	s_waitcnt vmcnt(32) lgkmcnt(0)
	v_fma_f64 v[101:102], v[121:122], v[105:106], v[101:102]
	s_waitcnt vmcnt(27)
	v_fma_f64 v[119:120], v[123:124], v[107:108], v[101:102]
	;; [unrolled: 19-line block ×5, first 2 shown]
	ds_read_b128 v[101:104], v100 offset:672
	ds_read_b128 v[105:108], v100 offset:688
	s_waitcnt vmcnt(26) lgkmcnt(1)
	v_fma_f64 v[101:102], v[117:118], v[101:102], v[111:112]
	s_clause 0x1
	buffer_load_dword v111, off, s[0:3], 0 offset:104
	buffer_load_dword v112, off, s[0:3], 0 offset:108
	s_waitcnt vmcnt(27)
	v_fma_f64 v[101:102], v[115:116], v[103:104], v[101:102]
	s_waitcnt vmcnt(26) lgkmcnt(0)
	v_fma_f64 v[101:102], v[113:114], v[105:106], v[101:102]
	s_waitcnt vmcnt(21)
	v_fma_f64 v[113:114], v[119:120], v[107:108], v[101:102]
	ds_read_b128 v[101:104], v100 offset:704
	ds_read_b128 v[105:108], v100 offset:720
	s_waitcnt vmcnt(20) lgkmcnt(1)
	v_fma_f64 v[101:102], v[129:130], v[101:102], v[113:114]
	s_waitcnt vmcnt(19)
	v_fma_f64 v[101:102], v[123:124], v[103:104], v[101:102]
	s_waitcnt vmcnt(18) lgkmcnt(0)
	v_fma_f64 v[101:102], v[121:122], v[105:106], v[101:102]
	s_waitcnt vmcnt(13)
	v_fma_f64 v[113:114], v[125:126], v[107:108], v[101:102]
	ds_read_b128 v[101:104], v100 offset:736
	ds_read_b128 v[105:108], v100 offset:752
	s_waitcnt vmcnt(12) lgkmcnt(1)
	v_fma_f64 v[101:102], v[137:138], v[101:102], v[113:114]
	s_waitcnt vmcnt(11)
	v_fma_f64 v[101:102], v[131:132], v[103:104], v[101:102]
	s_waitcnt vmcnt(10) lgkmcnt(0)
	v_fma_f64 v[101:102], v[127:128], v[105:106], v[101:102]
	s_waitcnt vmcnt(5)
	v_fma_f64 v[105:106], v[109:110], v[107:108], v[101:102]
	ds_read_b128 v[101:104], v100 offset:768
	ds_read_b64 v[107:108], v100 offset:784
	s_waitcnt vmcnt(4) lgkmcnt(1)
	v_fma_f64 v[101:102], v[143:144], v[101:102], v[105:106]
	s_waitcnt vmcnt(3)
	v_fma_f64 v[101:102], v[135:136], v[103:104], v[101:102]
	s_waitcnt vmcnt(2) lgkmcnt(0)
	v_fma_f64 v[101:102], v[133:134], v[107:108], v[101:102]
	s_waitcnt vmcnt(0)
	v_add_f64 v[101:102], v[111:112], -v[101:102]
	buffer_store_dword v102, off, s[0:3], 0 offset:108
	buffer_store_dword v101, off, s[0:3], 0 offset:104
	v_cmpx_lt_u32_e32 12, v0
	s_cbranch_execz .LBB48_279
; %bb.278:
	s_clause 0x1
	buffer_load_dword v101, off, s[0:3], 0 offset:96
	buffer_load_dword v102, off, s[0:3], 0 offset:100
	buffer_store_dword v100, off, s[0:3], 0 offset:96
	buffer_store_dword v100, off, s[0:3], 0 offset:100
	s_waitcnt vmcnt(0)
	ds_write_b64 v99, v[101:102]
.LBB48_279:
	s_or_b32 exec_lo, exec_lo, s4
	s_waitcnt lgkmcnt(0)
	s_waitcnt_vscnt null, 0x0
	s_barrier
	buffer_gl0_inv
	s_clause 0x1c
	buffer_load_dword v109, off, s[0:3], 0 offset:104
	buffer_load_dword v110, off, s[0:3], 0 offset:108
	;; [unrolled: 1-line block ×29, first 2 shown]
	ds_read2_b64 v[101:104], v100 offset0:63 offset1:64
	ds_read2_b64 v[105:108], v100 offset0:65 offset1:66
	buffer_load_dword v134, off, s[0:3], 0 offset:220
	s_mov_b32 s4, exec_lo
	s_waitcnt vmcnt(28) lgkmcnt(1)
	v_fma_f64 v[101:102], v[109:110], v[101:102], 0
	s_clause 0x7
	buffer_load_dword v110, off, s[0:3], 0 offset:228
	buffer_load_dword v139, off, s[0:3], 0 offset:248
	buffer_load_dword v141, off, s[0:3], 0 offset:240
	buffer_load_dword v143, off, s[0:3], 0 offset:232
	buffer_load_dword v109, off, s[0:3], 0 offset:224
	buffer_load_dword v144, off, s[0:3], 0 offset:236
	buffer_load_dword v142, off, s[0:3], 0 offset:244
	buffer_load_dword v140, off, s[0:3], 0 offset:252
	s_waitcnt vmcnt(34)
	v_fma_f64 v[101:102], v[111:112], v[103:104], v[101:102]
	s_waitcnt vmcnt(32) lgkmcnt(0)
	v_fma_f64 v[101:102], v[113:114], v[105:106], v[101:102]
	s_waitcnt vmcnt(30)
	v_fma_f64 v[111:112], v[115:116], v[107:108], v[101:102]
	ds_read2_b64 v[101:104], v100 offset0:67 offset1:68
	ds_read2_b64 v[105:108], v100 offset0:69 offset1:70
	s_waitcnt vmcnt(28) lgkmcnt(1)
	v_fma_f64 v[101:102], v[117:118], v[101:102], v[111:112]
	s_clause 0x7
	buffer_load_dword v112, off, s[0:3], 0 offset:260
	buffer_load_dword v113, off, s[0:3], 0 offset:280
	buffer_load_dword v115, off, s[0:3], 0 offset:272
	buffer_load_dword v117, off, s[0:3], 0 offset:264
	buffer_load_dword v111, off, s[0:3], 0 offset:256
	buffer_load_dword v118, off, s[0:3], 0 offset:268
	buffer_load_dword v116, off, s[0:3], 0 offset:276
	buffer_load_dword v114, off, s[0:3], 0 offset:284
	s_waitcnt vmcnt(34)
	v_fma_f64 v[101:102], v[119:120], v[103:104], v[101:102]
	s_waitcnt vmcnt(32) lgkmcnt(0)
	v_fma_f64 v[101:102], v[121:122], v[105:106], v[101:102]
	s_waitcnt vmcnt(27)
	v_fma_f64 v[119:120], v[123:124], v[107:108], v[101:102]
	ds_read2_b64 v[101:104], v100 offset0:71 offset1:72
	ds_read2_b64 v[105:108], v100 offset0:73 offset1:74
	s_waitcnt vmcnt(26) lgkmcnt(1)
	v_fma_f64 v[101:102], v[129:130], v[101:102], v[119:120]
	s_clause 0x7
	buffer_load_dword v120, off, s[0:3], 0 offset:292
	buffer_load_dword v121, off, s[0:3], 0 offset:312
	buffer_load_dword v123, off, s[0:3], 0 offset:304
	buffer_load_dword v129, off, s[0:3], 0 offset:296
	buffer_load_dword v119, off, s[0:3], 0 offset:288
	buffer_load_dword v130, off, s[0:3], 0 offset:300
	buffer_load_dword v124, off, s[0:3], 0 offset:308
	buffer_load_dword v122, off, s[0:3], 0 offset:316
	s_waitcnt vmcnt(33)
	v_fma_f64 v[101:102], v[127:128], v[103:104], v[101:102]
	s_waitcnt vmcnt(32) lgkmcnt(0)
	v_fma_f64 v[101:102], v[125:126], v[105:106], v[101:102]
	s_waitcnt vmcnt(27)
	v_fma_f64 v[125:126], v[131:132], v[107:108], v[101:102]
	ds_read2_b64 v[101:104], v100 offset0:75 offset1:76
	ds_read2_b64 v[105:108], v100 offset0:77 offset1:78
	s_waitcnt vmcnt(26) lgkmcnt(1)
	v_fma_f64 v[101:102], v[137:138], v[101:102], v[125:126]
	s_clause 0x7
	buffer_load_dword v126, off, s[0:3], 0 offset:324
	buffer_load_dword v127, off, s[0:3], 0 offset:344
	buffer_load_dword v131, off, s[0:3], 0 offset:336
	buffer_load_dword v137, off, s[0:3], 0 offset:328
	buffer_load_dword v125, off, s[0:3], 0 offset:320
	buffer_load_dword v138, off, s[0:3], 0 offset:332
	buffer_load_dword v132, off, s[0:3], 0 offset:340
	buffer_load_dword v128, off, s[0:3], 0 offset:348
	s_waitcnt vmcnt(33)
	v_fma_f64 v[101:102], v[135:136], v[103:104], v[101:102]
	s_waitcnt vmcnt(32) lgkmcnt(0)
	v_fma_f64 v[101:102], v[133:134], v[105:106], v[101:102]
	s_waitcnt vmcnt(27)
	v_fma_f64 v[109:110], v[109:110], v[107:108], v[101:102]
	ds_read2_b64 v[101:104], v100 offset0:79 offset1:80
	ds_read2_b64 v[105:108], v100 offset0:81 offset1:82
	s_waitcnt vmcnt(26) lgkmcnt(1)
	v_fma_f64 v[101:102], v[143:144], v[101:102], v[109:110]
	s_clause 0x7
	buffer_load_dword v110, off, s[0:3], 0 offset:356
	buffer_load_dword v133, off, s[0:3], 0 offset:376
	buffer_load_dword v135, off, s[0:3], 0 offset:368
	buffer_load_dword v143, off, s[0:3], 0 offset:360
	buffer_load_dword v109, off, s[0:3], 0 offset:352
	buffer_load_dword v144, off, s[0:3], 0 offset:364
	buffer_load_dword v136, off, s[0:3], 0 offset:372
	buffer_load_dword v134, off, s[0:3], 0 offset:380
	s_waitcnt vmcnt(33)
	v_fma_f64 v[101:102], v[141:142], v[103:104], v[101:102]
	s_waitcnt vmcnt(32) lgkmcnt(0)
	v_fma_f64 v[101:102], v[139:140], v[105:106], v[101:102]
	s_waitcnt vmcnt(27)
	v_fma_f64 v[111:112], v[111:112], v[107:108], v[101:102]
	ds_read2_b64 v[101:104], v100 offset0:83 offset1:84
	ds_read2_b64 v[105:108], v100 offset0:85 offset1:86
	s_waitcnt vmcnt(26) lgkmcnt(1)
	v_fma_f64 v[101:102], v[117:118], v[101:102], v[111:112]
	s_clause 0x1
	buffer_load_dword v112, off, s[0:3], 0 offset:388
	buffer_load_dword v111, off, s[0:3], 0 offset:384
	s_waitcnt vmcnt(27)
	v_fma_f64 v[101:102], v[115:116], v[103:104], v[101:102]
	s_clause 0x1
	buffer_load_dword v115, off, s[0:3], 0 offset:96
	buffer_load_dword v116, off, s[0:3], 0 offset:100
	s_waitcnt vmcnt(28) lgkmcnt(0)
	v_fma_f64 v[101:102], v[113:114], v[105:106], v[101:102]
	s_waitcnt vmcnt(23)
	v_fma_f64 v[113:114], v[119:120], v[107:108], v[101:102]
	ds_read2_b64 v[101:104], v100 offset0:87 offset1:88
	ds_read2_b64 v[105:108], v100 offset0:89 offset1:90
	s_waitcnt vmcnt(22) lgkmcnt(1)
	v_fma_f64 v[101:102], v[129:130], v[101:102], v[113:114]
	s_waitcnt vmcnt(21)
	v_fma_f64 v[101:102], v[123:124], v[103:104], v[101:102]
	s_waitcnt vmcnt(20) lgkmcnt(0)
	v_fma_f64 v[101:102], v[121:122], v[105:106], v[101:102]
	s_waitcnt vmcnt(15)
	v_fma_f64 v[113:114], v[125:126], v[107:108], v[101:102]
	ds_read2_b64 v[101:104], v100 offset0:91 offset1:92
	ds_read2_b64 v[105:108], v100 offset0:93 offset1:94
	s_waitcnt vmcnt(14) lgkmcnt(1)
	v_fma_f64 v[101:102], v[137:138], v[101:102], v[113:114]
	s_waitcnt vmcnt(13)
	v_fma_f64 v[101:102], v[131:132], v[103:104], v[101:102]
	;; [unrolled: 10-line block ×3, first 2 shown]
	s_waitcnt vmcnt(4) lgkmcnt(0)
	v_fma_f64 v[100:101], v[133:134], v[105:106], v[100:101]
	s_waitcnt vmcnt(2)
	v_fma_f64 v[100:101], v[111:112], v[107:108], v[100:101]
	s_waitcnt vmcnt(0)
	v_add_f64 v[100:101], v[115:116], -v[100:101]
	buffer_store_dword v101, off, s[0:3], 0 offset:100
	buffer_store_dword v100, off, s[0:3], 0 offset:96
	v_cmpx_lt_u32_e32 11, v0
	s_cbranch_execz .LBB48_281
; %bb.280:
	s_clause 0x1
	buffer_load_dword v100, off, s[0:3], 0 offset:88
	buffer_load_dword v101, off, s[0:3], 0 offset:92
	v_mov_b32_e32 v102, 0
	buffer_store_dword v102, off, s[0:3], 0 offset:88
	buffer_store_dword v102, off, s[0:3], 0 offset:92
	s_waitcnt vmcnt(0)
	ds_write_b64 v99, v[100:101]
.LBB48_281:
	s_or_b32 exec_lo, exec_lo, s4
	s_waitcnt lgkmcnt(0)
	s_waitcnt_vscnt null, 0x0
	s_barrier
	buffer_gl0_inv
	s_clause 0x1c
	buffer_load_dword v109, off, s[0:3], 0 offset:96
	buffer_load_dword v110, off, s[0:3], 0 offset:100
	;; [unrolled: 1-line block ×29, first 2 shown]
	v_mov_b32_e32 v100, 0
	buffer_load_dword v134, off, s[0:3], 0 offset:212
	s_mov_b32 s4, exec_lo
	ds_read_b128 v[101:104], v100 offset:496
	ds_read_b128 v[105:108], v100 offset:512
	s_waitcnt vmcnt(28) lgkmcnt(1)
	v_fma_f64 v[101:102], v[109:110], v[101:102], 0
	s_clause 0x7
	buffer_load_dword v110, off, s[0:3], 0 offset:220
	buffer_load_dword v139, off, s[0:3], 0 offset:240
	buffer_load_dword v141, off, s[0:3], 0 offset:232
	buffer_load_dword v143, off, s[0:3], 0 offset:224
	buffer_load_dword v109, off, s[0:3], 0 offset:216
	buffer_load_dword v144, off, s[0:3], 0 offset:228
	buffer_load_dword v142, off, s[0:3], 0 offset:236
	buffer_load_dword v140, off, s[0:3], 0 offset:244
	s_waitcnt vmcnt(34)
	v_fma_f64 v[101:102], v[111:112], v[103:104], v[101:102]
	s_waitcnt vmcnt(32) lgkmcnt(0)
	v_fma_f64 v[101:102], v[113:114], v[105:106], v[101:102]
	s_waitcnt vmcnt(30)
	v_fma_f64 v[111:112], v[115:116], v[107:108], v[101:102]
	ds_read_b128 v[101:104], v100 offset:528
	ds_read_b128 v[105:108], v100 offset:544
	s_waitcnt vmcnt(28) lgkmcnt(1)
	v_fma_f64 v[101:102], v[117:118], v[101:102], v[111:112]
	s_clause 0x7
	buffer_load_dword v112, off, s[0:3], 0 offset:252
	buffer_load_dword v113, off, s[0:3], 0 offset:272
	buffer_load_dword v115, off, s[0:3], 0 offset:264
	buffer_load_dword v117, off, s[0:3], 0 offset:256
	buffer_load_dword v111, off, s[0:3], 0 offset:248
	buffer_load_dword v118, off, s[0:3], 0 offset:260
	buffer_load_dword v116, off, s[0:3], 0 offset:268
	buffer_load_dword v114, off, s[0:3], 0 offset:276
	s_waitcnt vmcnt(34)
	v_fma_f64 v[101:102], v[119:120], v[103:104], v[101:102]
	s_waitcnt vmcnt(32) lgkmcnt(0)
	v_fma_f64 v[101:102], v[121:122], v[105:106], v[101:102]
	s_waitcnt vmcnt(27)
	v_fma_f64 v[119:120], v[123:124], v[107:108], v[101:102]
	;; [unrolled: 19-line block ×5, first 2 shown]
	ds_read_b128 v[101:104], v100 offset:656
	ds_read_b128 v[105:108], v100 offset:672
	s_waitcnt vmcnt(26) lgkmcnt(1)
	v_fma_f64 v[101:102], v[117:118], v[101:102], v[111:112]
	s_clause 0x3
	buffer_load_dword v112, off, s[0:3], 0 offset:380
	buffer_load_dword v117, off, s[0:3], 0 offset:384
	;; [unrolled: 1-line block ×4, first 2 shown]
	s_waitcnt vmcnt(29)
	v_fma_f64 v[101:102], v[115:116], v[103:104], v[101:102]
	s_waitcnt vmcnt(28) lgkmcnt(0)
	v_fma_f64 v[101:102], v[113:114], v[105:106], v[101:102]
	s_clause 0x1
	buffer_load_dword v113, off, s[0:3], 0 offset:88
	buffer_load_dword v114, off, s[0:3], 0 offset:92
	s_waitcnt vmcnt(25)
	v_fma_f64 v[115:116], v[119:120], v[107:108], v[101:102]
	ds_read_b128 v[101:104], v100 offset:688
	ds_read_b128 v[105:108], v100 offset:704
	s_waitcnt vmcnt(24) lgkmcnt(1)
	v_fma_f64 v[101:102], v[129:130], v[101:102], v[115:116]
	s_waitcnt vmcnt(23)
	v_fma_f64 v[101:102], v[123:124], v[103:104], v[101:102]
	s_waitcnt vmcnt(22) lgkmcnt(0)
	v_fma_f64 v[101:102], v[121:122], v[105:106], v[101:102]
	s_waitcnt vmcnt(17)
	v_fma_f64 v[115:116], v[125:126], v[107:108], v[101:102]
	ds_read_b128 v[101:104], v100 offset:720
	ds_read_b128 v[105:108], v100 offset:736
	s_waitcnt vmcnt(16) lgkmcnt(1)
	v_fma_f64 v[101:102], v[137:138], v[101:102], v[115:116]
	s_waitcnt vmcnt(15)
	v_fma_f64 v[101:102], v[131:132], v[103:104], v[101:102]
	s_waitcnt vmcnt(14) lgkmcnt(0)
	v_fma_f64 v[101:102], v[127:128], v[105:106], v[101:102]
	s_waitcnt vmcnt(9)
	v_fma_f64 v[109:110], v[109:110], v[107:108], v[101:102]
	ds_read_b128 v[101:104], v100 offset:752
	ds_read_b128 v[105:108], v100 offset:768
	s_waitcnt vmcnt(8) lgkmcnt(1)
	v_fma_f64 v[101:102], v[143:144], v[101:102], v[109:110]
	s_waitcnt vmcnt(7)
	v_fma_f64 v[101:102], v[135:136], v[103:104], v[101:102]
	ds_read_b64 v[103:104], v100 offset:784
	s_waitcnt vmcnt(6) lgkmcnt(1)
	v_fma_f64 v[101:102], v[133:134], v[105:106], v[101:102]
	s_waitcnt vmcnt(3)
	v_fma_f64 v[101:102], v[111:112], v[107:108], v[101:102]
	s_waitcnt vmcnt(2) lgkmcnt(0)
	v_fma_f64 v[101:102], v[117:118], v[103:104], v[101:102]
	s_waitcnt vmcnt(0)
	v_add_f64 v[101:102], v[113:114], -v[101:102]
	buffer_store_dword v102, off, s[0:3], 0 offset:92
	buffer_store_dword v101, off, s[0:3], 0 offset:88
	v_cmpx_lt_u32_e32 10, v0
	s_cbranch_execz .LBB48_283
; %bb.282:
	s_clause 0x1
	buffer_load_dword v101, off, s[0:3], 0 offset:80
	buffer_load_dword v102, off, s[0:3], 0 offset:84
	buffer_store_dword v100, off, s[0:3], 0 offset:80
	buffer_store_dword v100, off, s[0:3], 0 offset:84
	s_waitcnt vmcnt(0)
	ds_write_b64 v99, v[101:102]
.LBB48_283:
	s_or_b32 exec_lo, exec_lo, s4
	s_waitcnt lgkmcnt(0)
	s_waitcnt_vscnt null, 0x0
	s_barrier
	buffer_gl0_inv
	s_clause 0x1c
	buffer_load_dword v109, off, s[0:3], 0 offset:88
	buffer_load_dword v110, off, s[0:3], 0 offset:92
	;; [unrolled: 1-line block ×29, first 2 shown]
	ds_read2_b64 v[101:104], v100 offset0:61 offset1:62
	ds_read2_b64 v[105:108], v100 offset0:63 offset1:64
	buffer_load_dword v134, off, s[0:3], 0 offset:204
	s_mov_b32 s4, exec_lo
	s_waitcnt vmcnt(28) lgkmcnt(1)
	v_fma_f64 v[101:102], v[109:110], v[101:102], 0
	s_clause 0x7
	buffer_load_dword v110, off, s[0:3], 0 offset:212
	buffer_load_dword v139, off, s[0:3], 0 offset:232
	buffer_load_dword v141, off, s[0:3], 0 offset:224
	buffer_load_dword v143, off, s[0:3], 0 offset:216
	buffer_load_dword v109, off, s[0:3], 0 offset:208
	buffer_load_dword v144, off, s[0:3], 0 offset:220
	buffer_load_dword v142, off, s[0:3], 0 offset:228
	buffer_load_dword v140, off, s[0:3], 0 offset:236
	s_waitcnt vmcnt(34)
	v_fma_f64 v[101:102], v[111:112], v[103:104], v[101:102]
	s_waitcnt vmcnt(32) lgkmcnt(0)
	v_fma_f64 v[101:102], v[113:114], v[105:106], v[101:102]
	s_waitcnt vmcnt(30)
	v_fma_f64 v[111:112], v[115:116], v[107:108], v[101:102]
	ds_read2_b64 v[101:104], v100 offset0:65 offset1:66
	ds_read2_b64 v[105:108], v100 offset0:67 offset1:68
	s_waitcnt vmcnt(28) lgkmcnt(1)
	v_fma_f64 v[101:102], v[117:118], v[101:102], v[111:112]
	s_clause 0x7
	buffer_load_dword v112, off, s[0:3], 0 offset:244
	buffer_load_dword v113, off, s[0:3], 0 offset:264
	buffer_load_dword v115, off, s[0:3], 0 offset:256
	buffer_load_dword v117, off, s[0:3], 0 offset:248
	buffer_load_dword v111, off, s[0:3], 0 offset:240
	buffer_load_dword v118, off, s[0:3], 0 offset:252
	buffer_load_dword v116, off, s[0:3], 0 offset:260
	buffer_load_dword v114, off, s[0:3], 0 offset:268
	s_waitcnt vmcnt(34)
	v_fma_f64 v[101:102], v[119:120], v[103:104], v[101:102]
	s_waitcnt vmcnt(32) lgkmcnt(0)
	v_fma_f64 v[101:102], v[121:122], v[105:106], v[101:102]
	s_waitcnt vmcnt(27)
	v_fma_f64 v[119:120], v[123:124], v[107:108], v[101:102]
	ds_read2_b64 v[101:104], v100 offset0:69 offset1:70
	ds_read2_b64 v[105:108], v100 offset0:71 offset1:72
	;; [unrolled: 19-line block ×5, first 2 shown]
	s_waitcnt vmcnt(26) lgkmcnt(1)
	v_fma_f64 v[101:102], v[117:118], v[101:102], v[111:112]
	s_clause 0x5
	buffer_load_dword v112, off, s[0:3], 0 offset:372
	buffer_load_dword v117, off, s[0:3], 0 offset:384
	;; [unrolled: 1-line block ×6, first 2 shown]
	s_waitcnt vmcnt(31)
	v_fma_f64 v[101:102], v[115:116], v[103:104], v[101:102]
	s_waitcnt vmcnt(30) lgkmcnt(0)
	v_fma_f64 v[101:102], v[113:114], v[105:106], v[101:102]
	s_waitcnt vmcnt(25)
	v_fma_f64 v[113:114], v[119:120], v[107:108], v[101:102]
	ds_read2_b64 v[101:104], v100 offset0:85 offset1:86
	s_clause 0x1
	buffer_load_dword v115, off, s[0:3], 0 offset:80
	buffer_load_dword v116, off, s[0:3], 0 offset:84
	ds_read2_b64 v[105:108], v100 offset0:87 offset1:88
	s_waitcnt vmcnt(26) lgkmcnt(1)
	v_fma_f64 v[101:102], v[129:130], v[101:102], v[113:114]
	s_waitcnt vmcnt(25)
	v_fma_f64 v[101:102], v[123:124], v[103:104], v[101:102]
	s_waitcnt vmcnt(24) lgkmcnt(0)
	v_fma_f64 v[101:102], v[121:122], v[105:106], v[101:102]
	s_waitcnt vmcnt(19)
	v_fma_f64 v[113:114], v[125:126], v[107:108], v[101:102]
	ds_read2_b64 v[101:104], v100 offset0:89 offset1:90
	ds_read2_b64 v[105:108], v100 offset0:91 offset1:92
	s_waitcnt vmcnt(18) lgkmcnt(1)
	v_fma_f64 v[101:102], v[137:138], v[101:102], v[113:114]
	s_waitcnt vmcnt(17)
	v_fma_f64 v[101:102], v[131:132], v[103:104], v[101:102]
	s_waitcnt vmcnt(16) lgkmcnt(0)
	v_fma_f64 v[101:102], v[127:128], v[105:106], v[101:102]
	s_waitcnt vmcnt(11)
	v_fma_f64 v[109:110], v[109:110], v[107:108], v[101:102]
	ds_read2_b64 v[101:104], v100 offset0:93 offset1:94
	;; [unrolled: 10-line block ×3, first 2 shown]
	s_waitcnt vmcnt(3) lgkmcnt(0)
	v_fma_f64 v[100:101], v[139:140], v[100:101], v[104:105]
	s_waitcnt vmcnt(2)
	v_fma_f64 v[100:101], v[117:118], v[102:103], v[100:101]
	s_waitcnt vmcnt(0)
	v_add_f64 v[100:101], v[115:116], -v[100:101]
	buffer_store_dword v101, off, s[0:3], 0 offset:84
	buffer_store_dword v100, off, s[0:3], 0 offset:80
	v_cmpx_lt_u32_e32 9, v0
	s_cbranch_execz .LBB48_285
; %bb.284:
	s_clause 0x1
	buffer_load_dword v100, off, s[0:3], 0 offset:72
	buffer_load_dword v101, off, s[0:3], 0 offset:76
	v_mov_b32_e32 v102, 0
	buffer_store_dword v102, off, s[0:3], 0 offset:72
	buffer_store_dword v102, off, s[0:3], 0 offset:76
	s_waitcnt vmcnt(0)
	ds_write_b64 v99, v[100:101]
.LBB48_285:
	s_or_b32 exec_lo, exec_lo, s4
	s_waitcnt lgkmcnt(0)
	s_waitcnt_vscnt null, 0x0
	s_barrier
	buffer_gl0_inv
	s_clause 0x1c
	buffer_load_dword v109, off, s[0:3], 0 offset:80
	buffer_load_dword v110, off, s[0:3], 0 offset:84
	;; [unrolled: 1-line block ×29, first 2 shown]
	v_mov_b32_e32 v100, 0
	buffer_load_dword v134, off, s[0:3], 0 offset:196
	s_mov_b32 s4, exec_lo
	ds_read_b128 v[101:104], v100 offset:480
	ds_read_b128 v[105:108], v100 offset:496
	s_waitcnt vmcnt(28) lgkmcnt(1)
	v_fma_f64 v[101:102], v[109:110], v[101:102], 0
	s_clause 0x7
	buffer_load_dword v110, off, s[0:3], 0 offset:204
	buffer_load_dword v139, off, s[0:3], 0 offset:224
	buffer_load_dword v141, off, s[0:3], 0 offset:216
	buffer_load_dword v143, off, s[0:3], 0 offset:208
	buffer_load_dword v109, off, s[0:3], 0 offset:200
	buffer_load_dword v144, off, s[0:3], 0 offset:212
	buffer_load_dword v142, off, s[0:3], 0 offset:220
	buffer_load_dword v140, off, s[0:3], 0 offset:228
	s_waitcnt vmcnt(34)
	v_fma_f64 v[101:102], v[111:112], v[103:104], v[101:102]
	s_waitcnt vmcnt(32) lgkmcnt(0)
	v_fma_f64 v[101:102], v[113:114], v[105:106], v[101:102]
	s_waitcnt vmcnt(30)
	v_fma_f64 v[111:112], v[115:116], v[107:108], v[101:102]
	ds_read_b128 v[101:104], v100 offset:512
	ds_read_b128 v[105:108], v100 offset:528
	s_waitcnt vmcnt(28) lgkmcnt(1)
	v_fma_f64 v[101:102], v[117:118], v[101:102], v[111:112]
	s_clause 0x7
	buffer_load_dword v112, off, s[0:3], 0 offset:236
	buffer_load_dword v113, off, s[0:3], 0 offset:256
	buffer_load_dword v115, off, s[0:3], 0 offset:248
	buffer_load_dword v117, off, s[0:3], 0 offset:240
	buffer_load_dword v111, off, s[0:3], 0 offset:232
	buffer_load_dword v118, off, s[0:3], 0 offset:244
	buffer_load_dword v116, off, s[0:3], 0 offset:252
	buffer_load_dword v114, off, s[0:3], 0 offset:260
	s_waitcnt vmcnt(34)
	v_fma_f64 v[101:102], v[119:120], v[103:104], v[101:102]
	s_waitcnt vmcnt(32) lgkmcnt(0)
	v_fma_f64 v[101:102], v[121:122], v[105:106], v[101:102]
	s_waitcnt vmcnt(27)
	v_fma_f64 v[119:120], v[123:124], v[107:108], v[101:102]
	;; [unrolled: 19-line block ×6, first 2 shown]
	ds_read_b128 v[101:104], v100 offset:672
	ds_read_b128 v[105:108], v100 offset:688
	s_waitcnt vmcnt(26) lgkmcnt(1)
	v_fma_f64 v[101:102], v[129:130], v[101:102], v[113:114]
	s_clause 0x1
	buffer_load_dword v113, off, s[0:3], 0 offset:72
	buffer_load_dword v114, off, s[0:3], 0 offset:76
	s_waitcnt vmcnt(27)
	v_fma_f64 v[101:102], v[123:124], v[103:104], v[101:102]
	s_waitcnt vmcnt(26) lgkmcnt(0)
	v_fma_f64 v[101:102], v[121:122], v[105:106], v[101:102]
	s_waitcnt vmcnt(21)
	v_fma_f64 v[115:116], v[125:126], v[107:108], v[101:102]
	ds_read_b128 v[101:104], v100 offset:704
	ds_read_b128 v[105:108], v100 offset:720
	s_waitcnt vmcnt(20) lgkmcnt(1)
	v_fma_f64 v[101:102], v[137:138], v[101:102], v[115:116]
	s_waitcnt vmcnt(19)
	v_fma_f64 v[101:102], v[131:132], v[103:104], v[101:102]
	s_waitcnt vmcnt(18) lgkmcnt(0)
	v_fma_f64 v[101:102], v[127:128], v[105:106], v[101:102]
	s_waitcnt vmcnt(13)
	v_fma_f64 v[109:110], v[109:110], v[107:108], v[101:102]
	ds_read_b128 v[101:104], v100 offset:736
	ds_read_b128 v[105:108], v100 offset:752
	s_waitcnt vmcnt(12) lgkmcnt(1)
	v_fma_f64 v[101:102], v[143:144], v[101:102], v[109:110]
	s_waitcnt vmcnt(11)
	v_fma_f64 v[101:102], v[135:136], v[103:104], v[101:102]
	s_waitcnt vmcnt(10) lgkmcnt(0)
	v_fma_f64 v[101:102], v[133:134], v[105:106], v[101:102]
	s_waitcnt vmcnt(5)
	v_fma_f64 v[105:106], v[111:112], v[107:108], v[101:102]
	ds_read_b128 v[101:104], v100 offset:768
	ds_read_b64 v[107:108], v100 offset:784
	s_waitcnt vmcnt(4) lgkmcnt(1)
	v_fma_f64 v[101:102], v[141:142], v[101:102], v[105:106]
	s_waitcnt vmcnt(3)
	v_fma_f64 v[101:102], v[139:140], v[103:104], v[101:102]
	s_waitcnt vmcnt(2) lgkmcnt(0)
	v_fma_f64 v[101:102], v[117:118], v[107:108], v[101:102]
	s_waitcnt vmcnt(0)
	v_add_f64 v[101:102], v[113:114], -v[101:102]
	buffer_store_dword v102, off, s[0:3], 0 offset:76
	buffer_store_dword v101, off, s[0:3], 0 offset:72
	v_cmpx_lt_u32_e32 8, v0
	s_cbranch_execz .LBB48_287
; %bb.286:
	s_clause 0x1
	buffer_load_dword v101, off, s[0:3], 0 offset:64
	buffer_load_dword v102, off, s[0:3], 0 offset:68
	buffer_store_dword v100, off, s[0:3], 0 offset:64
	buffer_store_dword v100, off, s[0:3], 0 offset:68
	s_waitcnt vmcnt(0)
	ds_write_b64 v99, v[101:102]
.LBB48_287:
	s_or_b32 exec_lo, exec_lo, s4
	s_waitcnt lgkmcnt(0)
	s_waitcnt_vscnt null, 0x0
	s_barrier
	buffer_gl0_inv
	s_clause 0x1c
	buffer_load_dword v109, off, s[0:3], 0 offset:72
	buffer_load_dword v110, off, s[0:3], 0 offset:76
	;; [unrolled: 1-line block ×29, first 2 shown]
	ds_read2_b64 v[101:104], v100 offset0:59 offset1:60
	ds_read2_b64 v[105:108], v100 offset0:61 offset1:62
	buffer_load_dword v134, off, s[0:3], 0 offset:188
	s_mov_b32 s4, exec_lo
	s_waitcnt vmcnt(28) lgkmcnt(1)
	v_fma_f64 v[101:102], v[109:110], v[101:102], 0
	s_clause 0x7
	buffer_load_dword v110, off, s[0:3], 0 offset:196
	buffer_load_dword v139, off, s[0:3], 0 offset:216
	buffer_load_dword v141, off, s[0:3], 0 offset:208
	buffer_load_dword v143, off, s[0:3], 0 offset:200
	buffer_load_dword v109, off, s[0:3], 0 offset:192
	buffer_load_dword v144, off, s[0:3], 0 offset:204
	buffer_load_dword v142, off, s[0:3], 0 offset:212
	buffer_load_dword v140, off, s[0:3], 0 offset:220
	s_waitcnt vmcnt(34)
	v_fma_f64 v[101:102], v[111:112], v[103:104], v[101:102]
	s_waitcnt vmcnt(32) lgkmcnt(0)
	v_fma_f64 v[101:102], v[113:114], v[105:106], v[101:102]
	s_waitcnt vmcnt(30)
	v_fma_f64 v[111:112], v[115:116], v[107:108], v[101:102]
	ds_read2_b64 v[101:104], v100 offset0:63 offset1:64
	ds_read2_b64 v[105:108], v100 offset0:65 offset1:66
	s_waitcnt vmcnt(28) lgkmcnt(1)
	v_fma_f64 v[101:102], v[117:118], v[101:102], v[111:112]
	s_clause 0x7
	buffer_load_dword v112, off, s[0:3], 0 offset:228
	buffer_load_dword v113, off, s[0:3], 0 offset:248
	buffer_load_dword v115, off, s[0:3], 0 offset:240
	buffer_load_dword v117, off, s[0:3], 0 offset:232
	buffer_load_dword v111, off, s[0:3], 0 offset:224
	buffer_load_dword v118, off, s[0:3], 0 offset:236
	buffer_load_dword v116, off, s[0:3], 0 offset:244
	buffer_load_dword v114, off, s[0:3], 0 offset:252
	s_waitcnt vmcnt(34)
	v_fma_f64 v[101:102], v[119:120], v[103:104], v[101:102]
	s_waitcnt vmcnt(32) lgkmcnt(0)
	v_fma_f64 v[101:102], v[121:122], v[105:106], v[101:102]
	s_waitcnt vmcnt(27)
	v_fma_f64 v[119:120], v[123:124], v[107:108], v[101:102]
	ds_read2_b64 v[101:104], v100 offset0:67 offset1:68
	ds_read2_b64 v[105:108], v100 offset0:69 offset1:70
	;; [unrolled: 19-line block ×6, first 2 shown]
	s_waitcnt vmcnt(26) lgkmcnt(1)
	v_fma_f64 v[101:102], v[129:130], v[101:102], v[113:114]
	s_clause 0x3
	buffer_load_dword v114, off, s[0:3], 0 offset:388
	buffer_load_dword v113, off, s[0:3], 0 offset:384
	;; [unrolled: 1-line block ×4, first 2 shown]
	s_waitcnt vmcnt(29)
	v_fma_f64 v[101:102], v[123:124], v[103:104], v[101:102]
	s_waitcnt vmcnt(28) lgkmcnt(0)
	v_fma_f64 v[101:102], v[121:122], v[105:106], v[101:102]
	s_waitcnt vmcnt(23)
	v_fma_f64 v[119:120], v[125:126], v[107:108], v[101:102]
	ds_read2_b64 v[101:104], v100 offset0:87 offset1:88
	ds_read2_b64 v[105:108], v100 offset0:89 offset1:90
	s_waitcnt vmcnt(22) lgkmcnt(1)
	v_fma_f64 v[101:102], v[137:138], v[101:102], v[119:120]
	s_waitcnt vmcnt(21)
	v_fma_f64 v[101:102], v[131:132], v[103:104], v[101:102]
	s_waitcnt vmcnt(20) lgkmcnt(0)
	v_fma_f64 v[101:102], v[127:128], v[105:106], v[101:102]
	s_waitcnt vmcnt(15)
	v_fma_f64 v[109:110], v[109:110], v[107:108], v[101:102]
	ds_read2_b64 v[101:104], v100 offset0:91 offset1:92
	ds_read2_b64 v[105:108], v100 offset0:93 offset1:94
	s_waitcnt vmcnt(14) lgkmcnt(1)
	v_fma_f64 v[101:102], v[143:144], v[101:102], v[109:110]
	;; [unrolled: 10-line block ×3, first 2 shown]
	s_waitcnt vmcnt(5)
	v_fma_f64 v[100:101], v[139:140], v[103:104], v[100:101]
	s_waitcnt vmcnt(4) lgkmcnt(0)
	v_fma_f64 v[100:101], v[117:118], v[105:106], v[100:101]
	s_waitcnt vmcnt(2)
	v_fma_f64 v[100:101], v[113:114], v[107:108], v[100:101]
	s_waitcnt vmcnt(0)
	v_add_f64 v[100:101], v[115:116], -v[100:101]
	buffer_store_dword v101, off, s[0:3], 0 offset:68
	buffer_store_dword v100, off, s[0:3], 0 offset:64
	v_cmpx_lt_u32_e32 7, v0
	s_cbranch_execz .LBB48_289
; %bb.288:
	s_clause 0x1
	buffer_load_dword v100, off, s[0:3], 0 offset:56
	buffer_load_dword v101, off, s[0:3], 0 offset:60
	v_mov_b32_e32 v102, 0
	buffer_store_dword v102, off, s[0:3], 0 offset:56
	buffer_store_dword v102, off, s[0:3], 0 offset:60
	s_waitcnt vmcnt(0)
	ds_write_b64 v99, v[100:101]
.LBB48_289:
	s_or_b32 exec_lo, exec_lo, s4
	s_waitcnt lgkmcnt(0)
	s_waitcnt_vscnt null, 0x0
	s_barrier
	buffer_gl0_inv
	s_clause 0x1c
	buffer_load_dword v109, off, s[0:3], 0 offset:64
	buffer_load_dword v110, off, s[0:3], 0 offset:68
	;; [unrolled: 1-line block ×29, first 2 shown]
	v_mov_b32_e32 v100, 0
	buffer_load_dword v134, off, s[0:3], 0 offset:180
	s_mov_b32 s4, exec_lo
	ds_read_b128 v[101:104], v100 offset:464
	ds_read_b128 v[105:108], v100 offset:480
	s_waitcnt vmcnt(28) lgkmcnt(1)
	v_fma_f64 v[101:102], v[109:110], v[101:102], 0
	s_clause 0x7
	buffer_load_dword v110, off, s[0:3], 0 offset:188
	buffer_load_dword v139, off, s[0:3], 0 offset:208
	buffer_load_dword v141, off, s[0:3], 0 offset:200
	buffer_load_dword v143, off, s[0:3], 0 offset:192
	buffer_load_dword v109, off, s[0:3], 0 offset:184
	buffer_load_dword v144, off, s[0:3], 0 offset:196
	buffer_load_dword v142, off, s[0:3], 0 offset:204
	buffer_load_dword v140, off, s[0:3], 0 offset:212
	s_waitcnt vmcnt(34)
	v_fma_f64 v[101:102], v[111:112], v[103:104], v[101:102]
	s_waitcnt vmcnt(32) lgkmcnt(0)
	v_fma_f64 v[101:102], v[113:114], v[105:106], v[101:102]
	s_waitcnt vmcnt(30)
	v_fma_f64 v[111:112], v[115:116], v[107:108], v[101:102]
	ds_read_b128 v[101:104], v100 offset:496
	ds_read_b128 v[105:108], v100 offset:512
	s_waitcnt vmcnt(28) lgkmcnt(1)
	v_fma_f64 v[101:102], v[117:118], v[101:102], v[111:112]
	s_clause 0x7
	buffer_load_dword v112, off, s[0:3], 0 offset:220
	buffer_load_dword v113, off, s[0:3], 0 offset:240
	buffer_load_dword v115, off, s[0:3], 0 offset:232
	buffer_load_dword v117, off, s[0:3], 0 offset:224
	buffer_load_dword v111, off, s[0:3], 0 offset:216
	buffer_load_dword v118, off, s[0:3], 0 offset:228
	buffer_load_dword v116, off, s[0:3], 0 offset:236
	buffer_load_dword v114, off, s[0:3], 0 offset:244
	s_waitcnt vmcnt(34)
	v_fma_f64 v[101:102], v[119:120], v[103:104], v[101:102]
	s_waitcnt vmcnt(32) lgkmcnt(0)
	v_fma_f64 v[101:102], v[121:122], v[105:106], v[101:102]
	s_waitcnt vmcnt(27)
	v_fma_f64 v[119:120], v[123:124], v[107:108], v[101:102]
	;; [unrolled: 19-line block ×6, first 2 shown]
	ds_read_b128 v[101:104], v100 offset:656
	ds_read_b128 v[105:108], v100 offset:672
	s_waitcnt vmcnt(26) lgkmcnt(1)
	v_fma_f64 v[101:102], v[129:130], v[101:102], v[113:114]
	s_clause 0x5
	buffer_load_dword v114, off, s[0:3], 0 offset:380
	buffer_load_dword v115, off, s[0:3], 0 offset:384
	;; [unrolled: 1-line block ×6, first 2 shown]
	s_waitcnt vmcnt(31)
	v_fma_f64 v[101:102], v[123:124], v[103:104], v[101:102]
	s_waitcnt vmcnt(30) lgkmcnt(0)
	v_fma_f64 v[101:102], v[121:122], v[105:106], v[101:102]
	s_waitcnt vmcnt(25)
	v_fma_f64 v[121:122], v[125:126], v[107:108], v[101:102]
	ds_read_b128 v[101:104], v100 offset:688
	ds_read_b128 v[105:108], v100 offset:704
	s_waitcnt vmcnt(24) lgkmcnt(1)
	v_fma_f64 v[101:102], v[137:138], v[101:102], v[121:122]
	s_waitcnt vmcnt(23)
	v_fma_f64 v[101:102], v[131:132], v[103:104], v[101:102]
	s_waitcnt vmcnt(22) lgkmcnt(0)
	v_fma_f64 v[101:102], v[127:128], v[105:106], v[101:102]
	s_waitcnt vmcnt(17)
	v_fma_f64 v[109:110], v[109:110], v[107:108], v[101:102]
	ds_read_b128 v[101:104], v100 offset:720
	ds_read_b128 v[105:108], v100 offset:736
	s_waitcnt vmcnt(16) lgkmcnt(1)
	v_fma_f64 v[101:102], v[143:144], v[101:102], v[109:110]
	;; [unrolled: 10-line block ×3, first 2 shown]
	s_waitcnt vmcnt(7)
	v_fma_f64 v[101:102], v[139:140], v[103:104], v[101:102]
	ds_read_b64 v[103:104], v100 offset:784
	s_waitcnt vmcnt(6) lgkmcnt(1)
	v_fma_f64 v[101:102], v[117:118], v[105:106], v[101:102]
	s_waitcnt vmcnt(3)
	v_fma_f64 v[101:102], v[113:114], v[107:108], v[101:102]
	s_waitcnt vmcnt(2) lgkmcnt(0)
	v_fma_f64 v[101:102], v[115:116], v[103:104], v[101:102]
	s_waitcnt vmcnt(0)
	v_add_f64 v[101:102], v[119:120], -v[101:102]
	buffer_store_dword v102, off, s[0:3], 0 offset:60
	buffer_store_dword v101, off, s[0:3], 0 offset:56
	v_cmpx_lt_u32_e32 6, v0
	s_cbranch_execz .LBB48_291
; %bb.290:
	s_clause 0x1
	buffer_load_dword v101, off, s[0:3], 0 offset:48
	buffer_load_dword v102, off, s[0:3], 0 offset:52
	buffer_store_dword v100, off, s[0:3], 0 offset:48
	buffer_store_dword v100, off, s[0:3], 0 offset:52
	s_waitcnt vmcnt(0)
	ds_write_b64 v99, v[101:102]
.LBB48_291:
	s_or_b32 exec_lo, exec_lo, s4
	s_waitcnt lgkmcnt(0)
	s_waitcnt_vscnt null, 0x0
	s_barrier
	buffer_gl0_inv
	s_clause 0x1c
	buffer_load_dword v109, off, s[0:3], 0 offset:56
	buffer_load_dword v110, off, s[0:3], 0 offset:60
	;; [unrolled: 1-line block ×29, first 2 shown]
	ds_read2_b64 v[101:104], v100 offset0:57 offset1:58
	ds_read2_b64 v[105:108], v100 offset0:59 offset1:60
	buffer_load_dword v134, off, s[0:3], 0 offset:172
	s_mov_b32 s4, exec_lo
	s_waitcnt vmcnt(28) lgkmcnt(1)
	v_fma_f64 v[101:102], v[109:110], v[101:102], 0
	s_clause 0x7
	buffer_load_dword v110, off, s[0:3], 0 offset:180
	buffer_load_dword v139, off, s[0:3], 0 offset:200
	buffer_load_dword v141, off, s[0:3], 0 offset:192
	buffer_load_dword v143, off, s[0:3], 0 offset:184
	buffer_load_dword v109, off, s[0:3], 0 offset:176
	buffer_load_dword v144, off, s[0:3], 0 offset:188
	buffer_load_dword v142, off, s[0:3], 0 offset:196
	buffer_load_dword v140, off, s[0:3], 0 offset:204
	s_waitcnt vmcnt(34)
	v_fma_f64 v[101:102], v[111:112], v[103:104], v[101:102]
	s_waitcnt vmcnt(32) lgkmcnt(0)
	v_fma_f64 v[101:102], v[113:114], v[105:106], v[101:102]
	s_waitcnt vmcnt(30)
	v_fma_f64 v[111:112], v[115:116], v[107:108], v[101:102]
	ds_read2_b64 v[101:104], v100 offset0:61 offset1:62
	ds_read2_b64 v[105:108], v100 offset0:63 offset1:64
	s_waitcnt vmcnt(28) lgkmcnt(1)
	v_fma_f64 v[101:102], v[117:118], v[101:102], v[111:112]
	s_clause 0x7
	buffer_load_dword v112, off, s[0:3], 0 offset:212
	buffer_load_dword v113, off, s[0:3], 0 offset:232
	buffer_load_dword v115, off, s[0:3], 0 offset:224
	buffer_load_dword v117, off, s[0:3], 0 offset:216
	buffer_load_dword v111, off, s[0:3], 0 offset:208
	buffer_load_dword v118, off, s[0:3], 0 offset:220
	buffer_load_dword v116, off, s[0:3], 0 offset:228
	buffer_load_dword v114, off, s[0:3], 0 offset:236
	s_waitcnt vmcnt(34)
	v_fma_f64 v[101:102], v[119:120], v[103:104], v[101:102]
	s_waitcnt vmcnt(32) lgkmcnt(0)
	v_fma_f64 v[101:102], v[121:122], v[105:106], v[101:102]
	s_waitcnt vmcnt(27)
	v_fma_f64 v[119:120], v[123:124], v[107:108], v[101:102]
	ds_read2_b64 v[101:104], v100 offset0:65 offset1:66
	ds_read2_b64 v[105:108], v100 offset0:67 offset1:68
	;; [unrolled: 19-line block ×6, first 2 shown]
	s_waitcnt vmcnt(26) lgkmcnt(1)
	v_fma_f64 v[101:102], v[129:130], v[101:102], v[113:114]
	s_clause 0x5
	buffer_load_dword v114, off, s[0:3], 0 offset:372
	buffer_load_dword v115, off, s[0:3], 0 offset:384
	;; [unrolled: 1-line block ×6, first 2 shown]
	s_waitcnt vmcnt(31)
	v_fma_f64 v[101:102], v[123:124], v[103:104], v[101:102]
	s_waitcnt vmcnt(30) lgkmcnt(0)
	v_fma_f64 v[101:102], v[121:122], v[105:106], v[101:102]
	s_waitcnt vmcnt(25)
	v_fma_f64 v[121:122], v[125:126], v[107:108], v[101:102]
	ds_read2_b64 v[101:104], v100 offset0:85 offset1:86
	s_clause 0x1
	buffer_load_dword v123, off, s[0:3], 0 offset:48
	buffer_load_dword v124, off, s[0:3], 0 offset:52
	ds_read2_b64 v[105:108], v100 offset0:87 offset1:88
	s_waitcnt vmcnt(26) lgkmcnt(1)
	v_fma_f64 v[101:102], v[137:138], v[101:102], v[121:122]
	s_waitcnt vmcnt(25)
	v_fma_f64 v[101:102], v[131:132], v[103:104], v[101:102]
	s_waitcnt vmcnt(24) lgkmcnt(0)
	v_fma_f64 v[101:102], v[127:128], v[105:106], v[101:102]
	s_waitcnt vmcnt(19)
	v_fma_f64 v[109:110], v[109:110], v[107:108], v[101:102]
	ds_read2_b64 v[101:104], v100 offset0:89 offset1:90
	ds_read2_b64 v[105:108], v100 offset0:91 offset1:92
	s_waitcnt vmcnt(18) lgkmcnt(1)
	v_fma_f64 v[101:102], v[143:144], v[101:102], v[109:110]
	s_waitcnt vmcnt(17)
	v_fma_f64 v[101:102], v[135:136], v[103:104], v[101:102]
	s_waitcnt vmcnt(16) lgkmcnt(0)
	v_fma_f64 v[101:102], v[133:134], v[105:106], v[101:102]
	s_waitcnt vmcnt(11)
	v_fma_f64 v[109:110], v[111:112], v[107:108], v[101:102]
	ds_read2_b64 v[101:104], v100 offset0:93 offset1:94
	;; [unrolled: 10-line block ×3, first 2 shown]
	s_waitcnt vmcnt(3) lgkmcnt(0)
	v_fma_f64 v[100:101], v[119:120], v[100:101], v[104:105]
	s_waitcnt vmcnt(2)
	v_fma_f64 v[100:101], v[115:116], v[102:103], v[100:101]
	s_waitcnt vmcnt(0)
	v_add_f64 v[100:101], v[123:124], -v[100:101]
	buffer_store_dword v101, off, s[0:3], 0 offset:52
	buffer_store_dword v100, off, s[0:3], 0 offset:48
	v_cmpx_lt_u32_e32 5, v0
	s_cbranch_execz .LBB48_293
; %bb.292:
	s_clause 0x1
	buffer_load_dword v100, off, s[0:3], 0 offset:40
	buffer_load_dword v101, off, s[0:3], 0 offset:44
	v_mov_b32_e32 v102, 0
	buffer_store_dword v102, off, s[0:3], 0 offset:40
	buffer_store_dword v102, off, s[0:3], 0 offset:44
	s_waitcnt vmcnt(0)
	ds_write_b64 v99, v[100:101]
.LBB48_293:
	s_or_b32 exec_lo, exec_lo, s4
	s_waitcnt lgkmcnt(0)
	s_waitcnt_vscnt null, 0x0
	s_barrier
	buffer_gl0_inv
	s_clause 0x1c
	buffer_load_dword v109, off, s[0:3], 0 offset:48
	buffer_load_dword v110, off, s[0:3], 0 offset:52
	;; [unrolled: 1-line block ×29, first 2 shown]
	v_mov_b32_e32 v100, 0
	buffer_load_dword v134, off, s[0:3], 0 offset:164
	s_mov_b32 s4, exec_lo
	ds_read_b128 v[101:104], v100 offset:448
	ds_read_b128 v[105:108], v100 offset:464
	s_waitcnt vmcnt(28) lgkmcnt(1)
	v_fma_f64 v[101:102], v[109:110], v[101:102], 0
	s_clause 0x7
	buffer_load_dword v110, off, s[0:3], 0 offset:172
	buffer_load_dword v139, off, s[0:3], 0 offset:192
	buffer_load_dword v141, off, s[0:3], 0 offset:184
	buffer_load_dword v143, off, s[0:3], 0 offset:176
	buffer_load_dword v109, off, s[0:3], 0 offset:168
	buffer_load_dword v144, off, s[0:3], 0 offset:180
	buffer_load_dword v142, off, s[0:3], 0 offset:188
	buffer_load_dword v140, off, s[0:3], 0 offset:196
	s_waitcnt vmcnt(34)
	v_fma_f64 v[101:102], v[111:112], v[103:104], v[101:102]
	s_waitcnt vmcnt(32) lgkmcnt(0)
	v_fma_f64 v[101:102], v[113:114], v[105:106], v[101:102]
	s_waitcnt vmcnt(30)
	v_fma_f64 v[111:112], v[115:116], v[107:108], v[101:102]
	ds_read_b128 v[101:104], v100 offset:480
	ds_read_b128 v[105:108], v100 offset:496
	s_waitcnt vmcnt(28) lgkmcnt(1)
	v_fma_f64 v[101:102], v[117:118], v[101:102], v[111:112]
	s_clause 0x7
	buffer_load_dword v112, off, s[0:3], 0 offset:204
	buffer_load_dword v113, off, s[0:3], 0 offset:224
	buffer_load_dword v115, off, s[0:3], 0 offset:216
	buffer_load_dword v117, off, s[0:3], 0 offset:208
	buffer_load_dword v111, off, s[0:3], 0 offset:200
	buffer_load_dword v118, off, s[0:3], 0 offset:212
	buffer_load_dword v116, off, s[0:3], 0 offset:220
	buffer_load_dword v114, off, s[0:3], 0 offset:228
	s_waitcnt vmcnt(34)
	v_fma_f64 v[101:102], v[119:120], v[103:104], v[101:102]
	s_waitcnt vmcnt(32) lgkmcnt(0)
	v_fma_f64 v[101:102], v[121:122], v[105:106], v[101:102]
	s_waitcnt vmcnt(27)
	v_fma_f64 v[119:120], v[123:124], v[107:108], v[101:102]
	;; [unrolled: 19-line block ×7, first 2 shown]
	ds_read_b128 v[101:104], v100 offset:672
	ds_read_b128 v[105:108], v100 offset:688
	s_waitcnt vmcnt(26) lgkmcnt(1)
	v_fma_f64 v[101:102], v[137:138], v[101:102], v[121:122]
	s_clause 0x1
	buffer_load_dword v121, off, s[0:3], 0 offset:40
	buffer_load_dword v122, off, s[0:3], 0 offset:44
	s_waitcnt vmcnt(27)
	v_fma_f64 v[101:102], v[131:132], v[103:104], v[101:102]
	s_waitcnt vmcnt(26) lgkmcnt(0)
	v_fma_f64 v[101:102], v[127:128], v[105:106], v[101:102]
	s_waitcnt vmcnt(21)
	v_fma_f64 v[109:110], v[109:110], v[107:108], v[101:102]
	ds_read_b128 v[101:104], v100 offset:704
	ds_read_b128 v[105:108], v100 offset:720
	s_waitcnt vmcnt(20) lgkmcnt(1)
	v_fma_f64 v[101:102], v[143:144], v[101:102], v[109:110]
	s_waitcnt vmcnt(19)
	v_fma_f64 v[101:102], v[135:136], v[103:104], v[101:102]
	s_waitcnt vmcnt(18) lgkmcnt(0)
	v_fma_f64 v[101:102], v[133:134], v[105:106], v[101:102]
	s_waitcnt vmcnt(13)
	v_fma_f64 v[109:110], v[111:112], v[107:108], v[101:102]
	ds_read_b128 v[101:104], v100 offset:736
	ds_read_b128 v[105:108], v100 offset:752
	s_waitcnt vmcnt(12) lgkmcnt(1)
	v_fma_f64 v[101:102], v[141:142], v[101:102], v[109:110]
	s_waitcnt vmcnt(11)
	v_fma_f64 v[101:102], v[139:140], v[103:104], v[101:102]
	s_waitcnt vmcnt(10) lgkmcnt(0)
	v_fma_f64 v[101:102], v[117:118], v[105:106], v[101:102]
	s_waitcnt vmcnt(5)
	v_fma_f64 v[105:106], v[113:114], v[107:108], v[101:102]
	ds_read_b128 v[101:104], v100 offset:768
	ds_read_b64 v[107:108], v100 offset:784
	s_waitcnt vmcnt(4) lgkmcnt(1)
	v_fma_f64 v[101:102], v[129:130], v[101:102], v[105:106]
	s_waitcnt vmcnt(3)
	v_fma_f64 v[101:102], v[119:120], v[103:104], v[101:102]
	s_waitcnt vmcnt(2) lgkmcnt(0)
	v_fma_f64 v[101:102], v[115:116], v[107:108], v[101:102]
	s_waitcnt vmcnt(0)
	v_add_f64 v[101:102], v[121:122], -v[101:102]
	buffer_store_dword v102, off, s[0:3], 0 offset:44
	buffer_store_dword v101, off, s[0:3], 0 offset:40
	v_cmpx_lt_u32_e32 4, v0
	s_cbranch_execz .LBB48_295
; %bb.294:
	s_clause 0x1
	buffer_load_dword v101, off, s[0:3], 0 offset:32
	buffer_load_dword v102, off, s[0:3], 0 offset:36
	buffer_store_dword v100, off, s[0:3], 0 offset:32
	buffer_store_dword v100, off, s[0:3], 0 offset:36
	s_waitcnt vmcnt(0)
	ds_write_b64 v99, v[101:102]
.LBB48_295:
	s_or_b32 exec_lo, exec_lo, s4
	s_waitcnt lgkmcnt(0)
	s_waitcnt_vscnt null, 0x0
	s_barrier
	buffer_gl0_inv
	s_clause 0x1c
	buffer_load_dword v109, off, s[0:3], 0 offset:40
	buffer_load_dword v110, off, s[0:3], 0 offset:44
	;; [unrolled: 1-line block ×29, first 2 shown]
	ds_read2_b64 v[101:104], v100 offset0:55 offset1:56
	ds_read2_b64 v[105:108], v100 offset0:57 offset1:58
	buffer_load_dword v134, off, s[0:3], 0 offset:156
	s_mov_b32 s4, exec_lo
	s_waitcnt vmcnt(28) lgkmcnt(1)
	v_fma_f64 v[101:102], v[109:110], v[101:102], 0
	s_clause 0x7
	buffer_load_dword v110, off, s[0:3], 0 offset:164
	buffer_load_dword v139, off, s[0:3], 0 offset:184
	buffer_load_dword v141, off, s[0:3], 0 offset:176
	buffer_load_dword v143, off, s[0:3], 0 offset:168
	buffer_load_dword v109, off, s[0:3], 0 offset:160
	buffer_load_dword v144, off, s[0:3], 0 offset:172
	buffer_load_dword v142, off, s[0:3], 0 offset:180
	buffer_load_dword v140, off, s[0:3], 0 offset:188
	s_waitcnt vmcnt(34)
	v_fma_f64 v[101:102], v[111:112], v[103:104], v[101:102]
	s_waitcnt vmcnt(32) lgkmcnt(0)
	v_fma_f64 v[101:102], v[113:114], v[105:106], v[101:102]
	s_waitcnt vmcnt(30)
	v_fma_f64 v[111:112], v[115:116], v[107:108], v[101:102]
	ds_read2_b64 v[101:104], v100 offset0:59 offset1:60
	ds_read2_b64 v[105:108], v100 offset0:61 offset1:62
	s_waitcnt vmcnt(28) lgkmcnt(1)
	v_fma_f64 v[101:102], v[117:118], v[101:102], v[111:112]
	s_clause 0x7
	buffer_load_dword v112, off, s[0:3], 0 offset:196
	buffer_load_dword v113, off, s[0:3], 0 offset:216
	buffer_load_dword v115, off, s[0:3], 0 offset:208
	buffer_load_dword v117, off, s[0:3], 0 offset:200
	buffer_load_dword v111, off, s[0:3], 0 offset:192
	buffer_load_dword v118, off, s[0:3], 0 offset:204
	buffer_load_dword v116, off, s[0:3], 0 offset:212
	buffer_load_dword v114, off, s[0:3], 0 offset:220
	s_waitcnt vmcnt(34)
	v_fma_f64 v[101:102], v[119:120], v[103:104], v[101:102]
	s_waitcnt vmcnt(32) lgkmcnt(0)
	v_fma_f64 v[101:102], v[121:122], v[105:106], v[101:102]
	s_waitcnt vmcnt(27)
	v_fma_f64 v[119:120], v[123:124], v[107:108], v[101:102]
	ds_read2_b64 v[101:104], v100 offset0:63 offset1:64
	ds_read2_b64 v[105:108], v100 offset0:65 offset1:66
	;; [unrolled: 19-line block ×7, first 2 shown]
	s_waitcnt vmcnt(26) lgkmcnt(1)
	v_fma_f64 v[101:102], v[137:138], v[101:102], v[121:122]
	s_clause 0x3
	buffer_load_dword v122, off, s[0:3], 0 offset:388
	buffer_load_dword v121, off, s[0:3], 0 offset:384
	;; [unrolled: 1-line block ×4, first 2 shown]
	s_waitcnt vmcnt(29)
	v_fma_f64 v[101:102], v[131:132], v[103:104], v[101:102]
	s_waitcnt vmcnt(28) lgkmcnt(0)
	v_fma_f64 v[101:102], v[127:128], v[105:106], v[101:102]
	s_waitcnt vmcnt(23)
	v_fma_f64 v[109:110], v[109:110], v[107:108], v[101:102]
	ds_read2_b64 v[101:104], v100 offset0:87 offset1:88
	ds_read2_b64 v[105:108], v100 offset0:89 offset1:90
	s_waitcnt vmcnt(22) lgkmcnt(1)
	v_fma_f64 v[101:102], v[143:144], v[101:102], v[109:110]
	s_waitcnt vmcnt(21)
	v_fma_f64 v[101:102], v[135:136], v[103:104], v[101:102]
	s_waitcnt vmcnt(20) lgkmcnt(0)
	v_fma_f64 v[101:102], v[133:134], v[105:106], v[101:102]
	s_waitcnt vmcnt(15)
	v_fma_f64 v[109:110], v[111:112], v[107:108], v[101:102]
	ds_read2_b64 v[101:104], v100 offset0:91 offset1:92
	ds_read2_b64 v[105:108], v100 offset0:93 offset1:94
	s_waitcnt vmcnt(14) lgkmcnt(1)
	v_fma_f64 v[101:102], v[141:142], v[101:102], v[109:110]
	;; [unrolled: 10-line block ×3, first 2 shown]
	s_waitcnt vmcnt(5)
	v_fma_f64 v[100:101], v[119:120], v[103:104], v[100:101]
	s_waitcnt vmcnt(4) lgkmcnt(0)
	v_fma_f64 v[100:101], v[115:116], v[105:106], v[100:101]
	s_waitcnt vmcnt(2)
	v_fma_f64 v[100:101], v[121:122], v[107:108], v[100:101]
	s_waitcnt vmcnt(0)
	v_add_f64 v[100:101], v[123:124], -v[100:101]
	buffer_store_dword v101, off, s[0:3], 0 offset:36
	buffer_store_dword v100, off, s[0:3], 0 offset:32
	v_cmpx_lt_u32_e32 3, v0
	s_cbranch_execz .LBB48_297
; %bb.296:
	s_clause 0x1
	buffer_load_dword v100, off, s[0:3], 0 offset:24
	buffer_load_dword v101, off, s[0:3], 0 offset:28
	v_mov_b32_e32 v102, 0
	buffer_store_dword v102, off, s[0:3], 0 offset:24
	buffer_store_dword v102, off, s[0:3], 0 offset:28
	s_waitcnt vmcnt(0)
	ds_write_b64 v99, v[100:101]
.LBB48_297:
	s_or_b32 exec_lo, exec_lo, s4
	s_waitcnt lgkmcnt(0)
	s_waitcnt_vscnt null, 0x0
	s_barrier
	buffer_gl0_inv
	s_clause 0x1c
	buffer_load_dword v109, off, s[0:3], 0 offset:32
	buffer_load_dword v110, off, s[0:3], 0 offset:36
	;; [unrolled: 1-line block ×29, first 2 shown]
	v_mov_b32_e32 v100, 0
	buffer_load_dword v134, off, s[0:3], 0 offset:148
	s_mov_b32 s4, exec_lo
	ds_read_b128 v[101:104], v100 offset:432
	ds_read_b128 v[105:108], v100 offset:448
	s_waitcnt vmcnt(28) lgkmcnt(1)
	v_fma_f64 v[101:102], v[109:110], v[101:102], 0
	s_clause 0x7
	buffer_load_dword v110, off, s[0:3], 0 offset:156
	buffer_load_dword v139, off, s[0:3], 0 offset:176
	buffer_load_dword v141, off, s[0:3], 0 offset:168
	buffer_load_dword v143, off, s[0:3], 0 offset:160
	buffer_load_dword v109, off, s[0:3], 0 offset:152
	buffer_load_dword v144, off, s[0:3], 0 offset:164
	buffer_load_dword v142, off, s[0:3], 0 offset:172
	buffer_load_dword v140, off, s[0:3], 0 offset:180
	s_waitcnt vmcnt(34)
	v_fma_f64 v[101:102], v[111:112], v[103:104], v[101:102]
	s_waitcnt vmcnt(32) lgkmcnt(0)
	v_fma_f64 v[101:102], v[113:114], v[105:106], v[101:102]
	s_waitcnt vmcnt(30)
	v_fma_f64 v[111:112], v[115:116], v[107:108], v[101:102]
	ds_read_b128 v[101:104], v100 offset:464
	ds_read_b128 v[105:108], v100 offset:480
	s_waitcnt vmcnt(28) lgkmcnt(1)
	v_fma_f64 v[101:102], v[117:118], v[101:102], v[111:112]
	s_clause 0x7
	buffer_load_dword v112, off, s[0:3], 0 offset:188
	buffer_load_dword v113, off, s[0:3], 0 offset:208
	buffer_load_dword v115, off, s[0:3], 0 offset:200
	buffer_load_dword v117, off, s[0:3], 0 offset:192
	buffer_load_dword v111, off, s[0:3], 0 offset:184
	buffer_load_dword v118, off, s[0:3], 0 offset:196
	buffer_load_dword v116, off, s[0:3], 0 offset:204
	buffer_load_dword v114, off, s[0:3], 0 offset:212
	s_waitcnt vmcnt(34)
	v_fma_f64 v[101:102], v[119:120], v[103:104], v[101:102]
	s_waitcnt vmcnt(32) lgkmcnt(0)
	v_fma_f64 v[101:102], v[121:122], v[105:106], v[101:102]
	s_waitcnt vmcnt(27)
	v_fma_f64 v[119:120], v[123:124], v[107:108], v[101:102]
	;; [unrolled: 19-line block ×7, first 2 shown]
	ds_read_b128 v[101:104], v100 offset:656
	ds_read_b128 v[105:108], v100 offset:672
	s_waitcnt vmcnt(26) lgkmcnt(1)
	v_fma_f64 v[101:102], v[137:138], v[101:102], v[121:122]
	s_clause 0x5
	buffer_load_dword v122, off, s[0:3], 0 offset:380
	buffer_load_dword v123, off, s[0:3], 0 offset:384
	;; [unrolled: 1-line block ×6, first 2 shown]
	s_waitcnt vmcnt(31)
	v_fma_f64 v[101:102], v[131:132], v[103:104], v[101:102]
	s_waitcnt vmcnt(30) lgkmcnt(0)
	v_fma_f64 v[101:102], v[127:128], v[105:106], v[101:102]
	s_waitcnt vmcnt(25)
	v_fma_f64 v[109:110], v[109:110], v[107:108], v[101:102]
	ds_read_b128 v[101:104], v100 offset:688
	ds_read_b128 v[105:108], v100 offset:704
	s_waitcnt vmcnt(24) lgkmcnt(1)
	v_fma_f64 v[101:102], v[143:144], v[101:102], v[109:110]
	s_waitcnt vmcnt(23)
	v_fma_f64 v[101:102], v[135:136], v[103:104], v[101:102]
	s_waitcnt vmcnt(22) lgkmcnt(0)
	v_fma_f64 v[101:102], v[133:134], v[105:106], v[101:102]
	s_waitcnt vmcnt(17)
	v_fma_f64 v[109:110], v[111:112], v[107:108], v[101:102]
	ds_read_b128 v[101:104], v100 offset:720
	ds_read_b128 v[105:108], v100 offset:736
	s_waitcnt vmcnt(16) lgkmcnt(1)
	v_fma_f64 v[101:102], v[141:142], v[101:102], v[109:110]
	;; [unrolled: 10-line block ×3, first 2 shown]
	s_waitcnt vmcnt(7)
	v_fma_f64 v[101:102], v[119:120], v[103:104], v[101:102]
	ds_read_b64 v[103:104], v100 offset:784
	s_waitcnt vmcnt(6) lgkmcnt(1)
	v_fma_f64 v[101:102], v[115:116], v[105:106], v[101:102]
	s_waitcnt vmcnt(3)
	v_fma_f64 v[101:102], v[121:122], v[107:108], v[101:102]
	s_waitcnt vmcnt(2) lgkmcnt(0)
	v_fma_f64 v[101:102], v[123:124], v[103:104], v[101:102]
	s_waitcnt vmcnt(0)
	v_add_f64 v[101:102], v[125:126], -v[101:102]
	buffer_store_dword v102, off, s[0:3], 0 offset:28
	buffer_store_dword v101, off, s[0:3], 0 offset:24
	v_cmpx_lt_u32_e32 2, v0
	s_cbranch_execz .LBB48_299
; %bb.298:
	s_clause 0x1
	buffer_load_dword v101, off, s[0:3], 0 offset:16
	buffer_load_dword v102, off, s[0:3], 0 offset:20
	buffer_store_dword v100, off, s[0:3], 0 offset:16
	buffer_store_dword v100, off, s[0:3], 0 offset:20
	s_waitcnt vmcnt(0)
	ds_write_b64 v99, v[101:102]
.LBB48_299:
	s_or_b32 exec_lo, exec_lo, s4
	s_waitcnt lgkmcnt(0)
	s_waitcnt_vscnt null, 0x0
	s_barrier
	buffer_gl0_inv
	s_clause 0x1c
	buffer_load_dword v109, off, s[0:3], 0 offset:24
	buffer_load_dword v110, off, s[0:3], 0 offset:28
	;; [unrolled: 1-line block ×29, first 2 shown]
	ds_read2_b64 v[101:104], v100 offset0:53 offset1:54
	ds_read2_b64 v[105:108], v100 offset0:55 offset1:56
	buffer_load_dword v134, off, s[0:3], 0 offset:140
	s_mov_b32 s4, exec_lo
	s_waitcnt vmcnt(28) lgkmcnt(1)
	v_fma_f64 v[101:102], v[109:110], v[101:102], 0
	s_clause 0x7
	buffer_load_dword v110, off, s[0:3], 0 offset:148
	buffer_load_dword v139, off, s[0:3], 0 offset:168
	buffer_load_dword v141, off, s[0:3], 0 offset:160
	buffer_load_dword v143, off, s[0:3], 0 offset:152
	buffer_load_dword v109, off, s[0:3], 0 offset:144
	buffer_load_dword v144, off, s[0:3], 0 offset:156
	buffer_load_dword v142, off, s[0:3], 0 offset:164
	buffer_load_dword v140, off, s[0:3], 0 offset:172
	s_waitcnt vmcnt(34)
	v_fma_f64 v[101:102], v[111:112], v[103:104], v[101:102]
	s_waitcnt vmcnt(32) lgkmcnt(0)
	v_fma_f64 v[101:102], v[113:114], v[105:106], v[101:102]
	s_waitcnt vmcnt(30)
	v_fma_f64 v[111:112], v[115:116], v[107:108], v[101:102]
	ds_read2_b64 v[101:104], v100 offset0:57 offset1:58
	ds_read2_b64 v[105:108], v100 offset0:59 offset1:60
	s_waitcnt vmcnt(28) lgkmcnt(1)
	v_fma_f64 v[101:102], v[117:118], v[101:102], v[111:112]
	s_clause 0x7
	buffer_load_dword v112, off, s[0:3], 0 offset:180
	buffer_load_dword v113, off, s[0:3], 0 offset:200
	buffer_load_dword v115, off, s[0:3], 0 offset:192
	buffer_load_dword v117, off, s[0:3], 0 offset:184
	buffer_load_dword v111, off, s[0:3], 0 offset:176
	buffer_load_dword v118, off, s[0:3], 0 offset:188
	buffer_load_dword v116, off, s[0:3], 0 offset:196
	buffer_load_dword v114, off, s[0:3], 0 offset:204
	s_waitcnt vmcnt(34)
	v_fma_f64 v[101:102], v[119:120], v[103:104], v[101:102]
	s_waitcnt vmcnt(32) lgkmcnt(0)
	v_fma_f64 v[101:102], v[121:122], v[105:106], v[101:102]
	s_waitcnt vmcnt(27)
	v_fma_f64 v[119:120], v[123:124], v[107:108], v[101:102]
	ds_read2_b64 v[101:104], v100 offset0:61 offset1:62
	ds_read2_b64 v[105:108], v100 offset0:63 offset1:64
	;; [unrolled: 19-line block ×7, first 2 shown]
	s_waitcnt vmcnt(26) lgkmcnt(1)
	v_fma_f64 v[101:102], v[137:138], v[101:102], v[121:122]
	s_clause 0x5
	buffer_load_dword v122, off, s[0:3], 0 offset:372
	buffer_load_dword v123, off, s[0:3], 0 offset:384
	;; [unrolled: 1-line block ×6, first 2 shown]
	s_waitcnt vmcnt(31)
	v_fma_f64 v[101:102], v[131:132], v[103:104], v[101:102]
	s_waitcnt vmcnt(30) lgkmcnt(0)
	v_fma_f64 v[101:102], v[127:128], v[105:106], v[101:102]
	s_waitcnt vmcnt(25)
	v_fma_f64 v[109:110], v[109:110], v[107:108], v[101:102]
	ds_read2_b64 v[101:104], v100 offset0:85 offset1:86
	s_clause 0x1
	buffer_load_dword v127, off, s[0:3], 0 offset:16
	buffer_load_dword v128, off, s[0:3], 0 offset:20
	ds_read2_b64 v[105:108], v100 offset0:87 offset1:88
	s_waitcnt vmcnt(26) lgkmcnt(1)
	v_fma_f64 v[101:102], v[143:144], v[101:102], v[109:110]
	s_waitcnt vmcnt(25)
	v_fma_f64 v[101:102], v[135:136], v[103:104], v[101:102]
	s_waitcnt vmcnt(24) lgkmcnt(0)
	v_fma_f64 v[101:102], v[133:134], v[105:106], v[101:102]
	s_waitcnt vmcnt(19)
	v_fma_f64 v[109:110], v[111:112], v[107:108], v[101:102]
	ds_read2_b64 v[101:104], v100 offset0:89 offset1:90
	ds_read2_b64 v[105:108], v100 offset0:91 offset1:92
	s_waitcnt vmcnt(18) lgkmcnt(1)
	v_fma_f64 v[101:102], v[141:142], v[101:102], v[109:110]
	s_waitcnt vmcnt(17)
	v_fma_f64 v[101:102], v[139:140], v[103:104], v[101:102]
	s_waitcnt vmcnt(16) lgkmcnt(0)
	v_fma_f64 v[101:102], v[117:118], v[105:106], v[101:102]
	s_waitcnt vmcnt(11)
	v_fma_f64 v[109:110], v[113:114], v[107:108], v[101:102]
	ds_read2_b64 v[101:104], v100 offset0:93 offset1:94
	;; [unrolled: 10-line block ×3, first 2 shown]
	s_waitcnt vmcnt(3) lgkmcnt(0)
	v_fma_f64 v[100:101], v[125:126], v[100:101], v[104:105]
	s_waitcnt vmcnt(2)
	v_fma_f64 v[100:101], v[123:124], v[102:103], v[100:101]
	s_waitcnt vmcnt(0)
	v_add_f64 v[100:101], v[127:128], -v[100:101]
	buffer_store_dword v101, off, s[0:3], 0 offset:20
	buffer_store_dword v100, off, s[0:3], 0 offset:16
	v_cmpx_lt_u32_e32 1, v0
	s_cbranch_execz .LBB48_301
; %bb.300:
	s_clause 0x1
	buffer_load_dword v100, off, s[0:3], 0 offset:8
	buffer_load_dword v101, off, s[0:3], 0 offset:12
	v_mov_b32_e32 v102, 0
	buffer_store_dword v102, off, s[0:3], 0 offset:8
	buffer_store_dword v102, off, s[0:3], 0 offset:12
	s_waitcnt vmcnt(0)
	ds_write_b64 v99, v[100:101]
.LBB48_301:
	s_or_b32 exec_lo, exec_lo, s4
	s_waitcnt lgkmcnt(0)
	s_waitcnt_vscnt null, 0x0
	s_barrier
	buffer_gl0_inv
	s_clause 0x1c
	buffer_load_dword v109, off, s[0:3], 0 offset:16
	buffer_load_dword v110, off, s[0:3], 0 offset:20
	;; [unrolled: 1-line block ×29, first 2 shown]
	v_mov_b32_e32 v100, 0
	buffer_load_dword v134, off, s[0:3], 0 offset:132
	s_mov_b32 s4, exec_lo
	ds_read_b128 v[101:104], v100 offset:416
	ds_read_b128 v[105:108], v100 offset:432
	s_waitcnt vmcnt(28) lgkmcnt(1)
	v_fma_f64 v[101:102], v[109:110], v[101:102], 0
	s_clause 0x7
	buffer_load_dword v110, off, s[0:3], 0 offset:140
	buffer_load_dword v139, off, s[0:3], 0 offset:160
	buffer_load_dword v141, off, s[0:3], 0 offset:152
	buffer_load_dword v143, off, s[0:3], 0 offset:144
	buffer_load_dword v109, off, s[0:3], 0 offset:136
	buffer_load_dword v144, off, s[0:3], 0 offset:148
	buffer_load_dword v142, off, s[0:3], 0 offset:156
	buffer_load_dword v140, off, s[0:3], 0 offset:164
	s_waitcnt vmcnt(34)
	v_fma_f64 v[101:102], v[111:112], v[103:104], v[101:102]
	s_waitcnt vmcnt(32) lgkmcnt(0)
	v_fma_f64 v[101:102], v[113:114], v[105:106], v[101:102]
	s_waitcnt vmcnt(30)
	v_fma_f64 v[111:112], v[115:116], v[107:108], v[101:102]
	ds_read_b128 v[101:104], v100 offset:448
	ds_read_b128 v[105:108], v100 offset:464
	s_waitcnt vmcnt(28) lgkmcnt(1)
	v_fma_f64 v[101:102], v[117:118], v[101:102], v[111:112]
	s_clause 0x7
	buffer_load_dword v112, off, s[0:3], 0 offset:172
	buffer_load_dword v113, off, s[0:3], 0 offset:192
	buffer_load_dword v115, off, s[0:3], 0 offset:184
	buffer_load_dword v117, off, s[0:3], 0 offset:176
	buffer_load_dword v111, off, s[0:3], 0 offset:168
	buffer_load_dword v118, off, s[0:3], 0 offset:180
	buffer_load_dword v116, off, s[0:3], 0 offset:188
	buffer_load_dword v114, off, s[0:3], 0 offset:196
	s_waitcnt vmcnt(34)
	v_fma_f64 v[101:102], v[119:120], v[103:104], v[101:102]
	s_waitcnt vmcnt(32) lgkmcnt(0)
	v_fma_f64 v[101:102], v[121:122], v[105:106], v[101:102]
	s_waitcnt vmcnt(27)
	v_fma_f64 v[119:120], v[123:124], v[107:108], v[101:102]
	;; [unrolled: 19-line block ×8, first 2 shown]
	ds_read_b128 v[101:104], v100 offset:672
	ds_read_b128 v[105:108], v100 offset:688
	s_waitcnt vmcnt(26) lgkmcnt(1)
	v_fma_f64 v[101:102], v[143:144], v[101:102], v[109:110]
	s_clause 0x1
	buffer_load_dword v109, off, s[0:3], 0 offset:8
	buffer_load_dword v110, off, s[0:3], 0 offset:12
	s_waitcnt vmcnt(27)
	v_fma_f64 v[101:102], v[135:136], v[103:104], v[101:102]
	s_waitcnt vmcnt(26) lgkmcnt(0)
	v_fma_f64 v[101:102], v[133:134], v[105:106], v[101:102]
	s_waitcnt vmcnt(21)
	v_fma_f64 v[111:112], v[111:112], v[107:108], v[101:102]
	ds_read_b128 v[101:104], v100 offset:704
	ds_read_b128 v[105:108], v100 offset:720
	s_waitcnt vmcnt(20) lgkmcnt(1)
	v_fma_f64 v[101:102], v[141:142], v[101:102], v[111:112]
	s_waitcnt vmcnt(19)
	v_fma_f64 v[101:102], v[139:140], v[103:104], v[101:102]
	s_waitcnt vmcnt(18) lgkmcnt(0)
	v_fma_f64 v[101:102], v[117:118], v[105:106], v[101:102]
	s_waitcnt vmcnt(13)
	v_fma_f64 v[111:112], v[113:114], v[107:108], v[101:102]
	ds_read_b128 v[101:104], v100 offset:736
	ds_read_b128 v[105:108], v100 offset:752
	s_waitcnt vmcnt(12) lgkmcnt(1)
	v_fma_f64 v[101:102], v[129:130], v[101:102], v[111:112]
	s_waitcnt vmcnt(11)
	v_fma_f64 v[101:102], v[119:120], v[103:104], v[101:102]
	s_waitcnt vmcnt(10) lgkmcnt(0)
	v_fma_f64 v[101:102], v[115:116], v[105:106], v[101:102]
	s_waitcnt vmcnt(5)
	v_fma_f64 v[105:106], v[121:122], v[107:108], v[101:102]
	ds_read_b128 v[101:104], v100 offset:768
	ds_read_b64 v[107:108], v100 offset:784
	s_waitcnt vmcnt(4) lgkmcnt(1)
	v_fma_f64 v[101:102], v[137:138], v[101:102], v[105:106]
	s_waitcnt vmcnt(3)
	v_fma_f64 v[101:102], v[125:126], v[103:104], v[101:102]
	s_waitcnt vmcnt(2) lgkmcnt(0)
	v_fma_f64 v[101:102], v[123:124], v[107:108], v[101:102]
	s_waitcnt vmcnt(0)
	v_add_f64 v[101:102], v[109:110], -v[101:102]
	buffer_store_dword v102, off, s[0:3], 0 offset:12
	buffer_store_dword v101, off, s[0:3], 0 offset:8
	v_cmpx_ne_u32_e32 0, v0
	s_cbranch_execz .LBB48_303
; %bb.302:
	s_clause 0x1
	buffer_load_dword v101, off, s[0:3], 0
	buffer_load_dword v102, off, s[0:3], 0 offset:4
	buffer_store_dword v100, off, s[0:3], 0
	buffer_store_dword v100, off, s[0:3], 0 offset:4
	s_waitcnt vmcnt(0)
	ds_write_b64 v99, v[101:102]
.LBB48_303:
	s_or_b32 exec_lo, exec_lo, s4
	s_waitcnt lgkmcnt(0)
	s_waitcnt_vscnt null, 0x0
	s_barrier
	buffer_gl0_inv
	s_clause 0x1c
	buffer_load_dword v109, off, s[0:3], 0 offset:8
	buffer_load_dword v110, off, s[0:3], 0 offset:12
	;; [unrolled: 1-line block ×29, first 2 shown]
	ds_read2_b64 v[101:104], v100 offset0:51 offset1:52
	ds_read2_b64 v[105:108], v100 offset0:53 offset1:54
	buffer_load_dword v134, off, s[0:3], 0 offset:124
	s_and_b32 vcc_lo, exec_lo, s22
	s_waitcnt vmcnt(28) lgkmcnt(1)
	v_fma_f64 v[101:102], v[109:110], v[101:102], 0
	s_clause 0x7
	buffer_load_dword v110, off, s[0:3], 0 offset:132
	buffer_load_dword v139, off, s[0:3], 0 offset:152
	buffer_load_dword v141, off, s[0:3], 0 offset:144
	buffer_load_dword v143, off, s[0:3], 0 offset:136
	buffer_load_dword v109, off, s[0:3], 0 offset:128
	buffer_load_dword v144, off, s[0:3], 0 offset:140
	buffer_load_dword v142, off, s[0:3], 0 offset:148
	buffer_load_dword v140, off, s[0:3], 0 offset:156
	s_waitcnt vmcnt(34)
	v_fma_f64 v[101:102], v[111:112], v[103:104], v[101:102]
	s_waitcnt vmcnt(32) lgkmcnt(0)
	v_fma_f64 v[101:102], v[113:114], v[105:106], v[101:102]
	s_waitcnt vmcnt(30)
	v_fma_f64 v[111:112], v[115:116], v[107:108], v[101:102]
	ds_read2_b64 v[101:104], v100 offset0:55 offset1:56
	ds_read2_b64 v[105:108], v100 offset0:57 offset1:58
	s_waitcnt vmcnt(28) lgkmcnt(1)
	v_fma_f64 v[101:102], v[117:118], v[101:102], v[111:112]
	s_clause 0x7
	buffer_load_dword v112, off, s[0:3], 0 offset:164
	buffer_load_dword v113, off, s[0:3], 0 offset:184
	buffer_load_dword v115, off, s[0:3], 0 offset:176
	buffer_load_dword v117, off, s[0:3], 0 offset:168
	buffer_load_dword v111, off, s[0:3], 0 offset:160
	buffer_load_dword v118, off, s[0:3], 0 offset:172
	buffer_load_dword v116, off, s[0:3], 0 offset:180
	buffer_load_dword v114, off, s[0:3], 0 offset:188
	s_waitcnt vmcnt(34)
	v_fma_f64 v[101:102], v[119:120], v[103:104], v[101:102]
	s_waitcnt vmcnt(32) lgkmcnt(0)
	v_fma_f64 v[101:102], v[121:122], v[105:106], v[101:102]
	s_waitcnt vmcnt(27)
	v_fma_f64 v[119:120], v[123:124], v[107:108], v[101:102]
	ds_read2_b64 v[101:104], v100 offset0:59 offset1:60
	ds_read2_b64 v[105:108], v100 offset0:61 offset1:62
	;; [unrolled: 19-line block ×7, first 2 shown]
	s_waitcnt vmcnt(26) lgkmcnt(1)
	v_fma_f64 v[121:122], v[137:138], v[101:102], v[121:122]
	s_clause 0x6
	buffer_load_dword v124, off, s[0:3], 0 offset:356
	buffer_load_dword v101, off, s[0:3], 0 offset:376
	;; [unrolled: 1-line block ×7, first 2 shown]
	s_waitcnt vmcnt(32)
	v_fma_f64 v[102:103], v[131:132], v[103:104], v[121:122]
	s_waitcnt vmcnt(31) lgkmcnt(0)
	v_fma_f64 v[102:103], v[127:128], v[105:106], v[102:103]
	s_waitcnt vmcnt(26)
	v_fma_f64 v[121:122], v[109:110], v[107:108], v[102:103]
	ds_read2_b64 v[103:106], v100 offset0:83 offset1:84
	ds_read2_b64 v[107:110], v100 offset0:85 offset1:86
	buffer_load_dword v102, off, s[0:3], 0 offset:380
	s_waitcnt vmcnt(26) lgkmcnt(1)
	v_fma_f64 v[103:104], v[143:144], v[103:104], v[121:122]
	s_clause 0x3
	buffer_load_dword v122, off, s[0:3], 0 offset:388
	buffer_load_dword v121, off, s[0:3], 0 offset:384
	buffer_load_dword v127, off, s[0:3], 0
	buffer_load_dword v128, off, s[0:3], 0 offset:4
	s_waitcnt vmcnt(29)
	v_fma_f64 v[103:104], v[135:136], v[105:106], v[103:104]
	s_waitcnt vmcnt(28) lgkmcnt(0)
	v_fma_f64 v[103:104], v[133:134], v[107:108], v[103:104]
	s_waitcnt vmcnt(23)
	v_fma_f64 v[111:112], v[111:112], v[109:110], v[103:104]
	ds_read2_b64 v[103:106], v100 offset0:87 offset1:88
	ds_read2_b64 v[107:110], v100 offset0:89 offset1:90
	s_waitcnt vmcnt(22) lgkmcnt(1)
	v_fma_f64 v[103:104], v[141:142], v[103:104], v[111:112]
	s_waitcnt vmcnt(21)
	v_fma_f64 v[103:104], v[139:140], v[105:106], v[103:104]
	s_waitcnt vmcnt(20) lgkmcnt(0)
	v_fma_f64 v[103:104], v[117:118], v[107:108], v[103:104]
	s_waitcnt vmcnt(15)
	v_fma_f64 v[111:112], v[113:114], v[109:110], v[103:104]
	ds_read2_b64 v[103:106], v100 offset0:91 offset1:92
	ds_read2_b64 v[107:110], v100 offset0:93 offset1:94
	s_waitcnt vmcnt(14) lgkmcnt(1)
	v_fma_f64 v[103:104], v[129:130], v[103:104], v[111:112]
	;; [unrolled: 10-line block ×3, first 2 shown]
	s_waitcnt vmcnt(5)
	v_fma_f64 v[99:100], v[125:126], v[105:106], v[99:100]
	s_waitcnt vmcnt(4) lgkmcnt(0)
	v_fma_f64 v[99:100], v[101:102], v[107:108], v[99:100]
	s_waitcnt vmcnt(2)
	v_fma_f64 v[99:100], v[121:122], v[109:110], v[99:100]
	s_waitcnt vmcnt(0)
	v_add_f64 v[99:100], v[127:128], -v[99:100]
	buffer_store_dword v100, off, s[0:3], 0 offset:4
	buffer_store_dword v99, off, s[0:3], 0
	s_cbranch_vccz .LBB48_400
; %bb.304:
	v_mov_b32_e32 v0, 0
	global_load_dword v99, v0, s[20:21] offset:188
	s_waitcnt vmcnt(0)
	v_add_nc_u32_e32 v99, -1, v99
	v_cmp_ne_u32_e32 vcc_lo, 47, v99
	s_cbranch_vccz .LBB48_306
; %bb.305:
	v_lshlrev_b32_e32 v99, 3, v99
	s_clause 0x1
	buffer_load_dword v100, v99, s[0:3], 0 offen
	buffer_load_dword v103, v99, s[0:3], 0 offen offset:4
	s_waitcnt vmcnt(1)
	buffer_store_dword v100, off, s[0:3], 0 offset:376
	s_waitcnt vmcnt(0)
	buffer_store_dword v103, off, s[0:3], 0 offset:380
	buffer_store_dword v101, v99, s[0:3], 0 offen
	buffer_store_dword v102, v99, s[0:3], 0 offen offset:4
.LBB48_306:
	global_load_dword v0, v0, s[20:21] offset:184
	s_waitcnt vmcnt(0)
	v_add_nc_u32_e32 v0, -1, v0
	v_cmp_eq_u32_e32 vcc_lo, 46, v0
	s_cbranch_vccnz .LBB48_308
; %bb.307:
	v_lshlrev_b32_e32 v0, 3, v0
	s_clause 0x3
	buffer_load_dword v99, v0, s[0:3], 0 offen
	buffer_load_dword v100, v0, s[0:3], 0 offen offset:4
	buffer_load_dword v101, off, s[0:3], 0 offset:372
	buffer_load_dword v102, off, s[0:3], 0 offset:368
	s_waitcnt vmcnt(3)
	buffer_store_dword v99, off, s[0:3], 0 offset:368
	s_waitcnt vmcnt(2)
	buffer_store_dword v100, off, s[0:3], 0 offset:372
	s_waitcnt vmcnt(1)
	buffer_store_dword v101, v0, s[0:3], 0 offen offset:4
	s_waitcnt vmcnt(0)
	buffer_store_dword v102, v0, s[0:3], 0 offen
.LBB48_308:
	v_mov_b32_e32 v0, 0
	global_load_dword v99, v0, s[20:21] offset:180
	s_waitcnt vmcnt(0)
	v_add_nc_u32_e32 v99, -1, v99
	v_cmp_eq_u32_e32 vcc_lo, 45, v99
	s_cbranch_vccnz .LBB48_310
; %bb.309:
	v_lshlrev_b32_e32 v99, 3, v99
	s_clause 0x3
	buffer_load_dword v100, v99, s[0:3], 0 offen
	buffer_load_dword v101, v99, s[0:3], 0 offen offset:4
	buffer_load_dword v102, off, s[0:3], 0 offset:360
	buffer_load_dword v103, off, s[0:3], 0 offset:364
	s_waitcnt vmcnt(3)
	buffer_store_dword v100, off, s[0:3], 0 offset:360
	s_waitcnt vmcnt(2)
	buffer_store_dword v101, off, s[0:3], 0 offset:364
	s_waitcnt vmcnt(1)
	buffer_store_dword v102, v99, s[0:3], 0 offen
	s_waitcnt vmcnt(0)
	buffer_store_dword v103, v99, s[0:3], 0 offen offset:4
.LBB48_310:
	global_load_dword v0, v0, s[20:21] offset:176
	s_waitcnt vmcnt(0)
	v_add_nc_u32_e32 v0, -1, v0
	v_cmp_eq_u32_e32 vcc_lo, 44, v0
	s_cbranch_vccnz .LBB48_312
; %bb.311:
	v_lshlrev_b32_e32 v0, 3, v0
	s_clause 0x3
	buffer_load_dword v99, v0, s[0:3], 0 offen
	buffer_load_dword v100, v0, s[0:3], 0 offen offset:4
	buffer_load_dword v101, off, s[0:3], 0 offset:356
	buffer_load_dword v102, off, s[0:3], 0 offset:352
	s_waitcnt vmcnt(3)
	buffer_store_dword v99, off, s[0:3], 0 offset:352
	s_waitcnt vmcnt(2)
	buffer_store_dword v100, off, s[0:3], 0 offset:356
	s_waitcnt vmcnt(1)
	buffer_store_dword v101, v0, s[0:3], 0 offen offset:4
	s_waitcnt vmcnt(0)
	buffer_store_dword v102, v0, s[0:3], 0 offen
.LBB48_312:
	v_mov_b32_e32 v0, 0
	global_load_dword v99, v0, s[20:21] offset:172
	s_waitcnt vmcnt(0)
	v_add_nc_u32_e32 v99, -1, v99
	v_cmp_eq_u32_e32 vcc_lo, 43, v99
	s_cbranch_vccnz .LBB48_314
; %bb.313:
	v_lshlrev_b32_e32 v99, 3, v99
	s_clause 0x3
	buffer_load_dword v100, v99, s[0:3], 0 offen
	buffer_load_dword v101, v99, s[0:3], 0 offen offset:4
	buffer_load_dword v102, off, s[0:3], 0 offset:344
	buffer_load_dword v103, off, s[0:3], 0 offset:348
	s_waitcnt vmcnt(3)
	buffer_store_dword v100, off, s[0:3], 0 offset:344
	s_waitcnt vmcnt(2)
	buffer_store_dword v101, off, s[0:3], 0 offset:348
	s_waitcnt vmcnt(1)
	buffer_store_dword v102, v99, s[0:3], 0 offen
	s_waitcnt vmcnt(0)
	buffer_store_dword v103, v99, s[0:3], 0 offen offset:4
.LBB48_314:
	;; [unrolled: 43-line block ×23, first 2 shown]
	global_load_dword v0, v0, s[20:21]
	s_clause 0x1
	buffer_load_dword v99, off, s[0:3], 0
	buffer_load_dword v100, off, s[0:3], 0 offset:4
	s_waitcnt vmcnt(2)
	v_add_nc_u32_e32 v0, -1, v0
	v_cmp_eq_u32_e32 vcc_lo, 0, v0
	s_cbranch_vccnz .LBB48_400
; %bb.399:
	v_lshlrev_b32_e32 v0, 3, v0
	s_clause 0x1
	buffer_load_dword v101, v0, s[0:3], 0 offen offset:4
	buffer_load_dword v102, v0, s[0:3], 0 offen
	s_waitcnt vmcnt(1)
	buffer_store_dword v101, off, s[0:3], 0 offset:4
	s_waitcnt vmcnt(0)
	buffer_store_dword v102, off, s[0:3], 0
	buffer_store_dword v100, v0, s[0:3], 0 offen offset:4
	buffer_store_dword v99, v0, s[0:3], 0 offen
	s_clause 0x1
	buffer_load_dword v99, off, s[0:3], 0
	buffer_load_dword v100, off, s[0:3], 0 offset:4
.LBB48_400:
	s_clause 0x19
	buffer_load_dword v101, off, s[0:3], 0 offset:8
	buffer_load_dword v102, off, s[0:3], 0 offset:12
	;; [unrolled: 1-line block ×26, first 2 shown]
	s_waitcnt vmcnt(26)
	global_store_dwordx2 v[91:92], v[99:100], off
	s_clause 0xd
	buffer_load_dword v91, off, s[0:3], 0 offset:112
	buffer_load_dword v92, off, s[0:3], 0 offset:116
	;; [unrolled: 1-line block ×14, first 2 shown]
	s_waitcnt vmcnt(38)
	global_store_dwordx2 v[71:72], v[101:102], off
	s_clause 0x7
	buffer_load_dword v71, off, s[0:3], 0 offset:168
	buffer_load_dword v72, off, s[0:3], 0 offset:172
	buffer_load_dword v101, off, s[0:3], 0 offset:176
	buffer_load_dword v102, off, s[0:3], 0 offset:180
	buffer_load_dword v137, off, s[0:3], 0 offset:184
	buffer_load_dword v138, off, s[0:3], 0 offset:188
	buffer_load_dword v139, off, s[0:3], 0 offset:192
	buffer_load_dword v140, off, s[0:3], 0 offset:196
	s_waitcnt vmcnt(44)
	global_store_dwordx2 v[47:48], v[103:104], off
	s_waitcnt vmcnt(42)
	global_store_dwordx2 v[51:52], v[105:106], off
	s_clause 0x7
	buffer_load_dword v47, off, s[0:3], 0 offset:200
	buffer_load_dword v48, off, s[0:3], 0 offset:204
	buffer_load_dword v51, off, s[0:3], 0 offset:208
	buffer_load_dword v52, off, s[0:3], 0 offset:212
	buffer_load_dword v103, off, s[0:3], 0 offset:216
	buffer_load_dword v104, off, s[0:3], 0 offset:220
	buffer_load_dword v105, off, s[0:3], 0 offset:224
	buffer_load_dword v106, off, s[0:3], 0 offset:228
	s_waitcnt vmcnt(48)
	global_store_dwordx2 v[35:36], v[107:108], off
	;; [unrolled: 13-line block ×6, first 2 shown]
	global_store_dwordx2 v[11:12], v[125:126], off
	s_clause 0x7
	buffer_load_dword v7, off, s[0:3], 0 offset:360
	buffer_load_dword v8, off, s[0:3], 0 offset:364
	;; [unrolled: 1-line block ×8, first 2 shown]
	s_waitcnt vmcnt(62)
	global_store_dwordx2 v[1:2], v[91:92], off
	global_store_dwordx2 v[3:4], v[99:100], off
	;; [unrolled: 1-line block ×4, first 2 shown]
	s_waitcnt vmcnt(60)
	global_store_dwordx2 v[13:14], v[131:132], off
	s_waitcnt vmcnt(58)
	global_store_dwordx2 v[15:16], v[133:134], off
	;; [unrolled: 2-line block ×31, first 2 shown]
	s_endpgm
	.section	.rodata,"a",@progbits
	.p2align	6, 0x0
	.amdhsa_kernel _ZN9rocsolver6v33100L18getri_kernel_smallILi49EdPdEEvT1_iilPiilS4_bb
		.amdhsa_group_segment_fixed_size 792
		.amdhsa_private_segment_fixed_size 400
		.amdhsa_kernarg_size 60
		.amdhsa_user_sgpr_count 6
		.amdhsa_user_sgpr_private_segment_buffer 1
		.amdhsa_user_sgpr_dispatch_ptr 0
		.amdhsa_user_sgpr_queue_ptr 0
		.amdhsa_user_sgpr_kernarg_segment_ptr 1
		.amdhsa_user_sgpr_dispatch_id 0
		.amdhsa_user_sgpr_flat_scratch_init 0
		.amdhsa_user_sgpr_private_segment_size 0
		.amdhsa_wavefront_size32 1
		.amdhsa_uses_dynamic_stack 0
		.amdhsa_system_sgpr_private_segment_wavefront_offset 1
		.amdhsa_system_sgpr_workgroup_id_x 1
		.amdhsa_system_sgpr_workgroup_id_y 0
		.amdhsa_system_sgpr_workgroup_id_z 0
		.amdhsa_system_sgpr_workgroup_info 0
		.amdhsa_system_vgpr_workitem_id 0
		.amdhsa_next_free_vgpr 145
		.amdhsa_next_free_sgpr 23
		.amdhsa_reserve_vcc 1
		.amdhsa_reserve_flat_scratch 0
		.amdhsa_float_round_mode_32 0
		.amdhsa_float_round_mode_16_64 0
		.amdhsa_float_denorm_mode_32 3
		.amdhsa_float_denorm_mode_16_64 3
		.amdhsa_dx10_clamp 1
		.amdhsa_ieee_mode 1
		.amdhsa_fp16_overflow 0
		.amdhsa_workgroup_processor_mode 1
		.amdhsa_memory_ordered 1
		.amdhsa_forward_progress 1
		.amdhsa_shared_vgpr_count 0
		.amdhsa_exception_fp_ieee_invalid_op 0
		.amdhsa_exception_fp_denorm_src 0
		.amdhsa_exception_fp_ieee_div_zero 0
		.amdhsa_exception_fp_ieee_overflow 0
		.amdhsa_exception_fp_ieee_underflow 0
		.amdhsa_exception_fp_ieee_inexact 0
		.amdhsa_exception_int_div_zero 0
	.end_amdhsa_kernel
	.section	.text._ZN9rocsolver6v33100L18getri_kernel_smallILi49EdPdEEvT1_iilPiilS4_bb,"axG",@progbits,_ZN9rocsolver6v33100L18getri_kernel_smallILi49EdPdEEvT1_iilPiilS4_bb,comdat
.Lfunc_end48:
	.size	_ZN9rocsolver6v33100L18getri_kernel_smallILi49EdPdEEvT1_iilPiilS4_bb, .Lfunc_end48-_ZN9rocsolver6v33100L18getri_kernel_smallILi49EdPdEEvT1_iilPiilS4_bb
                                        ; -- End function
	.set _ZN9rocsolver6v33100L18getri_kernel_smallILi49EdPdEEvT1_iilPiilS4_bb.num_vgpr, 145
	.set _ZN9rocsolver6v33100L18getri_kernel_smallILi49EdPdEEvT1_iilPiilS4_bb.num_agpr, 0
	.set _ZN9rocsolver6v33100L18getri_kernel_smallILi49EdPdEEvT1_iilPiilS4_bb.numbered_sgpr, 23
	.set _ZN9rocsolver6v33100L18getri_kernel_smallILi49EdPdEEvT1_iilPiilS4_bb.num_named_barrier, 0
	.set _ZN9rocsolver6v33100L18getri_kernel_smallILi49EdPdEEvT1_iilPiilS4_bb.private_seg_size, 400
	.set _ZN9rocsolver6v33100L18getri_kernel_smallILi49EdPdEEvT1_iilPiilS4_bb.uses_vcc, 1
	.set _ZN9rocsolver6v33100L18getri_kernel_smallILi49EdPdEEvT1_iilPiilS4_bb.uses_flat_scratch, 0
	.set _ZN9rocsolver6v33100L18getri_kernel_smallILi49EdPdEEvT1_iilPiilS4_bb.has_dyn_sized_stack, 0
	.set _ZN9rocsolver6v33100L18getri_kernel_smallILi49EdPdEEvT1_iilPiilS4_bb.has_recursion, 0
	.set _ZN9rocsolver6v33100L18getri_kernel_smallILi49EdPdEEvT1_iilPiilS4_bb.has_indirect_call, 0
	.section	.AMDGPU.csdata,"",@progbits
; Kernel info:
; codeLenInByte = 65972
; TotalNumSgprs: 25
; NumVgprs: 145
; ScratchSize: 400
; MemoryBound: 1
; FloatMode: 240
; IeeeMode: 1
; LDSByteSize: 792 bytes/workgroup (compile time only)
; SGPRBlocks: 0
; VGPRBlocks: 18
; NumSGPRsForWavesPerEU: 25
; NumVGPRsForWavesPerEU: 145
; Occupancy: 6
; WaveLimiterHint : 1
; COMPUTE_PGM_RSRC2:SCRATCH_EN: 1
; COMPUTE_PGM_RSRC2:USER_SGPR: 6
; COMPUTE_PGM_RSRC2:TRAP_HANDLER: 0
; COMPUTE_PGM_RSRC2:TGID_X_EN: 1
; COMPUTE_PGM_RSRC2:TGID_Y_EN: 0
; COMPUTE_PGM_RSRC2:TGID_Z_EN: 0
; COMPUTE_PGM_RSRC2:TIDIG_COMP_CNT: 0
	.section	.text._ZN9rocsolver6v33100L18getri_kernel_smallILi50EdPdEEvT1_iilPiilS4_bb,"axG",@progbits,_ZN9rocsolver6v33100L18getri_kernel_smallILi50EdPdEEvT1_iilPiilS4_bb,comdat
	.globl	_ZN9rocsolver6v33100L18getri_kernel_smallILi50EdPdEEvT1_iilPiilS4_bb ; -- Begin function _ZN9rocsolver6v33100L18getri_kernel_smallILi50EdPdEEvT1_iilPiilS4_bb
	.p2align	8
	.type	_ZN9rocsolver6v33100L18getri_kernel_smallILi50EdPdEEvT1_iilPiilS4_bb,@function
_ZN9rocsolver6v33100L18getri_kernel_smallILi50EdPdEEvT1_iilPiilS4_bb: ; @_ZN9rocsolver6v33100L18getri_kernel_smallILi50EdPdEEvT1_iilPiilS4_bb
; %bb.0:
	s_add_u32 s0, s0, s7
	s_addc_u32 s1, s1, 0
	s_mov_b32 s7, exec_lo
	v_cmpx_gt_u32_e32 50, v0
	s_cbranch_execz .LBB49_210
; %bb.1:
	s_clause 0x2
	s_load_dword s7, s[4:5], 0x38
	s_load_dwordx4 s[16:19], s[4:5], 0x10
	s_load_dwordx4 s[8:11], s[4:5], 0x28
                                        ; implicit-def: $sgpr20_sgpr21
	s_waitcnt lgkmcnt(0)
	s_bitcmp1_b32 s7, 8
	s_cselect_b32 s22, -1, 0
	s_bfe_u32 s12, s7, 0x10008
	s_ashr_i32 s7, s6, 31
	s_cmp_eq_u32 s12, 0
	s_cbranch_scc1 .LBB49_3
; %bb.2:
	s_load_dword s12, s[4:5], 0x20
	s_mul_i32 s13, s8, s7
	s_mul_hi_u32 s14, s8, s6
	s_mul_i32 s9, s9, s6
	s_add_i32 s13, s14, s13
	s_mul_i32 s8, s8, s6
	s_add_i32 s9, s13, s9
	s_lshl_b64 s[8:9], s[8:9], 2
	s_waitcnt lgkmcnt(0)
	s_ashr_i32 s13, s12, 31
	s_add_u32 s14, s18, s8
	s_addc_u32 s15, s19, s9
	s_lshl_b64 s[8:9], s[12:13], 2
	s_add_u32 s20, s14, s8
	s_addc_u32 s21, s15, s9
.LBB49_3:
	s_clause 0x1
	s_load_dwordx4 s[12:15], s[4:5], 0x0
	s_load_dword s8, s[4:5], 0x38
	s_mul_i32 s4, s16, s7
	s_mul_hi_u32 s5, s16, s6
	s_mul_i32 s9, s17, s6
	s_add_i32 s5, s5, s4
	s_mul_i32 s4, s16, s6
	s_add_i32 s5, s5, s9
	v_lshlrev_b32_e32 v103, 3, v0
	s_lshl_b64 s[4:5], s[4:5], 3
	s_waitcnt lgkmcnt(0)
	v_add3_u32 v1, s15, s15, v0
	s_ashr_i32 s17, s14, 31
	s_mov_b32 s16, s14
	s_add_u32 s9, s12, s4
	s_addc_u32 s13, s13, s5
	v_add_nc_u32_e32 v3, s15, v1
	v_ashrrev_i32_e32 v2, 31, v1
	s_lshl_b64 s[4:5], s[16:17], 3
	s_mov_b32 s12, s15
	s_add_u32 s4, s9, s4
	v_add_nc_u32_e32 v5, s15, v3
	v_ashrrev_i32_e32 v4, 31, v3
	v_lshlrev_b64 v[1:2], 3, v[1:2]
	s_addc_u32 s5, s13, s5
	v_add_co_u32 v99, s9, s4, v103
	v_ashrrev_i32_e32 v6, 31, v5
	v_add_nc_u32_e32 v7, s15, v5
	v_lshlrev_b64 v[3:4], 3, v[3:4]
	v_add_co_u32 v67, vcc_lo, s4, v1
	v_add_co_ci_u32_e64 v68, null, s5, v2, vcc_lo
	v_lshlrev_b64 v[1:2], 3, v[5:6]
	v_ashrrev_i32_e32 v8, 31, v7
	v_add_nc_u32_e32 v5, s15, v7
	v_add_co_u32 v49, vcc_lo, s4, v3
	v_add_co_ci_u32_e64 v50, null, s5, v4, vcc_lo
	v_lshlrev_b64 v[3:4], 3, v[7:8]
	v_ashrrev_i32_e32 v6, 31, v5
	v_add_nc_u32_e32 v7, s15, v5
	s_ashr_i32 s13, s15, 31
	v_add_co_u32 v53, vcc_lo, s4, v1
	v_add_co_ci_u32_e64 v100, null, s5, 0, s9
	s_lshl_b64 s[12:13], s[12:13], 3
	v_add_co_ci_u32_e64 v54, null, s5, v2, vcc_lo
	v_lshlrev_b64 v[1:2], 3, v[5:6]
	v_ashrrev_i32_e32 v8, 31, v7
	v_add_nc_u32_e32 v5, s15, v7
	v_add_co_u32 v77, vcc_lo, v99, s12
	v_add_co_ci_u32_e64 v78, null, s13, v100, vcc_lo
	v_add_co_u32 v37, vcc_lo, s4, v3
	v_add_co_ci_u32_e64 v38, null, s5, v4, vcc_lo
	v_lshlrev_b64 v[3:4], 3, v[7:8]
	v_ashrrev_i32_e32 v6, 31, v5
	v_add_nc_u32_e32 v7, s15, v5
	v_add_co_u32 v41, vcc_lo, s4, v1
	v_add_co_ci_u32_e64 v42, null, s5, v2, vcc_lo
	v_lshlrev_b64 v[1:2], 3, v[5:6]
	v_ashrrev_i32_e32 v8, 31, v7
	v_add_nc_u32_e32 v5, s15, v7
	v_add_co_u32 v19, vcc_lo, s4, v3
	v_add_co_ci_u32_e64 v20, null, s5, v4, vcc_lo
	v_lshlrev_b64 v[3:4], 3, v[7:8]
	v_add_nc_u32_e32 v7, s15, v5
	v_ashrrev_i32_e32 v6, 31, v5
	v_add_co_u32 v27, vcc_lo, s4, v1
	v_add_co_ci_u32_e64 v28, null, s5, v2, vcc_lo
	v_ashrrev_i32_e32 v8, 31, v7
	v_lshlrev_b64 v[1:2], 3, v[5:6]
	v_add_co_u32 v21, vcc_lo, s4, v3
	v_add_co_ci_u32_e64 v22, null, s5, v4, vcc_lo
	v_lshlrev_b64 v[3:4], 3, v[7:8]
	v_add_co_u32 v25, vcc_lo, s4, v1
	s_clause 0x1
	global_load_dwordx2 v[95:96], v103, s[4:5]
	global_load_dwordx2 v[97:98], v[77:78], off
	v_add_co_ci_u32_e64 v26, null, s5, v2, vcc_lo
	v_add_co_u32 v1, vcc_lo, s4, v3
	s_clause 0x1
	global_load_dwordx2 v[101:102], v[67:68], off
	global_load_dwordx2 v[104:105], v[49:50], off
	v_add_co_ci_u32_e64 v2, null, s5, v4, vcc_lo
	s_clause 0x7
	global_load_dwordx2 v[106:107], v[53:54], off
	global_load_dwordx2 v[108:109], v[37:38], off
	;; [unrolled: 1-line block ×8, first 2 shown]
	v_add_nc_u32_e32 v3, s15, v7
	s_bitcmp0_b32 s8, 0
	s_waitcnt vmcnt(11)
	buffer_store_dword v96, off, s[0:3], 0 offset:4
	buffer_store_dword v95, off, s[0:3], 0
	v_add_nc_u32_e32 v5, s15, v3
	v_ashrrev_i32_e32 v4, 31, v3
	v_add_nc_u32_e32 v7, s15, v5
	v_lshlrev_b64 v[3:4], 3, v[3:4]
	v_ashrrev_i32_e32 v6, 31, v5
	v_ashrrev_i32_e32 v8, 31, v7
	v_add_nc_u32_e32 v9, s15, v7
	v_add_co_u32 v13, vcc_lo, s4, v3
	v_add_co_ci_u32_e64 v14, null, s5, v4, vcc_lo
	v_lshlrev_b64 v[3:4], 3, v[7:8]
	v_add_nc_u32_e32 v7, s15, v9
	v_ashrrev_i32_e32 v10, 31, v9
	v_lshlrev_b64 v[5:6], 3, v[5:6]
	v_add_nc_u32_e32 v15, s15, v7
	v_lshlrev_b64 v[11:12], 3, v[9:10]
	v_ashrrev_i32_e32 v8, 31, v7
	v_add_co_u32 v5, vcc_lo, s4, v5
	v_ashrrev_i32_e32 v16, 31, v15
	v_add_nc_u32_e32 v17, s15, v15
	v_add_co_ci_u32_e64 v6, null, s5, v6, vcc_lo
	v_add_co_u32 v9, vcc_lo, s4, v3
	v_add_co_ci_u32_e64 v10, null, s5, v4, vcc_lo
	v_add_co_u32 v3, vcc_lo, s4, v11
	v_add_co_ci_u32_e64 v4, null, s5, v12, vcc_lo
	v_lshlrev_b64 v[11:12], 3, v[15:16]
	v_add_nc_u32_e32 v15, s15, v17
	v_ashrrev_i32_e32 v18, 31, v17
	v_lshlrev_b64 v[7:8], 3, v[7:8]
	v_add_nc_u32_e32 v23, s15, v15
	v_ashrrev_i32_e32 v16, 31, v15
	v_lshlrev_b64 v[17:18], 3, v[17:18]
	v_add_co_u32 v7, vcc_lo, s4, v7
	v_add_nc_u32_e32 v31, s15, v23
	v_lshlrev_b64 v[29:30], 3, v[15:16]
	v_add_co_ci_u32_e64 v8, null, s5, v8, vcc_lo
	v_add_co_u32 v11, vcc_lo, s4, v11
	v_ashrrev_i32_e32 v32, 31, v31
	v_add_nc_u32_e32 v33, s15, v31
	v_add_co_ci_u32_e64 v12, null, s5, v12, vcc_lo
	v_add_co_u32 v15, vcc_lo, s4, v17
	v_add_co_ci_u32_e64 v16, null, s5, v18, vcc_lo
	v_add_co_u32 v17, vcc_lo, s4, v29
	v_add_co_ci_u32_e64 v18, null, s5, v30, vcc_lo
	v_lshlrev_b64 v[29:30], 3, v[31:32]
	v_add_nc_u32_e32 v31, s15, v33
	v_ashrrev_i32_e32 v24, 31, v23
	v_ashrrev_i32_e32 v34, 31, v33
	v_add_nc_u32_e32 v35, s15, v31
	v_lshlrev_b64 v[23:24], 3, v[23:24]
	v_ashrrev_i32_e32 v32, 31, v31
	v_lshlrev_b64 v[33:34], 3, v[33:34]
	v_add_nc_u32_e32 v43, s15, v35
	v_ashrrev_i32_e32 v36, 31, v35
	v_add_co_u32 v23, vcc_lo, s4, v23
	v_lshlrev_b64 v[39:40], 3, v[31:32]
	v_add_co_ci_u32_e64 v24, null, s5, v24, vcc_lo
	v_add_co_u32 v29, vcc_lo, s4, v29
	v_ashrrev_i32_e32 v44, 31, v43
	v_add_nc_u32_e32 v45, s15, v43
	v_add_co_ci_u32_e64 v30, null, s5, v30, vcc_lo
	v_add_co_u32 v31, vcc_lo, s4, v33
	v_add_co_ci_u32_e64 v32, null, s5, v34, vcc_lo
	v_add_co_u32 v33, vcc_lo, s4, v39
	v_add_co_ci_u32_e64 v34, null, s5, v40, vcc_lo
	v_lshlrev_b64 v[39:40], 3, v[43:44]
	v_add_nc_u32_e32 v43, s15, v45
	v_ashrrev_i32_e32 v46, 31, v45
	v_lshlrev_b64 v[35:36], 3, v[35:36]
	v_add_nc_u32_e32 v47, s15, v43
	v_ashrrev_i32_e32 v44, 31, v43
	v_lshlrev_b64 v[45:46], 3, v[45:46]
	v_add_co_u32 v35, vcc_lo, s4, v35
	v_add_nc_u32_e32 v55, s15, v47
	v_lshlrev_b64 v[51:52], 3, v[43:44]
	v_add_co_ci_u32_e64 v36, null, s5, v36, vcc_lo
	v_add_co_u32 v39, vcc_lo, s4, v39
	v_ashrrev_i32_e32 v56, 31, v55
	v_add_nc_u32_e32 v57, s15, v55
	v_add_co_ci_u32_e64 v40, null, s5, v40, vcc_lo
	v_add_co_u32 v43, vcc_lo, s4, v45
	v_add_co_ci_u32_e64 v44, null, s5, v46, vcc_lo
	v_add_co_u32 v45, vcc_lo, s4, v51
	v_add_co_ci_u32_e64 v46, null, s5, v52, vcc_lo
	v_lshlrev_b64 v[51:52], 3, v[55:56]
	v_add_nc_u32_e32 v55, s15, v57
	v_ashrrev_i32_e32 v48, 31, v47
	v_ashrrev_i32_e32 v58, 31, v57
	v_add_nc_u32_e32 v59, s15, v55
	v_lshlrev_b64 v[47:48], 3, v[47:48]
	v_ashrrev_i32_e32 v56, 31, v55
	v_lshlrev_b64 v[57:58], 3, v[57:58]
	v_add_nc_u32_e32 v63, s15, v59
	v_ashrrev_i32_e32 v60, 31, v59
	v_add_co_u32 v47, vcc_lo, s4, v47
	v_lshlrev_b64 v[61:62], 3, v[55:56]
	v_add_co_ci_u32_e64 v48, null, s5, v48, vcc_lo
	;; [unrolled: 40-line block ×3, first 2 shown]
	v_add_co_u32 v71, vcc_lo, s4, v71
	v_ashrrev_i32_e32 v84, 31, v83
	v_add_nc_u32_e32 v85, s15, v83
	v_add_co_ci_u32_e64 v72, null, s5, v72, vcc_lo
	v_add_co_u32 v73, vcc_lo, s4, v75
	v_add_co_ci_u32_e64 v74, null, s5, v76, vcc_lo
	v_add_co_u32 v75, vcc_lo, s4, v81
	v_add_co_ci_u32_e64 v76, null, s5, v82, vcc_lo
	v_lshlrev_b64 v[81:82], 3, v[83:84]
	v_add_nc_u32_e32 v83, s15, v85
	v_ashrrev_i32_e32 v86, 31, v85
	v_lshlrev_b64 v[79:80], 3, v[79:80]
	v_add_nc_u32_e32 v87, s15, v83
	v_ashrrev_i32_e32 v84, 31, v83
	v_lshlrev_b64 v[85:86], 3, v[85:86]
	v_add_co_u32 v79, vcc_lo, s4, v79
	v_add_nc_u32_e32 v91, s15, v87
	v_lshlrev_b64 v[89:90], 3, v[83:84]
	v_add_co_ci_u32_e64 v80, null, s5, v80, vcc_lo
	v_add_co_u32 v81, vcc_lo, s4, v81
	v_ashrrev_i32_e32 v92, 31, v91
	v_add_nc_u32_e32 v93, s15, v91
	v_add_co_ci_u32_e64 v82, null, s5, v82, vcc_lo
	v_add_co_u32 v83, vcc_lo, s4, v85
	v_add_co_ci_u32_e64 v84, null, s5, v86, vcc_lo
	v_add_co_u32 v85, vcc_lo, s4, v89
	v_ashrrev_i32_e32 v88, 31, v87
	v_add_co_ci_u32_e64 v86, null, s5, v90, vcc_lo
	v_lshlrev_b64 v[89:90], 3, v[91:92]
	v_add_nc_u32_e32 v91, s15, v93
	v_ashrrev_i32_e32 v94, 31, v93
	v_lshlrev_b64 v[87:88], 3, v[87:88]
	v_ashrrev_i32_e32 v92, 31, v91
	v_lshlrev_b64 v[93:94], 3, v[93:94]
	v_add_nc_u32_e32 v124, s15, v91
	v_add_co_u32 v87, vcc_lo, s4, v87
	v_lshlrev_b64 v[122:123], 3, v[91:92]
	v_add_co_ci_u32_e64 v88, null, s5, v88, vcc_lo
	v_add_co_u32 v89, vcc_lo, s4, v89
	v_ashrrev_i32_e32 v125, 31, v124
	v_add_co_ci_u32_e64 v90, null, s5, v90, vcc_lo
	v_add_co_u32 v91, vcc_lo, s4, v93
	v_add_co_ci_u32_e64 v92, null, s5, v94, vcc_lo
	v_add_co_u32 v93, vcc_lo, s4, v122
	v_add_co_ci_u32_e64 v94, null, s5, v123, vcc_lo
	v_lshlrev_b64 v[122:123], 3, v[124:125]
	v_add_nc_u32_e32 v131, s15, v124
	s_clause 0x1
	global_load_dwordx2 v[125:126], v[13:14], off
	global_load_dwordx2 v[127:128], v[5:6], off
	s_waitcnt vmcnt(12)
	buffer_store_dword v98, off, s[0:3], 0 offset:12
	s_clause 0x2
	global_load_dwordx2 v[129:130], v[3:4], off
	global_load_dwordx2 v[135:136], v[11:12], off
	;; [unrolled: 1-line block ×3, first 2 shown]
	v_ashrrev_i32_e32 v132, 31, v131
	v_add_co_u32 v95, vcc_lo, s4, v122
	v_add_co_ci_u32_e64 v96, null, s5, v123, vcc_lo
	global_load_dwordx2 v[122:123], v[9:10], off
	buffer_store_dword v97, off, s[0:3], 0 offset:8
	s_waitcnt vmcnt(15)
	buffer_store_dword v102, off, s[0:3], 0 offset:20
	buffer_store_dword v101, off, s[0:3], 0 offset:16
	s_waitcnt vmcnt(14)
	buffer_store_dword v105, off, s[0:3], 0 offset:28
	buffer_store_dword v104, off, s[0:3], 0 offset:24
	s_clause 0x1
	global_load_dwordx2 v[101:102], v[15:16], off
	global_load_dwordx2 v[104:105], v[17:18], off
	v_lshlrev_b64 v[97:98], 3, v[131:132]
	s_waitcnt vmcnt(15)
	buffer_store_dword v107, off, s[0:3], 0 offset:36
	global_load_dwordx2 v[131:132], v[23:24], off
	buffer_store_dword v106, off, s[0:3], 0 offset:32
	global_load_dwordx2 v[106:107], v[29:30], off
	s_waitcnt vmcnt(16)
	buffer_store_dword v109, off, s[0:3], 0 offset:44
	s_clause 0x1
	global_load_dwordx2 v[137:138], v[31:32], off
	global_load_dwordx2 v[139:140], v[35:36], off
	buffer_store_dword v108, off, s[0:3], 0 offset:40
	global_load_dwordx2 v[108:109], v[33:34], off
	s_waitcnt vmcnt(18)
	buffer_store_dword v111, off, s[0:3], 0 offset:52
	buffer_store_dword v110, off, s[0:3], 0 offset:48
	global_load_dwordx2 v[110:111], v[39:40], off
	s_waitcnt vmcnt(18)
	buffer_store_dword v113, off, s[0:3], 0 offset:60
	buffer_store_dword v112, off, s[0:3], 0 offset:56
	s_waitcnt vmcnt(17)
	buffer_store_dword v115, off, s[0:3], 0 offset:68
	global_load_dwordx2 v[112:113], v[43:44], off
	buffer_store_dword v114, off, s[0:3], 0 offset:64
	global_load_dwordx2 v[114:115], v[45:46], off
	s_waitcnt vmcnt(18)
	buffer_store_dword v116, off, s[0:3], 0 offset:72
	buffer_store_dword v117, off, s[0:3], 0 offset:76
	s_waitcnt vmcnt(17)
	buffer_store_dword v118, off, s[0:3], 0 offset:80
	global_load_dwordx2 v[116:117], v[47:48], off
	buffer_store_dword v119, off, s[0:3], 0 offset:84
	global_load_dwordx2 v[118:119], v[51:52], off
	s_waitcnt vmcnt(18)
	buffer_store_dword v120, off, s[0:3], 0 offset:88
	buffer_store_dword v121, off, s[0:3], 0 offset:92
	global_load_dwordx2 v[120:121], v[55:56], off
	s_waitcnt vmcnt(18)
	buffer_store_dword v125, off, s[0:3], 0 offset:96
	buffer_store_dword v126, off, s[0:3], 0 offset:100
	s_waitcnt vmcnt(17)
	buffer_store_dword v127, off, s[0:3], 0 offset:104
	buffer_store_dword v128, off, s[0:3], 0 offset:108
	s_clause 0x1
	global_load_dwordx2 v[124:125], v[57:58], off
	global_load_dwordx2 v[126:127], v[59:60], off
	s_waitcnt vmcnt(15)
	buffer_store_dword v123, off, s[0:3], 0 offset:116
	buffer_store_dword v122, off, s[0:3], 0 offset:112
	;; [unrolled: 1-line block ×8, first 2 shown]
	s_clause 0x3
	global_load_dwordx2 v[122:123], v[61:62], off
	global_load_dwordx2 v[128:129], v[63:64], off
	global_load_dwordx2 v[133:134], v[65:66], off
	global_load_dwordx2 v[135:136], v[69:70], off
	s_waitcnt vmcnt(18)
	buffer_store_dword v101, off, s[0:3], 0 offset:144
	buffer_store_dword v102, off, s[0:3], 0 offset:148
	s_waitcnt vmcnt(17)
	buffer_store_dword v105, off, s[0:3], 0 offset:156
	buffer_store_dword v104, off, s[0:3], 0 offset:152
	;; [unrolled: 3-line block ×4, first 2 shown]
	s_clause 0x3
	global_load_dwordx2 v[101:102], v[71:72], off
	global_load_dwordx2 v[104:105], v[73:74], off
	;; [unrolled: 1-line block ×4, first 2 shown]
	s_waitcnt vmcnt(18)
	buffer_store_dword v137, off, s[0:3], 0 offset:176
	buffer_store_dword v138, off, s[0:3], 0 offset:180
	s_waitcnt vmcnt(16)
	buffer_store_dword v108, off, s[0:3], 0 offset:184
	buffer_store_dword v109, off, s[0:3], 0 offset:188
	;; [unrolled: 1-line block ×4, first 2 shown]
	s_waitcnt vmcnt(15)
	buffer_store_dword v111, off, s[0:3], 0 offset:204
	buffer_store_dword v110, off, s[0:3], 0 offset:200
	s_clause 0x3
	global_load_dwordx2 v[108:109], v[81:82], off
	global_load_dwordx2 v[110:111], v[83:84], off
	;; [unrolled: 1-line block ×4, first 2 shown]
	s_waitcnt vmcnt(18)
	buffer_store_dword v113, off, s[0:3], 0 offset:212
	buffer_store_dword v112, off, s[0:3], 0 offset:208
	s_waitcnt vmcnt(17)
	buffer_store_dword v114, off, s[0:3], 0 offset:216
	buffer_store_dword v115, off, s[0:3], 0 offset:220
	s_clause 0x1
	global_load_dwordx2 v[112:113], v[89:90], off
	global_load_dwordx2 v[114:115], v[91:92], off
	s_waitcnt vmcnt(18)
	buffer_store_dword v116, off, s[0:3], 0 offset:224
	buffer_store_dword v117, off, s[0:3], 0 offset:228
	s_waitcnt vmcnt(17)
	buffer_store_dword v118, off, s[0:3], 0 offset:232
	buffer_store_dword v119, off, s[0:3], 0 offset:236
	s_clause 0x1
	global_load_dwordx2 v[116:117], v[93:94], off
	global_load_dwordx2 v[118:119], v[95:96], off
	v_add_co_u32 v97, vcc_lo, s4, v97
	v_add_co_ci_u32_e64 v98, null, s5, v98, vcc_lo
	s_waitcnt vmcnt(18)
	buffer_store_dword v120, off, s[0:3], 0 offset:240
	buffer_store_dword v121, off, s[0:3], 0 offset:244
	s_mov_b32 s5, -1
	global_load_dwordx2 v[120:121], v[97:98], off
	s_waitcnt vmcnt(18)
	buffer_store_dword v125, off, s[0:3], 0 offset:252
	buffer_store_dword v124, off, s[0:3], 0 offset:248
	s_waitcnt vmcnt(17)
	buffer_store_dword v127, off, s[0:3], 0 offset:260
	buffer_store_dword v126, off, s[0:3], 0 offset:256
	s_waitcnt vmcnt(16)
	buffer_store_dword v122, off, s[0:3], 0 offset:264
	buffer_store_dword v123, off, s[0:3], 0 offset:268
	s_waitcnt vmcnt(15)
	buffer_store_dword v128, off, s[0:3], 0 offset:272
	buffer_store_dword v129, off, s[0:3], 0 offset:276
	s_waitcnt vmcnt(14)
	buffer_store_dword v133, off, s[0:3], 0 offset:280
	buffer_store_dword v134, off, s[0:3], 0 offset:284
	s_waitcnt vmcnt(13)
	buffer_store_dword v135, off, s[0:3], 0 offset:288
	buffer_store_dword v136, off, s[0:3], 0 offset:292
	s_waitcnt vmcnt(12)
	buffer_store_dword v102, off, s[0:3], 0 offset:300
	buffer_store_dword v101, off, s[0:3], 0 offset:296
	s_waitcnt vmcnt(11)
	buffer_store_dword v105, off, s[0:3], 0 offset:308
	buffer_store_dword v104, off, s[0:3], 0 offset:304
	s_waitcnt vmcnt(10)
	buffer_store_dword v106, off, s[0:3], 0 offset:312
	buffer_store_dword v107, off, s[0:3], 0 offset:316
	s_waitcnt vmcnt(9)
	buffer_store_dword v130, off, s[0:3], 0 offset:320
	buffer_store_dword v131, off, s[0:3], 0 offset:324
	s_waitcnt vmcnt(8)
	buffer_store_dword v108, off, s[0:3], 0 offset:328
	buffer_store_dword v109, off, s[0:3], 0 offset:332
	s_waitcnt vmcnt(7)
	buffer_store_dword v110, off, s[0:3], 0 offset:336
	buffer_store_dword v111, off, s[0:3], 0 offset:340
	s_waitcnt vmcnt(6)
	buffer_store_dword v138, off, s[0:3], 0 offset:348
	buffer_store_dword v137, off, s[0:3], 0 offset:344
	s_waitcnt vmcnt(5)
	buffer_store_dword v140, off, s[0:3], 0 offset:356
	buffer_store_dword v139, off, s[0:3], 0 offset:352
	s_waitcnt vmcnt(4)
	buffer_store_dword v112, off, s[0:3], 0 offset:360
	buffer_store_dword v113, off, s[0:3], 0 offset:364
	s_waitcnt vmcnt(3)
	buffer_store_dword v114, off, s[0:3], 0 offset:368
	buffer_store_dword v115, off, s[0:3], 0 offset:372
	s_waitcnt vmcnt(2)
	buffer_store_dword v116, off, s[0:3], 0 offset:376
	buffer_store_dword v117, off, s[0:3], 0 offset:380
	s_waitcnt vmcnt(1)
	buffer_store_dword v118, off, s[0:3], 0 offset:384
	buffer_store_dword v119, off, s[0:3], 0 offset:388
	s_waitcnt vmcnt(0)
	buffer_store_dword v121, off, s[0:3], 0 offset:396
	buffer_store_dword v120, off, s[0:3], 0 offset:392
	s_cbranch_scc1 .LBB49_208
; %bb.4:
	v_cmp_eq_u32_e64 s4, 0, v0
	s_and_saveexec_b32 s5, s4
; %bb.5:
	v_mov_b32_e32 v101, 0
	ds_write_b32 v101, v101 offset:800
; %bb.6:
	s_or_b32 exec_lo, exec_lo, s5
	v_lshl_add_u32 v101, v0, 3, 0
	s_waitcnt lgkmcnt(0)
	s_waitcnt_vscnt null, 0x0
	s_barrier
	buffer_gl0_inv
	s_mov_b32 s8, exec_lo
	s_clause 0x1
	buffer_load_dword v104, v101, s[0:3], 0 offen
	buffer_load_dword v105, v101, s[0:3], 0 offen offset:4
	s_waitcnt vmcnt(0)
	v_cmpx_eq_f64_e32 0, v[104:105]
	s_cbranch_execz .LBB49_10
; %bb.7:
	v_mov_b32_e32 v102, 0
	s_mov_b32 s9, 0
	ds_read_b32 v104, v102 offset:800
	s_waitcnt lgkmcnt(0)
	v_readfirstlane_b32 s5, v104
	v_add_nc_u32_e32 v104, 1, v0
	s_cmp_eq_u32 s5, 0
	v_cmp_gt_i32_e32 vcc_lo, s5, v104
	s_cselect_b32 s12, -1, 0
	s_or_b32 s12, s12, vcc_lo
	s_and_b32 exec_lo, exec_lo, s12
	s_cbranch_execz .LBB49_10
; %bb.8:
	v_mov_b32_e32 v105, s5
.LBB49_9:                               ; =>This Inner Loop Header: Depth=1
	ds_cmpst_rtn_b32 v105, v102, v105, v104 offset:800
	s_waitcnt lgkmcnt(0)
	v_cmp_ne_u32_e32 vcc_lo, 0, v105
	v_cmp_le_i32_e64 s5, v105, v104
	s_and_b32 s5, vcc_lo, s5
	s_and_b32 s5, exec_lo, s5
	s_or_b32 s9, s5, s9
	s_andn2_b32 exec_lo, exec_lo, s9
	s_cbranch_execnz .LBB49_9
.LBB49_10:
	s_or_b32 exec_lo, exec_lo, s8
	v_mov_b32_e32 v102, 0
	s_barrier
	buffer_gl0_inv
	ds_read_b32 v104, v102 offset:800
	s_and_saveexec_b32 s5, s4
	s_cbranch_execz .LBB49_12
; %bb.11:
	s_lshl_b64 s[8:9], s[6:7], 2
	s_add_u32 s8, s10, s8
	s_addc_u32 s9, s11, s9
	s_waitcnt lgkmcnt(0)
	global_store_dword v102, v104, s[8:9]
.LBB49_12:
	s_or_b32 exec_lo, exec_lo, s5
	s_waitcnt lgkmcnt(0)
	v_cmp_ne_u32_e32 vcc_lo, 0, v104
	s_mov_b32 s5, 0
	s_cbranch_vccnz .LBB49_208
; %bb.13:
	s_clause 0x1
	buffer_load_dword v104, v101, s[0:3], 0 offen
	buffer_load_dword v105, v101, s[0:3], 0 offen offset:4
	s_waitcnt vmcnt(0)
	v_div_scale_f64 v[106:107], null, v[104:105], v[104:105], 1.0
	v_div_scale_f64 v[112:113], vcc_lo, 1.0, v[104:105], 1.0
	v_rcp_f64_e32 v[108:109], v[106:107]
	v_fma_f64 v[110:111], -v[106:107], v[108:109], 1.0
	v_fma_f64 v[108:109], v[108:109], v[110:111], v[108:109]
	v_fma_f64 v[110:111], -v[106:107], v[108:109], 1.0
	v_fma_f64 v[108:109], v[108:109], v[110:111], v[108:109]
	v_mul_f64 v[110:111], v[112:113], v[108:109]
	v_fma_f64 v[106:107], -v[106:107], v[110:111], v[112:113]
	v_div_fmas_f64 v[106:107], v[106:107], v[108:109], v[110:111]
	v_div_fixup_f64 v[105:106], v[106:107], v[104:105], 1.0
	v_add_nc_u32_e32 v104, 0x190, v103
	buffer_store_dword v106, v101, s[0:3], 0 offen offset:4
	buffer_store_dword v105, v101, s[0:3], 0 offen
	s_clause 0x1
	buffer_load_dword v108, off, s[0:3], 0 offset:12
	buffer_load_dword v107, off, s[0:3], 0 offset:8
	v_xor_b32_e32 v106, 0x80000000, v106
	s_waitcnt vmcnt(0)
	ds_write2_b64 v103, v[105:106], v[107:108] offset1:50
	s_waitcnt lgkmcnt(0)
	s_waitcnt_vscnt null, 0x0
	s_barrier
	buffer_gl0_inv
	s_and_saveexec_b32 s5, s4
	s_cbranch_execz .LBB49_15
; %bb.14:
	s_clause 0x1
	buffer_load_dword v105, v101, s[0:3], 0 offen
	buffer_load_dword v106, v101, s[0:3], 0 offen offset:4
	ds_read_b64 v[107:108], v104
	v_mov_b32_e32 v102, 0
	ds_read_b64 v[109:110], v102 offset:8
	s_waitcnt vmcnt(0) lgkmcnt(1)
	v_fma_f64 v[105:106], v[105:106], v[107:108], 0
	s_waitcnt lgkmcnt(0)
	v_mul_f64 v[105:106], v[105:106], v[109:110]
	buffer_store_dword v105, off, s[0:3], 0 offset:8
	buffer_store_dword v106, off, s[0:3], 0 offset:12
.LBB49_15:
	s_or_b32 exec_lo, exec_lo, s5
	s_waitcnt_vscnt null, 0x0
	s_barrier
	buffer_gl0_inv
	s_clause 0x1
	buffer_load_dword v105, off, s[0:3], 0 offset:16
	buffer_load_dword v106, off, s[0:3], 0 offset:20
	s_mov_b32 s5, exec_lo
	s_waitcnt vmcnt(0)
	ds_write_b64 v104, v[105:106]
	s_waitcnt lgkmcnt(0)
	s_barrier
	buffer_gl0_inv
	v_cmpx_gt_u32_e32 2, v0
	s_cbranch_execz .LBB49_19
; %bb.16:
	s_clause 0x1
	buffer_load_dword v105, v101, s[0:3], 0 offen
	buffer_load_dword v106, v101, s[0:3], 0 offen offset:4
	ds_read_b64 v[101:102], v104
	s_waitcnt vmcnt(0) lgkmcnt(0)
	v_fma_f64 v[101:102], v[105:106], v[101:102], 0
	s_and_saveexec_b32 s8, s4
	s_cbranch_execz .LBB49_18
; %bb.17:
	s_clause 0x1
	buffer_load_dword v105, off, s[0:3], 0 offset:8
	buffer_load_dword v106, off, s[0:3], 0 offset:12
	v_mov_b32_e32 v107, 0
	ds_read_b64 v[107:108], v107 offset:408
	s_waitcnt vmcnt(0) lgkmcnt(0)
	v_fma_f64 v[101:102], v[105:106], v[107:108], v[101:102]
.LBB49_18:
	s_or_b32 exec_lo, exec_lo, s8
	v_mov_b32_e32 v105, 0
	ds_read_b64 v[105:106], v105 offset:16
	s_waitcnt lgkmcnt(0)
	v_mul_f64 v[101:102], v[101:102], v[105:106]
	buffer_store_dword v102, off, s[0:3], 0 offset:20
	buffer_store_dword v101, off, s[0:3], 0 offset:16
.LBB49_19:
	s_or_b32 exec_lo, exec_lo, s5
	s_waitcnt_vscnt null, 0x0
	s_barrier
	buffer_gl0_inv
	s_clause 0x1
	buffer_load_dword v101, off, s[0:3], 0 offset:24
	buffer_load_dword v102, off, s[0:3], 0 offset:28
	v_add_nc_u32_e32 v105, -1, v0
	s_mov_b32 s4, exec_lo
	s_waitcnt vmcnt(0)
	ds_write_b64 v104, v[101:102]
	s_waitcnt lgkmcnt(0)
	s_barrier
	buffer_gl0_inv
	v_cmpx_gt_u32_e32 3, v0
	s_cbranch_execz .LBB49_23
; %bb.20:
	v_mov_b32_e32 v101, 0
	v_add_nc_u32_e32 v106, -1, v0
	v_add_nc_u32_e32 v107, 0x190, v103
	v_mov_b32_e32 v102, 0
	v_mov_b32_e32 v108, v103
	s_mov_b32 s5, 0
.LBB49_21:                              ; =>This Inner Loop Header: Depth=1
	s_clause 0x1
	buffer_load_dword v109, v108, s[0:3], 0 offen
	buffer_load_dword v110, v108, s[0:3], 0 offen offset:4
	ds_read_b64 v[111:112], v107
	v_add_nc_u32_e32 v106, 1, v106
	v_add_nc_u32_e32 v107, 8, v107
	v_add_nc_u32_e32 v108, 8, v108
	v_cmp_lt_u32_e32 vcc_lo, 1, v106
	s_or_b32 s5, vcc_lo, s5
	s_waitcnt vmcnt(0) lgkmcnt(0)
	v_fma_f64 v[101:102], v[109:110], v[111:112], v[101:102]
	s_andn2_b32 exec_lo, exec_lo, s5
	s_cbranch_execnz .LBB49_21
; %bb.22:
	s_or_b32 exec_lo, exec_lo, s5
	v_mov_b32_e32 v106, 0
	ds_read_b64 v[106:107], v106 offset:24
	s_waitcnt lgkmcnt(0)
	v_mul_f64 v[101:102], v[101:102], v[106:107]
	buffer_store_dword v102, off, s[0:3], 0 offset:28
	buffer_store_dword v101, off, s[0:3], 0 offset:24
.LBB49_23:
	s_or_b32 exec_lo, exec_lo, s4
	s_waitcnt_vscnt null, 0x0
	s_barrier
	buffer_gl0_inv
	s_clause 0x1
	buffer_load_dword v101, off, s[0:3], 0 offset:32
	buffer_load_dword v102, off, s[0:3], 0 offset:36
	s_mov_b32 s4, exec_lo
	s_waitcnt vmcnt(0)
	ds_write_b64 v104, v[101:102]
	s_waitcnt lgkmcnt(0)
	s_barrier
	buffer_gl0_inv
	v_cmpx_gt_u32_e32 4, v0
	s_cbranch_execz .LBB49_27
; %bb.24:
	v_mov_b32_e32 v101, 0
	v_add_nc_u32_e32 v106, -1, v0
	v_add_nc_u32_e32 v107, 0x190, v103
	v_mov_b32_e32 v102, 0
	v_mov_b32_e32 v108, v103
	s_mov_b32 s5, 0
.LBB49_25:                              ; =>This Inner Loop Header: Depth=1
	s_clause 0x1
	buffer_load_dword v109, v108, s[0:3], 0 offen
	buffer_load_dword v110, v108, s[0:3], 0 offen offset:4
	ds_read_b64 v[111:112], v107
	v_add_nc_u32_e32 v106, 1, v106
	v_add_nc_u32_e32 v107, 8, v107
	v_add_nc_u32_e32 v108, 8, v108
	v_cmp_lt_u32_e32 vcc_lo, 2, v106
	s_or_b32 s5, vcc_lo, s5
	s_waitcnt vmcnt(0) lgkmcnt(0)
	v_fma_f64 v[101:102], v[109:110], v[111:112], v[101:102]
	s_andn2_b32 exec_lo, exec_lo, s5
	s_cbranch_execnz .LBB49_25
; %bb.26:
	s_or_b32 exec_lo, exec_lo, s5
	v_mov_b32_e32 v106, 0
	ds_read_b64 v[106:107], v106 offset:32
	s_waitcnt lgkmcnt(0)
	v_mul_f64 v[101:102], v[101:102], v[106:107]
	buffer_store_dword v102, off, s[0:3], 0 offset:36
	buffer_store_dword v101, off, s[0:3], 0 offset:32
.LBB49_27:
	s_or_b32 exec_lo, exec_lo, s4
	s_waitcnt_vscnt null, 0x0
	s_barrier
	buffer_gl0_inv
	s_clause 0x1
	buffer_load_dword v101, off, s[0:3], 0 offset:40
	buffer_load_dword v102, off, s[0:3], 0 offset:44
	;; [unrolled: 45-line block ×20, first 2 shown]
	s_mov_b32 s4, exec_lo
	s_waitcnt vmcnt(0)
	ds_write_b64 v104, v[101:102]
	s_waitcnt lgkmcnt(0)
	s_barrier
	buffer_gl0_inv
	v_cmpx_gt_u32_e32 23, v0
	s_cbranch_execz .LBB49_103
; %bb.100:
	v_mov_b32_e32 v101, 0
	v_add_nc_u32_e32 v106, -1, v0
	v_add_nc_u32_e32 v107, 0x190, v103
	v_mov_b32_e32 v102, 0
	v_mov_b32_e32 v108, v103
	s_mov_b32 s5, 0
.LBB49_101:                             ; =>This Inner Loop Header: Depth=1
	s_clause 0x1
	buffer_load_dword v109, v108, s[0:3], 0 offen
	buffer_load_dword v110, v108, s[0:3], 0 offen offset:4
	ds_read_b64 v[111:112], v107
	v_add_nc_u32_e32 v106, 1, v106
	v_add_nc_u32_e32 v107, 8, v107
	v_add_nc_u32_e32 v108, 8, v108
	v_cmp_lt_u32_e32 vcc_lo, 21, v106
	s_or_b32 s5, vcc_lo, s5
	s_waitcnt vmcnt(0) lgkmcnt(0)
	v_fma_f64 v[101:102], v[109:110], v[111:112], v[101:102]
	s_andn2_b32 exec_lo, exec_lo, s5
	s_cbranch_execnz .LBB49_101
; %bb.102:
	s_or_b32 exec_lo, exec_lo, s5
	v_mov_b32_e32 v106, 0
	ds_read_b64 v[106:107], v106 offset:184
	s_waitcnt lgkmcnt(0)
	v_mul_f64 v[101:102], v[101:102], v[106:107]
	buffer_store_dword v102, off, s[0:3], 0 offset:188
	buffer_store_dword v101, off, s[0:3], 0 offset:184
.LBB49_103:
	s_or_b32 exec_lo, exec_lo, s4
	s_waitcnt_vscnt null, 0x0
	s_barrier
	buffer_gl0_inv
	s_clause 0x1
	buffer_load_dword v101, off, s[0:3], 0 offset:192
	buffer_load_dword v102, off, s[0:3], 0 offset:196
	s_mov_b32 s4, exec_lo
	s_waitcnt vmcnt(0)
	ds_write_b64 v104, v[101:102]
	s_waitcnt lgkmcnt(0)
	s_barrier
	buffer_gl0_inv
	v_cmpx_gt_u32_e32 24, v0
	s_cbranch_execz .LBB49_107
; %bb.104:
	v_mov_b32_e32 v101, 0
	v_add_nc_u32_e32 v106, -1, v0
	v_add_nc_u32_e32 v107, 0x190, v103
	v_mov_b32_e32 v102, 0
	v_mov_b32_e32 v108, v103
	s_mov_b32 s5, 0
.LBB49_105:                             ; =>This Inner Loop Header: Depth=1
	s_clause 0x1
	buffer_load_dword v109, v108, s[0:3], 0 offen
	buffer_load_dword v110, v108, s[0:3], 0 offen offset:4
	ds_read_b64 v[111:112], v107
	v_add_nc_u32_e32 v106, 1, v106
	v_add_nc_u32_e32 v107, 8, v107
	v_add_nc_u32_e32 v108, 8, v108
	v_cmp_lt_u32_e32 vcc_lo, 22, v106
	s_or_b32 s5, vcc_lo, s5
	s_waitcnt vmcnt(0) lgkmcnt(0)
	v_fma_f64 v[101:102], v[109:110], v[111:112], v[101:102]
	s_andn2_b32 exec_lo, exec_lo, s5
	s_cbranch_execnz .LBB49_105
; %bb.106:
	s_or_b32 exec_lo, exec_lo, s5
	v_mov_b32_e32 v106, 0
	ds_read_b64 v[106:107], v106 offset:192
	s_waitcnt lgkmcnt(0)
	v_mul_f64 v[101:102], v[101:102], v[106:107]
	buffer_store_dword v102, off, s[0:3], 0 offset:196
	buffer_store_dword v101, off, s[0:3], 0 offset:192
.LBB49_107:
	s_or_b32 exec_lo, exec_lo, s4
	s_waitcnt_vscnt null, 0x0
	s_barrier
	buffer_gl0_inv
	s_clause 0x1
	buffer_load_dword v101, off, s[0:3], 0 offset:200
	buffer_load_dword v102, off, s[0:3], 0 offset:204
	;; [unrolled: 45-line block ×26, first 2 shown]
	s_mov_b32 s4, exec_lo
	s_waitcnt vmcnt(0)
	ds_write_b64 v104, v[101:102]
	s_waitcnt lgkmcnt(0)
	s_barrier
	buffer_gl0_inv
	v_cmpx_ne_u32_e32 49, v0
	s_cbranch_execz .LBB49_207
; %bb.204:
	v_mov_b32_e32 v101, 0
	v_mov_b32_e32 v102, 0
	s_mov_b32 s5, 0
.LBB49_205:                             ; =>This Inner Loop Header: Depth=1
	s_clause 0x1
	buffer_load_dword v106, v103, s[0:3], 0 offen
	buffer_load_dword v107, v103, s[0:3], 0 offen offset:4
	ds_read_b64 v[108:109], v104
	v_add_nc_u32_e32 v105, 1, v105
	v_add_nc_u32_e32 v104, 8, v104
	;; [unrolled: 1-line block ×3, first 2 shown]
	v_cmp_lt_u32_e32 vcc_lo, 47, v105
	s_or_b32 s5, vcc_lo, s5
	s_waitcnt vmcnt(0) lgkmcnt(0)
	v_fma_f64 v[101:102], v[106:107], v[108:109], v[101:102]
	s_andn2_b32 exec_lo, exec_lo, s5
	s_cbranch_execnz .LBB49_205
; %bb.206:
	s_or_b32 exec_lo, exec_lo, s5
	v_mov_b32_e32 v103, 0
	ds_read_b64 v[103:104], v103 offset:392
	s_waitcnt lgkmcnt(0)
	v_mul_f64 v[101:102], v[101:102], v[103:104]
	buffer_store_dword v102, off, s[0:3], 0 offset:396
	buffer_store_dword v101, off, s[0:3], 0 offset:392
.LBB49_207:
	s_or_b32 exec_lo, exec_lo, s4
	s_mov_b32 s5, -1
	s_waitcnt_vscnt null, 0x0
	s_barrier
	buffer_gl0_inv
.LBB49_208:
	s_and_b32 vcc_lo, exec_lo, s5
	s_cbranch_vccz .LBB49_210
; %bb.209:
	s_lshl_b64 s[4:5], s[6:7], 2
	v_mov_b32_e32 v101, 0
	s_add_u32 s4, s10, s4
	s_addc_u32 s5, s11, s5
	global_load_dword v101, v101, s[4:5]
	s_waitcnt vmcnt(0)
	v_cmp_ne_u32_e32 vcc_lo, 0, v101
	s_cbranch_vccz .LBB49_211
.LBB49_210:
	s_endpgm
.LBB49_211:
	v_lshl_add_u32 v101, v0, 3, 0x190
	s_mov_b32 s4, exec_lo
	v_cmpx_eq_u32_e32 49, v0
	s_cbranch_execz .LBB49_213
; %bb.212:
	s_clause 0x1
	buffer_load_dword v102, off, s[0:3], 0 offset:384
	buffer_load_dword v103, off, s[0:3], 0 offset:388
	v_mov_b32_e32 v104, 0
	buffer_store_dword v104, off, s[0:3], 0 offset:384
	buffer_store_dword v104, off, s[0:3], 0 offset:388
	s_waitcnt vmcnt(0)
	ds_write_b64 v101, v[102:103]
.LBB49_213:
	s_or_b32 exec_lo, exec_lo, s4
	s_waitcnt lgkmcnt(0)
	s_waitcnt_vscnt null, 0x0
	s_barrier
	buffer_gl0_inv
	s_clause 0x3
	buffer_load_dword v103, off, s[0:3], 0 offset:392
	buffer_load_dword v104, off, s[0:3], 0 offset:396
	;; [unrolled: 1-line block ×4, first 2 shown]
	v_mov_b32_e32 v102, 0
	s_mov_b32 s4, exec_lo
	ds_read_b64 v[107:108], v102 offset:792
	s_waitcnt vmcnt(2) lgkmcnt(0)
	v_fma_f64 v[103:104], v[103:104], v[107:108], 0
	s_waitcnt vmcnt(0)
	v_add_f64 v[103:104], v[105:106], -v[103:104]
	buffer_store_dword v103, off, s[0:3], 0 offset:384
	buffer_store_dword v104, off, s[0:3], 0 offset:388
	v_cmpx_lt_u32_e32 47, v0
	s_cbranch_execz .LBB49_215
; %bb.214:
	s_clause 0x1
	buffer_load_dword v103, off, s[0:3], 0 offset:376
	buffer_load_dword v104, off, s[0:3], 0 offset:380
	buffer_store_dword v102, off, s[0:3], 0 offset:376
	buffer_store_dword v102, off, s[0:3], 0 offset:380
	s_waitcnt vmcnt(0)
	ds_write_b64 v101, v[103:104]
.LBB49_215:
	s_or_b32 exec_lo, exec_lo, s4
	s_waitcnt lgkmcnt(0)
	s_waitcnt_vscnt null, 0x0
	s_barrier
	buffer_gl0_inv
	s_clause 0x5
	buffer_load_dword v106, off, s[0:3], 0 offset:384
	buffer_load_dword v107, off, s[0:3], 0 offset:388
	buffer_load_dword v108, off, s[0:3], 0 offset:392
	buffer_load_dword v109, off, s[0:3], 0 offset:396
	buffer_load_dword v110, off, s[0:3], 0 offset:376
	buffer_load_dword v111, off, s[0:3], 0 offset:380
	ds_read_b128 v[102:105], v102 offset:784
	s_mov_b32 s4, exec_lo
	s_waitcnt vmcnt(4) lgkmcnt(0)
	v_fma_f64 v[102:103], v[106:107], v[102:103], 0
	s_waitcnt vmcnt(2)
	v_fma_f64 v[102:103], v[108:109], v[104:105], v[102:103]
	s_waitcnt vmcnt(0)
	v_add_f64 v[102:103], v[110:111], -v[102:103]
	buffer_store_dword v102, off, s[0:3], 0 offset:376
	buffer_store_dword v103, off, s[0:3], 0 offset:380
	v_cmpx_lt_u32_e32 46, v0
	s_cbranch_execz .LBB49_217
; %bb.216:
	s_clause 0x1
	buffer_load_dword v102, off, s[0:3], 0 offset:368
	buffer_load_dword v103, off, s[0:3], 0 offset:372
	v_mov_b32_e32 v104, 0
	buffer_store_dword v104, off, s[0:3], 0 offset:368
	buffer_store_dword v104, off, s[0:3], 0 offset:372
	s_waitcnt vmcnt(0)
	ds_write_b64 v101, v[102:103]
.LBB49_217:
	s_or_b32 exec_lo, exec_lo, s4
	s_waitcnt lgkmcnt(0)
	s_waitcnt_vscnt null, 0x0
	s_barrier
	buffer_gl0_inv
	s_clause 0x7
	buffer_load_dword v107, off, s[0:3], 0 offset:376
	buffer_load_dword v108, off, s[0:3], 0 offset:380
	buffer_load_dword v109, off, s[0:3], 0 offset:384
	buffer_load_dword v110, off, s[0:3], 0 offset:388
	buffer_load_dword v111, off, s[0:3], 0 offset:392
	buffer_load_dword v112, off, s[0:3], 0 offset:396
	buffer_load_dword v113, off, s[0:3], 0 offset:368
	buffer_load_dword v114, off, s[0:3], 0 offset:372
	v_mov_b32_e32 v102, 0
	ds_read2_b64 v[103:106], v102 offset0:97 offset1:98
	ds_read_b64 v[115:116], v102 offset:792
	s_mov_b32 s4, exec_lo
	s_waitcnt vmcnt(6) lgkmcnt(1)
	v_fma_f64 v[103:104], v[107:108], v[103:104], 0
	s_waitcnt vmcnt(4)
	v_fma_f64 v[103:104], v[109:110], v[105:106], v[103:104]
	s_waitcnt vmcnt(2) lgkmcnt(0)
	v_fma_f64 v[103:104], v[111:112], v[115:116], v[103:104]
	s_waitcnt vmcnt(0)
	v_add_f64 v[103:104], v[113:114], -v[103:104]
	buffer_store_dword v103, off, s[0:3], 0 offset:368
	buffer_store_dword v104, off, s[0:3], 0 offset:372
	v_cmpx_lt_u32_e32 45, v0
	s_cbranch_execz .LBB49_219
; %bb.218:
	s_clause 0x1
	buffer_load_dword v103, off, s[0:3], 0 offset:360
	buffer_load_dword v104, off, s[0:3], 0 offset:364
	buffer_store_dword v102, off, s[0:3], 0 offset:360
	buffer_store_dword v102, off, s[0:3], 0 offset:364
	s_waitcnt vmcnt(0)
	ds_write_b64 v101, v[103:104]
.LBB49_219:
	s_or_b32 exec_lo, exec_lo, s4
	s_waitcnt lgkmcnt(0)
	s_waitcnt_vscnt null, 0x0
	s_barrier
	buffer_gl0_inv
	s_clause 0x9
	buffer_load_dword v111, off, s[0:3], 0 offset:368
	buffer_load_dword v112, off, s[0:3], 0 offset:372
	;; [unrolled: 1-line block ×10, first 2 shown]
	ds_read_b128 v[103:106], v102 offset:768
	ds_read_b128 v[107:110], v102 offset:784
	s_mov_b32 s4, exec_lo
	s_waitcnt vmcnt(8) lgkmcnt(1)
	v_fma_f64 v[102:103], v[111:112], v[103:104], 0
	s_waitcnt vmcnt(6)
	v_fma_f64 v[102:103], v[113:114], v[105:106], v[102:103]
	s_waitcnt vmcnt(4) lgkmcnt(0)
	v_fma_f64 v[102:103], v[115:116], v[107:108], v[102:103]
	s_waitcnt vmcnt(2)
	v_fma_f64 v[102:103], v[117:118], v[109:110], v[102:103]
	s_waitcnt vmcnt(0)
	v_add_f64 v[102:103], v[119:120], -v[102:103]
	buffer_store_dword v102, off, s[0:3], 0 offset:360
	buffer_store_dword v103, off, s[0:3], 0 offset:364
	v_cmpx_lt_u32_e32 44, v0
	s_cbranch_execz .LBB49_221
; %bb.220:
	s_clause 0x1
	buffer_load_dword v102, off, s[0:3], 0 offset:352
	buffer_load_dword v103, off, s[0:3], 0 offset:356
	v_mov_b32_e32 v104, 0
	buffer_store_dword v104, off, s[0:3], 0 offset:352
	buffer_store_dword v104, off, s[0:3], 0 offset:356
	s_waitcnt vmcnt(0)
	ds_write_b64 v101, v[102:103]
.LBB49_221:
	s_or_b32 exec_lo, exec_lo, s4
	s_waitcnt lgkmcnt(0)
	s_waitcnt_vscnt null, 0x0
	s_barrier
	buffer_gl0_inv
	s_clause 0xb
	buffer_load_dword v111, off, s[0:3], 0 offset:360
	buffer_load_dword v112, off, s[0:3], 0 offset:364
	;; [unrolled: 1-line block ×12, first 2 shown]
	v_mov_b32_e32 v102, 0
	ds_read2_b64 v[103:106], v102 offset0:95 offset1:96
	ds_read2_b64 v[107:110], v102 offset0:97 offset1:98
	s_mov_b32 s4, exec_lo
	s_waitcnt vmcnt(10) lgkmcnt(1)
	v_fma_f64 v[103:104], v[111:112], v[103:104], 0
	s_waitcnt vmcnt(8)
	v_fma_f64 v[103:104], v[113:114], v[105:106], v[103:104]
	ds_read_b64 v[105:106], v102 offset:792
	s_waitcnt vmcnt(6) lgkmcnt(1)
	v_fma_f64 v[103:104], v[115:116], v[107:108], v[103:104]
	s_waitcnt vmcnt(4)
	v_fma_f64 v[103:104], v[117:118], v[109:110], v[103:104]
	s_waitcnt vmcnt(2) lgkmcnt(0)
	v_fma_f64 v[103:104], v[119:120], v[105:106], v[103:104]
	s_waitcnt vmcnt(0)
	v_add_f64 v[103:104], v[121:122], -v[103:104]
	buffer_store_dword v103, off, s[0:3], 0 offset:352
	buffer_store_dword v104, off, s[0:3], 0 offset:356
	v_cmpx_lt_u32_e32 43, v0
	s_cbranch_execz .LBB49_223
; %bb.222:
	s_clause 0x1
	buffer_load_dword v103, off, s[0:3], 0 offset:344
	buffer_load_dword v104, off, s[0:3], 0 offset:348
	buffer_store_dword v102, off, s[0:3], 0 offset:344
	buffer_store_dword v102, off, s[0:3], 0 offset:348
	s_waitcnt vmcnt(0)
	ds_write_b64 v101, v[103:104]
.LBB49_223:
	s_or_b32 exec_lo, exec_lo, s4
	s_waitcnt lgkmcnt(0)
	s_waitcnt_vscnt null, 0x0
	s_barrier
	buffer_gl0_inv
	s_clause 0xd
	buffer_load_dword v111, off, s[0:3], 0 offset:352
	buffer_load_dword v112, off, s[0:3], 0 offset:356
	;; [unrolled: 1-line block ×14, first 2 shown]
	ds_read_b128 v[103:106], v102 offset:752
	ds_read_b128 v[107:110], v102 offset:768
	s_mov_b32 s4, exec_lo
	s_waitcnt vmcnt(12) lgkmcnt(1)
	v_fma_f64 v[103:104], v[111:112], v[103:104], 0
	s_waitcnt vmcnt(10)
	v_fma_f64 v[103:104], v[113:114], v[105:106], v[103:104]
	s_waitcnt vmcnt(8) lgkmcnt(0)
	v_fma_f64 v[103:104], v[115:116], v[107:108], v[103:104]
	s_waitcnt vmcnt(6)
	v_fma_f64 v[106:107], v[117:118], v[109:110], v[103:104]
	ds_read_b128 v[102:105], v102 offset:784
	s_waitcnt vmcnt(4) lgkmcnt(0)
	v_fma_f64 v[102:103], v[119:120], v[102:103], v[106:107]
	s_waitcnt vmcnt(2)
	v_fma_f64 v[102:103], v[121:122], v[104:105], v[102:103]
	s_waitcnt vmcnt(0)
	v_add_f64 v[102:103], v[123:124], -v[102:103]
	buffer_store_dword v102, off, s[0:3], 0 offset:344
	buffer_store_dword v103, off, s[0:3], 0 offset:348
	v_cmpx_lt_u32_e32 42, v0
	s_cbranch_execz .LBB49_225
; %bb.224:
	s_clause 0x1
	buffer_load_dword v102, off, s[0:3], 0 offset:336
	buffer_load_dword v103, off, s[0:3], 0 offset:340
	v_mov_b32_e32 v104, 0
	buffer_store_dword v104, off, s[0:3], 0 offset:336
	buffer_store_dword v104, off, s[0:3], 0 offset:340
	s_waitcnt vmcnt(0)
	ds_write_b64 v101, v[102:103]
.LBB49_225:
	s_or_b32 exec_lo, exec_lo, s4
	s_waitcnt lgkmcnt(0)
	s_waitcnt_vscnt null, 0x0
	s_barrier
	buffer_gl0_inv
	s_clause 0xf
	buffer_load_dword v111, off, s[0:3], 0 offset:344
	buffer_load_dword v112, off, s[0:3], 0 offset:348
	buffer_load_dword v113, off, s[0:3], 0 offset:352
	buffer_load_dword v114, off, s[0:3], 0 offset:356
	buffer_load_dword v115, off, s[0:3], 0 offset:360
	buffer_load_dword v116, off, s[0:3], 0 offset:364
	buffer_load_dword v117, off, s[0:3], 0 offset:368
	buffer_load_dword v118, off, s[0:3], 0 offset:372
	buffer_load_dword v119, off, s[0:3], 0 offset:376
	buffer_load_dword v120, off, s[0:3], 0 offset:380
	buffer_load_dword v121, off, s[0:3], 0 offset:384
	buffer_load_dword v122, off, s[0:3], 0 offset:388
	buffer_load_dword v123, off, s[0:3], 0 offset:392
	buffer_load_dword v124, off, s[0:3], 0 offset:396
	buffer_load_dword v125, off, s[0:3], 0 offset:336
	buffer_load_dword v126, off, s[0:3], 0 offset:340
	v_mov_b32_e32 v102, 0
	ds_read2_b64 v[103:106], v102 offset0:93 offset1:94
	ds_read2_b64 v[107:110], v102 offset0:95 offset1:96
	s_mov_b32 s4, exec_lo
	s_waitcnt vmcnt(14) lgkmcnt(1)
	v_fma_f64 v[103:104], v[111:112], v[103:104], 0
	s_waitcnt vmcnt(12)
	v_fma_f64 v[103:104], v[113:114], v[105:106], v[103:104]
	s_waitcnt vmcnt(10) lgkmcnt(0)
	v_fma_f64 v[103:104], v[115:116], v[107:108], v[103:104]
	s_waitcnt vmcnt(8)
	v_fma_f64 v[107:108], v[117:118], v[109:110], v[103:104]
	ds_read2_b64 v[103:106], v102 offset0:97 offset1:98
	ds_read_b64 v[109:110], v102 offset:792
	s_waitcnt vmcnt(6) lgkmcnt(1)
	v_fma_f64 v[103:104], v[119:120], v[103:104], v[107:108]
	s_waitcnt vmcnt(4)
	v_fma_f64 v[103:104], v[121:122], v[105:106], v[103:104]
	s_waitcnt vmcnt(2) lgkmcnt(0)
	v_fma_f64 v[103:104], v[123:124], v[109:110], v[103:104]
	s_waitcnt vmcnt(0)
	v_add_f64 v[103:104], v[125:126], -v[103:104]
	buffer_store_dword v103, off, s[0:3], 0 offset:336
	buffer_store_dword v104, off, s[0:3], 0 offset:340
	v_cmpx_lt_u32_e32 41, v0
	s_cbranch_execz .LBB49_227
; %bb.226:
	s_clause 0x1
	buffer_load_dword v103, off, s[0:3], 0 offset:328
	buffer_load_dword v104, off, s[0:3], 0 offset:332
	buffer_store_dword v102, off, s[0:3], 0 offset:328
	buffer_store_dword v102, off, s[0:3], 0 offset:332
	s_waitcnt vmcnt(0)
	ds_write_b64 v101, v[103:104]
.LBB49_227:
	s_or_b32 exec_lo, exec_lo, s4
	s_waitcnt lgkmcnt(0)
	s_waitcnt_vscnt null, 0x0
	s_barrier
	buffer_gl0_inv
	s_clause 0x11
	buffer_load_dword v111, off, s[0:3], 0 offset:336
	buffer_load_dword v112, off, s[0:3], 0 offset:340
	;; [unrolled: 1-line block ×18, first 2 shown]
	ds_read_b128 v[103:106], v102 offset:736
	ds_read_b128 v[107:110], v102 offset:752
	s_mov_b32 s4, exec_lo
	s_waitcnt vmcnt(16) lgkmcnt(1)
	v_fma_f64 v[103:104], v[111:112], v[103:104], 0
	s_waitcnt vmcnt(14)
	v_fma_f64 v[103:104], v[113:114], v[105:106], v[103:104]
	s_waitcnt vmcnt(12) lgkmcnt(0)
	v_fma_f64 v[103:104], v[115:116], v[107:108], v[103:104]
	s_waitcnt vmcnt(10)
	v_fma_f64 v[111:112], v[117:118], v[109:110], v[103:104]
	ds_read_b128 v[103:106], v102 offset:768
	ds_read_b128 v[107:110], v102 offset:784
	s_waitcnt vmcnt(8) lgkmcnt(1)
	v_fma_f64 v[102:103], v[119:120], v[103:104], v[111:112]
	s_waitcnt vmcnt(6)
	v_fma_f64 v[102:103], v[121:122], v[105:106], v[102:103]
	s_waitcnt vmcnt(4) lgkmcnt(0)
	v_fma_f64 v[102:103], v[123:124], v[107:108], v[102:103]
	s_waitcnt vmcnt(2)
	v_fma_f64 v[102:103], v[125:126], v[109:110], v[102:103]
	s_waitcnt vmcnt(0)
	v_add_f64 v[102:103], v[127:128], -v[102:103]
	buffer_store_dword v102, off, s[0:3], 0 offset:328
	buffer_store_dword v103, off, s[0:3], 0 offset:332
	v_cmpx_lt_u32_e32 40, v0
	s_cbranch_execz .LBB49_229
; %bb.228:
	s_clause 0x1
	buffer_load_dword v102, off, s[0:3], 0 offset:320
	buffer_load_dword v103, off, s[0:3], 0 offset:324
	v_mov_b32_e32 v104, 0
	buffer_store_dword v104, off, s[0:3], 0 offset:320
	buffer_store_dword v104, off, s[0:3], 0 offset:324
	s_waitcnt vmcnt(0)
	ds_write_b64 v101, v[102:103]
.LBB49_229:
	s_or_b32 exec_lo, exec_lo, s4
	s_waitcnt lgkmcnt(0)
	s_waitcnt_vscnt null, 0x0
	s_barrier
	buffer_gl0_inv
	s_clause 0x13
	buffer_load_dword v111, off, s[0:3], 0 offset:328
	buffer_load_dword v112, off, s[0:3], 0 offset:332
	;; [unrolled: 1-line block ×20, first 2 shown]
	v_mov_b32_e32 v102, 0
	ds_read2_b64 v[103:106], v102 offset0:91 offset1:92
	ds_read2_b64 v[107:110], v102 offset0:93 offset1:94
	s_mov_b32 s4, exec_lo
	s_waitcnt vmcnt(18) lgkmcnt(1)
	v_fma_f64 v[103:104], v[111:112], v[103:104], 0
	s_waitcnt vmcnt(16)
	v_fma_f64 v[103:104], v[113:114], v[105:106], v[103:104]
	s_waitcnt vmcnt(14) lgkmcnt(0)
	v_fma_f64 v[103:104], v[115:116], v[107:108], v[103:104]
	s_waitcnt vmcnt(12)
	v_fma_f64 v[111:112], v[117:118], v[109:110], v[103:104]
	ds_read2_b64 v[103:106], v102 offset0:95 offset1:96
	ds_read2_b64 v[107:110], v102 offset0:97 offset1:98
	s_waitcnt vmcnt(10) lgkmcnt(1)
	v_fma_f64 v[103:104], v[119:120], v[103:104], v[111:112]
	s_waitcnt vmcnt(8)
	v_fma_f64 v[103:104], v[121:122], v[105:106], v[103:104]
	ds_read_b64 v[105:106], v102 offset:792
	s_waitcnt vmcnt(6) lgkmcnt(1)
	v_fma_f64 v[103:104], v[123:124], v[107:108], v[103:104]
	s_waitcnt vmcnt(3)
	v_fma_f64 v[103:104], v[125:126], v[109:110], v[103:104]
	s_waitcnt vmcnt(2) lgkmcnt(0)
	v_fma_f64 v[103:104], v[127:128], v[105:106], v[103:104]
	s_waitcnt vmcnt(0)
	v_add_f64 v[103:104], v[129:130], -v[103:104]
	buffer_store_dword v103, off, s[0:3], 0 offset:320
	buffer_store_dword v104, off, s[0:3], 0 offset:324
	v_cmpx_lt_u32_e32 39, v0
	s_cbranch_execz .LBB49_231
; %bb.230:
	s_clause 0x1
	buffer_load_dword v103, off, s[0:3], 0 offset:312
	buffer_load_dword v104, off, s[0:3], 0 offset:316
	buffer_store_dword v102, off, s[0:3], 0 offset:312
	buffer_store_dword v102, off, s[0:3], 0 offset:316
	s_waitcnt vmcnt(0)
	ds_write_b64 v101, v[103:104]
.LBB49_231:
	s_or_b32 exec_lo, exec_lo, s4
	s_waitcnt lgkmcnt(0)
	s_waitcnt_vscnt null, 0x0
	s_barrier
	buffer_gl0_inv
	s_clause 0x15
	buffer_load_dword v111, off, s[0:3], 0 offset:320
	buffer_load_dword v112, off, s[0:3], 0 offset:324
	;; [unrolled: 1-line block ×22, first 2 shown]
	ds_read_b128 v[103:106], v102 offset:720
	ds_read_b128 v[107:110], v102 offset:736
	s_mov_b32 s4, exec_lo
	s_waitcnt vmcnt(20) lgkmcnt(1)
	v_fma_f64 v[103:104], v[111:112], v[103:104], 0
	s_waitcnt vmcnt(18)
	v_fma_f64 v[103:104], v[113:114], v[105:106], v[103:104]
	s_waitcnt vmcnt(16) lgkmcnt(0)
	v_fma_f64 v[103:104], v[115:116], v[107:108], v[103:104]
	s_waitcnt vmcnt(14)
	v_fma_f64 v[111:112], v[117:118], v[109:110], v[103:104]
	ds_read_b128 v[103:106], v102 offset:752
	ds_read_b128 v[107:110], v102 offset:768
	s_waitcnt vmcnt(12) lgkmcnt(1)
	v_fma_f64 v[103:104], v[119:120], v[103:104], v[111:112]
	s_waitcnt vmcnt(10)
	v_fma_f64 v[103:104], v[121:122], v[105:106], v[103:104]
	s_waitcnt vmcnt(8) lgkmcnt(0)
	v_fma_f64 v[103:104], v[123:124], v[107:108], v[103:104]
	s_waitcnt vmcnt(4)
	v_fma_f64 v[106:107], v[125:126], v[109:110], v[103:104]
	ds_read_b128 v[102:105], v102 offset:784
	s_waitcnt vmcnt(3) lgkmcnt(0)
	v_fma_f64 v[102:103], v[129:130], v[102:103], v[106:107]
	s_waitcnt vmcnt(2)
	v_fma_f64 v[102:103], v[127:128], v[104:105], v[102:103]
	s_waitcnt vmcnt(0)
	v_add_f64 v[102:103], v[131:132], -v[102:103]
	buffer_store_dword v102, off, s[0:3], 0 offset:312
	buffer_store_dword v103, off, s[0:3], 0 offset:316
	v_cmpx_lt_u32_e32 38, v0
	s_cbranch_execz .LBB49_233
; %bb.232:
	s_clause 0x1
	buffer_load_dword v102, off, s[0:3], 0 offset:304
	buffer_load_dword v103, off, s[0:3], 0 offset:308
	v_mov_b32_e32 v104, 0
	buffer_store_dword v104, off, s[0:3], 0 offset:304
	buffer_store_dword v104, off, s[0:3], 0 offset:308
	s_waitcnt vmcnt(0)
	ds_write_b64 v101, v[102:103]
.LBB49_233:
	s_or_b32 exec_lo, exec_lo, s4
	s_waitcnt lgkmcnt(0)
	s_waitcnt_vscnt null, 0x0
	s_barrier
	buffer_gl0_inv
	s_clause 0x17
	buffer_load_dword v111, off, s[0:3], 0 offset:312
	buffer_load_dword v112, off, s[0:3], 0 offset:316
	buffer_load_dword v113, off, s[0:3], 0 offset:320
	buffer_load_dword v114, off, s[0:3], 0 offset:324
	buffer_load_dword v115, off, s[0:3], 0 offset:328
	buffer_load_dword v116, off, s[0:3], 0 offset:332
	buffer_load_dword v117, off, s[0:3], 0 offset:336
	buffer_load_dword v118, off, s[0:3], 0 offset:340
	buffer_load_dword v119, off, s[0:3], 0 offset:344
	buffer_load_dword v120, off, s[0:3], 0 offset:348
	buffer_load_dword v121, off, s[0:3], 0 offset:352
	buffer_load_dword v122, off, s[0:3], 0 offset:356
	buffer_load_dword v123, off, s[0:3], 0 offset:360
	buffer_load_dword v124, off, s[0:3], 0 offset:364
	buffer_load_dword v126, off, s[0:3], 0 offset:372
	buffer_load_dword v127, off, s[0:3], 0 offset:392
	buffer_load_dword v129, off, s[0:3], 0 offset:384
	buffer_load_dword v131, off, s[0:3], 0 offset:376
	buffer_load_dword v125, off, s[0:3], 0 offset:368
	buffer_load_dword v132, off, s[0:3], 0 offset:380
	buffer_load_dword v130, off, s[0:3], 0 offset:388
	buffer_load_dword v128, off, s[0:3], 0 offset:396
	buffer_load_dword v133, off, s[0:3], 0 offset:304
	buffer_load_dword v134, off, s[0:3], 0 offset:308
	v_mov_b32_e32 v102, 0
	ds_read2_b64 v[103:106], v102 offset0:89 offset1:90
	ds_read2_b64 v[107:110], v102 offset0:91 offset1:92
	s_mov_b32 s4, exec_lo
	s_waitcnt vmcnt(22) lgkmcnt(1)
	v_fma_f64 v[103:104], v[111:112], v[103:104], 0
	s_waitcnt vmcnt(20)
	v_fma_f64 v[103:104], v[113:114], v[105:106], v[103:104]
	s_waitcnt vmcnt(18) lgkmcnt(0)
	v_fma_f64 v[103:104], v[115:116], v[107:108], v[103:104]
	s_waitcnt vmcnt(16)
	v_fma_f64 v[111:112], v[117:118], v[109:110], v[103:104]
	ds_read2_b64 v[103:106], v102 offset0:93 offset1:94
	ds_read2_b64 v[107:110], v102 offset0:95 offset1:96
	s_waitcnt vmcnt(14) lgkmcnt(1)
	v_fma_f64 v[103:104], v[119:120], v[103:104], v[111:112]
	s_waitcnt vmcnt(12)
	v_fma_f64 v[103:104], v[121:122], v[105:106], v[103:104]
	s_waitcnt vmcnt(10) lgkmcnt(0)
	v_fma_f64 v[103:104], v[123:124], v[107:108], v[103:104]
	s_waitcnt vmcnt(5)
	v_fma_f64 v[107:108], v[125:126], v[109:110], v[103:104]
	ds_read2_b64 v[103:106], v102 offset0:97 offset1:98
	ds_read_b64 v[109:110], v102 offset:792
	s_waitcnt vmcnt(4) lgkmcnt(1)
	v_fma_f64 v[103:104], v[131:132], v[103:104], v[107:108]
	s_waitcnt vmcnt(3)
	v_fma_f64 v[103:104], v[129:130], v[105:106], v[103:104]
	s_waitcnt vmcnt(2) lgkmcnt(0)
	v_fma_f64 v[103:104], v[127:128], v[109:110], v[103:104]
	s_waitcnt vmcnt(0)
	v_add_f64 v[103:104], v[133:134], -v[103:104]
	buffer_store_dword v104, off, s[0:3], 0 offset:308
	buffer_store_dword v103, off, s[0:3], 0 offset:304
	v_cmpx_lt_u32_e32 37, v0
	s_cbranch_execz .LBB49_235
; %bb.234:
	s_clause 0x1
	buffer_load_dword v103, off, s[0:3], 0 offset:296
	buffer_load_dword v104, off, s[0:3], 0 offset:300
	buffer_store_dword v102, off, s[0:3], 0 offset:296
	buffer_store_dword v102, off, s[0:3], 0 offset:300
	s_waitcnt vmcnt(0)
	ds_write_b64 v101, v[103:104]
.LBB49_235:
	s_or_b32 exec_lo, exec_lo, s4
	s_waitcnt lgkmcnt(0)
	s_waitcnt_vscnt null, 0x0
	s_barrier
	buffer_gl0_inv
	s_clause 0x19
	buffer_load_dword v111, off, s[0:3], 0 offset:304
	buffer_load_dword v112, off, s[0:3], 0 offset:308
	;; [unrolled: 1-line block ×26, first 2 shown]
	ds_read_b128 v[103:106], v102 offset:704
	ds_read_b128 v[107:110], v102 offset:720
	s_mov_b32 s4, exec_lo
	s_waitcnt vmcnt(24) lgkmcnt(1)
	v_fma_f64 v[103:104], v[111:112], v[103:104], 0
	s_waitcnt vmcnt(22)
	v_fma_f64 v[103:104], v[113:114], v[105:106], v[103:104]
	s_waitcnt vmcnt(20) lgkmcnt(0)
	v_fma_f64 v[103:104], v[115:116], v[107:108], v[103:104]
	s_waitcnt vmcnt(18)
	v_fma_f64 v[111:112], v[117:118], v[109:110], v[103:104]
	ds_read_b128 v[103:106], v102 offset:736
	ds_read_b128 v[107:110], v102 offset:752
	s_waitcnt vmcnt(16) lgkmcnt(1)
	v_fma_f64 v[103:104], v[119:120], v[103:104], v[111:112]
	s_waitcnt vmcnt(14)
	v_fma_f64 v[103:104], v[121:122], v[105:106], v[103:104]
	s_waitcnt vmcnt(12) lgkmcnt(0)
	v_fma_f64 v[103:104], v[123:124], v[107:108], v[103:104]
	s_waitcnt vmcnt(7)
	v_fma_f64 v[111:112], v[125:126], v[109:110], v[103:104]
	ds_read_b128 v[103:106], v102 offset:768
	ds_read_b128 v[107:110], v102 offset:784
	s_waitcnt vmcnt(6) lgkmcnt(1)
	v_fma_f64 v[102:103], v[131:132], v[103:104], v[111:112]
	s_waitcnt vmcnt(5)
	v_fma_f64 v[102:103], v[129:130], v[105:106], v[102:103]
	s_waitcnt vmcnt(4) lgkmcnt(0)
	v_fma_f64 v[102:103], v[127:128], v[107:108], v[102:103]
	s_waitcnt vmcnt(2)
	v_fma_f64 v[102:103], v[133:134], v[109:110], v[102:103]
	s_waitcnt vmcnt(0)
	v_add_f64 v[102:103], v[135:136], -v[102:103]
	buffer_store_dword v103, off, s[0:3], 0 offset:300
	buffer_store_dword v102, off, s[0:3], 0 offset:296
	v_cmpx_lt_u32_e32 36, v0
	s_cbranch_execz .LBB49_237
; %bb.236:
	s_clause 0x1
	buffer_load_dword v102, off, s[0:3], 0 offset:288
	buffer_load_dword v103, off, s[0:3], 0 offset:292
	v_mov_b32_e32 v104, 0
	buffer_store_dword v104, off, s[0:3], 0 offset:288
	buffer_store_dword v104, off, s[0:3], 0 offset:292
	s_waitcnt vmcnt(0)
	ds_write_b64 v101, v[102:103]
.LBB49_237:
	s_or_b32 exec_lo, exec_lo, s4
	s_waitcnt lgkmcnt(0)
	s_waitcnt_vscnt null, 0x0
	s_barrier
	buffer_gl0_inv
	s_clause 0x1b
	buffer_load_dword v111, off, s[0:3], 0 offset:296
	buffer_load_dword v112, off, s[0:3], 0 offset:300
	;; [unrolled: 1-line block ×28, first 2 shown]
	v_mov_b32_e32 v102, 0
	ds_read2_b64 v[103:106], v102 offset0:87 offset1:88
	ds_read2_b64 v[107:110], v102 offset0:89 offset1:90
	s_mov_b32 s4, exec_lo
	s_waitcnt vmcnt(26) lgkmcnt(1)
	v_fma_f64 v[103:104], v[111:112], v[103:104], 0
	s_waitcnt vmcnt(24)
	v_fma_f64 v[103:104], v[113:114], v[105:106], v[103:104]
	s_waitcnt vmcnt(22) lgkmcnt(0)
	v_fma_f64 v[103:104], v[115:116], v[107:108], v[103:104]
	s_waitcnt vmcnt(20)
	v_fma_f64 v[111:112], v[117:118], v[109:110], v[103:104]
	ds_read2_b64 v[103:106], v102 offset0:91 offset1:92
	ds_read2_b64 v[107:110], v102 offset0:93 offset1:94
	s_waitcnt vmcnt(18) lgkmcnt(1)
	v_fma_f64 v[103:104], v[119:120], v[103:104], v[111:112]
	s_waitcnt vmcnt(16)
	v_fma_f64 v[103:104], v[121:122], v[105:106], v[103:104]
	s_waitcnt vmcnt(14) lgkmcnt(0)
	v_fma_f64 v[103:104], v[123:124], v[107:108], v[103:104]
	s_waitcnt vmcnt(9)
	v_fma_f64 v[111:112], v[125:126], v[109:110], v[103:104]
	ds_read2_b64 v[103:106], v102 offset0:95 offset1:96
	ds_read2_b64 v[107:110], v102 offset0:97 offset1:98
	s_waitcnt vmcnt(8) lgkmcnt(1)
	v_fma_f64 v[103:104], v[131:132], v[103:104], v[111:112]
	s_waitcnt vmcnt(7)
	v_fma_f64 v[103:104], v[129:130], v[105:106], v[103:104]
	ds_read_b64 v[105:106], v102 offset:792
	s_waitcnt vmcnt(6) lgkmcnt(1)
	v_fma_f64 v[103:104], v[127:128], v[107:108], v[103:104]
	s_waitcnt vmcnt(3)
	v_fma_f64 v[103:104], v[133:134], v[109:110], v[103:104]
	s_waitcnt vmcnt(2) lgkmcnt(0)
	v_fma_f64 v[103:104], v[135:136], v[105:106], v[103:104]
	s_waitcnt vmcnt(0)
	v_add_f64 v[103:104], v[137:138], -v[103:104]
	buffer_store_dword v104, off, s[0:3], 0 offset:292
	buffer_store_dword v103, off, s[0:3], 0 offset:288
	v_cmpx_lt_u32_e32 35, v0
	s_cbranch_execz .LBB49_239
; %bb.238:
	s_clause 0x1
	buffer_load_dword v103, off, s[0:3], 0 offset:280
	buffer_load_dword v104, off, s[0:3], 0 offset:284
	buffer_store_dword v102, off, s[0:3], 0 offset:280
	buffer_store_dword v102, off, s[0:3], 0 offset:284
	s_waitcnt vmcnt(0)
	ds_write_b64 v101, v[103:104]
.LBB49_239:
	s_or_b32 exec_lo, exec_lo, s4
	s_waitcnt lgkmcnt(0)
	s_waitcnt_vscnt null, 0x0
	s_barrier
	buffer_gl0_inv
	s_clause 0x1b
	buffer_load_dword v111, off, s[0:3], 0 offset:288
	buffer_load_dword v112, off, s[0:3], 0 offset:292
	;; [unrolled: 1-line block ×28, first 2 shown]
	ds_read_b128 v[103:106], v102 offset:688
	s_clause 0x1
	buffer_load_dword v139, off, s[0:3], 0 offset:280
	buffer_load_dword v140, off, s[0:3], 0 offset:284
	ds_read_b128 v[107:110], v102 offset:704
	s_mov_b32 s4, exec_lo
	s_waitcnt vmcnt(28) lgkmcnt(1)
	v_fma_f64 v[103:104], v[111:112], v[103:104], 0
	s_waitcnt vmcnt(26)
	v_fma_f64 v[103:104], v[113:114], v[105:106], v[103:104]
	s_waitcnt vmcnt(24) lgkmcnt(0)
	v_fma_f64 v[103:104], v[115:116], v[107:108], v[103:104]
	s_waitcnt vmcnt(22)
	v_fma_f64 v[111:112], v[117:118], v[109:110], v[103:104]
	ds_read_b128 v[103:106], v102 offset:720
	ds_read_b128 v[107:110], v102 offset:736
	s_waitcnt vmcnt(20) lgkmcnt(1)
	v_fma_f64 v[103:104], v[119:120], v[103:104], v[111:112]
	s_waitcnt vmcnt(18)
	v_fma_f64 v[103:104], v[121:122], v[105:106], v[103:104]
	s_waitcnt vmcnt(16) lgkmcnt(0)
	v_fma_f64 v[103:104], v[123:124], v[107:108], v[103:104]
	s_waitcnt vmcnt(11)
	v_fma_f64 v[111:112], v[125:126], v[109:110], v[103:104]
	ds_read_b128 v[103:106], v102 offset:752
	ds_read_b128 v[107:110], v102 offset:768
	s_waitcnt vmcnt(10) lgkmcnt(1)
	v_fma_f64 v[103:104], v[131:132], v[103:104], v[111:112]
	s_waitcnt vmcnt(9)
	v_fma_f64 v[103:104], v[129:130], v[105:106], v[103:104]
	s_waitcnt vmcnt(8) lgkmcnt(0)
	v_fma_f64 v[103:104], v[127:128], v[107:108], v[103:104]
	s_waitcnt vmcnt(4)
	v_fma_f64 v[106:107], v[133:134], v[109:110], v[103:104]
	ds_read_b128 v[102:105], v102 offset:784
	s_waitcnt vmcnt(3) lgkmcnt(0)
	v_fma_f64 v[102:103], v[137:138], v[102:103], v[106:107]
	s_waitcnt vmcnt(2)
	v_fma_f64 v[102:103], v[135:136], v[104:105], v[102:103]
	s_waitcnt vmcnt(0)
	v_add_f64 v[102:103], v[139:140], -v[102:103]
	buffer_store_dword v103, off, s[0:3], 0 offset:284
	buffer_store_dword v102, off, s[0:3], 0 offset:280
	v_cmpx_lt_u32_e32 34, v0
	s_cbranch_execz .LBB49_241
; %bb.240:
	s_clause 0x1
	buffer_load_dword v102, off, s[0:3], 0 offset:272
	buffer_load_dword v103, off, s[0:3], 0 offset:276
	v_mov_b32_e32 v104, 0
	buffer_store_dword v104, off, s[0:3], 0 offset:272
	buffer_store_dword v104, off, s[0:3], 0 offset:276
	s_waitcnt vmcnt(0)
	ds_write_b64 v101, v[102:103]
.LBB49_241:
	s_or_b32 exec_lo, exec_lo, s4
	s_waitcnt lgkmcnt(0)
	s_waitcnt_vscnt null, 0x0
	s_barrier
	buffer_gl0_inv
	s_clause 0x1c
	buffer_load_dword v111, off, s[0:3], 0 offset:280
	buffer_load_dword v112, off, s[0:3], 0 offset:284
	;; [unrolled: 1-line block ×29, first 2 shown]
	v_mov_b32_e32 v102, 0
	buffer_load_dword v136, off, s[0:3], 0 offset:396
	s_mov_b32 s4, exec_lo
	ds_read2_b64 v[103:106], v102 offset0:85 offset1:86
	ds_read2_b64 v[107:110], v102 offset0:87 offset1:88
	s_waitcnt vmcnt(28) lgkmcnt(1)
	v_fma_f64 v[103:104], v[111:112], v[103:104], 0
	s_clause 0x1
	buffer_load_dword v111, off, s[0:3], 0 offset:272
	buffer_load_dword v112, off, s[0:3], 0 offset:276
	s_waitcnt vmcnt(28)
	v_fma_f64 v[103:104], v[113:114], v[105:106], v[103:104]
	s_waitcnt vmcnt(26) lgkmcnt(0)
	v_fma_f64 v[103:104], v[115:116], v[107:108], v[103:104]
	s_waitcnt vmcnt(24)
	v_fma_f64 v[113:114], v[117:118], v[109:110], v[103:104]
	ds_read2_b64 v[103:106], v102 offset0:89 offset1:90
	ds_read2_b64 v[107:110], v102 offset0:91 offset1:92
	s_waitcnt vmcnt(22) lgkmcnt(1)
	v_fma_f64 v[103:104], v[119:120], v[103:104], v[113:114]
	s_waitcnt vmcnt(20)
	v_fma_f64 v[103:104], v[121:122], v[105:106], v[103:104]
	s_waitcnt vmcnt(18) lgkmcnt(0)
	v_fma_f64 v[103:104], v[123:124], v[107:108], v[103:104]
	s_waitcnt vmcnt(13)
	v_fma_f64 v[113:114], v[125:126], v[109:110], v[103:104]
	ds_read2_b64 v[103:106], v102 offset0:93 offset1:94
	ds_read2_b64 v[107:110], v102 offset0:95 offset1:96
	s_waitcnt vmcnt(12) lgkmcnt(1)
	v_fma_f64 v[103:104], v[131:132], v[103:104], v[113:114]
	s_waitcnt vmcnt(11)
	v_fma_f64 v[103:104], v[129:130], v[105:106], v[103:104]
	s_waitcnt vmcnt(10) lgkmcnt(0)
	v_fma_f64 v[103:104], v[127:128], v[107:108], v[103:104]
	s_waitcnt vmcnt(5)
	v_fma_f64 v[107:108], v[133:134], v[109:110], v[103:104]
	ds_read2_b64 v[103:106], v102 offset0:97 offset1:98
	ds_read_b64 v[109:110], v102 offset:792
	s_waitcnt vmcnt(4) lgkmcnt(1)
	v_fma_f64 v[103:104], v[139:140], v[103:104], v[107:108]
	s_waitcnt vmcnt(3)
	v_fma_f64 v[103:104], v[137:138], v[105:106], v[103:104]
	s_waitcnt vmcnt(2) lgkmcnt(0)
	v_fma_f64 v[103:104], v[135:136], v[109:110], v[103:104]
	s_waitcnt vmcnt(0)
	v_add_f64 v[103:104], v[111:112], -v[103:104]
	buffer_store_dword v104, off, s[0:3], 0 offset:276
	buffer_store_dword v103, off, s[0:3], 0 offset:272
	v_cmpx_lt_u32_e32 33, v0
	s_cbranch_execz .LBB49_243
; %bb.242:
	s_clause 0x1
	buffer_load_dword v103, off, s[0:3], 0 offset:264
	buffer_load_dword v104, off, s[0:3], 0 offset:268
	buffer_store_dword v102, off, s[0:3], 0 offset:264
	buffer_store_dword v102, off, s[0:3], 0 offset:268
	s_waitcnt vmcnt(0)
	ds_write_b64 v101, v[103:104]
.LBB49_243:
	s_or_b32 exec_lo, exec_lo, s4
	s_waitcnt lgkmcnt(0)
	s_waitcnt_vscnt null, 0x0
	s_barrier
	buffer_gl0_inv
	s_clause 0x1c
	buffer_load_dword v111, off, s[0:3], 0 offset:272
	buffer_load_dword v112, off, s[0:3], 0 offset:276
	;; [unrolled: 1-line block ×29, first 2 shown]
	ds_read_b128 v[103:106], v102 offset:672
	ds_read_b128 v[107:110], v102 offset:688
	buffer_load_dword v136, off, s[0:3], 0 offset:388
	s_mov_b32 s4, exec_lo
	s_waitcnt vmcnt(28) lgkmcnt(1)
	v_fma_f64 v[103:104], v[111:112], v[103:104], 0
	s_clause 0x1
	buffer_load_dword v112, off, s[0:3], 0 offset:396
	buffer_load_dword v111, off, s[0:3], 0 offset:392
	s_waitcnt vmcnt(28)
	v_fma_f64 v[103:104], v[113:114], v[105:106], v[103:104]
	s_clause 0x1
	buffer_load_dword v113, off, s[0:3], 0 offset:264
	buffer_load_dword v114, off, s[0:3], 0 offset:268
	s_waitcnt vmcnt(28) lgkmcnt(0)
	v_fma_f64 v[103:104], v[115:116], v[107:108], v[103:104]
	s_waitcnt vmcnt(26)
	v_fma_f64 v[115:116], v[117:118], v[109:110], v[103:104]
	ds_read_b128 v[103:106], v102 offset:704
	ds_read_b128 v[107:110], v102 offset:720
	s_waitcnt vmcnt(24) lgkmcnt(1)
	v_fma_f64 v[103:104], v[119:120], v[103:104], v[115:116]
	s_waitcnt vmcnt(22)
	v_fma_f64 v[103:104], v[121:122], v[105:106], v[103:104]
	s_waitcnt vmcnt(20) lgkmcnt(0)
	v_fma_f64 v[103:104], v[123:124], v[107:108], v[103:104]
	s_waitcnt vmcnt(15)
	v_fma_f64 v[115:116], v[125:126], v[109:110], v[103:104]
	ds_read_b128 v[103:106], v102 offset:736
	ds_read_b128 v[107:110], v102 offset:752
	s_waitcnt vmcnt(14) lgkmcnt(1)
	v_fma_f64 v[103:104], v[131:132], v[103:104], v[115:116]
	s_waitcnt vmcnt(13)
	v_fma_f64 v[103:104], v[129:130], v[105:106], v[103:104]
	;; [unrolled: 10-line block ×3, first 2 shown]
	s_waitcnt vmcnt(4) lgkmcnt(0)
	v_fma_f64 v[102:103], v[135:136], v[107:108], v[102:103]
	s_waitcnt vmcnt(2)
	v_fma_f64 v[102:103], v[111:112], v[109:110], v[102:103]
	s_waitcnt vmcnt(0)
	v_add_f64 v[102:103], v[113:114], -v[102:103]
	buffer_store_dword v103, off, s[0:3], 0 offset:268
	buffer_store_dword v102, off, s[0:3], 0 offset:264
	v_cmpx_lt_u32_e32 32, v0
	s_cbranch_execz .LBB49_245
; %bb.244:
	s_clause 0x1
	buffer_load_dword v102, off, s[0:3], 0 offset:256
	buffer_load_dword v103, off, s[0:3], 0 offset:260
	v_mov_b32_e32 v104, 0
	buffer_store_dword v104, off, s[0:3], 0 offset:256
	buffer_store_dword v104, off, s[0:3], 0 offset:260
	s_waitcnt vmcnt(0)
	ds_write_b64 v101, v[102:103]
.LBB49_245:
	s_or_b32 exec_lo, exec_lo, s4
	s_waitcnt lgkmcnt(0)
	s_waitcnt_vscnt null, 0x0
	s_barrier
	buffer_gl0_inv
	s_clause 0x1c
	buffer_load_dword v111, off, s[0:3], 0 offset:264
	buffer_load_dword v112, off, s[0:3], 0 offset:268
	buffer_load_dword v113, off, s[0:3], 0 offset:272
	buffer_load_dword v114, off, s[0:3], 0 offset:276
	buffer_load_dword v115, off, s[0:3], 0 offset:280
	buffer_load_dword v116, off, s[0:3], 0 offset:284
	buffer_load_dword v117, off, s[0:3], 0 offset:288
	buffer_load_dword v118, off, s[0:3], 0 offset:292
	buffer_load_dword v119, off, s[0:3], 0 offset:296
	buffer_load_dword v120, off, s[0:3], 0 offset:300
	buffer_load_dword v121, off, s[0:3], 0 offset:304
	buffer_load_dword v122, off, s[0:3], 0 offset:308
	buffer_load_dword v123, off, s[0:3], 0 offset:312
	buffer_load_dword v124, off, s[0:3], 0 offset:316
	buffer_load_dword v126, off, s[0:3], 0 offset:324
	buffer_load_dword v127, off, s[0:3], 0 offset:344
	buffer_load_dword v129, off, s[0:3], 0 offset:336
	buffer_load_dword v131, off, s[0:3], 0 offset:328
	buffer_load_dword v125, off, s[0:3], 0 offset:320
	buffer_load_dword v132, off, s[0:3], 0 offset:332
	buffer_load_dword v130, off, s[0:3], 0 offset:340
	buffer_load_dword v128, off, s[0:3], 0 offset:348
	buffer_load_dword v134, off, s[0:3], 0 offset:356
	buffer_load_dword v135, off, s[0:3], 0 offset:376
	buffer_load_dword v137, off, s[0:3], 0 offset:368
	buffer_load_dword v139, off, s[0:3], 0 offset:360
	buffer_load_dword v133, off, s[0:3], 0 offset:352
	buffer_load_dword v140, off, s[0:3], 0 offset:364
	buffer_load_dword v138, off, s[0:3], 0 offset:372
	v_mov_b32_e32 v102, 0
	buffer_load_dword v136, off, s[0:3], 0 offset:380
	s_mov_b32 s4, exec_lo
	ds_read2_b64 v[103:106], v102 offset0:83 offset1:84
	ds_read2_b64 v[107:110], v102 offset0:85 offset1:86
	s_waitcnt vmcnt(28) lgkmcnt(1)
	v_fma_f64 v[103:104], v[111:112], v[103:104], 0
	s_clause 0x3
	buffer_load_dword v112, off, s[0:3], 0 offset:388
	buffer_load_dword v141, off, s[0:3], 0 offset:392
	buffer_load_dword v111, off, s[0:3], 0 offset:384
	buffer_load_dword v142, off, s[0:3], 0 offset:396
	s_waitcnt vmcnt(30)
	v_fma_f64 v[103:104], v[113:114], v[105:106], v[103:104]
	s_clause 0x1
	buffer_load_dword v113, off, s[0:3], 0 offset:256
	buffer_load_dword v114, off, s[0:3], 0 offset:260
	s_waitcnt vmcnt(30) lgkmcnt(0)
	v_fma_f64 v[103:104], v[115:116], v[107:108], v[103:104]
	s_waitcnt vmcnt(28)
	v_fma_f64 v[115:116], v[117:118], v[109:110], v[103:104]
	ds_read2_b64 v[103:106], v102 offset0:87 offset1:88
	ds_read2_b64 v[107:110], v102 offset0:89 offset1:90
	s_waitcnt vmcnt(26) lgkmcnt(1)
	v_fma_f64 v[103:104], v[119:120], v[103:104], v[115:116]
	s_waitcnt vmcnt(24)
	v_fma_f64 v[103:104], v[121:122], v[105:106], v[103:104]
	s_waitcnt vmcnt(22) lgkmcnt(0)
	v_fma_f64 v[103:104], v[123:124], v[107:108], v[103:104]
	s_waitcnt vmcnt(17)
	v_fma_f64 v[115:116], v[125:126], v[109:110], v[103:104]
	ds_read2_b64 v[103:106], v102 offset0:91 offset1:92
	ds_read2_b64 v[107:110], v102 offset0:93 offset1:94
	s_waitcnt vmcnt(16) lgkmcnt(1)
	v_fma_f64 v[103:104], v[131:132], v[103:104], v[115:116]
	s_waitcnt vmcnt(15)
	v_fma_f64 v[103:104], v[129:130], v[105:106], v[103:104]
	;; [unrolled: 10-line block ×3, first 2 shown]
	ds_read_b64 v[105:106], v102 offset:792
	s_waitcnt vmcnt(6) lgkmcnt(1)
	v_fma_f64 v[103:104], v[135:136], v[107:108], v[103:104]
	s_waitcnt vmcnt(3)
	v_fma_f64 v[103:104], v[111:112], v[109:110], v[103:104]
	s_waitcnt vmcnt(2) lgkmcnt(0)
	v_fma_f64 v[103:104], v[141:142], v[105:106], v[103:104]
	s_waitcnt vmcnt(0)
	v_add_f64 v[103:104], v[113:114], -v[103:104]
	buffer_store_dword v104, off, s[0:3], 0 offset:260
	buffer_store_dword v103, off, s[0:3], 0 offset:256
	v_cmpx_lt_u32_e32 31, v0
	s_cbranch_execz .LBB49_247
; %bb.246:
	s_clause 0x1
	buffer_load_dword v103, off, s[0:3], 0 offset:248
	buffer_load_dword v104, off, s[0:3], 0 offset:252
	buffer_store_dword v102, off, s[0:3], 0 offset:248
	buffer_store_dword v102, off, s[0:3], 0 offset:252
	s_waitcnt vmcnt(0)
	ds_write_b64 v101, v[103:104]
.LBB49_247:
	s_or_b32 exec_lo, exec_lo, s4
	s_waitcnt lgkmcnt(0)
	s_waitcnt_vscnt null, 0x0
	s_barrier
	buffer_gl0_inv
	s_clause 0x1b
	buffer_load_dword v107, off, s[0:3], 0 offset:256
	buffer_load_dword v108, off, s[0:3], 0 offset:260
	buffer_load_dword v109, off, s[0:3], 0 offset:264
	buffer_load_dword v110, off, s[0:3], 0 offset:268
	buffer_load_dword v111, off, s[0:3], 0 offset:272
	buffer_load_dword v112, off, s[0:3], 0 offset:276
	buffer_load_dword v113, off, s[0:3], 0 offset:280
	buffer_load_dword v114, off, s[0:3], 0 offset:284
	buffer_load_dword v115, off, s[0:3], 0 offset:288
	buffer_load_dword v116, off, s[0:3], 0 offset:292
	buffer_load_dword v117, off, s[0:3], 0 offset:296
	buffer_load_dword v118, off, s[0:3], 0 offset:300
	buffer_load_dword v119, off, s[0:3], 0 offset:304
	buffer_load_dword v120, off, s[0:3], 0 offset:308
	buffer_load_dword v122, off, s[0:3], 0 offset:316
	buffer_load_dword v121, off, s[0:3], 0 offset:312
	buffer_load_dword v123, off, s[0:3], 0 offset:320
	buffer_load_dword v124, off, s[0:3], 0 offset:324
	buffer_load_dword v125, off, s[0:3], 0 offset:328
	buffer_load_dword v126, off, s[0:3], 0 offset:332
	buffer_load_dword v127, off, s[0:3], 0 offset:336
	buffer_load_dword v128, off, s[0:3], 0 offset:340
	buffer_load_dword v130, off, s[0:3], 0 offset:348
	buffer_load_dword v129, off, s[0:3], 0 offset:344
	buffer_load_dword v131, off, s[0:3], 0 offset:352
	buffer_load_dword v132, off, s[0:3], 0 offset:356
	buffer_load_dword v133, off, s[0:3], 0 offset:360
	buffer_load_dword v134, off, s[0:3], 0 offset:364
	ds_read_b128 v[103:106], v102 offset:656
	s_clause 0x1
	buffer_load_dword v135, off, s[0:3], 0 offset:368
	buffer_load_dword v136, off, s[0:3], 0 offset:372
	s_mov_b32 s4, exec_lo
	s_waitcnt vmcnt(28) lgkmcnt(0)
	v_fma_f64 v[103:104], v[107:108], v[103:104], 0
	s_clause 0x1
	buffer_load_dword v108, off, s[0:3], 0 offset:380
	buffer_load_dword v107, off, s[0:3], 0 offset:376
	s_waitcnt vmcnt(28)
	v_fma_f64 v[109:110], v[109:110], v[105:106], v[103:104]
	ds_read_b128 v[103:106], v102 offset:672
	s_clause 0x1
	buffer_load_dword v137, off, s[0:3], 0 offset:384
	buffer_load_dword v138, off, s[0:3], 0 offset:388
	s_waitcnt vmcnt(28) lgkmcnt(0)
	v_fma_f64 v[103:104], v[111:112], v[103:104], v[109:110]
	s_clause 0x1
	buffer_load_dword v109, off, s[0:3], 0 offset:392
	buffer_load_dword v110, off, s[0:3], 0 offset:396
	s_waitcnt vmcnt(28)
	v_fma_f64 v[111:112], v[113:114], v[105:106], v[103:104]
	ds_read_b128 v[103:106], v102 offset:688
	s_clause 0x1
	buffer_load_dword v113, off, s[0:3], 0 offset:248
	buffer_load_dword v114, off, s[0:3], 0 offset:252
	s_waitcnt vmcnt(28) lgkmcnt(0)
	v_fma_f64 v[103:104], v[115:116], v[103:104], v[111:112]
	s_waitcnt vmcnt(26)
	v_fma_f64 v[111:112], v[117:118], v[105:106], v[103:104]
	ds_read_b128 v[103:106], v102 offset:704
	s_waitcnt vmcnt(24) lgkmcnt(0)
	v_fma_f64 v[103:104], v[119:120], v[103:104], v[111:112]
	s_waitcnt vmcnt(22)
	v_fma_f64 v[111:112], v[121:122], v[105:106], v[103:104]
	ds_read_b128 v[103:106], v102 offset:720
	;; [unrolled: 5-line block ×6, first 2 shown]
	s_waitcnt vmcnt(4) lgkmcnt(0)
	v_fma_f64 v[102:103], v[137:138], v[102:103], v[106:107]
	s_waitcnt vmcnt(2)
	v_fma_f64 v[102:103], v[109:110], v[104:105], v[102:103]
	s_waitcnt vmcnt(0)
	v_add_f64 v[102:103], v[113:114], -v[102:103]
	buffer_store_dword v103, off, s[0:3], 0 offset:252
	buffer_store_dword v102, off, s[0:3], 0 offset:248
	v_cmpx_lt_u32_e32 30, v0
	s_cbranch_execz .LBB49_249
; %bb.248:
	s_clause 0x1
	buffer_load_dword v102, off, s[0:3], 0 offset:240
	buffer_load_dword v103, off, s[0:3], 0 offset:244
	v_mov_b32_e32 v104, 0
	buffer_store_dword v104, off, s[0:3], 0 offset:240
	buffer_store_dword v104, off, s[0:3], 0 offset:244
	s_waitcnt vmcnt(0)
	ds_write_b64 v101, v[102:103]
.LBB49_249:
	s_or_b32 exec_lo, exec_lo, s4
	s_waitcnt lgkmcnt(0)
	s_waitcnt_vscnt null, 0x0
	s_barrier
	buffer_gl0_inv
	s_clause 0x1b
	buffer_load_dword v107, off, s[0:3], 0 offset:248
	buffer_load_dword v108, off, s[0:3], 0 offset:252
	;; [unrolled: 1-line block ×28, first 2 shown]
	v_mov_b32_e32 v102, 0
	s_mov_b32 s4, exec_lo
	ds_read2_b64 v[103:106], v102 offset0:81 offset1:82
	s_clause 0x1
	buffer_load_dword v135, off, s[0:3], 0 offset:360
	buffer_load_dword v136, off, s[0:3], 0 offset:364
	s_waitcnt vmcnt(28) lgkmcnt(0)
	v_fma_f64 v[103:104], v[107:108], v[103:104], 0
	s_clause 0x1
	buffer_load_dword v108, off, s[0:3], 0 offset:372
	buffer_load_dword v107, off, s[0:3], 0 offset:368
	s_waitcnt vmcnt(28)
	v_fma_f64 v[109:110], v[109:110], v[105:106], v[103:104]
	ds_read2_b64 v[103:106], v102 offset0:83 offset1:84
	s_clause 0x1
	buffer_load_dword v137, off, s[0:3], 0 offset:376
	buffer_load_dword v138, off, s[0:3], 0 offset:380
	s_waitcnt vmcnt(28) lgkmcnt(0)
	v_fma_f64 v[103:104], v[111:112], v[103:104], v[109:110]
	s_clause 0x1
	buffer_load_dword v109, off, s[0:3], 0 offset:384
	buffer_load_dword v110, off, s[0:3], 0 offset:388
	s_waitcnt vmcnt(28)
	v_fma_f64 v[111:112], v[113:114], v[105:106], v[103:104]
	;; [unrolled: 11-line block ×3, first 2 shown]
	ds_read2_b64 v[103:106], v102 offset0:87 offset1:88
	s_waitcnt vmcnt(26) lgkmcnt(0)
	v_fma_f64 v[103:104], v[119:120], v[103:104], v[115:116]
	s_waitcnt vmcnt(24)
	v_fma_f64 v[115:116], v[121:122], v[105:106], v[103:104]
	ds_read2_b64 v[103:106], v102 offset0:89 offset1:90
	s_waitcnt vmcnt(22) lgkmcnt(0)
	v_fma_f64 v[103:104], v[123:124], v[103:104], v[115:116]
	s_waitcnt vmcnt(20)
	v_fma_f64 v[115:116], v[125:126], v[105:106], v[103:104]
	;; [unrolled: 5-line block ×6, first 2 shown]
	ds_read_b64 v[105:106], v102 offset:792
	s_waitcnt vmcnt(2) lgkmcnt(0)
	v_fma_f64 v[103:104], v[113:114], v[105:106], v[103:104]
	s_waitcnt vmcnt(0)
	v_add_f64 v[103:104], v[111:112], -v[103:104]
	buffer_store_dword v104, off, s[0:3], 0 offset:244
	buffer_store_dword v103, off, s[0:3], 0 offset:240
	v_cmpx_lt_u32_e32 29, v0
	s_cbranch_execz .LBB49_251
; %bb.250:
	s_clause 0x1
	buffer_load_dword v103, off, s[0:3], 0 offset:232
	buffer_load_dword v104, off, s[0:3], 0 offset:236
	buffer_store_dword v102, off, s[0:3], 0 offset:232
	buffer_store_dword v102, off, s[0:3], 0 offset:236
	s_waitcnt vmcnt(0)
	ds_write_b64 v101, v[103:104]
.LBB49_251:
	s_or_b32 exec_lo, exec_lo, s4
	s_waitcnt lgkmcnt(0)
	s_waitcnt_vscnt null, 0x0
	s_barrier
	buffer_gl0_inv
	s_clause 0x1b
	buffer_load_dword v107, off, s[0:3], 0 offset:240
	buffer_load_dword v108, off, s[0:3], 0 offset:244
	;; [unrolled: 1-line block ×28, first 2 shown]
	ds_read_b128 v[103:106], v102 offset:640
	s_clause 0x1
	buffer_load_dword v135, off, s[0:3], 0 offset:352
	buffer_load_dword v136, off, s[0:3], 0 offset:356
	s_mov_b32 s4, exec_lo
	s_waitcnt vmcnt(28) lgkmcnt(0)
	v_fma_f64 v[103:104], v[107:108], v[103:104], 0
	s_clause 0x1
	buffer_load_dword v108, off, s[0:3], 0 offset:364
	buffer_load_dword v107, off, s[0:3], 0 offset:360
	s_waitcnt vmcnt(28)
	v_fma_f64 v[109:110], v[109:110], v[105:106], v[103:104]
	ds_read_b128 v[103:106], v102 offset:656
	s_clause 0x1
	buffer_load_dword v137, off, s[0:3], 0 offset:368
	buffer_load_dword v138, off, s[0:3], 0 offset:372
	s_waitcnt vmcnt(28) lgkmcnt(0)
	v_fma_f64 v[103:104], v[111:112], v[103:104], v[109:110]
	s_clause 0x1
	buffer_load_dword v109, off, s[0:3], 0 offset:376
	buffer_load_dword v110, off, s[0:3], 0 offset:380
	s_waitcnt vmcnt(28)
	v_fma_f64 v[111:112], v[113:114], v[105:106], v[103:104]
	ds_read_b128 v[103:106], v102 offset:672
	s_clause 0x1
	buffer_load_dword v113, off, s[0:3], 0 offset:384
	buffer_load_dword v114, off, s[0:3], 0 offset:388
	;; [unrolled: 11-line block ×3, first 2 shown]
	s_waitcnt vmcnt(28) lgkmcnt(0)
	v_fma_f64 v[103:104], v[119:120], v[103:104], v[115:116]
	s_waitcnt vmcnt(26)
	v_fma_f64 v[115:116], v[121:122], v[105:106], v[103:104]
	ds_read_b128 v[103:106], v102 offset:704
	s_waitcnt vmcnt(24) lgkmcnt(0)
	v_fma_f64 v[103:104], v[123:124], v[103:104], v[115:116]
	s_waitcnt vmcnt(22)
	v_fma_f64 v[115:116], v[125:126], v[105:106], v[103:104]
	ds_read_b128 v[103:106], v102 offset:720
	;; [unrolled: 5-line block ×6, first 2 shown]
	s_waitcnt vmcnt(4) lgkmcnt(0)
	v_fma_f64 v[102:103], v[113:114], v[102:103], v[106:107]
	s_waitcnt vmcnt(2)
	v_fma_f64 v[102:103], v[111:112], v[104:105], v[102:103]
	s_waitcnt vmcnt(0)
	v_add_f64 v[102:103], v[117:118], -v[102:103]
	buffer_store_dword v103, off, s[0:3], 0 offset:236
	buffer_store_dword v102, off, s[0:3], 0 offset:232
	v_cmpx_lt_u32_e32 28, v0
	s_cbranch_execz .LBB49_253
; %bb.252:
	s_clause 0x1
	buffer_load_dword v102, off, s[0:3], 0 offset:224
	buffer_load_dword v103, off, s[0:3], 0 offset:228
	v_mov_b32_e32 v104, 0
	buffer_store_dword v104, off, s[0:3], 0 offset:224
	buffer_store_dword v104, off, s[0:3], 0 offset:228
	s_waitcnt vmcnt(0)
	ds_write_b64 v101, v[102:103]
.LBB49_253:
	s_or_b32 exec_lo, exec_lo, s4
	s_waitcnt lgkmcnt(0)
	s_waitcnt_vscnt null, 0x0
	s_barrier
	buffer_gl0_inv
	s_clause 0x1b
	buffer_load_dword v107, off, s[0:3], 0 offset:232
	buffer_load_dword v108, off, s[0:3], 0 offset:236
	;; [unrolled: 1-line block ×28, first 2 shown]
	v_mov_b32_e32 v102, 0
	s_mov_b32 s4, exec_lo
	ds_read2_b64 v[103:106], v102 offset0:79 offset1:80
	s_clause 0x1
	buffer_load_dword v135, off, s[0:3], 0 offset:344
	buffer_load_dword v136, off, s[0:3], 0 offset:348
	s_waitcnt vmcnt(28) lgkmcnt(0)
	v_fma_f64 v[103:104], v[107:108], v[103:104], 0
	s_clause 0x1
	buffer_load_dword v108, off, s[0:3], 0 offset:356
	buffer_load_dword v107, off, s[0:3], 0 offset:352
	s_waitcnt vmcnt(28)
	v_fma_f64 v[109:110], v[109:110], v[105:106], v[103:104]
	ds_read2_b64 v[103:106], v102 offset0:81 offset1:82
	s_clause 0x1
	buffer_load_dword v137, off, s[0:3], 0 offset:360
	buffer_load_dword v138, off, s[0:3], 0 offset:364
	s_waitcnt vmcnt(28) lgkmcnt(0)
	v_fma_f64 v[103:104], v[111:112], v[103:104], v[109:110]
	s_clause 0x1
	buffer_load_dword v109, off, s[0:3], 0 offset:368
	buffer_load_dword v110, off, s[0:3], 0 offset:372
	s_waitcnt vmcnt(28)
	v_fma_f64 v[111:112], v[113:114], v[105:106], v[103:104]
	;; [unrolled: 11-line block ×4, first 2 shown]
	ds_read2_b64 v[103:106], v102 offset0:87 offset1:88
	s_waitcnt vmcnt(26) lgkmcnt(0)
	v_fma_f64 v[103:104], v[123:124], v[103:104], v[119:120]
	s_waitcnt vmcnt(24)
	v_fma_f64 v[119:120], v[125:126], v[105:106], v[103:104]
	ds_read2_b64 v[103:106], v102 offset0:89 offset1:90
	s_waitcnt vmcnt(22) lgkmcnt(0)
	v_fma_f64 v[103:104], v[127:128], v[103:104], v[119:120]
	s_waitcnt vmcnt(20)
	v_fma_f64 v[119:120], v[129:130], v[105:106], v[103:104]
	;; [unrolled: 5-line block ×6, first 2 shown]
	ds_read_b64 v[105:106], v102 offset:792
	s_waitcnt vmcnt(2) lgkmcnt(0)
	v_fma_f64 v[103:104], v[117:118], v[105:106], v[103:104]
	s_waitcnt vmcnt(0)
	v_add_f64 v[103:104], v[115:116], -v[103:104]
	buffer_store_dword v104, off, s[0:3], 0 offset:228
	buffer_store_dword v103, off, s[0:3], 0 offset:224
	v_cmpx_lt_u32_e32 27, v0
	s_cbranch_execz .LBB49_255
; %bb.254:
	s_clause 0x1
	buffer_load_dword v103, off, s[0:3], 0 offset:216
	buffer_load_dword v104, off, s[0:3], 0 offset:220
	buffer_store_dword v102, off, s[0:3], 0 offset:216
	buffer_store_dword v102, off, s[0:3], 0 offset:220
	s_waitcnt vmcnt(0)
	ds_write_b64 v101, v[103:104]
.LBB49_255:
	s_or_b32 exec_lo, exec_lo, s4
	s_waitcnt lgkmcnt(0)
	s_waitcnt_vscnt null, 0x0
	s_barrier
	buffer_gl0_inv
	s_clause 0x1b
	buffer_load_dword v107, off, s[0:3], 0 offset:224
	buffer_load_dword v108, off, s[0:3], 0 offset:228
	;; [unrolled: 1-line block ×28, first 2 shown]
	ds_read_b128 v[103:106], v102 offset:624
	s_clause 0x1
	buffer_load_dword v135, off, s[0:3], 0 offset:336
	buffer_load_dword v136, off, s[0:3], 0 offset:340
	s_mov_b32 s4, exec_lo
	s_waitcnt vmcnt(28) lgkmcnt(0)
	v_fma_f64 v[103:104], v[107:108], v[103:104], 0
	s_clause 0x1
	buffer_load_dword v108, off, s[0:3], 0 offset:348
	buffer_load_dword v107, off, s[0:3], 0 offset:344
	s_waitcnt vmcnt(28)
	v_fma_f64 v[109:110], v[109:110], v[105:106], v[103:104]
	ds_read_b128 v[103:106], v102 offset:640
	s_clause 0x1
	buffer_load_dword v137, off, s[0:3], 0 offset:352
	buffer_load_dword v138, off, s[0:3], 0 offset:356
	s_waitcnt vmcnt(28) lgkmcnt(0)
	v_fma_f64 v[103:104], v[111:112], v[103:104], v[109:110]
	s_clause 0x1
	buffer_load_dword v109, off, s[0:3], 0 offset:360
	buffer_load_dword v110, off, s[0:3], 0 offset:364
	s_waitcnt vmcnt(28)
	v_fma_f64 v[111:112], v[113:114], v[105:106], v[103:104]
	ds_read_b128 v[103:106], v102 offset:656
	s_clause 0x1
	buffer_load_dword v113, off, s[0:3], 0 offset:368
	buffer_load_dword v114, off, s[0:3], 0 offset:372
	;; [unrolled: 11-line block ×4, first 2 shown]
	s_waitcnt vmcnt(28) lgkmcnt(0)
	v_fma_f64 v[103:104], v[123:124], v[103:104], v[119:120]
	s_waitcnt vmcnt(26)
	v_fma_f64 v[119:120], v[125:126], v[105:106], v[103:104]
	ds_read_b128 v[103:106], v102 offset:704
	s_waitcnt vmcnt(24) lgkmcnt(0)
	v_fma_f64 v[103:104], v[127:128], v[103:104], v[119:120]
	s_waitcnt vmcnt(22)
	v_fma_f64 v[119:120], v[129:130], v[105:106], v[103:104]
	ds_read_b128 v[103:106], v102 offset:720
	;; [unrolled: 5-line block ×6, first 2 shown]
	s_waitcnt vmcnt(4) lgkmcnt(0)
	v_fma_f64 v[102:103], v[117:118], v[102:103], v[106:107]
	s_waitcnt vmcnt(2)
	v_fma_f64 v[102:103], v[115:116], v[104:105], v[102:103]
	s_waitcnt vmcnt(0)
	v_add_f64 v[102:103], v[121:122], -v[102:103]
	buffer_store_dword v103, off, s[0:3], 0 offset:220
	buffer_store_dword v102, off, s[0:3], 0 offset:216
	v_cmpx_lt_u32_e32 26, v0
	s_cbranch_execz .LBB49_257
; %bb.256:
	s_clause 0x1
	buffer_load_dword v102, off, s[0:3], 0 offset:208
	buffer_load_dword v103, off, s[0:3], 0 offset:212
	v_mov_b32_e32 v104, 0
	buffer_store_dword v104, off, s[0:3], 0 offset:208
	buffer_store_dword v104, off, s[0:3], 0 offset:212
	s_waitcnt vmcnt(0)
	ds_write_b64 v101, v[102:103]
.LBB49_257:
	s_or_b32 exec_lo, exec_lo, s4
	s_waitcnt lgkmcnt(0)
	s_waitcnt_vscnt null, 0x0
	s_barrier
	buffer_gl0_inv
	s_clause 0x1b
	buffer_load_dword v107, off, s[0:3], 0 offset:216
	buffer_load_dword v108, off, s[0:3], 0 offset:220
	;; [unrolled: 1-line block ×28, first 2 shown]
	v_mov_b32_e32 v102, 0
	s_mov_b32 s4, exec_lo
	ds_read2_b64 v[103:106], v102 offset0:77 offset1:78
	s_clause 0x1
	buffer_load_dword v135, off, s[0:3], 0 offset:328
	buffer_load_dword v136, off, s[0:3], 0 offset:332
	s_waitcnt vmcnt(28) lgkmcnt(0)
	v_fma_f64 v[103:104], v[107:108], v[103:104], 0
	s_clause 0x1
	buffer_load_dword v108, off, s[0:3], 0 offset:340
	buffer_load_dword v107, off, s[0:3], 0 offset:336
	s_waitcnt vmcnt(28)
	v_fma_f64 v[109:110], v[109:110], v[105:106], v[103:104]
	ds_read2_b64 v[103:106], v102 offset0:79 offset1:80
	s_clause 0x1
	buffer_load_dword v137, off, s[0:3], 0 offset:344
	buffer_load_dword v138, off, s[0:3], 0 offset:348
	s_waitcnt vmcnt(28) lgkmcnt(0)
	v_fma_f64 v[103:104], v[111:112], v[103:104], v[109:110]
	s_clause 0x1
	buffer_load_dword v109, off, s[0:3], 0 offset:352
	buffer_load_dword v110, off, s[0:3], 0 offset:356
	s_waitcnt vmcnt(28)
	v_fma_f64 v[111:112], v[113:114], v[105:106], v[103:104]
	;; [unrolled: 11-line block ×5, first 2 shown]
	ds_read2_b64 v[103:106], v102 offset0:87 offset1:88
	s_waitcnt vmcnt(26) lgkmcnt(0)
	v_fma_f64 v[103:104], v[127:128], v[103:104], v[123:124]
	s_waitcnt vmcnt(24)
	v_fma_f64 v[123:124], v[129:130], v[105:106], v[103:104]
	ds_read2_b64 v[103:106], v102 offset0:89 offset1:90
	s_waitcnt vmcnt(22) lgkmcnt(0)
	v_fma_f64 v[103:104], v[131:132], v[103:104], v[123:124]
	s_waitcnt vmcnt(20)
	v_fma_f64 v[123:124], v[133:134], v[105:106], v[103:104]
	;; [unrolled: 5-line block ×6, first 2 shown]
	ds_read_b64 v[105:106], v102 offset:792
	s_waitcnt vmcnt(2) lgkmcnt(0)
	v_fma_f64 v[103:104], v[121:122], v[105:106], v[103:104]
	s_waitcnt vmcnt(0)
	v_add_f64 v[103:104], v[119:120], -v[103:104]
	buffer_store_dword v104, off, s[0:3], 0 offset:212
	buffer_store_dword v103, off, s[0:3], 0 offset:208
	v_cmpx_lt_u32_e32 25, v0
	s_cbranch_execz .LBB49_259
; %bb.258:
	s_clause 0x1
	buffer_load_dword v103, off, s[0:3], 0 offset:200
	buffer_load_dword v104, off, s[0:3], 0 offset:204
	buffer_store_dword v102, off, s[0:3], 0 offset:200
	buffer_store_dword v102, off, s[0:3], 0 offset:204
	s_waitcnt vmcnt(0)
	ds_write_b64 v101, v[103:104]
.LBB49_259:
	s_or_b32 exec_lo, exec_lo, s4
	s_waitcnt lgkmcnt(0)
	s_waitcnt_vscnt null, 0x0
	s_barrier
	buffer_gl0_inv
	s_clause 0x1b
	buffer_load_dword v107, off, s[0:3], 0 offset:208
	buffer_load_dword v108, off, s[0:3], 0 offset:212
	;; [unrolled: 1-line block ×28, first 2 shown]
	ds_read_b128 v[103:106], v102 offset:608
	s_clause 0x1
	buffer_load_dword v135, off, s[0:3], 0 offset:320
	buffer_load_dword v136, off, s[0:3], 0 offset:324
	s_mov_b32 s4, exec_lo
	s_waitcnt vmcnt(28) lgkmcnt(0)
	v_fma_f64 v[103:104], v[107:108], v[103:104], 0
	s_clause 0x1
	buffer_load_dword v108, off, s[0:3], 0 offset:332
	buffer_load_dword v107, off, s[0:3], 0 offset:328
	s_waitcnt vmcnt(28)
	v_fma_f64 v[109:110], v[109:110], v[105:106], v[103:104]
	ds_read_b128 v[103:106], v102 offset:624
	s_clause 0x1
	buffer_load_dword v137, off, s[0:3], 0 offset:336
	buffer_load_dword v138, off, s[0:3], 0 offset:340
	s_waitcnt vmcnt(28) lgkmcnt(0)
	v_fma_f64 v[103:104], v[111:112], v[103:104], v[109:110]
	s_clause 0x1
	buffer_load_dword v109, off, s[0:3], 0 offset:344
	buffer_load_dword v110, off, s[0:3], 0 offset:348
	s_waitcnt vmcnt(28)
	v_fma_f64 v[111:112], v[113:114], v[105:106], v[103:104]
	ds_read_b128 v[103:106], v102 offset:640
	s_clause 0x1
	buffer_load_dword v113, off, s[0:3], 0 offset:352
	buffer_load_dword v114, off, s[0:3], 0 offset:356
	;; [unrolled: 11-line block ×5, first 2 shown]
	s_waitcnt vmcnt(28) lgkmcnt(0)
	v_fma_f64 v[103:104], v[127:128], v[103:104], v[123:124]
	s_waitcnt vmcnt(26)
	v_fma_f64 v[123:124], v[129:130], v[105:106], v[103:104]
	ds_read_b128 v[103:106], v102 offset:704
	s_waitcnt vmcnt(24) lgkmcnt(0)
	v_fma_f64 v[103:104], v[131:132], v[103:104], v[123:124]
	s_waitcnt vmcnt(22)
	v_fma_f64 v[123:124], v[133:134], v[105:106], v[103:104]
	ds_read_b128 v[103:106], v102 offset:720
	;; [unrolled: 5-line block ×6, first 2 shown]
	s_waitcnt vmcnt(4) lgkmcnt(0)
	v_fma_f64 v[102:103], v[121:122], v[102:103], v[106:107]
	s_waitcnt vmcnt(2)
	v_fma_f64 v[102:103], v[119:120], v[104:105], v[102:103]
	s_waitcnt vmcnt(0)
	v_add_f64 v[102:103], v[125:126], -v[102:103]
	buffer_store_dword v103, off, s[0:3], 0 offset:204
	buffer_store_dword v102, off, s[0:3], 0 offset:200
	v_cmpx_lt_u32_e32 24, v0
	s_cbranch_execz .LBB49_261
; %bb.260:
	s_clause 0x1
	buffer_load_dword v102, off, s[0:3], 0 offset:192
	buffer_load_dword v103, off, s[0:3], 0 offset:196
	v_mov_b32_e32 v104, 0
	buffer_store_dword v104, off, s[0:3], 0 offset:192
	buffer_store_dword v104, off, s[0:3], 0 offset:196
	s_waitcnt vmcnt(0)
	ds_write_b64 v101, v[102:103]
.LBB49_261:
	s_or_b32 exec_lo, exec_lo, s4
	s_waitcnt lgkmcnt(0)
	s_waitcnt_vscnt null, 0x0
	s_barrier
	buffer_gl0_inv
	s_clause 0x1b
	buffer_load_dword v107, off, s[0:3], 0 offset:200
	buffer_load_dword v108, off, s[0:3], 0 offset:204
	;; [unrolled: 1-line block ×28, first 2 shown]
	v_mov_b32_e32 v102, 0
	s_mov_b32 s4, exec_lo
	ds_read2_b64 v[103:106], v102 offset0:75 offset1:76
	s_clause 0x1
	buffer_load_dword v135, off, s[0:3], 0 offset:312
	buffer_load_dword v136, off, s[0:3], 0 offset:316
	s_waitcnt vmcnt(28) lgkmcnt(0)
	v_fma_f64 v[103:104], v[107:108], v[103:104], 0
	s_clause 0x1
	buffer_load_dword v108, off, s[0:3], 0 offset:324
	buffer_load_dword v107, off, s[0:3], 0 offset:320
	s_waitcnt vmcnt(28)
	v_fma_f64 v[109:110], v[109:110], v[105:106], v[103:104]
	ds_read2_b64 v[103:106], v102 offset0:77 offset1:78
	s_clause 0x1
	buffer_load_dword v137, off, s[0:3], 0 offset:328
	buffer_load_dword v138, off, s[0:3], 0 offset:332
	s_waitcnt vmcnt(28) lgkmcnt(0)
	v_fma_f64 v[103:104], v[111:112], v[103:104], v[109:110]
	s_clause 0x1
	buffer_load_dword v109, off, s[0:3], 0 offset:336
	buffer_load_dword v110, off, s[0:3], 0 offset:340
	s_waitcnt vmcnt(28)
	v_fma_f64 v[111:112], v[113:114], v[105:106], v[103:104]
	;; [unrolled: 11-line block ×6, first 2 shown]
	ds_read2_b64 v[103:106], v102 offset0:87 offset1:88
	s_waitcnt vmcnt(26) lgkmcnt(0)
	v_fma_f64 v[103:104], v[131:132], v[103:104], v[127:128]
	s_waitcnt vmcnt(24)
	v_fma_f64 v[127:128], v[133:134], v[105:106], v[103:104]
	ds_read2_b64 v[103:106], v102 offset0:89 offset1:90
	s_waitcnt vmcnt(22) lgkmcnt(0)
	v_fma_f64 v[103:104], v[135:136], v[103:104], v[127:128]
	s_waitcnt vmcnt(20)
	v_fma_f64 v[107:108], v[107:108], v[105:106], v[103:104]
	;; [unrolled: 5-line block ×6, first 2 shown]
	ds_read_b64 v[105:106], v102 offset:792
	s_waitcnt vmcnt(2) lgkmcnt(0)
	v_fma_f64 v[103:104], v[125:126], v[105:106], v[103:104]
	s_waitcnt vmcnt(0)
	v_add_f64 v[103:104], v[123:124], -v[103:104]
	buffer_store_dword v104, off, s[0:3], 0 offset:196
	buffer_store_dword v103, off, s[0:3], 0 offset:192
	v_cmpx_lt_u32_e32 23, v0
	s_cbranch_execz .LBB49_263
; %bb.262:
	s_clause 0x1
	buffer_load_dword v103, off, s[0:3], 0 offset:184
	buffer_load_dword v104, off, s[0:3], 0 offset:188
	buffer_store_dword v102, off, s[0:3], 0 offset:184
	buffer_store_dword v102, off, s[0:3], 0 offset:188
	s_waitcnt vmcnt(0)
	ds_write_b64 v101, v[103:104]
.LBB49_263:
	s_or_b32 exec_lo, exec_lo, s4
	s_waitcnt lgkmcnt(0)
	s_waitcnt_vscnt null, 0x0
	s_barrier
	buffer_gl0_inv
	s_clause 0x1b
	buffer_load_dword v107, off, s[0:3], 0 offset:192
	buffer_load_dword v108, off, s[0:3], 0 offset:196
	;; [unrolled: 1-line block ×28, first 2 shown]
	ds_read_b128 v[103:106], v102 offset:592
	s_clause 0x1
	buffer_load_dword v135, off, s[0:3], 0 offset:304
	buffer_load_dword v136, off, s[0:3], 0 offset:308
	s_mov_b32 s4, exec_lo
	s_waitcnt vmcnt(28) lgkmcnt(0)
	v_fma_f64 v[103:104], v[107:108], v[103:104], 0
	s_clause 0x1
	buffer_load_dword v108, off, s[0:3], 0 offset:316
	buffer_load_dword v107, off, s[0:3], 0 offset:312
	s_waitcnt vmcnt(28)
	v_fma_f64 v[109:110], v[109:110], v[105:106], v[103:104]
	ds_read_b128 v[103:106], v102 offset:608
	s_clause 0x1
	buffer_load_dword v137, off, s[0:3], 0 offset:320
	buffer_load_dword v138, off, s[0:3], 0 offset:324
	s_waitcnt vmcnt(28) lgkmcnt(0)
	v_fma_f64 v[103:104], v[111:112], v[103:104], v[109:110]
	s_clause 0x1
	buffer_load_dword v109, off, s[0:3], 0 offset:328
	buffer_load_dword v110, off, s[0:3], 0 offset:332
	s_waitcnt vmcnt(28)
	v_fma_f64 v[111:112], v[113:114], v[105:106], v[103:104]
	ds_read_b128 v[103:106], v102 offset:624
	s_clause 0x1
	buffer_load_dword v113, off, s[0:3], 0 offset:336
	buffer_load_dword v114, off, s[0:3], 0 offset:340
	;; [unrolled: 11-line block ×6, first 2 shown]
	s_waitcnt vmcnt(28) lgkmcnt(0)
	v_fma_f64 v[103:104], v[131:132], v[103:104], v[127:128]
	s_waitcnt vmcnt(26)
	v_fma_f64 v[127:128], v[133:134], v[105:106], v[103:104]
	ds_read_b128 v[103:106], v102 offset:704
	s_waitcnt vmcnt(24) lgkmcnt(0)
	v_fma_f64 v[103:104], v[135:136], v[103:104], v[127:128]
	s_waitcnt vmcnt(22)
	v_fma_f64 v[107:108], v[107:108], v[105:106], v[103:104]
	ds_read_b128 v[103:106], v102 offset:720
	;; [unrolled: 5-line block ×6, first 2 shown]
	s_waitcnt vmcnt(4) lgkmcnt(0)
	v_fma_f64 v[102:103], v[125:126], v[102:103], v[106:107]
	s_waitcnt vmcnt(2)
	v_fma_f64 v[102:103], v[123:124], v[104:105], v[102:103]
	s_waitcnt vmcnt(0)
	v_add_f64 v[102:103], v[129:130], -v[102:103]
	buffer_store_dword v103, off, s[0:3], 0 offset:188
	buffer_store_dword v102, off, s[0:3], 0 offset:184
	v_cmpx_lt_u32_e32 22, v0
	s_cbranch_execz .LBB49_265
; %bb.264:
	s_clause 0x1
	buffer_load_dword v102, off, s[0:3], 0 offset:176
	buffer_load_dword v103, off, s[0:3], 0 offset:180
	v_mov_b32_e32 v104, 0
	buffer_store_dword v104, off, s[0:3], 0 offset:176
	buffer_store_dword v104, off, s[0:3], 0 offset:180
	s_waitcnt vmcnt(0)
	ds_write_b64 v101, v[102:103]
.LBB49_265:
	s_or_b32 exec_lo, exec_lo, s4
	s_waitcnt lgkmcnt(0)
	s_waitcnt_vscnt null, 0x0
	s_barrier
	buffer_gl0_inv
	s_clause 0x1b
	buffer_load_dword v107, off, s[0:3], 0 offset:184
	buffer_load_dword v108, off, s[0:3], 0 offset:188
	;; [unrolled: 1-line block ×28, first 2 shown]
	v_mov_b32_e32 v102, 0
	s_mov_b32 s4, exec_lo
	ds_read2_b64 v[103:106], v102 offset0:73 offset1:74
	s_clause 0x1
	buffer_load_dword v135, off, s[0:3], 0 offset:296
	buffer_load_dword v136, off, s[0:3], 0 offset:300
	s_waitcnt vmcnt(28) lgkmcnt(0)
	v_fma_f64 v[103:104], v[107:108], v[103:104], 0
	s_clause 0x1
	buffer_load_dword v108, off, s[0:3], 0 offset:308
	buffer_load_dword v107, off, s[0:3], 0 offset:304
	s_waitcnt vmcnt(28)
	v_fma_f64 v[109:110], v[109:110], v[105:106], v[103:104]
	ds_read2_b64 v[103:106], v102 offset0:75 offset1:76
	s_clause 0x1
	buffer_load_dword v137, off, s[0:3], 0 offset:312
	buffer_load_dword v138, off, s[0:3], 0 offset:316
	s_waitcnt vmcnt(28) lgkmcnt(0)
	v_fma_f64 v[103:104], v[111:112], v[103:104], v[109:110]
	s_clause 0x1
	buffer_load_dword v109, off, s[0:3], 0 offset:320
	buffer_load_dword v110, off, s[0:3], 0 offset:324
	s_waitcnt vmcnt(28)
	v_fma_f64 v[111:112], v[113:114], v[105:106], v[103:104]
	;; [unrolled: 11-line block ×7, first 2 shown]
	ds_read2_b64 v[103:106], v102 offset0:87 offset1:88
	s_waitcnt vmcnt(26) lgkmcnt(0)
	v_fma_f64 v[103:104], v[135:136], v[103:104], v[131:132]
	s_waitcnt vmcnt(24)
	v_fma_f64 v[107:108], v[107:108], v[105:106], v[103:104]
	ds_read2_b64 v[103:106], v102 offset0:89 offset1:90
	s_waitcnt vmcnt(22) lgkmcnt(0)
	v_fma_f64 v[103:104], v[137:138], v[103:104], v[107:108]
	s_waitcnt vmcnt(20)
	v_fma_f64 v[107:108], v[109:110], v[105:106], v[103:104]
	;; [unrolled: 5-line block ×6, first 2 shown]
	ds_read_b64 v[105:106], v102 offset:792
	s_waitcnt vmcnt(2) lgkmcnt(0)
	v_fma_f64 v[103:104], v[129:130], v[105:106], v[103:104]
	s_waitcnt vmcnt(0)
	v_add_f64 v[103:104], v[127:128], -v[103:104]
	buffer_store_dword v104, off, s[0:3], 0 offset:180
	buffer_store_dword v103, off, s[0:3], 0 offset:176
	v_cmpx_lt_u32_e32 21, v0
	s_cbranch_execz .LBB49_267
; %bb.266:
	s_clause 0x1
	buffer_load_dword v103, off, s[0:3], 0 offset:168
	buffer_load_dword v104, off, s[0:3], 0 offset:172
	buffer_store_dword v102, off, s[0:3], 0 offset:168
	buffer_store_dword v102, off, s[0:3], 0 offset:172
	s_waitcnt vmcnt(0)
	ds_write_b64 v101, v[103:104]
.LBB49_267:
	s_or_b32 exec_lo, exec_lo, s4
	s_waitcnt lgkmcnt(0)
	s_waitcnt_vscnt null, 0x0
	s_barrier
	buffer_gl0_inv
	s_clause 0x1b
	buffer_load_dword v107, off, s[0:3], 0 offset:176
	buffer_load_dword v108, off, s[0:3], 0 offset:180
	;; [unrolled: 1-line block ×28, first 2 shown]
	ds_read_b128 v[103:106], v102 offset:576
	s_clause 0x1
	buffer_load_dword v135, off, s[0:3], 0 offset:288
	buffer_load_dword v136, off, s[0:3], 0 offset:292
	s_mov_b32 s4, exec_lo
	s_waitcnt vmcnt(28) lgkmcnt(0)
	v_fma_f64 v[103:104], v[107:108], v[103:104], 0
	s_clause 0x1
	buffer_load_dword v108, off, s[0:3], 0 offset:300
	buffer_load_dword v107, off, s[0:3], 0 offset:296
	s_waitcnt vmcnt(28)
	v_fma_f64 v[109:110], v[109:110], v[105:106], v[103:104]
	ds_read_b128 v[103:106], v102 offset:592
	s_clause 0x1
	buffer_load_dword v137, off, s[0:3], 0 offset:304
	buffer_load_dword v138, off, s[0:3], 0 offset:308
	s_waitcnt vmcnt(28) lgkmcnt(0)
	v_fma_f64 v[103:104], v[111:112], v[103:104], v[109:110]
	s_clause 0x1
	buffer_load_dword v109, off, s[0:3], 0 offset:312
	buffer_load_dword v110, off, s[0:3], 0 offset:316
	s_waitcnt vmcnt(28)
	v_fma_f64 v[111:112], v[113:114], v[105:106], v[103:104]
	ds_read_b128 v[103:106], v102 offset:608
	s_clause 0x1
	buffer_load_dword v113, off, s[0:3], 0 offset:320
	buffer_load_dword v114, off, s[0:3], 0 offset:324
	;; [unrolled: 11-line block ×7, first 2 shown]
	s_waitcnt vmcnt(28) lgkmcnt(0)
	v_fma_f64 v[103:104], v[135:136], v[103:104], v[131:132]
	s_waitcnt vmcnt(26)
	v_fma_f64 v[107:108], v[107:108], v[105:106], v[103:104]
	ds_read_b128 v[103:106], v102 offset:704
	s_waitcnt vmcnt(24) lgkmcnt(0)
	v_fma_f64 v[103:104], v[137:138], v[103:104], v[107:108]
	s_waitcnt vmcnt(22)
	v_fma_f64 v[107:108], v[109:110], v[105:106], v[103:104]
	ds_read_b128 v[103:106], v102 offset:720
	;; [unrolled: 5-line block ×6, first 2 shown]
	s_waitcnt vmcnt(4) lgkmcnt(0)
	v_fma_f64 v[102:103], v[129:130], v[102:103], v[106:107]
	s_waitcnt vmcnt(2)
	v_fma_f64 v[102:103], v[127:128], v[104:105], v[102:103]
	s_waitcnt vmcnt(0)
	v_add_f64 v[102:103], v[133:134], -v[102:103]
	buffer_store_dword v103, off, s[0:3], 0 offset:172
	buffer_store_dword v102, off, s[0:3], 0 offset:168
	v_cmpx_lt_u32_e32 20, v0
	s_cbranch_execz .LBB49_269
; %bb.268:
	s_clause 0x1
	buffer_load_dword v102, off, s[0:3], 0 offset:160
	buffer_load_dword v103, off, s[0:3], 0 offset:164
	v_mov_b32_e32 v104, 0
	buffer_store_dword v104, off, s[0:3], 0 offset:160
	buffer_store_dword v104, off, s[0:3], 0 offset:164
	s_waitcnt vmcnt(0)
	ds_write_b64 v101, v[102:103]
.LBB49_269:
	s_or_b32 exec_lo, exec_lo, s4
	s_waitcnt lgkmcnt(0)
	s_waitcnt_vscnt null, 0x0
	s_barrier
	buffer_gl0_inv
	s_clause 0x1b
	buffer_load_dword v107, off, s[0:3], 0 offset:168
	buffer_load_dword v108, off, s[0:3], 0 offset:172
	;; [unrolled: 1-line block ×28, first 2 shown]
	v_mov_b32_e32 v102, 0
	s_mov_b32 s4, exec_lo
	ds_read2_b64 v[103:106], v102 offset0:71 offset1:72
	s_clause 0x1
	buffer_load_dword v135, off, s[0:3], 0 offset:280
	buffer_load_dword v136, off, s[0:3], 0 offset:284
	s_waitcnt vmcnt(28) lgkmcnt(0)
	v_fma_f64 v[103:104], v[107:108], v[103:104], 0
	s_clause 0x1
	buffer_load_dword v108, off, s[0:3], 0 offset:292
	buffer_load_dword v107, off, s[0:3], 0 offset:288
	s_waitcnt vmcnt(28)
	v_fma_f64 v[109:110], v[109:110], v[105:106], v[103:104]
	ds_read2_b64 v[103:106], v102 offset0:73 offset1:74
	s_clause 0x1
	buffer_load_dword v137, off, s[0:3], 0 offset:296
	buffer_load_dword v138, off, s[0:3], 0 offset:300
	s_waitcnt vmcnt(28) lgkmcnt(0)
	v_fma_f64 v[103:104], v[111:112], v[103:104], v[109:110]
	s_clause 0x1
	buffer_load_dword v109, off, s[0:3], 0 offset:304
	buffer_load_dword v110, off, s[0:3], 0 offset:308
	s_waitcnt vmcnt(28)
	v_fma_f64 v[111:112], v[113:114], v[105:106], v[103:104]
	;; [unrolled: 11-line block ×8, first 2 shown]
	ds_read2_b64 v[103:106], v102 offset0:87 offset1:88
	s_waitcnt vmcnt(26) lgkmcnt(0)
	v_fma_f64 v[103:104], v[137:138], v[103:104], v[107:108]
	s_waitcnt vmcnt(24)
	v_fma_f64 v[107:108], v[109:110], v[105:106], v[103:104]
	ds_read2_b64 v[103:106], v102 offset0:89 offset1:90
	s_waitcnt vmcnt(22) lgkmcnt(0)
	v_fma_f64 v[103:104], v[113:114], v[103:104], v[107:108]
	s_waitcnt vmcnt(20)
	v_fma_f64 v[107:108], v[111:112], v[105:106], v[103:104]
	;; [unrolled: 5-line block ×6, first 2 shown]
	ds_read_b64 v[105:106], v102 offset:792
	s_waitcnt vmcnt(2) lgkmcnt(0)
	v_fma_f64 v[103:104], v[133:134], v[105:106], v[103:104]
	s_waitcnt vmcnt(0)
	v_add_f64 v[103:104], v[131:132], -v[103:104]
	buffer_store_dword v104, off, s[0:3], 0 offset:164
	buffer_store_dword v103, off, s[0:3], 0 offset:160
	v_cmpx_lt_u32_e32 19, v0
	s_cbranch_execz .LBB49_271
; %bb.270:
	s_clause 0x1
	buffer_load_dword v103, off, s[0:3], 0 offset:152
	buffer_load_dword v104, off, s[0:3], 0 offset:156
	buffer_store_dword v102, off, s[0:3], 0 offset:152
	buffer_store_dword v102, off, s[0:3], 0 offset:156
	s_waitcnt vmcnt(0)
	ds_write_b64 v101, v[103:104]
.LBB49_271:
	s_or_b32 exec_lo, exec_lo, s4
	s_waitcnt lgkmcnt(0)
	s_waitcnt_vscnt null, 0x0
	s_barrier
	buffer_gl0_inv
	s_clause 0x1b
	buffer_load_dword v107, off, s[0:3], 0 offset:160
	buffer_load_dword v108, off, s[0:3], 0 offset:164
	;; [unrolled: 1-line block ×28, first 2 shown]
	ds_read_b128 v[103:106], v102 offset:560
	s_clause 0x1
	buffer_load_dword v135, off, s[0:3], 0 offset:272
	buffer_load_dword v136, off, s[0:3], 0 offset:276
	s_mov_b32 s4, exec_lo
	s_waitcnt vmcnt(28) lgkmcnt(0)
	v_fma_f64 v[103:104], v[107:108], v[103:104], 0
	s_clause 0x1
	buffer_load_dword v108, off, s[0:3], 0 offset:284
	buffer_load_dword v107, off, s[0:3], 0 offset:280
	s_waitcnt vmcnt(28)
	v_fma_f64 v[109:110], v[109:110], v[105:106], v[103:104]
	ds_read_b128 v[103:106], v102 offset:576
	s_clause 0x1
	buffer_load_dword v137, off, s[0:3], 0 offset:288
	buffer_load_dword v138, off, s[0:3], 0 offset:292
	s_waitcnt vmcnt(28) lgkmcnt(0)
	v_fma_f64 v[103:104], v[111:112], v[103:104], v[109:110]
	s_clause 0x1
	buffer_load_dword v109, off, s[0:3], 0 offset:296
	buffer_load_dword v110, off, s[0:3], 0 offset:300
	s_waitcnt vmcnt(28)
	v_fma_f64 v[111:112], v[113:114], v[105:106], v[103:104]
	ds_read_b128 v[103:106], v102 offset:592
	s_clause 0x1
	buffer_load_dword v113, off, s[0:3], 0 offset:304
	buffer_load_dword v114, off, s[0:3], 0 offset:308
	;; [unrolled: 11-line block ×8, first 2 shown]
	s_waitcnt vmcnt(28) lgkmcnt(0)
	v_fma_f64 v[103:104], v[137:138], v[103:104], v[107:108]
	s_waitcnt vmcnt(26)
	v_fma_f64 v[107:108], v[109:110], v[105:106], v[103:104]
	ds_read_b128 v[103:106], v102 offset:704
	s_waitcnt vmcnt(24) lgkmcnt(0)
	v_fma_f64 v[103:104], v[113:114], v[103:104], v[107:108]
	s_waitcnt vmcnt(22)
	v_fma_f64 v[107:108], v[111:112], v[105:106], v[103:104]
	ds_read_b128 v[103:106], v102 offset:720
	;; [unrolled: 5-line block ×6, first 2 shown]
	s_waitcnt vmcnt(4) lgkmcnt(0)
	v_fma_f64 v[102:103], v[133:134], v[102:103], v[106:107]
	s_waitcnt vmcnt(2)
	v_fma_f64 v[102:103], v[131:132], v[104:105], v[102:103]
	s_waitcnt vmcnt(0)
	v_add_f64 v[102:103], v[135:136], -v[102:103]
	buffer_store_dword v103, off, s[0:3], 0 offset:156
	buffer_store_dword v102, off, s[0:3], 0 offset:152
	v_cmpx_lt_u32_e32 18, v0
	s_cbranch_execz .LBB49_273
; %bb.272:
	s_clause 0x1
	buffer_load_dword v102, off, s[0:3], 0 offset:144
	buffer_load_dword v103, off, s[0:3], 0 offset:148
	v_mov_b32_e32 v104, 0
	buffer_store_dword v104, off, s[0:3], 0 offset:144
	buffer_store_dword v104, off, s[0:3], 0 offset:148
	s_waitcnt vmcnt(0)
	ds_write_b64 v101, v[102:103]
.LBB49_273:
	s_or_b32 exec_lo, exec_lo, s4
	s_waitcnt lgkmcnt(0)
	s_waitcnt_vscnt null, 0x0
	s_barrier
	buffer_gl0_inv
	s_clause 0x1b
	buffer_load_dword v107, off, s[0:3], 0 offset:152
	buffer_load_dword v108, off, s[0:3], 0 offset:156
	;; [unrolled: 1-line block ×28, first 2 shown]
	v_mov_b32_e32 v102, 0
	s_mov_b32 s4, exec_lo
	ds_read2_b64 v[103:106], v102 offset0:69 offset1:70
	s_clause 0x1
	buffer_load_dword v135, off, s[0:3], 0 offset:264
	buffer_load_dword v136, off, s[0:3], 0 offset:268
	s_waitcnt vmcnt(28) lgkmcnt(0)
	v_fma_f64 v[103:104], v[107:108], v[103:104], 0
	s_clause 0x1
	buffer_load_dword v108, off, s[0:3], 0 offset:276
	buffer_load_dword v107, off, s[0:3], 0 offset:272
	s_waitcnt vmcnt(28)
	v_fma_f64 v[109:110], v[109:110], v[105:106], v[103:104]
	ds_read2_b64 v[103:106], v102 offset0:71 offset1:72
	s_clause 0x1
	buffer_load_dword v137, off, s[0:3], 0 offset:280
	buffer_load_dword v138, off, s[0:3], 0 offset:284
	s_waitcnt vmcnt(28) lgkmcnt(0)
	v_fma_f64 v[103:104], v[111:112], v[103:104], v[109:110]
	s_clause 0x1
	buffer_load_dword v109, off, s[0:3], 0 offset:288
	buffer_load_dword v110, off, s[0:3], 0 offset:292
	s_waitcnt vmcnt(28)
	v_fma_f64 v[111:112], v[113:114], v[105:106], v[103:104]
	;; [unrolled: 11-line block ×9, first 2 shown]
	ds_read2_b64 v[103:106], v102 offset0:87 offset1:88
	s_waitcnt vmcnt(26) lgkmcnt(0)
	v_fma_f64 v[103:104], v[113:114], v[103:104], v[109:110]
	s_waitcnt vmcnt(24)
	v_fma_f64 v[109:110], v[111:112], v[105:106], v[103:104]
	ds_read2_b64 v[103:106], v102 offset0:89 offset1:90
	s_waitcnt vmcnt(22) lgkmcnt(0)
	v_fma_f64 v[103:104], v[117:118], v[103:104], v[109:110]
	s_waitcnt vmcnt(20)
	v_fma_f64 v[109:110], v[115:116], v[105:106], v[103:104]
	;; [unrolled: 5-line block ×6, first 2 shown]
	ds_read_b64 v[105:106], v102 offset:792
	s_waitcnt vmcnt(2) lgkmcnt(0)
	v_fma_f64 v[103:104], v[135:136], v[105:106], v[103:104]
	s_waitcnt vmcnt(0)
	v_add_f64 v[103:104], v[107:108], -v[103:104]
	buffer_store_dword v104, off, s[0:3], 0 offset:148
	buffer_store_dword v103, off, s[0:3], 0 offset:144
	v_cmpx_lt_u32_e32 17, v0
	s_cbranch_execz .LBB49_275
; %bb.274:
	s_clause 0x1
	buffer_load_dword v103, off, s[0:3], 0 offset:136
	buffer_load_dword v104, off, s[0:3], 0 offset:140
	buffer_store_dword v102, off, s[0:3], 0 offset:136
	buffer_store_dword v102, off, s[0:3], 0 offset:140
	s_waitcnt vmcnt(0)
	ds_write_b64 v101, v[103:104]
.LBB49_275:
	s_or_b32 exec_lo, exec_lo, s4
	s_waitcnt lgkmcnt(0)
	s_waitcnt_vscnt null, 0x0
	s_barrier
	buffer_gl0_inv
	s_clause 0x1b
	buffer_load_dword v107, off, s[0:3], 0 offset:144
	buffer_load_dword v108, off, s[0:3], 0 offset:148
	;; [unrolled: 1-line block ×28, first 2 shown]
	ds_read_b128 v[103:106], v102 offset:544
	s_clause 0x1
	buffer_load_dword v135, off, s[0:3], 0 offset:256
	buffer_load_dword v136, off, s[0:3], 0 offset:260
	s_mov_b32 s4, exec_lo
	s_waitcnt vmcnt(28) lgkmcnt(0)
	v_fma_f64 v[103:104], v[107:108], v[103:104], 0
	s_clause 0x1
	buffer_load_dword v108, off, s[0:3], 0 offset:268
	buffer_load_dword v107, off, s[0:3], 0 offset:264
	s_waitcnt vmcnt(28)
	v_fma_f64 v[109:110], v[109:110], v[105:106], v[103:104]
	ds_read_b128 v[103:106], v102 offset:560
	s_clause 0x1
	buffer_load_dword v137, off, s[0:3], 0 offset:272
	buffer_load_dword v138, off, s[0:3], 0 offset:276
	s_waitcnt vmcnt(28) lgkmcnt(0)
	v_fma_f64 v[103:104], v[111:112], v[103:104], v[109:110]
	s_clause 0x1
	buffer_load_dword v109, off, s[0:3], 0 offset:280
	buffer_load_dword v110, off, s[0:3], 0 offset:284
	s_waitcnt vmcnt(28)
	v_fma_f64 v[111:112], v[113:114], v[105:106], v[103:104]
	ds_read_b128 v[103:106], v102 offset:576
	s_clause 0x1
	buffer_load_dword v113, off, s[0:3], 0 offset:288
	buffer_load_dword v114, off, s[0:3], 0 offset:292
	s_waitcnt vmcnt(28) lgkmcnt(0)
	v_fma_f64 v[103:104], v[115:116], v[103:104], v[111:112]
	s_clause 0x1
	buffer_load_dword v112, off, s[0:3], 0 offset:300
	buffer_load_dword v111, off, s[0:3], 0 offset:296
	s_waitcnt vmcnt(28)
	v_fma_f64 v[115:116], v[117:118], v[105:106], v[103:104]
	ds_read_b128 v[103:106], v102 offset:592
	s_clause 0x1
	buffer_load_dword v117, off, s[0:3], 0 offset:304
	buffer_load_dword v118, off, s[0:3], 0 offset:308
	s_waitcnt vmcnt(28) lgkmcnt(0)
	v_fma_f64 v[103:104], v[119:120], v[103:104], v[115:116]
	s_clause 0x1
	buffer_load_dword v115, off, s[0:3], 0 offset:312
	buffer_load_dword v116, off, s[0:3], 0 offset:316
	s_waitcnt vmcnt(28)
	v_fma_f64 v[119:120], v[121:122], v[105:106], v[103:104]
	ds_read_b128 v[103:106], v102 offset:608
	s_clause 0x1
	buffer_load_dword v121, off, s[0:3], 0 offset:320
	buffer_load_dword v122, off, s[0:3], 0 offset:324
	s_waitcnt vmcnt(28) lgkmcnt(0)
	v_fma_f64 v[103:104], v[123:124], v[103:104], v[119:120]
	s_clause 0x1
	buffer_load_dword v120, off, s[0:3], 0 offset:332
	buffer_load_dword v119, off, s[0:3], 0 offset:328
	s_waitcnt vmcnt(28)
	v_fma_f64 v[123:124], v[125:126], v[105:106], v[103:104]
	ds_read_b128 v[103:106], v102 offset:624
	s_clause 0x1
	buffer_load_dword v125, off, s[0:3], 0 offset:336
	buffer_load_dword v126, off, s[0:3], 0 offset:340
	s_waitcnt vmcnt(28) lgkmcnt(0)
	v_fma_f64 v[103:104], v[127:128], v[103:104], v[123:124]
	s_clause 0x1
	buffer_load_dword v123, off, s[0:3], 0 offset:344
	buffer_load_dword v124, off, s[0:3], 0 offset:348
	s_waitcnt vmcnt(28)
	v_fma_f64 v[127:128], v[129:130], v[105:106], v[103:104]
	ds_read_b128 v[103:106], v102 offset:640
	s_clause 0x1
	buffer_load_dword v129, off, s[0:3], 0 offset:352
	buffer_load_dword v130, off, s[0:3], 0 offset:356
	s_waitcnt vmcnt(28) lgkmcnt(0)
	v_fma_f64 v[103:104], v[131:132], v[103:104], v[127:128]
	s_clause 0x1
	buffer_load_dword v128, off, s[0:3], 0 offset:364
	buffer_load_dword v127, off, s[0:3], 0 offset:360
	s_waitcnt vmcnt(28)
	v_fma_f64 v[131:132], v[133:134], v[105:106], v[103:104]
	ds_read_b128 v[103:106], v102 offset:656
	s_clause 0x1
	buffer_load_dword v133, off, s[0:3], 0 offset:368
	buffer_load_dword v134, off, s[0:3], 0 offset:372
	s_waitcnt vmcnt(28) lgkmcnt(0)
	v_fma_f64 v[103:104], v[135:136], v[103:104], v[131:132]
	s_clause 0x1
	buffer_load_dword v131, off, s[0:3], 0 offset:376
	buffer_load_dword v132, off, s[0:3], 0 offset:380
	s_waitcnt vmcnt(28)
	v_fma_f64 v[107:108], v[107:108], v[105:106], v[103:104]
	ds_read_b128 v[103:106], v102 offset:672
	s_clause 0x1
	buffer_load_dword v135, off, s[0:3], 0 offset:384
	buffer_load_dword v136, off, s[0:3], 0 offset:388
	s_waitcnt vmcnt(28) lgkmcnt(0)
	v_fma_f64 v[103:104], v[137:138], v[103:104], v[107:108]
	s_clause 0x1
	buffer_load_dword v108, off, s[0:3], 0 offset:396
	buffer_load_dword v107, off, s[0:3], 0 offset:392
	s_waitcnt vmcnt(28)
	v_fma_f64 v[109:110], v[109:110], v[105:106], v[103:104]
	ds_read_b128 v[103:106], v102 offset:688
	s_clause 0x1
	buffer_load_dword v137, off, s[0:3], 0 offset:136
	buffer_load_dword v138, off, s[0:3], 0 offset:140
	s_waitcnt vmcnt(28) lgkmcnt(0)
	v_fma_f64 v[103:104], v[113:114], v[103:104], v[109:110]
	s_waitcnt vmcnt(26)
	v_fma_f64 v[109:110], v[111:112], v[105:106], v[103:104]
	ds_read_b128 v[103:106], v102 offset:704
	s_waitcnt vmcnt(24) lgkmcnt(0)
	v_fma_f64 v[103:104], v[117:118], v[103:104], v[109:110]
	s_waitcnt vmcnt(22)
	v_fma_f64 v[109:110], v[115:116], v[105:106], v[103:104]
	ds_read_b128 v[103:106], v102 offset:720
	;; [unrolled: 5-line block ×6, first 2 shown]
	s_waitcnt vmcnt(4) lgkmcnt(0)
	v_fma_f64 v[102:103], v[135:136], v[102:103], v[109:110]
	s_waitcnt vmcnt(2)
	v_fma_f64 v[102:103], v[107:108], v[104:105], v[102:103]
	s_waitcnt vmcnt(0)
	v_add_f64 v[102:103], v[137:138], -v[102:103]
	buffer_store_dword v103, off, s[0:3], 0 offset:140
	buffer_store_dword v102, off, s[0:3], 0 offset:136
	v_cmpx_lt_u32_e32 16, v0
	s_cbranch_execz .LBB49_277
; %bb.276:
	s_clause 0x1
	buffer_load_dword v102, off, s[0:3], 0 offset:128
	buffer_load_dword v103, off, s[0:3], 0 offset:132
	v_mov_b32_e32 v104, 0
	buffer_store_dword v104, off, s[0:3], 0 offset:128
	buffer_store_dword v104, off, s[0:3], 0 offset:132
	s_waitcnt vmcnt(0)
	ds_write_b64 v101, v[102:103]
.LBB49_277:
	s_or_b32 exec_lo, exec_lo, s4
	s_waitcnt lgkmcnt(0)
	s_waitcnt_vscnt null, 0x0
	s_barrier
	buffer_gl0_inv
	s_clause 0x1b
	buffer_load_dword v107, off, s[0:3], 0 offset:136
	buffer_load_dword v108, off, s[0:3], 0 offset:140
	buffer_load_dword v109, off, s[0:3], 0 offset:144
	buffer_load_dword v110, off, s[0:3], 0 offset:148
	buffer_load_dword v111, off, s[0:3], 0 offset:152
	buffer_load_dword v112, off, s[0:3], 0 offset:156
	buffer_load_dword v113, off, s[0:3], 0 offset:160
	buffer_load_dword v114, off, s[0:3], 0 offset:164
	buffer_load_dword v115, off, s[0:3], 0 offset:168
	buffer_load_dword v116, off, s[0:3], 0 offset:172
	buffer_load_dword v117, off, s[0:3], 0 offset:176
	buffer_load_dword v118, off, s[0:3], 0 offset:180
	buffer_load_dword v119, off, s[0:3], 0 offset:184
	buffer_load_dword v120, off, s[0:3], 0 offset:188
	buffer_load_dword v122, off, s[0:3], 0 offset:196
	buffer_load_dword v121, off, s[0:3], 0 offset:192
	buffer_load_dword v123, off, s[0:3], 0 offset:200
	buffer_load_dword v124, off, s[0:3], 0 offset:204
	buffer_load_dword v125, off, s[0:3], 0 offset:208
	buffer_load_dword v126, off, s[0:3], 0 offset:212
	buffer_load_dword v127, off, s[0:3], 0 offset:216
	buffer_load_dword v128, off, s[0:3], 0 offset:220
	buffer_load_dword v130, off, s[0:3], 0 offset:228
	buffer_load_dword v129, off, s[0:3], 0 offset:224
	buffer_load_dword v131, off, s[0:3], 0 offset:232
	buffer_load_dword v132, off, s[0:3], 0 offset:236
	buffer_load_dword v133, off, s[0:3], 0 offset:240
	buffer_load_dword v134, off, s[0:3], 0 offset:244
	v_mov_b32_e32 v102, 0
	s_mov_b32 s4, exec_lo
	ds_read2_b64 v[103:106], v102 offset0:67 offset1:68
	s_clause 0x1
	buffer_load_dword v135, off, s[0:3], 0 offset:248
	buffer_load_dword v136, off, s[0:3], 0 offset:252
	s_waitcnt vmcnt(28) lgkmcnt(0)
	v_fma_f64 v[103:104], v[107:108], v[103:104], 0
	s_clause 0x1
	buffer_load_dword v108, off, s[0:3], 0 offset:260
	buffer_load_dword v107, off, s[0:3], 0 offset:256
	s_waitcnt vmcnt(28)
	v_fma_f64 v[109:110], v[109:110], v[105:106], v[103:104]
	ds_read2_b64 v[103:106], v102 offset0:69 offset1:70
	s_clause 0x1
	buffer_load_dword v137, off, s[0:3], 0 offset:264
	buffer_load_dword v138, off, s[0:3], 0 offset:268
	s_waitcnt vmcnt(28) lgkmcnt(0)
	v_fma_f64 v[103:104], v[111:112], v[103:104], v[109:110]
	s_clause 0x1
	buffer_load_dword v109, off, s[0:3], 0 offset:272
	buffer_load_dword v110, off, s[0:3], 0 offset:276
	s_waitcnt vmcnt(28)
	v_fma_f64 v[111:112], v[113:114], v[105:106], v[103:104]
	;; [unrolled: 11-line block ×10, first 2 shown]
	ds_read2_b64 v[103:106], v102 offset0:87 offset1:88
	s_waitcnt vmcnt(26) lgkmcnt(0)
	v_fma_f64 v[103:104], v[117:118], v[103:104], v[111:112]
	s_waitcnt vmcnt(24)
	v_fma_f64 v[111:112], v[115:116], v[105:106], v[103:104]
	ds_read2_b64 v[103:106], v102 offset0:89 offset1:90
	s_waitcnt vmcnt(22) lgkmcnt(0)
	v_fma_f64 v[103:104], v[121:122], v[103:104], v[111:112]
	s_waitcnt vmcnt(20)
	v_fma_f64 v[111:112], v[119:120], v[105:106], v[103:104]
	;; [unrolled: 5-line block ×6, first 2 shown]
	ds_read_b64 v[105:106], v102 offset:792
	s_waitcnt vmcnt(2) lgkmcnt(0)
	v_fma_f64 v[103:104], v[137:138], v[105:106], v[103:104]
	s_waitcnt vmcnt(0)
	v_add_f64 v[103:104], v[109:110], -v[103:104]
	buffer_store_dword v104, off, s[0:3], 0 offset:132
	buffer_store_dword v103, off, s[0:3], 0 offset:128
	v_cmpx_lt_u32_e32 15, v0
	s_cbranch_execz .LBB49_279
; %bb.278:
	s_clause 0x1
	buffer_load_dword v103, off, s[0:3], 0 offset:120
	buffer_load_dword v104, off, s[0:3], 0 offset:124
	buffer_store_dword v102, off, s[0:3], 0 offset:120
	buffer_store_dword v102, off, s[0:3], 0 offset:124
	s_waitcnt vmcnt(0)
	ds_write_b64 v101, v[103:104]
.LBB49_279:
	s_or_b32 exec_lo, exec_lo, s4
	s_waitcnt lgkmcnt(0)
	s_waitcnt_vscnt null, 0x0
	s_barrier
	buffer_gl0_inv
	s_clause 0x1b
	buffer_load_dword v107, off, s[0:3], 0 offset:128
	buffer_load_dword v108, off, s[0:3], 0 offset:132
	;; [unrolled: 1-line block ×28, first 2 shown]
	ds_read_b128 v[103:106], v102 offset:528
	s_clause 0x1
	buffer_load_dword v135, off, s[0:3], 0 offset:240
	buffer_load_dword v136, off, s[0:3], 0 offset:244
	s_mov_b32 s4, exec_lo
	s_waitcnt vmcnt(28) lgkmcnt(0)
	v_fma_f64 v[103:104], v[107:108], v[103:104], 0
	s_clause 0x1
	buffer_load_dword v108, off, s[0:3], 0 offset:252
	buffer_load_dword v107, off, s[0:3], 0 offset:248
	s_waitcnt vmcnt(28)
	v_fma_f64 v[109:110], v[109:110], v[105:106], v[103:104]
	ds_read_b128 v[103:106], v102 offset:544
	s_clause 0x1
	buffer_load_dword v137, off, s[0:3], 0 offset:256
	buffer_load_dword v138, off, s[0:3], 0 offset:260
	s_waitcnt vmcnt(28) lgkmcnt(0)
	v_fma_f64 v[103:104], v[111:112], v[103:104], v[109:110]
	s_clause 0x1
	buffer_load_dword v109, off, s[0:3], 0 offset:264
	buffer_load_dword v110, off, s[0:3], 0 offset:268
	s_waitcnt vmcnt(28)
	v_fma_f64 v[111:112], v[113:114], v[105:106], v[103:104]
	ds_read_b128 v[103:106], v102 offset:560
	s_clause 0x1
	buffer_load_dword v113, off, s[0:3], 0 offset:272
	buffer_load_dword v114, off, s[0:3], 0 offset:276
	;; [unrolled: 11-line block ×10, first 2 shown]
	s_waitcnt vmcnt(28) lgkmcnt(0)
	v_fma_f64 v[103:104], v[117:118], v[103:104], v[111:112]
	s_waitcnt vmcnt(26)
	v_fma_f64 v[111:112], v[115:116], v[105:106], v[103:104]
	ds_read_b128 v[103:106], v102 offset:704
	s_waitcnt vmcnt(24) lgkmcnt(0)
	v_fma_f64 v[103:104], v[121:122], v[103:104], v[111:112]
	s_waitcnt vmcnt(22)
	v_fma_f64 v[111:112], v[119:120], v[105:106], v[103:104]
	ds_read_b128 v[103:106], v102 offset:720
	;; [unrolled: 5-line block ×6, first 2 shown]
	s_waitcnt vmcnt(4) lgkmcnt(0)
	v_fma_f64 v[102:103], v[137:138], v[102:103], v[106:107]
	s_waitcnt vmcnt(2)
	v_fma_f64 v[102:103], v[109:110], v[104:105], v[102:103]
	s_waitcnt vmcnt(0)
	v_add_f64 v[102:103], v[113:114], -v[102:103]
	buffer_store_dword v103, off, s[0:3], 0 offset:124
	buffer_store_dword v102, off, s[0:3], 0 offset:120
	v_cmpx_lt_u32_e32 14, v0
	s_cbranch_execz .LBB49_281
; %bb.280:
	s_clause 0x1
	buffer_load_dword v102, off, s[0:3], 0 offset:112
	buffer_load_dword v103, off, s[0:3], 0 offset:116
	v_mov_b32_e32 v104, 0
	buffer_store_dword v104, off, s[0:3], 0 offset:112
	buffer_store_dword v104, off, s[0:3], 0 offset:116
	s_waitcnt vmcnt(0)
	ds_write_b64 v101, v[102:103]
.LBB49_281:
	s_or_b32 exec_lo, exec_lo, s4
	s_waitcnt lgkmcnt(0)
	s_waitcnt_vscnt null, 0x0
	s_barrier
	buffer_gl0_inv
	s_clause 0x1b
	buffer_load_dword v107, off, s[0:3], 0 offset:120
	buffer_load_dword v108, off, s[0:3], 0 offset:124
	buffer_load_dword v109, off, s[0:3], 0 offset:128
	buffer_load_dword v110, off, s[0:3], 0 offset:132
	buffer_load_dword v111, off, s[0:3], 0 offset:136
	buffer_load_dword v112, off, s[0:3], 0 offset:140
	buffer_load_dword v113, off, s[0:3], 0 offset:144
	buffer_load_dword v114, off, s[0:3], 0 offset:148
	buffer_load_dword v115, off, s[0:3], 0 offset:152
	buffer_load_dword v116, off, s[0:3], 0 offset:156
	buffer_load_dword v117, off, s[0:3], 0 offset:160
	buffer_load_dword v118, off, s[0:3], 0 offset:164
	buffer_load_dword v119, off, s[0:3], 0 offset:168
	buffer_load_dword v120, off, s[0:3], 0 offset:172
	buffer_load_dword v122, off, s[0:3], 0 offset:180
	buffer_load_dword v121, off, s[0:3], 0 offset:176
	buffer_load_dword v123, off, s[0:3], 0 offset:184
	buffer_load_dword v124, off, s[0:3], 0 offset:188
	buffer_load_dword v125, off, s[0:3], 0 offset:192
	buffer_load_dword v126, off, s[0:3], 0 offset:196
	buffer_load_dword v127, off, s[0:3], 0 offset:200
	buffer_load_dword v128, off, s[0:3], 0 offset:204
	buffer_load_dword v130, off, s[0:3], 0 offset:212
	buffer_load_dword v129, off, s[0:3], 0 offset:208
	buffer_load_dword v131, off, s[0:3], 0 offset:216
	buffer_load_dword v132, off, s[0:3], 0 offset:220
	buffer_load_dword v133, off, s[0:3], 0 offset:224
	buffer_load_dword v134, off, s[0:3], 0 offset:228
	v_mov_b32_e32 v102, 0
	s_mov_b32 s4, exec_lo
	ds_read2_b64 v[103:106], v102 offset0:65 offset1:66
	s_clause 0x1
	buffer_load_dword v135, off, s[0:3], 0 offset:232
	buffer_load_dword v136, off, s[0:3], 0 offset:236
	s_waitcnt vmcnt(28) lgkmcnt(0)
	v_fma_f64 v[103:104], v[107:108], v[103:104], 0
	s_clause 0x1
	buffer_load_dword v108, off, s[0:3], 0 offset:244
	buffer_load_dword v107, off, s[0:3], 0 offset:240
	s_waitcnt vmcnt(28)
	v_fma_f64 v[109:110], v[109:110], v[105:106], v[103:104]
	ds_read2_b64 v[103:106], v102 offset0:67 offset1:68
	s_clause 0x1
	buffer_load_dword v137, off, s[0:3], 0 offset:248
	buffer_load_dword v138, off, s[0:3], 0 offset:252
	s_waitcnt vmcnt(28) lgkmcnt(0)
	v_fma_f64 v[103:104], v[111:112], v[103:104], v[109:110]
	s_clause 0x1
	buffer_load_dword v109, off, s[0:3], 0 offset:256
	buffer_load_dword v110, off, s[0:3], 0 offset:260
	s_waitcnt vmcnt(28)
	v_fma_f64 v[111:112], v[113:114], v[105:106], v[103:104]
	;; [unrolled: 11-line block ×11, first 2 shown]
	ds_read2_b64 v[103:106], v102 offset0:87 offset1:88
	s_waitcnt vmcnt(26) lgkmcnt(0)
	v_fma_f64 v[103:104], v[121:122], v[103:104], v[115:116]
	s_waitcnt vmcnt(24)
	v_fma_f64 v[115:116], v[119:120], v[105:106], v[103:104]
	ds_read2_b64 v[103:106], v102 offset0:89 offset1:90
	s_waitcnt vmcnt(22) lgkmcnt(0)
	v_fma_f64 v[103:104], v[125:126], v[103:104], v[115:116]
	s_waitcnt vmcnt(20)
	v_fma_f64 v[115:116], v[123:124], v[105:106], v[103:104]
	;; [unrolled: 5-line block ×6, first 2 shown]
	ds_read_b64 v[105:106], v102 offset:792
	s_waitcnt vmcnt(2) lgkmcnt(0)
	v_fma_f64 v[103:104], v[113:114], v[105:106], v[103:104]
	s_waitcnt vmcnt(0)
	v_add_f64 v[103:104], v[111:112], -v[103:104]
	buffer_store_dword v104, off, s[0:3], 0 offset:116
	buffer_store_dword v103, off, s[0:3], 0 offset:112
	v_cmpx_lt_u32_e32 13, v0
	s_cbranch_execz .LBB49_283
; %bb.282:
	s_clause 0x1
	buffer_load_dword v103, off, s[0:3], 0 offset:104
	buffer_load_dword v104, off, s[0:3], 0 offset:108
	buffer_store_dword v102, off, s[0:3], 0 offset:104
	buffer_store_dword v102, off, s[0:3], 0 offset:108
	s_waitcnt vmcnt(0)
	ds_write_b64 v101, v[103:104]
.LBB49_283:
	s_or_b32 exec_lo, exec_lo, s4
	s_waitcnt lgkmcnt(0)
	s_waitcnt_vscnt null, 0x0
	s_barrier
	buffer_gl0_inv
	s_clause 0x1b
	buffer_load_dword v107, off, s[0:3], 0 offset:112
	buffer_load_dword v108, off, s[0:3], 0 offset:116
	;; [unrolled: 1-line block ×28, first 2 shown]
	ds_read_b128 v[103:106], v102 offset:512
	s_clause 0x1
	buffer_load_dword v135, off, s[0:3], 0 offset:224
	buffer_load_dword v136, off, s[0:3], 0 offset:228
	s_mov_b32 s4, exec_lo
	s_waitcnt vmcnt(28) lgkmcnt(0)
	v_fma_f64 v[103:104], v[107:108], v[103:104], 0
	s_clause 0x1
	buffer_load_dword v108, off, s[0:3], 0 offset:236
	buffer_load_dword v107, off, s[0:3], 0 offset:232
	s_waitcnt vmcnt(28)
	v_fma_f64 v[109:110], v[109:110], v[105:106], v[103:104]
	ds_read_b128 v[103:106], v102 offset:528
	s_clause 0x1
	buffer_load_dword v137, off, s[0:3], 0 offset:240
	buffer_load_dword v138, off, s[0:3], 0 offset:244
	s_waitcnt vmcnt(28) lgkmcnt(0)
	v_fma_f64 v[103:104], v[111:112], v[103:104], v[109:110]
	s_clause 0x1
	buffer_load_dword v109, off, s[0:3], 0 offset:248
	buffer_load_dword v110, off, s[0:3], 0 offset:252
	s_waitcnt vmcnt(28)
	v_fma_f64 v[111:112], v[113:114], v[105:106], v[103:104]
	ds_read_b128 v[103:106], v102 offset:544
	s_clause 0x1
	buffer_load_dword v113, off, s[0:3], 0 offset:256
	buffer_load_dword v114, off, s[0:3], 0 offset:260
	s_waitcnt vmcnt(28) lgkmcnt(0)
	v_fma_f64 v[103:104], v[115:116], v[103:104], v[111:112]
	s_clause 0x1
	buffer_load_dword v112, off, s[0:3], 0 offset:268
	buffer_load_dword v111, off, s[0:3], 0 offset:264
	s_waitcnt vmcnt(28)
	v_fma_f64 v[115:116], v[117:118], v[105:106], v[103:104]
	ds_read_b128 v[103:106], v102 offset:560
	s_clause 0x1
	buffer_load_dword v117, off, s[0:3], 0 offset:272
	buffer_load_dword v118, off, s[0:3], 0 offset:276
	s_waitcnt vmcnt(28) lgkmcnt(0)
	v_fma_f64 v[103:104], v[119:120], v[103:104], v[115:116]
	s_clause 0x1
	buffer_load_dword v115, off, s[0:3], 0 offset:280
	buffer_load_dword v116, off, s[0:3], 0 offset:284
	s_waitcnt vmcnt(28)
	v_fma_f64 v[119:120], v[121:122], v[105:106], v[103:104]
	ds_read_b128 v[103:106], v102 offset:576
	s_clause 0x1
	buffer_load_dword v121, off, s[0:3], 0 offset:288
	buffer_load_dword v122, off, s[0:3], 0 offset:292
	s_waitcnt vmcnt(28) lgkmcnt(0)
	v_fma_f64 v[103:104], v[123:124], v[103:104], v[119:120]
	s_clause 0x1
	buffer_load_dword v120, off, s[0:3], 0 offset:300
	buffer_load_dword v119, off, s[0:3], 0 offset:296
	s_waitcnt vmcnt(28)
	v_fma_f64 v[123:124], v[125:126], v[105:106], v[103:104]
	ds_read_b128 v[103:106], v102 offset:592
	s_clause 0x1
	buffer_load_dword v125, off, s[0:3], 0 offset:304
	buffer_load_dword v126, off, s[0:3], 0 offset:308
	s_waitcnt vmcnt(28) lgkmcnt(0)
	v_fma_f64 v[103:104], v[127:128], v[103:104], v[123:124]
	s_clause 0x1
	buffer_load_dword v123, off, s[0:3], 0 offset:312
	buffer_load_dword v124, off, s[0:3], 0 offset:316
	s_waitcnt vmcnt(28)
	v_fma_f64 v[127:128], v[129:130], v[105:106], v[103:104]
	ds_read_b128 v[103:106], v102 offset:608
	s_clause 0x1
	buffer_load_dword v129, off, s[0:3], 0 offset:320
	buffer_load_dword v130, off, s[0:3], 0 offset:324
	s_waitcnt vmcnt(28) lgkmcnt(0)
	v_fma_f64 v[103:104], v[131:132], v[103:104], v[127:128]
	s_clause 0x1
	buffer_load_dword v128, off, s[0:3], 0 offset:332
	buffer_load_dword v127, off, s[0:3], 0 offset:328
	s_waitcnt vmcnt(28)
	v_fma_f64 v[131:132], v[133:134], v[105:106], v[103:104]
	ds_read_b128 v[103:106], v102 offset:624
	s_clause 0x1
	buffer_load_dword v133, off, s[0:3], 0 offset:336
	buffer_load_dword v134, off, s[0:3], 0 offset:340
	s_waitcnt vmcnt(28) lgkmcnt(0)
	v_fma_f64 v[103:104], v[135:136], v[103:104], v[131:132]
	s_clause 0x1
	buffer_load_dword v131, off, s[0:3], 0 offset:344
	buffer_load_dword v132, off, s[0:3], 0 offset:348
	s_waitcnt vmcnt(28)
	v_fma_f64 v[107:108], v[107:108], v[105:106], v[103:104]
	ds_read_b128 v[103:106], v102 offset:640
	s_clause 0x1
	buffer_load_dword v135, off, s[0:3], 0 offset:352
	buffer_load_dword v136, off, s[0:3], 0 offset:356
	s_waitcnt vmcnt(28) lgkmcnt(0)
	v_fma_f64 v[103:104], v[137:138], v[103:104], v[107:108]
	s_clause 0x1
	buffer_load_dword v108, off, s[0:3], 0 offset:364
	buffer_load_dword v107, off, s[0:3], 0 offset:360
	s_waitcnt vmcnt(28)
	v_fma_f64 v[109:110], v[109:110], v[105:106], v[103:104]
	ds_read_b128 v[103:106], v102 offset:656
	s_clause 0x1
	buffer_load_dword v137, off, s[0:3], 0 offset:368
	buffer_load_dword v138, off, s[0:3], 0 offset:372
	s_waitcnt vmcnt(28) lgkmcnt(0)
	v_fma_f64 v[103:104], v[113:114], v[103:104], v[109:110]
	s_clause 0x1
	buffer_load_dword v109, off, s[0:3], 0 offset:376
	buffer_load_dword v110, off, s[0:3], 0 offset:380
	s_waitcnt vmcnt(28)
	v_fma_f64 v[111:112], v[111:112], v[105:106], v[103:104]
	ds_read_b128 v[103:106], v102 offset:672
	s_clause 0x1
	buffer_load_dword v113, off, s[0:3], 0 offset:384
	buffer_load_dword v114, off, s[0:3], 0 offset:388
	s_waitcnt vmcnt(28) lgkmcnt(0)
	v_fma_f64 v[103:104], v[117:118], v[103:104], v[111:112]
	s_clause 0x1
	buffer_load_dword v112, off, s[0:3], 0 offset:396
	buffer_load_dword v111, off, s[0:3], 0 offset:392
	s_waitcnt vmcnt(28)
	v_fma_f64 v[115:116], v[115:116], v[105:106], v[103:104]
	ds_read_b128 v[103:106], v102 offset:688
	s_clause 0x1
	buffer_load_dword v117, off, s[0:3], 0 offset:104
	buffer_load_dword v118, off, s[0:3], 0 offset:108
	s_waitcnt vmcnt(28) lgkmcnt(0)
	v_fma_f64 v[103:104], v[121:122], v[103:104], v[115:116]
	s_waitcnt vmcnt(26)
	v_fma_f64 v[115:116], v[119:120], v[105:106], v[103:104]
	ds_read_b128 v[103:106], v102 offset:704
	s_waitcnt vmcnt(24) lgkmcnt(0)
	v_fma_f64 v[103:104], v[125:126], v[103:104], v[115:116]
	s_waitcnt vmcnt(22)
	v_fma_f64 v[115:116], v[123:124], v[105:106], v[103:104]
	ds_read_b128 v[103:106], v102 offset:720
	s_waitcnt vmcnt(20) lgkmcnt(0)
	v_fma_f64 v[103:104], v[129:130], v[103:104], v[115:116]
	s_waitcnt vmcnt(18)
	v_fma_f64 v[115:116], v[127:128], v[105:106], v[103:104]
	ds_read_b128 v[103:106], v102 offset:736
	s_waitcnt vmcnt(16) lgkmcnt(0)
	v_fma_f64 v[103:104], v[133:134], v[103:104], v[115:116]
	s_waitcnt vmcnt(14)
	v_fma_f64 v[115:116], v[131:132], v[105:106], v[103:104]
	ds_read_b128 v[103:106], v102 offset:752
	s_waitcnt vmcnt(12) lgkmcnt(0)
	v_fma_f64 v[103:104], v[135:136], v[103:104], v[115:116]
	s_waitcnt vmcnt(10)
	v_fma_f64 v[107:108], v[107:108], v[105:106], v[103:104]
	ds_read_b128 v[103:106], v102 offset:768
	s_waitcnt vmcnt(8) lgkmcnt(0)
	v_fma_f64 v[103:104], v[137:138], v[103:104], v[107:108]
	s_waitcnt vmcnt(6)
	v_fma_f64 v[106:107], v[109:110], v[105:106], v[103:104]
	ds_read_b128 v[102:105], v102 offset:784
	s_waitcnt vmcnt(4) lgkmcnt(0)
	v_fma_f64 v[102:103], v[113:114], v[102:103], v[106:107]
	s_waitcnt vmcnt(2)
	v_fma_f64 v[102:103], v[111:112], v[104:105], v[102:103]
	s_waitcnt vmcnt(0)
	v_add_f64 v[102:103], v[117:118], -v[102:103]
	buffer_store_dword v103, off, s[0:3], 0 offset:108
	buffer_store_dword v102, off, s[0:3], 0 offset:104
	v_cmpx_lt_u32_e32 12, v0
	s_cbranch_execz .LBB49_285
; %bb.284:
	s_clause 0x1
	buffer_load_dword v102, off, s[0:3], 0 offset:96
	buffer_load_dword v103, off, s[0:3], 0 offset:100
	v_mov_b32_e32 v104, 0
	buffer_store_dword v104, off, s[0:3], 0 offset:96
	buffer_store_dword v104, off, s[0:3], 0 offset:100
	s_waitcnt vmcnt(0)
	ds_write_b64 v101, v[102:103]
.LBB49_285:
	s_or_b32 exec_lo, exec_lo, s4
	s_waitcnt lgkmcnt(0)
	s_waitcnt_vscnt null, 0x0
	s_barrier
	buffer_gl0_inv
	s_clause 0x1b
	buffer_load_dword v107, off, s[0:3], 0 offset:104
	buffer_load_dword v108, off, s[0:3], 0 offset:108
	;; [unrolled: 1-line block ×28, first 2 shown]
	v_mov_b32_e32 v102, 0
	s_mov_b32 s4, exec_lo
	ds_read2_b64 v[103:106], v102 offset0:63 offset1:64
	s_clause 0x1
	buffer_load_dword v135, off, s[0:3], 0 offset:216
	buffer_load_dword v136, off, s[0:3], 0 offset:220
	s_waitcnt vmcnt(28) lgkmcnt(0)
	v_fma_f64 v[103:104], v[107:108], v[103:104], 0
	s_clause 0x1
	buffer_load_dword v108, off, s[0:3], 0 offset:228
	buffer_load_dword v107, off, s[0:3], 0 offset:224
	s_waitcnt vmcnt(28)
	v_fma_f64 v[109:110], v[109:110], v[105:106], v[103:104]
	ds_read2_b64 v[103:106], v102 offset0:65 offset1:66
	s_clause 0x1
	buffer_load_dword v137, off, s[0:3], 0 offset:232
	buffer_load_dword v138, off, s[0:3], 0 offset:236
	s_waitcnt vmcnt(28) lgkmcnt(0)
	v_fma_f64 v[103:104], v[111:112], v[103:104], v[109:110]
	s_clause 0x1
	buffer_load_dword v109, off, s[0:3], 0 offset:240
	buffer_load_dword v110, off, s[0:3], 0 offset:244
	s_waitcnt vmcnt(28)
	v_fma_f64 v[111:112], v[113:114], v[105:106], v[103:104]
	;; [unrolled: 11-line block ×12, first 2 shown]
	ds_read2_b64 v[103:106], v102 offset0:87 offset1:88
	s_waitcnt vmcnt(26) lgkmcnt(0)
	v_fma_f64 v[103:104], v[125:126], v[103:104], v[119:120]
	s_waitcnt vmcnt(24)
	v_fma_f64 v[119:120], v[123:124], v[105:106], v[103:104]
	ds_read2_b64 v[103:106], v102 offset0:89 offset1:90
	s_waitcnt vmcnt(22) lgkmcnt(0)
	v_fma_f64 v[103:104], v[129:130], v[103:104], v[119:120]
	s_waitcnt vmcnt(20)
	v_fma_f64 v[119:120], v[127:128], v[105:106], v[103:104]
	;; [unrolled: 5-line block ×6, first 2 shown]
	ds_read_b64 v[105:106], v102 offset:792
	s_waitcnt vmcnt(2) lgkmcnt(0)
	v_fma_f64 v[103:104], v[117:118], v[105:106], v[103:104]
	s_waitcnt vmcnt(0)
	v_add_f64 v[103:104], v[115:116], -v[103:104]
	buffer_store_dword v104, off, s[0:3], 0 offset:100
	buffer_store_dword v103, off, s[0:3], 0 offset:96
	v_cmpx_lt_u32_e32 11, v0
	s_cbranch_execz .LBB49_287
; %bb.286:
	s_clause 0x1
	buffer_load_dword v103, off, s[0:3], 0 offset:88
	buffer_load_dword v104, off, s[0:3], 0 offset:92
	buffer_store_dword v102, off, s[0:3], 0 offset:88
	buffer_store_dword v102, off, s[0:3], 0 offset:92
	s_waitcnt vmcnt(0)
	ds_write_b64 v101, v[103:104]
.LBB49_287:
	s_or_b32 exec_lo, exec_lo, s4
	s_waitcnt lgkmcnt(0)
	s_waitcnt_vscnt null, 0x0
	s_barrier
	buffer_gl0_inv
	s_clause 0x1b
	buffer_load_dword v107, off, s[0:3], 0 offset:96
	buffer_load_dword v108, off, s[0:3], 0 offset:100
	;; [unrolled: 1-line block ×28, first 2 shown]
	ds_read_b128 v[103:106], v102 offset:496
	s_clause 0x1
	buffer_load_dword v135, off, s[0:3], 0 offset:208
	buffer_load_dword v136, off, s[0:3], 0 offset:212
	s_mov_b32 s4, exec_lo
	s_waitcnt vmcnt(28) lgkmcnt(0)
	v_fma_f64 v[103:104], v[107:108], v[103:104], 0
	s_clause 0x1
	buffer_load_dword v108, off, s[0:3], 0 offset:220
	buffer_load_dword v107, off, s[0:3], 0 offset:216
	s_waitcnt vmcnt(28)
	v_fma_f64 v[109:110], v[109:110], v[105:106], v[103:104]
	ds_read_b128 v[103:106], v102 offset:512
	s_clause 0x1
	buffer_load_dword v137, off, s[0:3], 0 offset:224
	buffer_load_dword v138, off, s[0:3], 0 offset:228
	s_waitcnt vmcnt(28) lgkmcnt(0)
	v_fma_f64 v[103:104], v[111:112], v[103:104], v[109:110]
	s_clause 0x1
	buffer_load_dword v109, off, s[0:3], 0 offset:232
	buffer_load_dword v110, off, s[0:3], 0 offset:236
	s_waitcnt vmcnt(28)
	v_fma_f64 v[111:112], v[113:114], v[105:106], v[103:104]
	ds_read_b128 v[103:106], v102 offset:528
	s_clause 0x1
	buffer_load_dword v113, off, s[0:3], 0 offset:240
	buffer_load_dword v114, off, s[0:3], 0 offset:244
	;; [unrolled: 11-line block ×12, first 2 shown]
	s_waitcnt vmcnt(28) lgkmcnt(0)
	v_fma_f64 v[103:104], v[125:126], v[103:104], v[119:120]
	s_waitcnt vmcnt(26)
	v_fma_f64 v[119:120], v[123:124], v[105:106], v[103:104]
	ds_read_b128 v[103:106], v102 offset:704
	s_waitcnt vmcnt(24) lgkmcnt(0)
	v_fma_f64 v[103:104], v[129:130], v[103:104], v[119:120]
	s_waitcnt vmcnt(22)
	v_fma_f64 v[119:120], v[127:128], v[105:106], v[103:104]
	ds_read_b128 v[103:106], v102 offset:720
	;; [unrolled: 5-line block ×6, first 2 shown]
	s_waitcnt vmcnt(4) lgkmcnt(0)
	v_fma_f64 v[102:103], v[117:118], v[102:103], v[106:107]
	s_waitcnt vmcnt(2)
	v_fma_f64 v[102:103], v[115:116], v[104:105], v[102:103]
	s_waitcnt vmcnt(0)
	v_add_f64 v[102:103], v[121:122], -v[102:103]
	buffer_store_dword v103, off, s[0:3], 0 offset:92
	buffer_store_dword v102, off, s[0:3], 0 offset:88
	v_cmpx_lt_u32_e32 10, v0
	s_cbranch_execz .LBB49_289
; %bb.288:
	s_clause 0x1
	buffer_load_dword v102, off, s[0:3], 0 offset:80
	buffer_load_dword v103, off, s[0:3], 0 offset:84
	v_mov_b32_e32 v104, 0
	buffer_store_dword v104, off, s[0:3], 0 offset:80
	buffer_store_dword v104, off, s[0:3], 0 offset:84
	s_waitcnt vmcnt(0)
	ds_write_b64 v101, v[102:103]
.LBB49_289:
	s_or_b32 exec_lo, exec_lo, s4
	s_waitcnt lgkmcnt(0)
	s_waitcnt_vscnt null, 0x0
	s_barrier
	buffer_gl0_inv
	s_clause 0x1b
	buffer_load_dword v107, off, s[0:3], 0 offset:88
	buffer_load_dword v108, off, s[0:3], 0 offset:92
	;; [unrolled: 1-line block ×28, first 2 shown]
	v_mov_b32_e32 v102, 0
	s_mov_b32 s4, exec_lo
	ds_read2_b64 v[103:106], v102 offset0:61 offset1:62
	s_clause 0x1
	buffer_load_dword v135, off, s[0:3], 0 offset:200
	buffer_load_dword v136, off, s[0:3], 0 offset:204
	s_waitcnt vmcnt(28) lgkmcnt(0)
	v_fma_f64 v[103:104], v[107:108], v[103:104], 0
	s_clause 0x1
	buffer_load_dword v108, off, s[0:3], 0 offset:212
	buffer_load_dword v107, off, s[0:3], 0 offset:208
	s_waitcnt vmcnt(28)
	v_fma_f64 v[109:110], v[109:110], v[105:106], v[103:104]
	ds_read2_b64 v[103:106], v102 offset0:63 offset1:64
	s_clause 0x1
	buffer_load_dword v137, off, s[0:3], 0 offset:216
	buffer_load_dword v138, off, s[0:3], 0 offset:220
	s_waitcnt vmcnt(28) lgkmcnt(0)
	v_fma_f64 v[103:104], v[111:112], v[103:104], v[109:110]
	s_clause 0x1
	buffer_load_dword v109, off, s[0:3], 0 offset:224
	buffer_load_dword v110, off, s[0:3], 0 offset:228
	s_waitcnt vmcnt(28)
	v_fma_f64 v[111:112], v[113:114], v[105:106], v[103:104]
	;; [unrolled: 11-line block ×13, first 2 shown]
	ds_read2_b64 v[103:106], v102 offset0:87 offset1:88
	s_waitcnt vmcnt(26) lgkmcnt(0)
	v_fma_f64 v[103:104], v[129:130], v[103:104], v[123:124]
	s_waitcnt vmcnt(24)
	v_fma_f64 v[123:124], v[127:128], v[105:106], v[103:104]
	ds_read2_b64 v[103:106], v102 offset0:89 offset1:90
	s_waitcnt vmcnt(22) lgkmcnt(0)
	v_fma_f64 v[103:104], v[133:134], v[103:104], v[123:124]
	s_waitcnt vmcnt(20)
	v_fma_f64 v[123:124], v[131:132], v[105:106], v[103:104]
	;; [unrolled: 5-line block ×6, first 2 shown]
	ds_read_b64 v[105:106], v102 offset:792
	s_waitcnt vmcnt(2) lgkmcnt(0)
	v_fma_f64 v[103:104], v[121:122], v[105:106], v[103:104]
	s_waitcnt vmcnt(0)
	v_add_f64 v[103:104], v[119:120], -v[103:104]
	buffer_store_dword v104, off, s[0:3], 0 offset:84
	buffer_store_dword v103, off, s[0:3], 0 offset:80
	v_cmpx_lt_u32_e32 9, v0
	s_cbranch_execz .LBB49_291
; %bb.290:
	s_clause 0x1
	buffer_load_dword v103, off, s[0:3], 0 offset:72
	buffer_load_dword v104, off, s[0:3], 0 offset:76
	buffer_store_dword v102, off, s[0:3], 0 offset:72
	buffer_store_dword v102, off, s[0:3], 0 offset:76
	s_waitcnt vmcnt(0)
	ds_write_b64 v101, v[103:104]
.LBB49_291:
	s_or_b32 exec_lo, exec_lo, s4
	s_waitcnt lgkmcnt(0)
	s_waitcnt_vscnt null, 0x0
	s_barrier
	buffer_gl0_inv
	s_clause 0x1b
	buffer_load_dword v107, off, s[0:3], 0 offset:80
	buffer_load_dword v108, off, s[0:3], 0 offset:84
	;; [unrolled: 1-line block ×28, first 2 shown]
	ds_read_b128 v[103:106], v102 offset:480
	s_clause 0x1
	buffer_load_dword v135, off, s[0:3], 0 offset:192
	buffer_load_dword v136, off, s[0:3], 0 offset:196
	s_mov_b32 s4, exec_lo
	s_waitcnt vmcnt(28) lgkmcnt(0)
	v_fma_f64 v[103:104], v[107:108], v[103:104], 0
	s_clause 0x1
	buffer_load_dword v108, off, s[0:3], 0 offset:204
	buffer_load_dword v107, off, s[0:3], 0 offset:200
	s_waitcnt vmcnt(28)
	v_fma_f64 v[109:110], v[109:110], v[105:106], v[103:104]
	ds_read_b128 v[103:106], v102 offset:496
	s_clause 0x1
	buffer_load_dword v137, off, s[0:3], 0 offset:208
	buffer_load_dword v138, off, s[0:3], 0 offset:212
	s_waitcnt vmcnt(28) lgkmcnt(0)
	v_fma_f64 v[103:104], v[111:112], v[103:104], v[109:110]
	s_clause 0x1
	buffer_load_dword v109, off, s[0:3], 0 offset:216
	buffer_load_dword v110, off, s[0:3], 0 offset:220
	s_waitcnt vmcnt(28)
	v_fma_f64 v[111:112], v[113:114], v[105:106], v[103:104]
	ds_read_b128 v[103:106], v102 offset:512
	s_clause 0x1
	buffer_load_dword v113, off, s[0:3], 0 offset:224
	buffer_load_dword v114, off, s[0:3], 0 offset:228
	;; [unrolled: 11-line block ×13, first 2 shown]
	s_waitcnt vmcnt(28) lgkmcnt(0)
	v_fma_f64 v[103:104], v[129:130], v[103:104], v[123:124]
	s_waitcnt vmcnt(26)
	v_fma_f64 v[123:124], v[127:128], v[105:106], v[103:104]
	ds_read_b128 v[103:106], v102 offset:704
	s_waitcnt vmcnt(24) lgkmcnt(0)
	v_fma_f64 v[103:104], v[133:134], v[103:104], v[123:124]
	s_waitcnt vmcnt(22)
	v_fma_f64 v[123:124], v[131:132], v[105:106], v[103:104]
	ds_read_b128 v[103:106], v102 offset:720
	;; [unrolled: 5-line block ×6, first 2 shown]
	s_waitcnt vmcnt(4) lgkmcnt(0)
	v_fma_f64 v[102:103], v[121:122], v[102:103], v[106:107]
	s_waitcnt vmcnt(2)
	v_fma_f64 v[102:103], v[119:120], v[104:105], v[102:103]
	s_waitcnt vmcnt(0)
	v_add_f64 v[102:103], v[125:126], -v[102:103]
	buffer_store_dword v103, off, s[0:3], 0 offset:76
	buffer_store_dword v102, off, s[0:3], 0 offset:72
	v_cmpx_lt_u32_e32 8, v0
	s_cbranch_execz .LBB49_293
; %bb.292:
	s_clause 0x1
	buffer_load_dword v102, off, s[0:3], 0 offset:64
	buffer_load_dword v103, off, s[0:3], 0 offset:68
	v_mov_b32_e32 v104, 0
	buffer_store_dword v104, off, s[0:3], 0 offset:64
	buffer_store_dword v104, off, s[0:3], 0 offset:68
	s_waitcnt vmcnt(0)
	ds_write_b64 v101, v[102:103]
.LBB49_293:
	s_or_b32 exec_lo, exec_lo, s4
	s_waitcnt lgkmcnt(0)
	s_waitcnt_vscnt null, 0x0
	s_barrier
	buffer_gl0_inv
	s_clause 0x1b
	buffer_load_dword v107, off, s[0:3], 0 offset:72
	buffer_load_dword v108, off, s[0:3], 0 offset:76
	;; [unrolled: 1-line block ×28, first 2 shown]
	v_mov_b32_e32 v102, 0
	s_mov_b32 s4, exec_lo
	ds_read2_b64 v[103:106], v102 offset0:59 offset1:60
	s_clause 0x1
	buffer_load_dword v135, off, s[0:3], 0 offset:184
	buffer_load_dword v136, off, s[0:3], 0 offset:188
	s_waitcnt vmcnt(28) lgkmcnt(0)
	v_fma_f64 v[103:104], v[107:108], v[103:104], 0
	s_clause 0x1
	buffer_load_dword v108, off, s[0:3], 0 offset:196
	buffer_load_dword v107, off, s[0:3], 0 offset:192
	s_waitcnt vmcnt(28)
	v_fma_f64 v[109:110], v[109:110], v[105:106], v[103:104]
	ds_read2_b64 v[103:106], v102 offset0:61 offset1:62
	s_clause 0x1
	buffer_load_dword v137, off, s[0:3], 0 offset:200
	buffer_load_dword v138, off, s[0:3], 0 offset:204
	s_waitcnt vmcnt(28) lgkmcnt(0)
	v_fma_f64 v[103:104], v[111:112], v[103:104], v[109:110]
	s_clause 0x1
	buffer_load_dword v109, off, s[0:3], 0 offset:208
	buffer_load_dword v110, off, s[0:3], 0 offset:212
	s_waitcnt vmcnt(28)
	v_fma_f64 v[111:112], v[113:114], v[105:106], v[103:104]
	;; [unrolled: 11-line block ×14, first 2 shown]
	ds_read2_b64 v[103:106], v102 offset0:87 offset1:88
	s_waitcnt vmcnt(26) lgkmcnt(0)
	v_fma_f64 v[103:104], v[133:134], v[103:104], v[127:128]
	s_waitcnt vmcnt(24)
	v_fma_f64 v[127:128], v[131:132], v[105:106], v[103:104]
	ds_read2_b64 v[103:106], v102 offset0:89 offset1:90
	s_waitcnt vmcnt(22) lgkmcnt(0)
	v_fma_f64 v[103:104], v[135:136], v[103:104], v[127:128]
	s_waitcnt vmcnt(20)
	v_fma_f64 v[107:108], v[107:108], v[105:106], v[103:104]
	;; [unrolled: 5-line block ×6, first 2 shown]
	ds_read_b64 v[105:106], v102 offset:792
	s_waitcnt vmcnt(2) lgkmcnt(0)
	v_fma_f64 v[103:104], v[125:126], v[105:106], v[103:104]
	s_waitcnt vmcnt(0)
	v_add_f64 v[103:104], v[123:124], -v[103:104]
	buffer_store_dword v104, off, s[0:3], 0 offset:68
	buffer_store_dword v103, off, s[0:3], 0 offset:64
	v_cmpx_lt_u32_e32 7, v0
	s_cbranch_execz .LBB49_295
; %bb.294:
	s_clause 0x1
	buffer_load_dword v103, off, s[0:3], 0 offset:56
	buffer_load_dword v104, off, s[0:3], 0 offset:60
	buffer_store_dword v102, off, s[0:3], 0 offset:56
	buffer_store_dword v102, off, s[0:3], 0 offset:60
	s_waitcnt vmcnt(0)
	ds_write_b64 v101, v[103:104]
.LBB49_295:
	s_or_b32 exec_lo, exec_lo, s4
	s_waitcnt lgkmcnt(0)
	s_waitcnt_vscnt null, 0x0
	s_barrier
	buffer_gl0_inv
	s_clause 0x1b
	buffer_load_dword v107, off, s[0:3], 0 offset:64
	buffer_load_dword v108, off, s[0:3], 0 offset:68
	;; [unrolled: 1-line block ×28, first 2 shown]
	ds_read_b128 v[103:106], v102 offset:464
	s_clause 0x1
	buffer_load_dword v135, off, s[0:3], 0 offset:176
	buffer_load_dword v136, off, s[0:3], 0 offset:180
	s_mov_b32 s4, exec_lo
	s_waitcnt vmcnt(28) lgkmcnt(0)
	v_fma_f64 v[103:104], v[107:108], v[103:104], 0
	s_clause 0x1
	buffer_load_dword v108, off, s[0:3], 0 offset:188
	buffer_load_dword v107, off, s[0:3], 0 offset:184
	s_waitcnt vmcnt(28)
	v_fma_f64 v[109:110], v[109:110], v[105:106], v[103:104]
	ds_read_b128 v[103:106], v102 offset:480
	s_clause 0x1
	buffer_load_dword v137, off, s[0:3], 0 offset:192
	buffer_load_dword v138, off, s[0:3], 0 offset:196
	s_waitcnt vmcnt(28) lgkmcnt(0)
	v_fma_f64 v[103:104], v[111:112], v[103:104], v[109:110]
	s_clause 0x1
	buffer_load_dword v109, off, s[0:3], 0 offset:200
	buffer_load_dword v110, off, s[0:3], 0 offset:204
	s_waitcnt vmcnt(28)
	v_fma_f64 v[111:112], v[113:114], v[105:106], v[103:104]
	ds_read_b128 v[103:106], v102 offset:496
	s_clause 0x1
	buffer_load_dword v113, off, s[0:3], 0 offset:208
	buffer_load_dword v114, off, s[0:3], 0 offset:212
	;; [unrolled: 11-line block ×14, first 2 shown]
	s_waitcnt vmcnt(28) lgkmcnt(0)
	v_fma_f64 v[103:104], v[133:134], v[103:104], v[127:128]
	s_waitcnt vmcnt(26)
	v_fma_f64 v[127:128], v[131:132], v[105:106], v[103:104]
	ds_read_b128 v[103:106], v102 offset:704
	s_waitcnt vmcnt(24) lgkmcnt(0)
	v_fma_f64 v[103:104], v[135:136], v[103:104], v[127:128]
	s_waitcnt vmcnt(22)
	v_fma_f64 v[107:108], v[107:108], v[105:106], v[103:104]
	ds_read_b128 v[103:106], v102 offset:720
	;; [unrolled: 5-line block ×6, first 2 shown]
	s_waitcnt vmcnt(4) lgkmcnt(0)
	v_fma_f64 v[102:103], v[125:126], v[102:103], v[106:107]
	s_waitcnt vmcnt(2)
	v_fma_f64 v[102:103], v[123:124], v[104:105], v[102:103]
	s_waitcnt vmcnt(0)
	v_add_f64 v[102:103], v[129:130], -v[102:103]
	buffer_store_dword v103, off, s[0:3], 0 offset:60
	buffer_store_dword v102, off, s[0:3], 0 offset:56
	v_cmpx_lt_u32_e32 6, v0
	s_cbranch_execz .LBB49_297
; %bb.296:
	s_clause 0x1
	buffer_load_dword v102, off, s[0:3], 0 offset:48
	buffer_load_dword v103, off, s[0:3], 0 offset:52
	v_mov_b32_e32 v104, 0
	buffer_store_dword v104, off, s[0:3], 0 offset:48
	buffer_store_dword v104, off, s[0:3], 0 offset:52
	s_waitcnt vmcnt(0)
	ds_write_b64 v101, v[102:103]
.LBB49_297:
	s_or_b32 exec_lo, exec_lo, s4
	s_waitcnt lgkmcnt(0)
	s_waitcnt_vscnt null, 0x0
	s_barrier
	buffer_gl0_inv
	s_clause 0x1b
	buffer_load_dword v107, off, s[0:3], 0 offset:56
	buffer_load_dword v108, off, s[0:3], 0 offset:60
	;; [unrolled: 1-line block ×28, first 2 shown]
	v_mov_b32_e32 v102, 0
	s_mov_b32 s4, exec_lo
	ds_read2_b64 v[103:106], v102 offset0:57 offset1:58
	s_clause 0x1
	buffer_load_dword v135, off, s[0:3], 0 offset:168
	buffer_load_dword v136, off, s[0:3], 0 offset:172
	s_waitcnt vmcnt(28) lgkmcnt(0)
	v_fma_f64 v[103:104], v[107:108], v[103:104], 0
	s_clause 0x1
	buffer_load_dword v108, off, s[0:3], 0 offset:180
	buffer_load_dword v107, off, s[0:3], 0 offset:176
	s_waitcnt vmcnt(28)
	v_fma_f64 v[109:110], v[109:110], v[105:106], v[103:104]
	ds_read2_b64 v[103:106], v102 offset0:59 offset1:60
	s_clause 0x1
	buffer_load_dword v137, off, s[0:3], 0 offset:184
	buffer_load_dword v138, off, s[0:3], 0 offset:188
	s_waitcnt vmcnt(28) lgkmcnt(0)
	v_fma_f64 v[103:104], v[111:112], v[103:104], v[109:110]
	s_clause 0x1
	buffer_load_dword v109, off, s[0:3], 0 offset:192
	buffer_load_dword v110, off, s[0:3], 0 offset:196
	s_waitcnt vmcnt(28)
	v_fma_f64 v[111:112], v[113:114], v[105:106], v[103:104]
	;; [unrolled: 11-line block ×15, first 2 shown]
	ds_read2_b64 v[103:106], v102 offset0:87 offset1:88
	s_waitcnt vmcnt(26) lgkmcnt(0)
	v_fma_f64 v[103:104], v[135:136], v[103:104], v[131:132]
	s_waitcnt vmcnt(24)
	v_fma_f64 v[107:108], v[107:108], v[105:106], v[103:104]
	ds_read2_b64 v[103:106], v102 offset0:89 offset1:90
	s_waitcnt vmcnt(22) lgkmcnt(0)
	v_fma_f64 v[103:104], v[137:138], v[103:104], v[107:108]
	s_waitcnt vmcnt(20)
	v_fma_f64 v[107:108], v[109:110], v[105:106], v[103:104]
	;; [unrolled: 5-line block ×6, first 2 shown]
	ds_read_b64 v[105:106], v102 offset:792
	s_waitcnt vmcnt(2) lgkmcnt(0)
	v_fma_f64 v[103:104], v[129:130], v[105:106], v[103:104]
	s_waitcnt vmcnt(0)
	v_add_f64 v[103:104], v[127:128], -v[103:104]
	buffer_store_dword v104, off, s[0:3], 0 offset:52
	buffer_store_dword v103, off, s[0:3], 0 offset:48
	v_cmpx_lt_u32_e32 5, v0
	s_cbranch_execz .LBB49_299
; %bb.298:
	s_clause 0x1
	buffer_load_dword v103, off, s[0:3], 0 offset:40
	buffer_load_dword v104, off, s[0:3], 0 offset:44
	buffer_store_dword v102, off, s[0:3], 0 offset:40
	buffer_store_dword v102, off, s[0:3], 0 offset:44
	s_waitcnt vmcnt(0)
	ds_write_b64 v101, v[103:104]
.LBB49_299:
	s_or_b32 exec_lo, exec_lo, s4
	s_waitcnt lgkmcnt(0)
	s_waitcnt_vscnt null, 0x0
	s_barrier
	buffer_gl0_inv
	s_clause 0x1b
	buffer_load_dword v107, off, s[0:3], 0 offset:48
	buffer_load_dword v108, off, s[0:3], 0 offset:52
	;; [unrolled: 1-line block ×28, first 2 shown]
	ds_read_b128 v[103:106], v102 offset:448
	s_clause 0x1
	buffer_load_dword v135, off, s[0:3], 0 offset:160
	buffer_load_dword v136, off, s[0:3], 0 offset:164
	s_mov_b32 s4, exec_lo
	s_waitcnt vmcnt(28) lgkmcnt(0)
	v_fma_f64 v[103:104], v[107:108], v[103:104], 0
	s_clause 0x1
	buffer_load_dword v108, off, s[0:3], 0 offset:172
	buffer_load_dword v107, off, s[0:3], 0 offset:168
	s_waitcnt vmcnt(28)
	v_fma_f64 v[109:110], v[109:110], v[105:106], v[103:104]
	ds_read_b128 v[103:106], v102 offset:464
	s_clause 0x1
	buffer_load_dword v137, off, s[0:3], 0 offset:176
	buffer_load_dword v138, off, s[0:3], 0 offset:180
	s_waitcnt vmcnt(28) lgkmcnt(0)
	v_fma_f64 v[103:104], v[111:112], v[103:104], v[109:110]
	s_clause 0x1
	buffer_load_dword v109, off, s[0:3], 0 offset:184
	buffer_load_dword v110, off, s[0:3], 0 offset:188
	s_waitcnt vmcnt(28)
	v_fma_f64 v[111:112], v[113:114], v[105:106], v[103:104]
	ds_read_b128 v[103:106], v102 offset:480
	s_clause 0x1
	buffer_load_dword v113, off, s[0:3], 0 offset:192
	buffer_load_dword v114, off, s[0:3], 0 offset:196
	;; [unrolled: 11-line block ×15, first 2 shown]
	s_waitcnt vmcnt(28) lgkmcnt(0)
	v_fma_f64 v[103:104], v[135:136], v[103:104], v[131:132]
	s_waitcnt vmcnt(26)
	v_fma_f64 v[107:108], v[107:108], v[105:106], v[103:104]
	ds_read_b128 v[103:106], v102 offset:704
	s_waitcnt vmcnt(24) lgkmcnt(0)
	v_fma_f64 v[103:104], v[137:138], v[103:104], v[107:108]
	s_waitcnt vmcnt(22)
	v_fma_f64 v[107:108], v[109:110], v[105:106], v[103:104]
	ds_read_b128 v[103:106], v102 offset:720
	;; [unrolled: 5-line block ×6, first 2 shown]
	s_waitcnt vmcnt(4) lgkmcnt(0)
	v_fma_f64 v[102:103], v[129:130], v[102:103], v[106:107]
	s_waitcnt vmcnt(2)
	v_fma_f64 v[102:103], v[127:128], v[104:105], v[102:103]
	s_waitcnt vmcnt(0)
	v_add_f64 v[102:103], v[133:134], -v[102:103]
	buffer_store_dword v103, off, s[0:3], 0 offset:44
	buffer_store_dword v102, off, s[0:3], 0 offset:40
	v_cmpx_lt_u32_e32 4, v0
	s_cbranch_execz .LBB49_301
; %bb.300:
	s_clause 0x1
	buffer_load_dword v102, off, s[0:3], 0 offset:32
	buffer_load_dword v103, off, s[0:3], 0 offset:36
	v_mov_b32_e32 v104, 0
	buffer_store_dword v104, off, s[0:3], 0 offset:32
	buffer_store_dword v104, off, s[0:3], 0 offset:36
	s_waitcnt vmcnt(0)
	ds_write_b64 v101, v[102:103]
.LBB49_301:
	s_or_b32 exec_lo, exec_lo, s4
	s_waitcnt lgkmcnt(0)
	s_waitcnt_vscnt null, 0x0
	s_barrier
	buffer_gl0_inv
	s_clause 0x1b
	buffer_load_dword v107, off, s[0:3], 0 offset:40
	buffer_load_dword v108, off, s[0:3], 0 offset:44
	;; [unrolled: 1-line block ×28, first 2 shown]
	v_mov_b32_e32 v102, 0
	s_mov_b32 s4, exec_lo
	ds_read2_b64 v[103:106], v102 offset0:55 offset1:56
	s_clause 0x1
	buffer_load_dword v135, off, s[0:3], 0 offset:152
	buffer_load_dword v136, off, s[0:3], 0 offset:156
	s_waitcnt vmcnt(28) lgkmcnt(0)
	v_fma_f64 v[103:104], v[107:108], v[103:104], 0
	s_clause 0x1
	buffer_load_dword v108, off, s[0:3], 0 offset:164
	buffer_load_dword v107, off, s[0:3], 0 offset:160
	s_waitcnt vmcnt(28)
	v_fma_f64 v[109:110], v[109:110], v[105:106], v[103:104]
	ds_read2_b64 v[103:106], v102 offset0:57 offset1:58
	s_clause 0x1
	buffer_load_dword v137, off, s[0:3], 0 offset:168
	buffer_load_dword v138, off, s[0:3], 0 offset:172
	s_waitcnt vmcnt(28) lgkmcnt(0)
	v_fma_f64 v[103:104], v[111:112], v[103:104], v[109:110]
	s_clause 0x1
	buffer_load_dword v109, off, s[0:3], 0 offset:176
	buffer_load_dword v110, off, s[0:3], 0 offset:180
	s_waitcnt vmcnt(28)
	v_fma_f64 v[111:112], v[113:114], v[105:106], v[103:104]
	;; [unrolled: 11-line block ×16, first 2 shown]
	ds_read2_b64 v[103:106], v102 offset0:87 offset1:88
	s_waitcnt vmcnt(26) lgkmcnt(0)
	v_fma_f64 v[103:104], v[137:138], v[103:104], v[107:108]
	s_waitcnt vmcnt(24)
	v_fma_f64 v[107:108], v[109:110], v[105:106], v[103:104]
	ds_read2_b64 v[103:106], v102 offset0:89 offset1:90
	s_waitcnt vmcnt(22) lgkmcnt(0)
	v_fma_f64 v[103:104], v[113:114], v[103:104], v[107:108]
	s_waitcnt vmcnt(20)
	v_fma_f64 v[107:108], v[111:112], v[105:106], v[103:104]
	;; [unrolled: 5-line block ×6, first 2 shown]
	ds_read_b64 v[105:106], v102 offset:792
	s_waitcnt vmcnt(2) lgkmcnt(0)
	v_fma_f64 v[103:104], v[133:134], v[105:106], v[103:104]
	s_waitcnt vmcnt(0)
	v_add_f64 v[103:104], v[131:132], -v[103:104]
	buffer_store_dword v104, off, s[0:3], 0 offset:36
	buffer_store_dword v103, off, s[0:3], 0 offset:32
	v_cmpx_lt_u32_e32 3, v0
	s_cbranch_execz .LBB49_303
; %bb.302:
	s_clause 0x1
	buffer_load_dword v103, off, s[0:3], 0 offset:24
	buffer_load_dword v104, off, s[0:3], 0 offset:28
	buffer_store_dword v102, off, s[0:3], 0 offset:24
	buffer_store_dword v102, off, s[0:3], 0 offset:28
	s_waitcnt vmcnt(0)
	ds_write_b64 v101, v[103:104]
.LBB49_303:
	s_or_b32 exec_lo, exec_lo, s4
	s_waitcnt lgkmcnt(0)
	s_waitcnt_vscnt null, 0x0
	s_barrier
	buffer_gl0_inv
	s_clause 0x1b
	buffer_load_dword v107, off, s[0:3], 0 offset:32
	buffer_load_dword v108, off, s[0:3], 0 offset:36
	;; [unrolled: 1-line block ×28, first 2 shown]
	ds_read_b128 v[103:106], v102 offset:432
	s_clause 0x1
	buffer_load_dword v135, off, s[0:3], 0 offset:144
	buffer_load_dword v136, off, s[0:3], 0 offset:148
	s_mov_b32 s4, exec_lo
	s_waitcnt vmcnt(28) lgkmcnt(0)
	v_fma_f64 v[103:104], v[107:108], v[103:104], 0
	s_clause 0x1
	buffer_load_dword v108, off, s[0:3], 0 offset:156
	buffer_load_dword v107, off, s[0:3], 0 offset:152
	s_waitcnt vmcnt(28)
	v_fma_f64 v[109:110], v[109:110], v[105:106], v[103:104]
	ds_read_b128 v[103:106], v102 offset:448
	s_clause 0x1
	buffer_load_dword v137, off, s[0:3], 0 offset:160
	buffer_load_dword v138, off, s[0:3], 0 offset:164
	s_waitcnt vmcnt(28) lgkmcnt(0)
	v_fma_f64 v[103:104], v[111:112], v[103:104], v[109:110]
	s_clause 0x1
	buffer_load_dword v109, off, s[0:3], 0 offset:168
	buffer_load_dword v110, off, s[0:3], 0 offset:172
	s_waitcnt vmcnt(28)
	v_fma_f64 v[111:112], v[113:114], v[105:106], v[103:104]
	ds_read_b128 v[103:106], v102 offset:464
	s_clause 0x1
	buffer_load_dword v113, off, s[0:3], 0 offset:176
	buffer_load_dword v114, off, s[0:3], 0 offset:180
	;; [unrolled: 11-line block ×16, first 2 shown]
	s_waitcnt vmcnt(28) lgkmcnt(0)
	v_fma_f64 v[103:104], v[137:138], v[103:104], v[107:108]
	s_waitcnt vmcnt(26)
	v_fma_f64 v[107:108], v[109:110], v[105:106], v[103:104]
	ds_read_b128 v[103:106], v102 offset:704
	s_waitcnt vmcnt(24) lgkmcnt(0)
	v_fma_f64 v[103:104], v[113:114], v[103:104], v[107:108]
	s_waitcnt vmcnt(22)
	v_fma_f64 v[107:108], v[111:112], v[105:106], v[103:104]
	ds_read_b128 v[103:106], v102 offset:720
	;; [unrolled: 5-line block ×6, first 2 shown]
	s_waitcnt vmcnt(4) lgkmcnt(0)
	v_fma_f64 v[102:103], v[133:134], v[102:103], v[106:107]
	s_waitcnt vmcnt(2)
	v_fma_f64 v[102:103], v[131:132], v[104:105], v[102:103]
	s_waitcnt vmcnt(0)
	v_add_f64 v[102:103], v[135:136], -v[102:103]
	buffer_store_dword v103, off, s[0:3], 0 offset:28
	buffer_store_dword v102, off, s[0:3], 0 offset:24
	v_cmpx_lt_u32_e32 2, v0
	s_cbranch_execz .LBB49_305
; %bb.304:
	s_clause 0x1
	buffer_load_dword v102, off, s[0:3], 0 offset:16
	buffer_load_dword v103, off, s[0:3], 0 offset:20
	v_mov_b32_e32 v104, 0
	buffer_store_dword v104, off, s[0:3], 0 offset:16
	buffer_store_dword v104, off, s[0:3], 0 offset:20
	s_waitcnt vmcnt(0)
	ds_write_b64 v101, v[102:103]
.LBB49_305:
	s_or_b32 exec_lo, exec_lo, s4
	s_waitcnt lgkmcnt(0)
	s_waitcnt_vscnt null, 0x0
	s_barrier
	buffer_gl0_inv
	s_clause 0x1b
	buffer_load_dword v107, off, s[0:3], 0 offset:24
	buffer_load_dword v108, off, s[0:3], 0 offset:28
	;; [unrolled: 1-line block ×28, first 2 shown]
	v_mov_b32_e32 v102, 0
	s_mov_b32 s4, exec_lo
	ds_read2_b64 v[103:106], v102 offset0:53 offset1:54
	s_clause 0x1
	buffer_load_dword v135, off, s[0:3], 0 offset:136
	buffer_load_dword v136, off, s[0:3], 0 offset:140
	s_waitcnt vmcnt(28) lgkmcnt(0)
	v_fma_f64 v[103:104], v[107:108], v[103:104], 0
	s_clause 0x1
	buffer_load_dword v108, off, s[0:3], 0 offset:148
	buffer_load_dword v107, off, s[0:3], 0 offset:144
	s_waitcnt vmcnt(28)
	v_fma_f64 v[109:110], v[109:110], v[105:106], v[103:104]
	ds_read2_b64 v[103:106], v102 offset0:55 offset1:56
	s_clause 0x1
	buffer_load_dword v137, off, s[0:3], 0 offset:152
	buffer_load_dword v138, off, s[0:3], 0 offset:156
	s_waitcnt vmcnt(28) lgkmcnt(0)
	v_fma_f64 v[103:104], v[111:112], v[103:104], v[109:110]
	s_clause 0x1
	buffer_load_dword v109, off, s[0:3], 0 offset:160
	buffer_load_dword v110, off, s[0:3], 0 offset:164
	s_waitcnt vmcnt(28)
	v_fma_f64 v[111:112], v[113:114], v[105:106], v[103:104]
	;; [unrolled: 11-line block ×17, first 2 shown]
	ds_read2_b64 v[103:106], v102 offset0:87 offset1:88
	s_waitcnt vmcnt(26) lgkmcnt(0)
	v_fma_f64 v[103:104], v[113:114], v[103:104], v[109:110]
	s_waitcnt vmcnt(24)
	v_fma_f64 v[109:110], v[111:112], v[105:106], v[103:104]
	ds_read2_b64 v[103:106], v102 offset0:89 offset1:90
	s_waitcnt vmcnt(22) lgkmcnt(0)
	v_fma_f64 v[103:104], v[117:118], v[103:104], v[109:110]
	s_waitcnt vmcnt(20)
	v_fma_f64 v[109:110], v[115:116], v[105:106], v[103:104]
	;; [unrolled: 5-line block ×6, first 2 shown]
	ds_read_b64 v[105:106], v102 offset:792
	s_waitcnt vmcnt(2) lgkmcnt(0)
	v_fma_f64 v[103:104], v[135:136], v[105:106], v[103:104]
	s_waitcnt vmcnt(0)
	v_add_f64 v[103:104], v[107:108], -v[103:104]
	buffer_store_dword v104, off, s[0:3], 0 offset:20
	buffer_store_dword v103, off, s[0:3], 0 offset:16
	v_cmpx_lt_u32_e32 1, v0
	s_cbranch_execz .LBB49_307
; %bb.306:
	s_clause 0x1
	buffer_load_dword v103, off, s[0:3], 0 offset:8
	buffer_load_dword v104, off, s[0:3], 0 offset:12
	buffer_store_dword v102, off, s[0:3], 0 offset:8
	buffer_store_dword v102, off, s[0:3], 0 offset:12
	s_waitcnt vmcnt(0)
	ds_write_b64 v101, v[103:104]
.LBB49_307:
	s_or_b32 exec_lo, exec_lo, s4
	s_waitcnt lgkmcnt(0)
	s_waitcnt_vscnt null, 0x0
	s_barrier
	buffer_gl0_inv
	s_clause 0x1b
	buffer_load_dword v107, off, s[0:3], 0 offset:16
	buffer_load_dword v108, off, s[0:3], 0 offset:20
	;; [unrolled: 1-line block ×28, first 2 shown]
	ds_read_b128 v[103:106], v102 offset:416
	s_clause 0x1
	buffer_load_dword v135, off, s[0:3], 0 offset:128
	buffer_load_dword v136, off, s[0:3], 0 offset:132
	s_mov_b32 s4, exec_lo
	s_waitcnt vmcnt(28) lgkmcnt(0)
	v_fma_f64 v[103:104], v[107:108], v[103:104], 0
	s_clause 0x1
	buffer_load_dword v108, off, s[0:3], 0 offset:140
	buffer_load_dword v107, off, s[0:3], 0 offset:136
	s_waitcnt vmcnt(28)
	v_fma_f64 v[109:110], v[109:110], v[105:106], v[103:104]
	ds_read_b128 v[103:106], v102 offset:432
	s_clause 0x1
	buffer_load_dword v137, off, s[0:3], 0 offset:144
	buffer_load_dword v138, off, s[0:3], 0 offset:148
	s_waitcnt vmcnt(28) lgkmcnt(0)
	v_fma_f64 v[103:104], v[111:112], v[103:104], v[109:110]
	s_clause 0x1
	buffer_load_dword v109, off, s[0:3], 0 offset:152
	buffer_load_dword v110, off, s[0:3], 0 offset:156
	s_waitcnt vmcnt(28)
	v_fma_f64 v[111:112], v[113:114], v[105:106], v[103:104]
	ds_read_b128 v[103:106], v102 offset:448
	s_clause 0x1
	buffer_load_dword v113, off, s[0:3], 0 offset:160
	buffer_load_dword v114, off, s[0:3], 0 offset:164
	s_waitcnt vmcnt(28) lgkmcnt(0)
	v_fma_f64 v[103:104], v[115:116], v[103:104], v[111:112]
	s_clause 0x1
	buffer_load_dword v112, off, s[0:3], 0 offset:172
	buffer_load_dword v111, off, s[0:3], 0 offset:168
	s_waitcnt vmcnt(28)
	v_fma_f64 v[115:116], v[117:118], v[105:106], v[103:104]
	ds_read_b128 v[103:106], v102 offset:464
	s_clause 0x1
	buffer_load_dword v117, off, s[0:3], 0 offset:176
	buffer_load_dword v118, off, s[0:3], 0 offset:180
	s_waitcnt vmcnt(28) lgkmcnt(0)
	v_fma_f64 v[103:104], v[119:120], v[103:104], v[115:116]
	s_clause 0x1
	buffer_load_dword v115, off, s[0:3], 0 offset:184
	buffer_load_dword v116, off, s[0:3], 0 offset:188
	s_waitcnt vmcnt(28)
	v_fma_f64 v[119:120], v[121:122], v[105:106], v[103:104]
	ds_read_b128 v[103:106], v102 offset:480
	s_clause 0x1
	buffer_load_dword v121, off, s[0:3], 0 offset:192
	buffer_load_dword v122, off, s[0:3], 0 offset:196
	s_waitcnt vmcnt(28) lgkmcnt(0)
	v_fma_f64 v[103:104], v[123:124], v[103:104], v[119:120]
	s_clause 0x1
	buffer_load_dword v120, off, s[0:3], 0 offset:204
	buffer_load_dword v119, off, s[0:3], 0 offset:200
	s_waitcnt vmcnt(28)
	v_fma_f64 v[123:124], v[125:126], v[105:106], v[103:104]
	ds_read_b128 v[103:106], v102 offset:496
	s_clause 0x1
	buffer_load_dword v125, off, s[0:3], 0 offset:208
	buffer_load_dword v126, off, s[0:3], 0 offset:212
	s_waitcnt vmcnt(28) lgkmcnt(0)
	v_fma_f64 v[103:104], v[127:128], v[103:104], v[123:124]
	s_clause 0x1
	buffer_load_dword v123, off, s[0:3], 0 offset:216
	buffer_load_dword v124, off, s[0:3], 0 offset:220
	s_waitcnt vmcnt(28)
	v_fma_f64 v[127:128], v[129:130], v[105:106], v[103:104]
	ds_read_b128 v[103:106], v102 offset:512
	s_clause 0x1
	buffer_load_dword v129, off, s[0:3], 0 offset:224
	buffer_load_dword v130, off, s[0:3], 0 offset:228
	s_waitcnt vmcnt(28) lgkmcnt(0)
	v_fma_f64 v[103:104], v[131:132], v[103:104], v[127:128]
	s_clause 0x1
	buffer_load_dword v128, off, s[0:3], 0 offset:236
	buffer_load_dword v127, off, s[0:3], 0 offset:232
	s_waitcnt vmcnt(28)
	v_fma_f64 v[131:132], v[133:134], v[105:106], v[103:104]
	ds_read_b128 v[103:106], v102 offset:528
	s_clause 0x1
	buffer_load_dword v133, off, s[0:3], 0 offset:240
	buffer_load_dword v134, off, s[0:3], 0 offset:244
	s_waitcnt vmcnt(28) lgkmcnt(0)
	v_fma_f64 v[103:104], v[135:136], v[103:104], v[131:132]
	s_clause 0x1
	buffer_load_dword v131, off, s[0:3], 0 offset:248
	buffer_load_dword v132, off, s[0:3], 0 offset:252
	s_waitcnt vmcnt(28)
	v_fma_f64 v[107:108], v[107:108], v[105:106], v[103:104]
	ds_read_b128 v[103:106], v102 offset:544
	s_clause 0x1
	buffer_load_dword v135, off, s[0:3], 0 offset:256
	buffer_load_dword v136, off, s[0:3], 0 offset:260
	s_waitcnt vmcnt(28) lgkmcnt(0)
	v_fma_f64 v[103:104], v[137:138], v[103:104], v[107:108]
	s_clause 0x1
	buffer_load_dword v108, off, s[0:3], 0 offset:268
	buffer_load_dword v107, off, s[0:3], 0 offset:264
	s_waitcnt vmcnt(28)
	v_fma_f64 v[109:110], v[109:110], v[105:106], v[103:104]
	ds_read_b128 v[103:106], v102 offset:560
	s_clause 0x1
	buffer_load_dword v137, off, s[0:3], 0 offset:272
	buffer_load_dword v138, off, s[0:3], 0 offset:276
	s_waitcnt vmcnt(28) lgkmcnt(0)
	v_fma_f64 v[103:104], v[113:114], v[103:104], v[109:110]
	s_clause 0x1
	buffer_load_dword v109, off, s[0:3], 0 offset:280
	buffer_load_dword v110, off, s[0:3], 0 offset:284
	s_waitcnt vmcnt(28)
	v_fma_f64 v[111:112], v[111:112], v[105:106], v[103:104]
	ds_read_b128 v[103:106], v102 offset:576
	s_clause 0x1
	buffer_load_dword v113, off, s[0:3], 0 offset:288
	buffer_load_dword v114, off, s[0:3], 0 offset:292
	s_waitcnt vmcnt(28) lgkmcnt(0)
	v_fma_f64 v[103:104], v[117:118], v[103:104], v[111:112]
	s_clause 0x1
	buffer_load_dword v112, off, s[0:3], 0 offset:300
	buffer_load_dword v111, off, s[0:3], 0 offset:296
	s_waitcnt vmcnt(28)
	v_fma_f64 v[115:116], v[115:116], v[105:106], v[103:104]
	ds_read_b128 v[103:106], v102 offset:592
	s_clause 0x1
	buffer_load_dword v117, off, s[0:3], 0 offset:304
	buffer_load_dword v118, off, s[0:3], 0 offset:308
	s_waitcnt vmcnt(28) lgkmcnt(0)
	v_fma_f64 v[103:104], v[121:122], v[103:104], v[115:116]
	s_clause 0x1
	buffer_load_dword v115, off, s[0:3], 0 offset:312
	buffer_load_dword v116, off, s[0:3], 0 offset:316
	s_waitcnt vmcnt(28)
	v_fma_f64 v[119:120], v[119:120], v[105:106], v[103:104]
	ds_read_b128 v[103:106], v102 offset:608
	s_clause 0x1
	buffer_load_dword v121, off, s[0:3], 0 offset:320
	buffer_load_dword v122, off, s[0:3], 0 offset:324
	s_waitcnt vmcnt(28) lgkmcnt(0)
	v_fma_f64 v[103:104], v[125:126], v[103:104], v[119:120]
	s_clause 0x1
	buffer_load_dword v120, off, s[0:3], 0 offset:332
	buffer_load_dword v119, off, s[0:3], 0 offset:328
	s_waitcnt vmcnt(28)
	v_fma_f64 v[123:124], v[123:124], v[105:106], v[103:104]
	ds_read_b128 v[103:106], v102 offset:624
	s_clause 0x1
	buffer_load_dword v125, off, s[0:3], 0 offset:336
	buffer_load_dword v126, off, s[0:3], 0 offset:340
	s_waitcnt vmcnt(28) lgkmcnt(0)
	v_fma_f64 v[103:104], v[129:130], v[103:104], v[123:124]
	s_clause 0x1
	buffer_load_dword v123, off, s[0:3], 0 offset:344
	buffer_load_dword v124, off, s[0:3], 0 offset:348
	s_waitcnt vmcnt(28)
	v_fma_f64 v[127:128], v[127:128], v[105:106], v[103:104]
	ds_read_b128 v[103:106], v102 offset:640
	s_clause 0x1
	buffer_load_dword v129, off, s[0:3], 0 offset:352
	buffer_load_dword v130, off, s[0:3], 0 offset:356
	s_waitcnt vmcnt(28) lgkmcnt(0)
	v_fma_f64 v[103:104], v[133:134], v[103:104], v[127:128]
	s_clause 0x1
	buffer_load_dword v128, off, s[0:3], 0 offset:364
	buffer_load_dword v127, off, s[0:3], 0 offset:360
	s_waitcnt vmcnt(28)
	v_fma_f64 v[131:132], v[131:132], v[105:106], v[103:104]
	ds_read_b128 v[103:106], v102 offset:656
	s_clause 0x1
	buffer_load_dword v133, off, s[0:3], 0 offset:368
	buffer_load_dword v134, off, s[0:3], 0 offset:372
	s_waitcnt vmcnt(28) lgkmcnt(0)
	v_fma_f64 v[103:104], v[135:136], v[103:104], v[131:132]
	s_clause 0x1
	buffer_load_dword v131, off, s[0:3], 0 offset:376
	buffer_load_dword v132, off, s[0:3], 0 offset:380
	s_waitcnt vmcnt(28)
	v_fma_f64 v[107:108], v[107:108], v[105:106], v[103:104]
	ds_read_b128 v[103:106], v102 offset:672
	s_clause 0x1
	buffer_load_dword v135, off, s[0:3], 0 offset:384
	buffer_load_dword v136, off, s[0:3], 0 offset:388
	s_waitcnt vmcnt(28) lgkmcnt(0)
	v_fma_f64 v[103:104], v[137:138], v[103:104], v[107:108]
	s_clause 0x1
	buffer_load_dword v108, off, s[0:3], 0 offset:396
	buffer_load_dword v107, off, s[0:3], 0 offset:392
	s_waitcnt vmcnt(28)
	v_fma_f64 v[109:110], v[109:110], v[105:106], v[103:104]
	ds_read_b128 v[103:106], v102 offset:688
	s_clause 0x1
	buffer_load_dword v137, off, s[0:3], 0 offset:8
	buffer_load_dword v138, off, s[0:3], 0 offset:12
	s_waitcnt vmcnt(28) lgkmcnt(0)
	v_fma_f64 v[103:104], v[113:114], v[103:104], v[109:110]
	s_waitcnt vmcnt(26)
	v_fma_f64 v[109:110], v[111:112], v[105:106], v[103:104]
	ds_read_b128 v[103:106], v102 offset:704
	s_waitcnt vmcnt(24) lgkmcnt(0)
	v_fma_f64 v[103:104], v[117:118], v[103:104], v[109:110]
	s_waitcnt vmcnt(22)
	v_fma_f64 v[109:110], v[115:116], v[105:106], v[103:104]
	ds_read_b128 v[103:106], v102 offset:720
	;; [unrolled: 5-line block ×6, first 2 shown]
	s_waitcnt vmcnt(4) lgkmcnt(0)
	v_fma_f64 v[102:103], v[135:136], v[102:103], v[109:110]
	s_waitcnt vmcnt(2)
	v_fma_f64 v[102:103], v[107:108], v[104:105], v[102:103]
	s_waitcnt vmcnt(0)
	v_add_f64 v[102:103], v[137:138], -v[102:103]
	buffer_store_dword v103, off, s[0:3], 0 offset:12
	buffer_store_dword v102, off, s[0:3], 0 offset:8
	v_cmpx_ne_u32_e32 0, v0
	s_cbranch_execz .LBB49_309
; %bb.308:
	s_clause 0x1
	buffer_load_dword v102, off, s[0:3], 0
	buffer_load_dword v103, off, s[0:3], 0 offset:4
	v_mov_b32_e32 v0, 0
	buffer_store_dword v0, off, s[0:3], 0
	buffer_store_dword v0, off, s[0:3], 0 offset:4
	s_waitcnt vmcnt(0)
	ds_write_b64 v101, v[102:103]
.LBB49_309:
	s_or_b32 exec_lo, exec_lo, s4
	s_waitcnt lgkmcnt(0)
	s_waitcnt_vscnt null, 0x0
	s_barrier
	buffer_gl0_inv
	s_clause 0x1c
	buffer_load_dword v109, off, s[0:3], 0 offset:8
	buffer_load_dword v110, off, s[0:3], 0 offset:12
	;; [unrolled: 1-line block ×29, first 2 shown]
	v_mov_b32_e32 v0, 0
	buffer_load_dword v134, off, s[0:3], 0 offset:124
	s_and_b32 vcc_lo, exec_lo, s22
	ds_read2_b64 v[101:104], v0 offset0:51 offset1:52
	ds_read2_b64 v[105:108], v0 offset0:53 offset1:54
	s_waitcnt vmcnt(28) lgkmcnt(1)
	v_fma_f64 v[101:102], v[109:110], v[101:102], 0
	s_clause 0x7
	buffer_load_dword v110, off, s[0:3], 0 offset:132
	buffer_load_dword v139, off, s[0:3], 0 offset:152
	buffer_load_dword v141, off, s[0:3], 0 offset:144
	buffer_load_dword v143, off, s[0:3], 0 offset:136
	buffer_load_dword v109, off, s[0:3], 0 offset:128
	buffer_load_dword v144, off, s[0:3], 0 offset:140
	buffer_load_dword v142, off, s[0:3], 0 offset:148
	buffer_load_dword v140, off, s[0:3], 0 offset:156
	s_waitcnt vmcnt(34)
	v_fma_f64 v[101:102], v[111:112], v[103:104], v[101:102]
	s_waitcnt vmcnt(32) lgkmcnt(0)
	v_fma_f64 v[101:102], v[113:114], v[105:106], v[101:102]
	s_waitcnt vmcnt(30)
	v_fma_f64 v[111:112], v[115:116], v[107:108], v[101:102]
	ds_read2_b64 v[101:104], v0 offset0:55 offset1:56
	ds_read2_b64 v[105:108], v0 offset0:57 offset1:58
	s_waitcnt vmcnt(28) lgkmcnt(1)
	v_fma_f64 v[101:102], v[117:118], v[101:102], v[111:112]
	s_clause 0x7
	buffer_load_dword v112, off, s[0:3], 0 offset:164
	buffer_load_dword v113, off, s[0:3], 0 offset:184
	buffer_load_dword v115, off, s[0:3], 0 offset:176
	buffer_load_dword v117, off, s[0:3], 0 offset:168
	buffer_load_dword v111, off, s[0:3], 0 offset:160
	buffer_load_dword v118, off, s[0:3], 0 offset:172
	buffer_load_dword v116, off, s[0:3], 0 offset:180
	buffer_load_dword v114, off, s[0:3], 0 offset:188
	s_waitcnt vmcnt(34)
	v_fma_f64 v[101:102], v[119:120], v[103:104], v[101:102]
	s_waitcnt vmcnt(32) lgkmcnt(0)
	v_fma_f64 v[101:102], v[121:122], v[105:106], v[101:102]
	s_waitcnt vmcnt(27)
	v_fma_f64 v[119:120], v[123:124], v[107:108], v[101:102]
	;; [unrolled: 19-line block ×7, first 2 shown]
	ds_read2_b64 v[101:104], v0 offset0:79 offset1:80
	ds_read2_b64 v[105:108], v0 offset0:81 offset1:82
	s_waitcnt vmcnt(26) lgkmcnt(1)
	v_fma_f64 v[101:102], v[137:138], v[101:102], v[121:122]
	s_clause 0x7
	buffer_load_dword v122, off, s[0:3], 0 offset:356
	buffer_load_dword v123, off, s[0:3], 0 offset:376
	;; [unrolled: 1-line block ×8, first 2 shown]
	s_waitcnt vmcnt(33)
	v_fma_f64 v[101:102], v[131:132], v[103:104], v[101:102]
	s_waitcnt vmcnt(32) lgkmcnt(0)
	v_fma_f64 v[101:102], v[127:128], v[105:106], v[101:102]
	ds_read2_b64 v[103:106], v0 offset0:83 offset1:84
	s_waitcnt vmcnt(27)
	v_fma_f64 v[101:102], v[109:110], v[107:108], v[101:102]
	ds_read2_b64 v[107:110], v0 offset0:85 offset1:86
	s_waitcnt vmcnt(26) lgkmcnt(1)
	v_fma_f64 v[101:102], v[143:144], v[103:104], v[101:102]
	s_clause 0x5
	buffer_load_dword v104, off, s[0:3], 0 offset:388
	buffer_load_dword v127, off, s[0:3], 0 offset:392
	;; [unrolled: 1-line block ×4, first 2 shown]
	buffer_load_dword v131, off, s[0:3], 0
	buffer_load_dword v132, off, s[0:3], 0 offset:4
	s_waitcnt vmcnt(31)
	v_fma_f64 v[101:102], v[135:136], v[105:106], v[101:102]
	s_waitcnt vmcnt(30) lgkmcnt(0)
	v_fma_f64 v[101:102], v[133:134], v[107:108], v[101:102]
	s_waitcnt vmcnt(25)
	v_fma_f64 v[101:102], v[111:112], v[109:110], v[101:102]
	ds_read2_b64 v[105:108], v0 offset0:87 offset1:88
	ds_read2_b64 v[109:112], v0 offset0:89 offset1:90
	s_waitcnt vmcnt(24) lgkmcnt(1)
	v_fma_f64 v[101:102], v[141:142], v[105:106], v[101:102]
	s_waitcnt vmcnt(23)
	v_fma_f64 v[101:102], v[139:140], v[107:108], v[101:102]
	s_waitcnt vmcnt(22) lgkmcnt(0)
	v_fma_f64 v[101:102], v[117:118], v[109:110], v[101:102]
	s_waitcnt vmcnt(17)
	v_fma_f64 v[101:102], v[113:114], v[111:112], v[101:102]
	ds_read2_b64 v[105:108], v0 offset0:91 offset1:92
	ds_read2_b64 v[109:112], v0 offset0:93 offset1:94
	s_waitcnt vmcnt(16) lgkmcnt(1)
	v_fma_f64 v[101:102], v[129:130], v[105:106], v[101:102]
	;; [unrolled: 10-line block ×3, first 2 shown]
	ds_read_b64 v[105:106], v0 offset:792
	s_waitcnt vmcnt(7)
	v_fma_f64 v[101:102], v[125:126], v[107:108], v[101:102]
	s_waitcnt vmcnt(6) lgkmcnt(1)
	v_fma_f64 v[101:102], v[123:124], v[109:110], v[101:102]
	s_waitcnt vmcnt(3)
	v_fma_f64 v[101:102], v[103:104], v[111:112], v[101:102]
	s_waitcnt vmcnt(2) lgkmcnt(0)
	v_fma_f64 v[101:102], v[127:128], v[105:106], v[101:102]
	s_waitcnt vmcnt(0)
	v_add_f64 v[101:102], v[131:132], -v[101:102]
	buffer_store_dword v102, off, s[0:3], 0 offset:4
	buffer_store_dword v101, off, s[0:3], 0
	s_cbranch_vccz .LBB49_408
; %bb.310:
	global_load_dword v0, v0, s[20:21] offset:192
	s_waitcnt vmcnt(0)
	v_add_nc_u32_e32 v0, -1, v0
	v_cmp_ne_u32_e32 vcc_lo, 48, v0
	s_cbranch_vccz .LBB49_312
; %bb.311:
	v_lshlrev_b32_e32 v0, 3, v0
	s_clause 0x1
	buffer_load_dword v101, v0, s[0:3], 0 offen offset:4
	buffer_load_dword v102, v0, s[0:3], 0 offen
	s_waitcnt vmcnt(1)
	buffer_store_dword v101, off, s[0:3], 0 offset:388
	s_waitcnt vmcnt(0)
	buffer_store_dword v102, off, s[0:3], 0 offset:384
	buffer_store_dword v104, v0, s[0:3], 0 offen offset:4
	buffer_store_dword v103, v0, s[0:3], 0 offen
.LBB49_312:
	v_mov_b32_e32 v0, 0
	global_load_dword v101, v0, s[20:21] offset:188
	s_waitcnt vmcnt(0)
	v_add_nc_u32_e32 v101, -1, v101
	v_cmp_eq_u32_e32 vcc_lo, 47, v101
	s_cbranch_vccnz .LBB49_314
; %bb.313:
	v_lshlrev_b32_e32 v101, 3, v101
	s_clause 0x3
	buffer_load_dword v102, v101, s[0:3], 0 offen
	buffer_load_dword v103, v101, s[0:3], 0 offen offset:4
	buffer_load_dword v104, off, s[0:3], 0 offset:376
	buffer_load_dword v105, off, s[0:3], 0 offset:380
	s_waitcnt vmcnt(3)
	buffer_store_dword v102, off, s[0:3], 0 offset:376
	s_waitcnt vmcnt(2)
	buffer_store_dword v103, off, s[0:3], 0 offset:380
	s_waitcnt vmcnt(1)
	buffer_store_dword v104, v101, s[0:3], 0 offen
	s_waitcnt vmcnt(0)
	buffer_store_dword v105, v101, s[0:3], 0 offen offset:4
.LBB49_314:
	global_load_dword v0, v0, s[20:21] offset:184
	s_waitcnt vmcnt(0)
	v_add_nc_u32_e32 v0, -1, v0
	v_cmp_eq_u32_e32 vcc_lo, 46, v0
	s_cbranch_vccnz .LBB49_316
; %bb.315:
	v_lshlrev_b32_e32 v0, 3, v0
	s_clause 0x3
	buffer_load_dword v101, v0, s[0:3], 0 offen
	buffer_load_dword v102, v0, s[0:3], 0 offen offset:4
	buffer_load_dword v103, off, s[0:3], 0 offset:372
	buffer_load_dword v104, off, s[0:3], 0 offset:368
	s_waitcnt vmcnt(3)
	buffer_store_dword v101, off, s[0:3], 0 offset:368
	s_waitcnt vmcnt(2)
	buffer_store_dword v102, off, s[0:3], 0 offset:372
	s_waitcnt vmcnt(1)
	buffer_store_dword v103, v0, s[0:3], 0 offen offset:4
	s_waitcnt vmcnt(0)
	buffer_store_dword v104, v0, s[0:3], 0 offen
.LBB49_316:
	v_mov_b32_e32 v0, 0
	global_load_dword v101, v0, s[20:21] offset:180
	s_waitcnt vmcnt(0)
	v_add_nc_u32_e32 v101, -1, v101
	v_cmp_eq_u32_e32 vcc_lo, 45, v101
	s_cbranch_vccnz .LBB49_318
; %bb.317:
	v_lshlrev_b32_e32 v101, 3, v101
	s_clause 0x3
	buffer_load_dword v102, v101, s[0:3], 0 offen
	buffer_load_dword v103, v101, s[0:3], 0 offen offset:4
	buffer_load_dword v104, off, s[0:3], 0 offset:360
	buffer_load_dword v105, off, s[0:3], 0 offset:364
	s_waitcnt vmcnt(3)
	buffer_store_dword v102, off, s[0:3], 0 offset:360
	s_waitcnt vmcnt(2)
	buffer_store_dword v103, off, s[0:3], 0 offset:364
	s_waitcnt vmcnt(1)
	buffer_store_dword v104, v101, s[0:3], 0 offen
	s_waitcnt vmcnt(0)
	buffer_store_dword v105, v101, s[0:3], 0 offen offset:4
.LBB49_318:
	global_load_dword v0, v0, s[20:21] offset:176
	s_waitcnt vmcnt(0)
	v_add_nc_u32_e32 v0, -1, v0
	v_cmp_eq_u32_e32 vcc_lo, 44, v0
	s_cbranch_vccnz .LBB49_320
; %bb.319:
	v_lshlrev_b32_e32 v0, 3, v0
	s_clause 0x3
	buffer_load_dword v101, v0, s[0:3], 0 offen
	buffer_load_dword v102, v0, s[0:3], 0 offen offset:4
	buffer_load_dword v103, off, s[0:3], 0 offset:356
	buffer_load_dword v104, off, s[0:3], 0 offset:352
	s_waitcnt vmcnt(3)
	buffer_store_dword v101, off, s[0:3], 0 offset:352
	s_waitcnt vmcnt(2)
	buffer_store_dword v102, off, s[0:3], 0 offset:356
	s_waitcnt vmcnt(1)
	buffer_store_dword v103, v0, s[0:3], 0 offen offset:4
	s_waitcnt vmcnt(0)
	buffer_store_dword v104, v0, s[0:3], 0 offen
.LBB49_320:
	;; [unrolled: 43-line block ×23, first 2 shown]
	v_mov_b32_e32 v0, 0
	global_load_dword v101, v0, s[20:21] offset:4
	s_waitcnt vmcnt(0)
	v_add_nc_u32_e32 v101, -1, v101
	v_cmp_eq_u32_e32 vcc_lo, 1, v101
	s_cbranch_vccnz .LBB49_406
; %bb.405:
	v_lshlrev_b32_e32 v101, 3, v101
	s_clause 0x3
	buffer_load_dword v102, v101, s[0:3], 0 offen
	buffer_load_dword v103, v101, s[0:3], 0 offen offset:4
	buffer_load_dword v104, off, s[0:3], 0 offset:8
	buffer_load_dword v105, off, s[0:3], 0 offset:12
	s_waitcnt vmcnt(3)
	buffer_store_dword v102, off, s[0:3], 0 offset:8
	s_waitcnt vmcnt(2)
	buffer_store_dword v103, off, s[0:3], 0 offset:12
	s_waitcnt vmcnt(1)
	buffer_store_dword v104, v101, s[0:3], 0 offen
	s_waitcnt vmcnt(0)
	buffer_store_dword v105, v101, s[0:3], 0 offen offset:4
.LBB49_406:
	global_load_dword v0, v0, s[20:21]
	s_clause 0x1
	buffer_load_dword v101, off, s[0:3], 0
	buffer_load_dword v102, off, s[0:3], 0 offset:4
	s_waitcnt vmcnt(2)
	v_add_nc_u32_e32 v0, -1, v0
	v_cmp_eq_u32_e32 vcc_lo, 0, v0
	s_cbranch_vccnz .LBB49_408
; %bb.407:
	v_lshlrev_b32_e32 v0, 3, v0
	s_clause 0x1
	buffer_load_dword v103, v0, s[0:3], 0 offen offset:4
	buffer_load_dword v104, v0, s[0:3], 0 offen
	s_waitcnt vmcnt(1)
	buffer_store_dword v103, off, s[0:3], 0 offset:4
	s_waitcnt vmcnt(0)
	buffer_store_dword v104, off, s[0:3], 0
	buffer_store_dword v102, v0, s[0:3], 0 offen offset:4
	buffer_store_dword v101, v0, s[0:3], 0 offen
	s_clause 0x1
	buffer_load_dword v101, off, s[0:3], 0
	buffer_load_dword v102, off, s[0:3], 0 offset:4
.LBB49_408:
	s_clause 0x1b
	buffer_load_dword v103, off, s[0:3], 0 offset:8
	buffer_load_dword v104, off, s[0:3], 0 offset:12
	;; [unrolled: 1-line block ×28, first 2 shown]
	s_waitcnt vmcnt(28)
	global_store_dwordx2 v[99:100], v[101:102], off
	s_clause 0xb
	buffer_load_dword v99, off, s[0:3], 0 offset:120
	buffer_load_dword v100, off, s[0:3], 0 offset:124
	buffer_load_dword v101, off, s[0:3], 0 offset:128
	buffer_load_dword v102, off, s[0:3], 0 offset:132
	buffer_load_dword v131, off, s[0:3], 0 offset:136
	buffer_load_dword v132, off, s[0:3], 0 offset:140
	buffer_load_dword v133, off, s[0:3], 0 offset:144
	buffer_load_dword v134, off, s[0:3], 0 offset:148
	buffer_load_dword v135, off, s[0:3], 0 offset:152
	buffer_load_dword v136, off, s[0:3], 0 offset:156
	buffer_load_dword v137, off, s[0:3], 0 offset:160
	buffer_load_dword v138, off, s[0:3], 0 offset:164
	s_waitcnt vmcnt(38)
	global_store_dwordx2 v[77:78], v[103:104], off
	s_waitcnt vmcnt(36)
	global_store_dwordx2 v[67:68], v[105:106], off
	s_clause 0x7
	buffer_load_dword v67, off, s[0:3], 0 offset:168
	buffer_load_dword v68, off, s[0:3], 0 offset:172
	buffer_load_dword v77, off, s[0:3], 0 offset:176
	buffer_load_dword v78, off, s[0:3], 0 offset:180
	buffer_load_dword v103, off, s[0:3], 0 offset:184
	buffer_load_dword v104, off, s[0:3], 0 offset:188
	buffer_load_dword v105, off, s[0:3], 0 offset:192
	buffer_load_dword v106, off, s[0:3], 0 offset:196
	s_waitcnt vmcnt(42)
	global_store_dwordx2 v[49:50], v[107:108], off
	s_waitcnt vmcnt(40)
	global_store_dwordx2 v[53:54], v[109:110], off
	s_clause 0x7
	buffer_load_dword v49, off, s[0:3], 0 offset:200
	buffer_load_dword v50, off, s[0:3], 0 offset:204
	buffer_load_dword v53, off, s[0:3], 0 offset:208
	buffer_load_dword v54, off, s[0:3], 0 offset:212
	buffer_load_dword v107, off, s[0:3], 0 offset:216
	buffer_load_dword v108, off, s[0:3], 0 offset:220
	buffer_load_dword v109, off, s[0:3], 0 offset:224
	buffer_load_dword v110, off, s[0:3], 0 offset:228
	;; [unrolled: 13-line block ×7, first 2 shown]
	buffer_load_dword v139, off, s[0:3], 0 offset:392
	buffer_load_dword v140, off, s[0:3], 0 offset:396
	s_waitcnt vmcnt(62)
	global_store_dwordx2 v[3:4], v[99:100], off
	global_store_dwordx2 v[7:8], v[101:102], off
	;; [unrolled: 1-line block ×4, first 2 shown]
	s_waitcnt vmcnt(60)
	global_store_dwordx2 v[17:18], v[135:136], off
	s_waitcnt vmcnt(58)
	global_store_dwordx2 v[23:24], v[137:138], off
	;; [unrolled: 2-line block ×31, first 2 shown]
	s_endpgm
	.section	.rodata,"a",@progbits
	.p2align	6, 0x0
	.amdhsa_kernel _ZN9rocsolver6v33100L18getri_kernel_smallILi50EdPdEEvT1_iilPiilS4_bb
		.amdhsa_group_segment_fixed_size 808
		.amdhsa_private_segment_fixed_size 416
		.amdhsa_kernarg_size 60
		.amdhsa_user_sgpr_count 6
		.amdhsa_user_sgpr_private_segment_buffer 1
		.amdhsa_user_sgpr_dispatch_ptr 0
		.amdhsa_user_sgpr_queue_ptr 0
		.amdhsa_user_sgpr_kernarg_segment_ptr 1
		.amdhsa_user_sgpr_dispatch_id 0
		.amdhsa_user_sgpr_flat_scratch_init 0
		.amdhsa_user_sgpr_private_segment_size 0
		.amdhsa_wavefront_size32 1
		.amdhsa_uses_dynamic_stack 0
		.amdhsa_system_sgpr_private_segment_wavefront_offset 1
		.amdhsa_system_sgpr_workgroup_id_x 1
		.amdhsa_system_sgpr_workgroup_id_y 0
		.amdhsa_system_sgpr_workgroup_id_z 0
		.amdhsa_system_sgpr_workgroup_info 0
		.amdhsa_system_vgpr_workitem_id 0
		.amdhsa_next_free_vgpr 145
		.amdhsa_next_free_sgpr 23
		.amdhsa_reserve_vcc 1
		.amdhsa_reserve_flat_scratch 0
		.amdhsa_float_round_mode_32 0
		.amdhsa_float_round_mode_16_64 0
		.amdhsa_float_denorm_mode_32 3
		.amdhsa_float_denorm_mode_16_64 3
		.amdhsa_dx10_clamp 1
		.amdhsa_ieee_mode 1
		.amdhsa_fp16_overflow 0
		.amdhsa_workgroup_processor_mode 1
		.amdhsa_memory_ordered 1
		.amdhsa_forward_progress 1
		.amdhsa_shared_vgpr_count 0
		.amdhsa_exception_fp_ieee_invalid_op 0
		.amdhsa_exception_fp_denorm_src 0
		.amdhsa_exception_fp_ieee_div_zero 0
		.amdhsa_exception_fp_ieee_overflow 0
		.amdhsa_exception_fp_ieee_underflow 0
		.amdhsa_exception_fp_ieee_inexact 0
		.amdhsa_exception_int_div_zero 0
	.end_amdhsa_kernel
	.section	.text._ZN9rocsolver6v33100L18getri_kernel_smallILi50EdPdEEvT1_iilPiilS4_bb,"axG",@progbits,_ZN9rocsolver6v33100L18getri_kernel_smallILi50EdPdEEvT1_iilPiilS4_bb,comdat
.Lfunc_end49:
	.size	_ZN9rocsolver6v33100L18getri_kernel_smallILi50EdPdEEvT1_iilPiilS4_bb, .Lfunc_end49-_ZN9rocsolver6v33100L18getri_kernel_smallILi50EdPdEEvT1_iilPiilS4_bb
                                        ; -- End function
	.set _ZN9rocsolver6v33100L18getri_kernel_smallILi50EdPdEEvT1_iilPiilS4_bb.num_vgpr, 145
	.set _ZN9rocsolver6v33100L18getri_kernel_smallILi50EdPdEEvT1_iilPiilS4_bb.num_agpr, 0
	.set _ZN9rocsolver6v33100L18getri_kernel_smallILi50EdPdEEvT1_iilPiilS4_bb.numbered_sgpr, 23
	.set _ZN9rocsolver6v33100L18getri_kernel_smallILi50EdPdEEvT1_iilPiilS4_bb.num_named_barrier, 0
	.set _ZN9rocsolver6v33100L18getri_kernel_smallILi50EdPdEEvT1_iilPiilS4_bb.private_seg_size, 416
	.set _ZN9rocsolver6v33100L18getri_kernel_smallILi50EdPdEEvT1_iilPiilS4_bb.uses_vcc, 1
	.set _ZN9rocsolver6v33100L18getri_kernel_smallILi50EdPdEEvT1_iilPiilS4_bb.uses_flat_scratch, 0
	.set _ZN9rocsolver6v33100L18getri_kernel_smallILi50EdPdEEvT1_iilPiilS4_bb.has_dyn_sized_stack, 0
	.set _ZN9rocsolver6v33100L18getri_kernel_smallILi50EdPdEEvT1_iilPiilS4_bb.has_recursion, 0
	.set _ZN9rocsolver6v33100L18getri_kernel_smallILi50EdPdEEvT1_iilPiilS4_bb.has_indirect_call, 0
	.section	.AMDGPU.csdata,"",@progbits
; Kernel info:
; codeLenInByte = 69944
; TotalNumSgprs: 25
; NumVgprs: 145
; ScratchSize: 416
; MemoryBound: 1
; FloatMode: 240
; IeeeMode: 1
; LDSByteSize: 808 bytes/workgroup (compile time only)
; SGPRBlocks: 0
; VGPRBlocks: 18
; NumSGPRsForWavesPerEU: 25
; NumVGPRsForWavesPerEU: 145
; Occupancy: 6
; WaveLimiterHint : 1
; COMPUTE_PGM_RSRC2:SCRATCH_EN: 1
; COMPUTE_PGM_RSRC2:USER_SGPR: 6
; COMPUTE_PGM_RSRC2:TRAP_HANDLER: 0
; COMPUTE_PGM_RSRC2:TGID_X_EN: 1
; COMPUTE_PGM_RSRC2:TGID_Y_EN: 0
; COMPUTE_PGM_RSRC2:TGID_Z_EN: 0
; COMPUTE_PGM_RSRC2:TIDIG_COMP_CNT: 0
	.section	.text._ZN9rocsolver6v33100L18getri_kernel_smallILi51EdPdEEvT1_iilPiilS4_bb,"axG",@progbits,_ZN9rocsolver6v33100L18getri_kernel_smallILi51EdPdEEvT1_iilPiilS4_bb,comdat
	.globl	_ZN9rocsolver6v33100L18getri_kernel_smallILi51EdPdEEvT1_iilPiilS4_bb ; -- Begin function _ZN9rocsolver6v33100L18getri_kernel_smallILi51EdPdEEvT1_iilPiilS4_bb
	.p2align	8
	.type	_ZN9rocsolver6v33100L18getri_kernel_smallILi51EdPdEEvT1_iilPiilS4_bb,@function
_ZN9rocsolver6v33100L18getri_kernel_smallILi51EdPdEEvT1_iilPiilS4_bb: ; @_ZN9rocsolver6v33100L18getri_kernel_smallILi51EdPdEEvT1_iilPiilS4_bb
; %bb.0:
	s_add_u32 s0, s0, s7
	s_addc_u32 s1, s1, 0
	s_mov_b32 s7, exec_lo
	v_cmpx_gt_u32_e32 51, v0
	s_cbranch_execz .LBB50_214
; %bb.1:
	s_clause 0x2
	s_load_dword s7, s[4:5], 0x38
	s_load_dwordx4 s[16:19], s[4:5], 0x10
	s_load_dwordx4 s[8:11], s[4:5], 0x28
                                        ; implicit-def: $sgpr20_sgpr21
	s_waitcnt lgkmcnt(0)
	s_bitcmp1_b32 s7, 8
	s_cselect_b32 s22, -1, 0
	s_bfe_u32 s12, s7, 0x10008
	s_ashr_i32 s7, s6, 31
	s_cmp_eq_u32 s12, 0
	s_cbranch_scc1 .LBB50_3
; %bb.2:
	s_load_dword s12, s[4:5], 0x20
	s_mul_i32 s13, s8, s7
	s_mul_hi_u32 s14, s8, s6
	s_mul_i32 s9, s9, s6
	s_add_i32 s13, s14, s13
	s_mul_i32 s8, s8, s6
	s_add_i32 s9, s13, s9
	s_lshl_b64 s[8:9], s[8:9], 2
	s_waitcnt lgkmcnt(0)
	s_ashr_i32 s13, s12, 31
	s_add_u32 s14, s18, s8
	s_addc_u32 s15, s19, s9
	s_lshl_b64 s[8:9], s[12:13], 2
	s_add_u32 s20, s14, s8
	s_addc_u32 s21, s15, s9
.LBB50_3:
	s_clause 0x1
	s_load_dwordx4 s[12:15], s[4:5], 0x0
	s_load_dword s8, s[4:5], 0x38
	s_mul_i32 s4, s16, s7
	s_mul_hi_u32 s5, s16, s6
	s_mul_i32 s9, s17, s6
	s_add_i32 s5, s5, s4
	s_mul_i32 s4, s16, s6
	s_add_i32 s5, s5, s9
	v_lshlrev_b32_e32 v105, 3, v0
	s_lshl_b64 s[4:5], s[4:5], 3
	s_waitcnt lgkmcnt(0)
	v_add3_u32 v1, s15, s15, v0
	s_ashr_i32 s17, s14, 31
	s_mov_b32 s16, s14
	s_add_u32 s9, s12, s4
	s_addc_u32 s12, s13, s5
	v_add_nc_u32_e32 v3, s15, v1
	v_ashrrev_i32_e32 v2, 31, v1
	s_lshl_b64 s[4:5], s[16:17], 3
	s_add_u32 s4, s9, s4
	v_add_nc_u32_e32 v5, s15, v3
	v_ashrrev_i32_e32 v4, 31, v3
	v_lshlrev_b64 v[1:2], 3, v[1:2]
	s_addc_u32 s5, s12, s5
	v_add_co_u32 v99, s9, s4, v105
	v_ashrrev_i32_e32 v6, 31, v5
	v_add_nc_u32_e32 v7, s15, v5
	v_lshlrev_b64 v[3:4], 3, v[3:4]
	v_add_co_u32 v51, vcc_lo, s4, v1
	v_add_co_ci_u32_e64 v52, null, s5, v2, vcc_lo
	v_lshlrev_b64 v[1:2], 3, v[5:6]
	v_ashrrev_i32_e32 v8, 31, v7
	v_add_nc_u32_e32 v5, s15, v7
	v_add_co_u32 v33, vcc_lo, s4, v3
	v_add_co_ci_u32_e64 v34, null, s5, v4, vcc_lo
	v_lshlrev_b64 v[3:4], 3, v[7:8]
	v_ashrrev_i32_e32 v6, 31, v5
	v_add_nc_u32_e32 v7, s15, v5
	;; [unrolled: 5-line block ×4, first 2 shown]
	s_ashr_i32 s13, s15, 31
	s_mov_b32 s12, s15
	v_add_co_u32 v17, vcc_lo, s4, v1
	v_add_co_ci_u32_e64 v100, null, s5, 0, s9
	s_lshl_b64 s[12:13], s[12:13], 3
	v_add_co_ci_u32_e64 v18, null, s5, v2, vcc_lo
	v_lshlrev_b64 v[1:2], 3, v[5:6]
	v_ashrrev_i32_e32 v8, 31, v7
	v_add_nc_u32_e32 v5, s15, v7
	v_add_co_u32 v75, vcc_lo, v99, s12
	v_add_co_ci_u32_e64 v76, null, s13, v100, vcc_lo
	v_add_co_u32 v13, vcc_lo, s4, v3
	v_add_co_ci_u32_e64 v14, null, s5, v4, vcc_lo
	v_lshlrev_b64 v[3:4], 3, v[7:8]
	v_add_nc_u32_e32 v7, s15, v5
	v_ashrrev_i32_e32 v6, 31, v5
	v_add_co_u32 v23, vcc_lo, s4, v1
	v_add_co_ci_u32_e64 v24, null, s5, v2, vcc_lo
	v_add_nc_u32_e32 v9, s15, v7
	v_ashrrev_i32_e32 v8, 31, v7
	v_lshlrev_b64 v[1:2], 3, v[5:6]
	v_add_co_u32 v5, vcc_lo, s4, v3
	s_clause 0x2
	global_load_dwordx2 v[95:96], v105, s[4:5]
	global_load_dwordx2 v[97:98], v[75:76], off
	global_load_dwordx2 v[101:102], v[51:52], off
	v_ashrrev_i32_e32 v10, 31, v9
	v_add_co_ci_u32_e64 v6, null, s5, v4, vcc_lo
	v_lshlrev_b64 v[3:4], 3, v[7:8]
	v_add_nc_u32_e32 v7, s15, v9
	v_add_co_u32 v25, vcc_lo, s4, v1
	v_lshlrev_b64 v[9:10], 3, v[9:10]
	v_add_co_ci_u32_e64 v26, null, s5, v2, vcc_lo
	v_add_co_u32 v1, vcc_lo, s4, v3
	s_clause 0x1
	global_load_dwordx2 v[103:104], v[33:34], off
	global_load_dwordx2 v[106:107], v[37:38], off
	v_add_co_ci_u32_e64 v2, null, s5, v4, vcc_lo
	s_clause 0x4
	global_load_dwordx2 v[108:109], v[11:12], off
	global_load_dwordx2 v[110:111], v[17:18], off
	;; [unrolled: 1-line block ×5, first 2 shown]
	v_add_co_u32 v3, vcc_lo, s4, v9
	v_add_co_ci_u32_e64 v4, null, s5, v10, vcc_lo
	s_clause 0x1
	global_load_dwordx2 v[118:119], v[25:26], off
	global_load_dwordx2 v[120:121], v[1:2], off
	v_add_nc_u32_e32 v15, s15, v7
	v_ashrrev_i32_e32 v8, 31, v7
	global_load_dwordx2 v[122:123], v[3:4], off
	s_bitcmp0_b32 s8, 0
	v_ashrrev_i32_e32 v16, 31, v15
	v_lshlrev_b64 v[7:8], 3, v[7:8]
	v_lshlrev_b64 v[9:10], 3, v[15:16]
	v_add_nc_u32_e32 v15, s15, v15
	v_add_co_u32 v7, vcc_lo, s4, v7
	v_add_co_ci_u32_e64 v8, null, s5, v8, vcc_lo
	v_add_co_u32 v9, vcc_lo, s4, v9
	v_add_co_ci_u32_e64 v10, null, s5, v10, vcc_lo
	s_clause 0x1
	global_load_dwordx2 v[124:125], v[7:8], off
	global_load_dwordx2 v[126:127], v[9:10], off
	v_add_nc_u32_e32 v19, s15, v15
	v_ashrrev_i32_e32 v16, 31, v15
	s_waitcnt vmcnt(14)
	buffer_store_dword v96, off, s[0:3], 0 offset:4
	buffer_store_dword v95, off, s[0:3], 0
	v_add_nc_u32_e32 v21, s15, v19
	v_ashrrev_i32_e32 v20, 31, v19
	v_lshlrev_b64 v[15:16], 3, v[15:16]
	s_waitcnt vmcnt(13)
	buffer_store_dword v98, off, s[0:3], 0 offset:12
	buffer_store_dword v97, off, s[0:3], 0 offset:8
	s_waitcnt vmcnt(12)
	buffer_store_dword v102, off, s[0:3], 0 offset:20
	buffer_store_dword v101, off, s[0:3], 0 offset:16
	;; [unrolled: 3-line block ×4, first 2 shown]
	v_add_nc_u32_e32 v29, s15, v21
	v_lshlrev_b64 v[27:28], 3, v[19:20]
	v_add_co_u32 v19, vcc_lo, s4, v15
	v_add_co_ci_u32_e64 v20, null, s5, v16, vcc_lo
	v_ashrrev_i32_e32 v30, 31, v29
	v_add_nc_u32_e32 v31, s15, v29
	v_add_co_u32 v15, vcc_lo, s4, v27
	v_add_co_ci_u32_e64 v16, null, s5, v28, vcc_lo
	v_lshlrev_b64 v[27:28], 3, v[29:30]
	v_add_nc_u32_e32 v29, s15, v31
	v_ashrrev_i32_e32 v22, 31, v21
	v_ashrrev_i32_e32 v32, 31, v31
	v_add_nc_u32_e32 v35, s15, v29
	v_lshlrev_b64 v[21:22], 3, v[21:22]
	v_ashrrev_i32_e32 v30, 31, v29
	v_lshlrev_b64 v[31:32], 3, v[31:32]
	v_add_nc_u32_e32 v41, s15, v35
	v_ashrrev_i32_e32 v36, 31, v35
	v_add_co_u32 v21, vcc_lo, s4, v21
	v_lshlrev_b64 v[39:40], 3, v[29:30]
	v_add_co_ci_u32_e64 v22, null, s5, v22, vcc_lo
	v_add_co_u32 v27, vcc_lo, s4, v27
	v_ashrrev_i32_e32 v42, 31, v41
	v_add_nc_u32_e32 v43, s15, v41
	v_add_co_ci_u32_e64 v28, null, s5, v28, vcc_lo
	v_add_co_u32 v29, vcc_lo, s4, v31
	v_add_co_ci_u32_e64 v30, null, s5, v32, vcc_lo
	v_add_co_u32 v31, vcc_lo, s4, v39
	v_add_co_ci_u32_e64 v32, null, s5, v40, vcc_lo
	v_lshlrev_b64 v[39:40], 3, v[41:42]
	v_add_nc_u32_e32 v41, s15, v43
	v_ashrrev_i32_e32 v44, 31, v43
	v_lshlrev_b64 v[35:36], 3, v[35:36]
	v_add_nc_u32_e32 v45, s15, v41
	v_ashrrev_i32_e32 v42, 31, v41
	v_lshlrev_b64 v[43:44], 3, v[43:44]
	v_add_co_u32 v35, vcc_lo, s4, v35
	v_add_nc_u32_e32 v49, s15, v45
	v_lshlrev_b64 v[47:48], 3, v[41:42]
	v_add_co_ci_u32_e64 v36, null, s5, v36, vcc_lo
	v_add_co_u32 v39, vcc_lo, s4, v39
	v_ashrrev_i32_e32 v50, 31, v49
	v_add_nc_u32_e32 v53, s15, v49
	v_add_co_ci_u32_e64 v40, null, s5, v40, vcc_lo
	v_add_co_u32 v41, vcc_lo, s4, v43
	v_add_co_ci_u32_e64 v42, null, s5, v44, vcc_lo
	v_add_co_u32 v43, vcc_lo, s4, v47
	v_add_co_ci_u32_e64 v44, null, s5, v48, vcc_lo
	v_lshlrev_b64 v[47:48], 3, v[49:50]
	v_add_nc_u32_e32 v49, s15, v53
	v_ashrrev_i32_e32 v46, 31, v45
	v_ashrrev_i32_e32 v54, 31, v53
	v_add_nc_u32_e32 v55, s15, v49
	v_lshlrev_b64 v[45:46], 3, v[45:46]
	v_ashrrev_i32_e32 v50, 31, v49
	v_lshlrev_b64 v[53:54], 3, v[53:54]
	v_add_nc_u32_e32 v59, s15, v55
	v_ashrrev_i32_e32 v56, 31, v55
	v_add_co_u32 v45, vcc_lo, s4, v45
	v_lshlrev_b64 v[57:58], 3, v[49:50]
	v_add_co_ci_u32_e64 v46, null, s5, v46, vcc_lo
	v_add_co_u32 v47, vcc_lo, s4, v47
	v_ashrrev_i32_e32 v60, 31, v59
	v_add_nc_u32_e32 v61, s15, v59
	v_add_co_ci_u32_e64 v48, null, s5, v48, vcc_lo
	v_add_co_u32 v49, vcc_lo, s4, v53
	v_add_co_ci_u32_e64 v50, null, s5, v54, vcc_lo
	v_add_co_u32 v53, vcc_lo, s4, v57
	v_add_co_ci_u32_e64 v54, null, s5, v58, vcc_lo
	v_lshlrev_b64 v[57:58], 3, v[59:60]
	v_add_nc_u32_e32 v59, s15, v61
	v_ashrrev_i32_e32 v62, 31, v61
	v_lshlrev_b64 v[55:56], 3, v[55:56]
	v_add_nc_u32_e32 v63, s15, v59
	v_ashrrev_i32_e32 v60, 31, v59
	v_lshlrev_b64 v[61:62], 3, v[61:62]
	v_add_co_u32 v55, vcc_lo, s4, v55
	v_add_nc_u32_e32 v67, s15, v63
	v_lshlrev_b64 v[65:66], 3, v[59:60]
	v_add_co_ci_u32_e64 v56, null, s5, v56, vcc_lo
	v_add_co_u32 v57, vcc_lo, s4, v57
	v_ashrrev_i32_e32 v68, 31, v67
	v_add_nc_u32_e32 v69, s15, v67
	v_add_co_ci_u32_e64 v58, null, s5, v58, vcc_lo
	v_add_co_u32 v59, vcc_lo, s4, v61
	v_add_co_ci_u32_e64 v60, null, s5, v62, vcc_lo
	v_add_co_u32 v61, vcc_lo, s4, v65
	v_add_co_ci_u32_e64 v62, null, s5, v66, vcc_lo
	v_lshlrev_b64 v[65:66], 3, v[67:68]
	v_add_nc_u32_e32 v67, s15, v69
	v_ashrrev_i32_e32 v64, 31, v63
	v_ashrrev_i32_e32 v70, 31, v69
	v_add_nc_u32_e32 v71, s15, v67
	v_lshlrev_b64 v[63:64], 3, v[63:64]
	v_ashrrev_i32_e32 v68, 31, v67
	v_lshlrev_b64 v[69:70], 3, v[69:70]
	v_add_nc_u32_e32 v77, s15, v71
	v_ashrrev_i32_e32 v72, 31, v71
	v_add_co_u32 v63, vcc_lo, s4, v63
	v_lshlrev_b64 v[73:74], 3, v[67:68]
	v_add_co_ci_u32_e64 v64, null, s5, v64, vcc_lo
	v_add_co_u32 v65, vcc_lo, s4, v65
	v_ashrrev_i32_e32 v78, 31, v77
	v_add_nc_u32_e32 v79, s15, v77
	v_add_co_ci_u32_e64 v66, null, s5, v66, vcc_lo
	v_add_co_u32 v67, vcc_lo, s4, v69
	v_add_co_ci_u32_e64 v68, null, s5, v70, vcc_lo
	v_add_co_u32 v69, vcc_lo, s4, v73
	v_add_co_ci_u32_e64 v70, null, s5, v74, vcc_lo
	v_lshlrev_b64 v[73:74], 3, v[77:78]
	v_add_nc_u32_e32 v77, s15, v79
	v_ashrrev_i32_e32 v80, 31, v79
	v_lshlrev_b64 v[71:72], 3, v[71:72]
	v_add_nc_u32_e32 v81, s15, v77
	v_ashrrev_i32_e32 v78, 31, v77
	v_lshlrev_b64 v[79:80], 3, v[79:80]
	v_add_co_u32 v71, vcc_lo, s4, v71
	v_add_nc_u32_e32 v85, s15, v81
	v_lshlrev_b64 v[83:84], 3, v[77:78]
	v_add_co_ci_u32_e64 v72, null, s5, v72, vcc_lo
	v_add_co_u32 v73, vcc_lo, s4, v73
	v_ashrrev_i32_e32 v86, 31, v85
	v_add_nc_u32_e32 v87, s15, v85
	v_add_co_ci_u32_e64 v74, null, s5, v74, vcc_lo
	v_add_co_u32 v77, vcc_lo, s4, v79
	v_add_co_ci_u32_e64 v78, null, s5, v80, vcc_lo
	v_add_co_u32 v79, vcc_lo, s4, v83
	v_add_co_ci_u32_e64 v80, null, s5, v84, vcc_lo
	v_lshlrev_b64 v[83:84], 3, v[85:86]
	v_add_nc_u32_e32 v85, s15, v87
	v_ashrrev_i32_e32 v82, 31, v81
	v_ashrrev_i32_e32 v88, 31, v87
	v_add_nc_u32_e32 v89, s15, v85
	v_lshlrev_b64 v[81:82], 3, v[81:82]
	v_ashrrev_i32_e32 v86, 31, v85
	v_lshlrev_b64 v[87:88], 3, v[87:88]
	v_add_nc_u32_e32 v93, s15, v89
	v_ashrrev_i32_e32 v90, 31, v89
	v_add_co_u32 v81, vcc_lo, s4, v81
	v_lshlrev_b64 v[91:92], 3, v[85:86]
	v_add_nc_u32_e32 v128, s15, v93
	v_add_co_ci_u32_e64 v82, null, s5, v82, vcc_lo
	v_add_co_u32 v83, vcc_lo, s4, v83
	v_add_nc_u32_e32 v130, s15, v128
	v_ashrrev_i32_e32 v94, 31, v93
	v_add_co_ci_u32_e64 v84, null, s5, v84, vcc_lo
	v_add_co_u32 v85, vcc_lo, s4, v87
	v_ashrrev_i32_e32 v129, 31, v128
	v_add_co_ci_u32_e64 v86, null, s5, v88, vcc_lo
	v_lshlrev_b64 v[89:90], 3, v[89:90]
	v_add_co_u32 v87, vcc_lo, s4, v91
	v_ashrrev_i32_e32 v131, 31, v130
	v_add_co_ci_u32_e64 v88, null, s5, v92, vcc_lo
	v_lshlrev_b64 v[91:92], 3, v[93:94]
	v_lshlrev_b64 v[93:94], 3, v[128:129]
	v_add_co_u32 v89, vcc_lo, s4, v89
	v_lshlrev_b64 v[128:129], 3, v[130:131]
	v_add_co_ci_u32_e64 v90, null, s5, v90, vcc_lo
	v_add_co_u32 v91, vcc_lo, s4, v91
	v_add_co_ci_u32_e64 v92, null, s5, v92, vcc_lo
	v_add_co_u32 v93, vcc_lo, s4, v93
	;; [unrolled: 2-line block ×3, first 2 shown]
	v_add_nc_u32_e32 v128, s15, v130
	v_add_co_ci_u32_e64 v96, null, s5, v129, vcc_lo
	v_ashrrev_i32_e32 v129, 31, v128
	v_add_nc_u32_e32 v101, s15, v128
	v_lshlrev_b64 v[97:98], 3, v[128:129]
	s_clause 0x3
	global_load_dwordx2 v[103:104], v[19:20], off
	global_load_dwordx2 v[106:107], v[15:16], off
	;; [unrolled: 1-line block ×4, first 2 shown]
	s_waitcnt vmcnt(13)
	buffer_store_dword v109, off, s[0:3], 0 offset:44
	buffer_store_dword v108, off, s[0:3], 0 offset:40
	s_waitcnt vmcnt(12)
	buffer_store_dword v111, off, s[0:3], 0 offset:52
	s_clause 0x2
	global_load_dwordx2 v[108:109], v[29:30], off
	global_load_dwordx2 v[133:134], v[35:36], off
	;; [unrolled: 1-line block ×3, first 2 shown]
	buffer_store_dword v110, off, s[0:3], 0 offset:48
	global_load_dwordx2 v[110:111], v[31:32], off
	s_waitcnt vmcnt(15)
	buffer_store_dword v113, off, s[0:3], 0 offset:60
	buffer_store_dword v112, off, s[0:3], 0 offset:56
	s_waitcnt vmcnt(13)
	buffer_store_dword v115, off, s[0:3], 0 offset:68
	buffer_store_dword v114, off, s[0:3], 0 offset:64
	s_clause 0x3
	global_load_dwordx2 v[112:113], v[41:42], off
	global_load_dwordx2 v[114:115], v[43:44], off
	global_load_dwordx2 v[137:138], v[45:46], off
	global_load_dwordx2 v[139:140], v[47:48], off
	buffer_store_dword v116, off, s[0:3], 0 offset:72
	buffer_store_dword v117, off, s[0:3], 0 offset:76
	s_waitcnt vmcnt(16)
	buffer_store_dword v118, off, s[0:3], 0 offset:80
	buffer_store_dword v119, off, s[0:3], 0 offset:84
	global_load_dwordx2 v[116:117], v[49:50], off
	s_waitcnt vmcnt(16)
	buffer_store_dword v120, off, s[0:3], 0 offset:88
	buffer_store_dword v121, off, s[0:3], 0 offset:92
	s_clause 0x1
	global_load_dwordx2 v[118:119], v[53:54], off
	global_load_dwordx2 v[120:121], v[55:56], off
	s_waitcnt vmcnt(17)
	buffer_store_dword v122, off, s[0:3], 0 offset:96
	buffer_store_dword v123, off, s[0:3], 0 offset:100
	global_load_dwordx2 v[122:123], v[57:58], off
	s_waitcnt vmcnt(17)
	buffer_store_dword v124, off, s[0:3], 0 offset:104
	buffer_store_dword v125, off, s[0:3], 0 offset:108
	;; [unrolled: 4-line block ×4, first 2 shown]
	s_waitcnt vmcnt(16)
	buffer_store_dword v106, off, s[0:3], 0 offset:128
	buffer_store_dword v107, off, s[0:3], 0 offset:132
	s_waitcnt vmcnt(15)
	buffer_store_dword v129, off, s[0:3], 0 offset:136
	buffer_store_dword v130, off, s[0:3], 0 offset:140
	;; [unrolled: 3-line block ×3, first 2 shown]
	s_clause 0x3
	global_load_dwordx2 v[103:104], v[63:64], off
	global_load_dwordx2 v[106:107], v[65:66], off
	;; [unrolled: 1-line block ×4, first 2 shown]
	s_waitcnt vmcnt(17)
	buffer_store_dword v109, off, s[0:3], 0 offset:156
	buffer_store_dword v108, off, s[0:3], 0 offset:152
	s_waitcnt vmcnt(14)
	buffer_store_dword v111, off, s[0:3], 0 offset:164
	buffer_store_dword v110, off, s[0:3], 0 offset:160
	;; [unrolled: 1-line block ×6, first 2 shown]
	s_clause 0x3
	global_load_dwordx2 v[108:109], v[71:72], off
	global_load_dwordx2 v[110:111], v[73:74], off
	;; [unrolled: 1-line block ×4, first 2 shown]
	s_waitcnt vmcnt(17)
	buffer_store_dword v112, off, s[0:3], 0 offset:184
	buffer_store_dword v113, off, s[0:3], 0 offset:188
	s_waitcnt vmcnt(16)
	buffer_store_dword v114, off, s[0:3], 0 offset:192
	buffer_store_dword v115, off, s[0:3], 0 offset:196
	;; [unrolled: 3-line block ×4, first 2 shown]
	s_clause 0x3
	global_load_dwordx2 v[112:113], v[81:82], off
	global_load_dwordx2 v[114:115], v[83:84], off
	;; [unrolled: 1-line block ×4, first 2 shown]
	s_waitcnt vmcnt(17)
	buffer_store_dword v116, off, s[0:3], 0 offset:216
	buffer_store_dword v117, off, s[0:3], 0 offset:220
	global_load_dwordx2 v[116:117], v[89:90], off
	s_waitcnt vmcnt(17)
	buffer_store_dword v118, off, s[0:3], 0 offset:224
	buffer_store_dword v119, off, s[0:3], 0 offset:228
	s_waitcnt vmcnt(16)
	buffer_store_dword v120, off, s[0:3], 0 offset:232
	buffer_store_dword v121, off, s[0:3], 0 offset:236
	;; [unrolled: 3-line block ×3, first 2 shown]
	s_clause 0x2
	global_load_dwordx2 v[118:119], v[91:92], off
	global_load_dwordx2 v[120:121], v[93:94], off
	;; [unrolled: 1-line block ×3, first 2 shown]
	v_ashrrev_i32_e32 v102, 31, v101
	v_add_co_u32 v97, vcc_lo, s4, v97
	v_add_co_ci_u32_e64 v98, null, s5, v98, vcc_lo
	v_lshlrev_b64 v[101:102], 3, v[101:102]
	s_waitcnt vmcnt(17)
	buffer_store_dword v125, off, s[0:3], 0 offset:252
	buffer_store_dword v124, off, s[0:3], 0 offset:248
	global_load_dwordx2 v[124:125], v[97:98], off
	s_waitcnt vmcnt(17)
	buffer_store_dword v127, off, s[0:3], 0 offset:260
	buffer_store_dword v126, off, s[0:3], 0 offset:256
	v_add_co_u32 v101, vcc_lo, s4, v101
	v_add_co_ci_u32_e64 v102, null, s5, v102, vcc_lo
	s_mov_b32 s5, -1
	global_load_dwordx2 v[126:127], v[101:102], off
	s_waitcnt vmcnt(17)
	buffer_store_dword v103, off, s[0:3], 0 offset:264
	buffer_store_dword v104, off, s[0:3], 0 offset:268
	s_waitcnt vmcnt(16)
	buffer_store_dword v106, off, s[0:3], 0 offset:272
	buffer_store_dword v107, off, s[0:3], 0 offset:276
	;; [unrolled: 3-line block ×18, first 2 shown]
	s_cbranch_scc1 .LBB50_212
; %bb.4:
	v_cmp_eq_u32_e64 s4, 0, v0
	s_and_saveexec_b32 s5, s4
; %bb.5:
	v_mov_b32_e32 v103, 0
	ds_write_b32 v103, v103 offset:408
; %bb.6:
	s_or_b32 exec_lo, exec_lo, s5
	v_lshl_add_u32 v103, v0, 3, 0
	s_waitcnt lgkmcnt(0)
	s_waitcnt_vscnt null, 0x0
	s_barrier
	buffer_gl0_inv
	s_mov_b32 s8, exec_lo
	s_clause 0x1
	buffer_load_dword v106, v103, s[0:3], 0 offen
	buffer_load_dword v107, v103, s[0:3], 0 offen offset:4
	s_waitcnt vmcnt(0)
	v_cmpx_eq_f64_e32 0, v[106:107]
	s_cbranch_execz .LBB50_10
; %bb.7:
	v_mov_b32_e32 v104, 0
	s_mov_b32 s9, 0
	ds_read_b32 v106, v104 offset:408
	s_waitcnt lgkmcnt(0)
	v_readfirstlane_b32 s5, v106
	v_add_nc_u32_e32 v106, 1, v0
	s_cmp_eq_u32 s5, 0
	v_cmp_gt_i32_e32 vcc_lo, s5, v106
	s_cselect_b32 s12, -1, 0
	s_or_b32 s12, s12, vcc_lo
	s_and_b32 exec_lo, exec_lo, s12
	s_cbranch_execz .LBB50_10
; %bb.8:
	v_mov_b32_e32 v107, s5
.LBB50_9:                               ; =>This Inner Loop Header: Depth=1
	ds_cmpst_rtn_b32 v107, v104, v107, v106 offset:408
	s_waitcnt lgkmcnt(0)
	v_cmp_ne_u32_e32 vcc_lo, 0, v107
	v_cmp_le_i32_e64 s5, v107, v106
	s_and_b32 s5, vcc_lo, s5
	s_and_b32 s5, exec_lo, s5
	s_or_b32 s9, s5, s9
	s_andn2_b32 exec_lo, exec_lo, s9
	s_cbranch_execnz .LBB50_9
.LBB50_10:
	s_or_b32 exec_lo, exec_lo, s8
	v_mov_b32_e32 v104, 0
	s_barrier
	buffer_gl0_inv
	ds_read_b32 v106, v104 offset:408
	s_and_saveexec_b32 s5, s4
	s_cbranch_execz .LBB50_12
; %bb.11:
	s_lshl_b64 s[8:9], s[6:7], 2
	s_add_u32 s8, s10, s8
	s_addc_u32 s9, s11, s9
	s_waitcnt lgkmcnt(0)
	global_store_dword v104, v106, s[8:9]
.LBB50_12:
	s_or_b32 exec_lo, exec_lo, s5
	s_waitcnt lgkmcnt(0)
	v_cmp_ne_u32_e32 vcc_lo, 0, v106
	s_mov_b32 s5, 0
	s_cbranch_vccnz .LBB50_212
; %bb.13:
	s_clause 0x1
	buffer_load_dword v106, v103, s[0:3], 0 offen
	buffer_load_dword v107, v103, s[0:3], 0 offen offset:4
	s_waitcnt vmcnt(0)
	v_div_scale_f64 v[108:109], null, v[106:107], v[106:107], 1.0
	v_div_scale_f64 v[114:115], vcc_lo, 1.0, v[106:107], 1.0
	v_rcp_f64_e32 v[110:111], v[108:109]
	v_fma_f64 v[112:113], -v[108:109], v[110:111], 1.0
	v_fma_f64 v[110:111], v[110:111], v[112:113], v[110:111]
	v_fma_f64 v[112:113], -v[108:109], v[110:111], 1.0
	v_fma_f64 v[110:111], v[110:111], v[112:113], v[110:111]
	v_mul_f64 v[112:113], v[114:115], v[110:111]
	v_fma_f64 v[108:109], -v[108:109], v[112:113], v[114:115]
	v_div_fmas_f64 v[108:109], v[108:109], v[110:111], v[112:113]
	v_div_fixup_f64 v[107:108], v[108:109], v[106:107], 1.0
	v_add_nc_u32_e32 v106, 0x1a0, v105
	buffer_store_dword v108, v103, s[0:3], 0 offen offset:4
	buffer_store_dword v107, v103, s[0:3], 0 offen
	s_clause 0x1
	buffer_load_dword v110, off, s[0:3], 0 offset:12
	buffer_load_dword v109, off, s[0:3], 0 offset:8
	v_xor_b32_e32 v108, 0x80000000, v108
	s_waitcnt vmcnt(0)
	ds_write2_b64 v105, v[107:108], v[109:110] offset1:52
	s_waitcnt lgkmcnt(0)
	s_waitcnt_vscnt null, 0x0
	s_barrier
	buffer_gl0_inv
	s_and_saveexec_b32 s5, s4
	s_cbranch_execz .LBB50_15
; %bb.14:
	s_clause 0x1
	buffer_load_dword v107, v103, s[0:3], 0 offen
	buffer_load_dword v108, v103, s[0:3], 0 offen offset:4
	ds_read_b64 v[109:110], v106
	v_mov_b32_e32 v104, 0
	ds_read_b64 v[111:112], v104 offset:8
	s_waitcnt vmcnt(0) lgkmcnt(1)
	v_fma_f64 v[107:108], v[107:108], v[109:110], 0
	s_waitcnt lgkmcnt(0)
	v_mul_f64 v[107:108], v[107:108], v[111:112]
	buffer_store_dword v107, off, s[0:3], 0 offset:8
	buffer_store_dword v108, off, s[0:3], 0 offset:12
.LBB50_15:
	s_or_b32 exec_lo, exec_lo, s5
	s_waitcnt_vscnt null, 0x0
	s_barrier
	buffer_gl0_inv
	s_clause 0x1
	buffer_load_dword v107, off, s[0:3], 0 offset:16
	buffer_load_dword v108, off, s[0:3], 0 offset:20
	s_mov_b32 s5, exec_lo
	s_waitcnt vmcnt(0)
	ds_write_b64 v106, v[107:108]
	s_waitcnt lgkmcnt(0)
	s_barrier
	buffer_gl0_inv
	v_cmpx_gt_u32_e32 2, v0
	s_cbranch_execz .LBB50_19
; %bb.16:
	s_clause 0x1
	buffer_load_dword v107, v103, s[0:3], 0 offen
	buffer_load_dword v108, v103, s[0:3], 0 offen offset:4
	ds_read_b64 v[103:104], v106
	s_waitcnt vmcnt(0) lgkmcnt(0)
	v_fma_f64 v[103:104], v[107:108], v[103:104], 0
	s_and_saveexec_b32 s8, s4
	s_cbranch_execz .LBB50_18
; %bb.17:
	s_clause 0x1
	buffer_load_dword v107, off, s[0:3], 0 offset:8
	buffer_load_dword v108, off, s[0:3], 0 offset:12
	v_mov_b32_e32 v109, 0
	ds_read_b64 v[109:110], v109 offset:424
	s_waitcnt vmcnt(0) lgkmcnt(0)
	v_fma_f64 v[103:104], v[107:108], v[109:110], v[103:104]
.LBB50_18:
	s_or_b32 exec_lo, exec_lo, s8
	v_mov_b32_e32 v107, 0
	ds_read_b64 v[107:108], v107 offset:16
	s_waitcnt lgkmcnt(0)
	v_mul_f64 v[103:104], v[103:104], v[107:108]
	buffer_store_dword v104, off, s[0:3], 0 offset:20
	buffer_store_dword v103, off, s[0:3], 0 offset:16
.LBB50_19:
	s_or_b32 exec_lo, exec_lo, s5
	s_waitcnt_vscnt null, 0x0
	s_barrier
	buffer_gl0_inv
	s_clause 0x1
	buffer_load_dword v103, off, s[0:3], 0 offset:24
	buffer_load_dword v104, off, s[0:3], 0 offset:28
	v_add_nc_u32_e32 v107, -1, v0
	s_mov_b32 s4, exec_lo
	s_waitcnt vmcnt(0)
	ds_write_b64 v106, v[103:104]
	s_waitcnt lgkmcnt(0)
	s_barrier
	buffer_gl0_inv
	v_cmpx_gt_u32_e32 3, v0
	s_cbranch_execz .LBB50_23
; %bb.20:
	v_mov_b32_e32 v103, 0
	v_add_nc_u32_e32 v108, -1, v0
	v_add_nc_u32_e32 v109, 0x1a0, v105
	v_mov_b32_e32 v104, 0
	v_mov_b32_e32 v110, v105
	s_mov_b32 s5, 0
.LBB50_21:                              ; =>This Inner Loop Header: Depth=1
	s_clause 0x1
	buffer_load_dword v111, v110, s[0:3], 0 offen
	buffer_load_dword v112, v110, s[0:3], 0 offen offset:4
	ds_read_b64 v[113:114], v109
	v_add_nc_u32_e32 v108, 1, v108
	v_add_nc_u32_e32 v109, 8, v109
	v_add_nc_u32_e32 v110, 8, v110
	v_cmp_lt_u32_e32 vcc_lo, 1, v108
	s_or_b32 s5, vcc_lo, s5
	s_waitcnt vmcnt(0) lgkmcnt(0)
	v_fma_f64 v[103:104], v[111:112], v[113:114], v[103:104]
	s_andn2_b32 exec_lo, exec_lo, s5
	s_cbranch_execnz .LBB50_21
; %bb.22:
	s_or_b32 exec_lo, exec_lo, s5
	v_mov_b32_e32 v108, 0
	ds_read_b64 v[108:109], v108 offset:24
	s_waitcnt lgkmcnt(0)
	v_mul_f64 v[103:104], v[103:104], v[108:109]
	buffer_store_dword v104, off, s[0:3], 0 offset:28
	buffer_store_dword v103, off, s[0:3], 0 offset:24
.LBB50_23:
	s_or_b32 exec_lo, exec_lo, s4
	s_waitcnt_vscnt null, 0x0
	s_barrier
	buffer_gl0_inv
	s_clause 0x1
	buffer_load_dword v103, off, s[0:3], 0 offset:32
	buffer_load_dword v104, off, s[0:3], 0 offset:36
	s_mov_b32 s4, exec_lo
	s_waitcnt vmcnt(0)
	ds_write_b64 v106, v[103:104]
	s_waitcnt lgkmcnt(0)
	s_barrier
	buffer_gl0_inv
	v_cmpx_gt_u32_e32 4, v0
	s_cbranch_execz .LBB50_27
; %bb.24:
	v_mov_b32_e32 v103, 0
	v_add_nc_u32_e32 v108, -1, v0
	v_add_nc_u32_e32 v109, 0x1a0, v105
	v_mov_b32_e32 v104, 0
	v_mov_b32_e32 v110, v105
	s_mov_b32 s5, 0
.LBB50_25:                              ; =>This Inner Loop Header: Depth=1
	s_clause 0x1
	buffer_load_dword v111, v110, s[0:3], 0 offen
	buffer_load_dword v112, v110, s[0:3], 0 offen offset:4
	ds_read_b64 v[113:114], v109
	v_add_nc_u32_e32 v108, 1, v108
	v_add_nc_u32_e32 v109, 8, v109
	v_add_nc_u32_e32 v110, 8, v110
	v_cmp_lt_u32_e32 vcc_lo, 2, v108
	s_or_b32 s5, vcc_lo, s5
	s_waitcnt vmcnt(0) lgkmcnt(0)
	v_fma_f64 v[103:104], v[111:112], v[113:114], v[103:104]
	s_andn2_b32 exec_lo, exec_lo, s5
	s_cbranch_execnz .LBB50_25
; %bb.26:
	s_or_b32 exec_lo, exec_lo, s5
	v_mov_b32_e32 v108, 0
	ds_read_b64 v[108:109], v108 offset:32
	s_waitcnt lgkmcnt(0)
	v_mul_f64 v[103:104], v[103:104], v[108:109]
	buffer_store_dword v104, off, s[0:3], 0 offset:36
	buffer_store_dword v103, off, s[0:3], 0 offset:32
.LBB50_27:
	s_or_b32 exec_lo, exec_lo, s4
	s_waitcnt_vscnt null, 0x0
	s_barrier
	buffer_gl0_inv
	s_clause 0x1
	buffer_load_dword v103, off, s[0:3], 0 offset:40
	buffer_load_dword v104, off, s[0:3], 0 offset:44
	;; [unrolled: 45-line block ×20, first 2 shown]
	s_mov_b32 s4, exec_lo
	s_waitcnt vmcnt(0)
	ds_write_b64 v106, v[103:104]
	s_waitcnt lgkmcnt(0)
	s_barrier
	buffer_gl0_inv
	v_cmpx_gt_u32_e32 23, v0
	s_cbranch_execz .LBB50_103
; %bb.100:
	v_mov_b32_e32 v103, 0
	v_add_nc_u32_e32 v108, -1, v0
	v_add_nc_u32_e32 v109, 0x1a0, v105
	v_mov_b32_e32 v104, 0
	v_mov_b32_e32 v110, v105
	s_mov_b32 s5, 0
.LBB50_101:                             ; =>This Inner Loop Header: Depth=1
	s_clause 0x1
	buffer_load_dword v111, v110, s[0:3], 0 offen
	buffer_load_dword v112, v110, s[0:3], 0 offen offset:4
	ds_read_b64 v[113:114], v109
	v_add_nc_u32_e32 v108, 1, v108
	v_add_nc_u32_e32 v109, 8, v109
	v_add_nc_u32_e32 v110, 8, v110
	v_cmp_lt_u32_e32 vcc_lo, 21, v108
	s_or_b32 s5, vcc_lo, s5
	s_waitcnt vmcnt(0) lgkmcnt(0)
	v_fma_f64 v[103:104], v[111:112], v[113:114], v[103:104]
	s_andn2_b32 exec_lo, exec_lo, s5
	s_cbranch_execnz .LBB50_101
; %bb.102:
	s_or_b32 exec_lo, exec_lo, s5
	v_mov_b32_e32 v108, 0
	ds_read_b64 v[108:109], v108 offset:184
	s_waitcnt lgkmcnt(0)
	v_mul_f64 v[103:104], v[103:104], v[108:109]
	buffer_store_dword v104, off, s[0:3], 0 offset:188
	buffer_store_dword v103, off, s[0:3], 0 offset:184
.LBB50_103:
	s_or_b32 exec_lo, exec_lo, s4
	s_waitcnt_vscnt null, 0x0
	s_barrier
	buffer_gl0_inv
	s_clause 0x1
	buffer_load_dword v103, off, s[0:3], 0 offset:192
	buffer_load_dword v104, off, s[0:3], 0 offset:196
	s_mov_b32 s4, exec_lo
	s_waitcnt vmcnt(0)
	ds_write_b64 v106, v[103:104]
	s_waitcnt lgkmcnt(0)
	s_barrier
	buffer_gl0_inv
	v_cmpx_gt_u32_e32 24, v0
	s_cbranch_execz .LBB50_107
; %bb.104:
	v_mov_b32_e32 v103, 0
	v_add_nc_u32_e32 v108, -1, v0
	v_add_nc_u32_e32 v109, 0x1a0, v105
	v_mov_b32_e32 v104, 0
	v_mov_b32_e32 v110, v105
	s_mov_b32 s5, 0
.LBB50_105:                             ; =>This Inner Loop Header: Depth=1
	s_clause 0x1
	buffer_load_dword v111, v110, s[0:3], 0 offen
	buffer_load_dword v112, v110, s[0:3], 0 offen offset:4
	ds_read_b64 v[113:114], v109
	v_add_nc_u32_e32 v108, 1, v108
	v_add_nc_u32_e32 v109, 8, v109
	v_add_nc_u32_e32 v110, 8, v110
	v_cmp_lt_u32_e32 vcc_lo, 22, v108
	s_or_b32 s5, vcc_lo, s5
	s_waitcnt vmcnt(0) lgkmcnt(0)
	v_fma_f64 v[103:104], v[111:112], v[113:114], v[103:104]
	s_andn2_b32 exec_lo, exec_lo, s5
	s_cbranch_execnz .LBB50_105
; %bb.106:
	s_or_b32 exec_lo, exec_lo, s5
	v_mov_b32_e32 v108, 0
	ds_read_b64 v[108:109], v108 offset:192
	s_waitcnt lgkmcnt(0)
	v_mul_f64 v[103:104], v[103:104], v[108:109]
	buffer_store_dword v104, off, s[0:3], 0 offset:196
	buffer_store_dword v103, off, s[0:3], 0 offset:192
.LBB50_107:
	s_or_b32 exec_lo, exec_lo, s4
	s_waitcnt_vscnt null, 0x0
	s_barrier
	buffer_gl0_inv
	s_clause 0x1
	buffer_load_dword v103, off, s[0:3], 0 offset:200
	buffer_load_dword v104, off, s[0:3], 0 offset:204
	;; [unrolled: 45-line block ×27, first 2 shown]
	s_mov_b32 s4, exec_lo
	s_waitcnt vmcnt(0)
	ds_write_b64 v106, v[103:104]
	s_waitcnt lgkmcnt(0)
	s_barrier
	buffer_gl0_inv
	v_cmpx_ne_u32_e32 50, v0
	s_cbranch_execz .LBB50_211
; %bb.208:
	v_mov_b32_e32 v103, 0
	v_mov_b32_e32 v104, 0
	s_mov_b32 s5, 0
.LBB50_209:                             ; =>This Inner Loop Header: Depth=1
	s_clause 0x1
	buffer_load_dword v108, v105, s[0:3], 0 offen
	buffer_load_dword v109, v105, s[0:3], 0 offen offset:4
	ds_read_b64 v[110:111], v106
	v_add_nc_u32_e32 v107, 1, v107
	v_add_nc_u32_e32 v106, 8, v106
	;; [unrolled: 1-line block ×3, first 2 shown]
	v_cmp_lt_u32_e32 vcc_lo, 48, v107
	s_or_b32 s5, vcc_lo, s5
	s_waitcnt vmcnt(0) lgkmcnt(0)
	v_fma_f64 v[103:104], v[108:109], v[110:111], v[103:104]
	s_andn2_b32 exec_lo, exec_lo, s5
	s_cbranch_execnz .LBB50_209
; %bb.210:
	s_or_b32 exec_lo, exec_lo, s5
	v_mov_b32_e32 v105, 0
	ds_read_b64 v[105:106], v105 offset:400
	s_waitcnt lgkmcnt(0)
	v_mul_f64 v[103:104], v[103:104], v[105:106]
	buffer_store_dword v104, off, s[0:3], 0 offset:404
	buffer_store_dword v103, off, s[0:3], 0 offset:400
.LBB50_211:
	s_or_b32 exec_lo, exec_lo, s4
	s_mov_b32 s5, -1
	s_waitcnt_vscnt null, 0x0
	s_barrier
	buffer_gl0_inv
.LBB50_212:
	s_and_b32 vcc_lo, exec_lo, s5
	s_cbranch_vccz .LBB50_214
; %bb.213:
	s_lshl_b64 s[4:5], s[6:7], 2
	v_mov_b32_e32 v103, 0
	s_add_u32 s4, s10, s4
	s_addc_u32 s5, s11, s5
	global_load_dword v103, v103, s[4:5]
	s_waitcnt vmcnt(0)
	v_cmp_ne_u32_e32 vcc_lo, 0, v103
	s_cbranch_vccz .LBB50_215
.LBB50_214:
	s_endpgm
.LBB50_215:
	v_lshl_add_u32 v103, v0, 3, 0x1a0
	s_mov_b32 s4, exec_lo
	v_cmpx_eq_u32_e32 50, v0
	s_cbranch_execz .LBB50_217
; %bb.216:
	s_clause 0x1
	buffer_load_dword v104, off, s[0:3], 0 offset:392
	buffer_load_dword v105, off, s[0:3], 0 offset:396
	v_mov_b32_e32 v106, 0
	buffer_store_dword v106, off, s[0:3], 0 offset:392
	buffer_store_dword v106, off, s[0:3], 0 offset:396
	s_waitcnt vmcnt(0)
	ds_write_b64 v103, v[104:105]
.LBB50_217:
	s_or_b32 exec_lo, exec_lo, s4
	s_waitcnt lgkmcnt(0)
	s_waitcnt_vscnt null, 0x0
	s_barrier
	buffer_gl0_inv
	s_clause 0x3
	buffer_load_dword v105, off, s[0:3], 0 offset:400
	buffer_load_dword v106, off, s[0:3], 0 offset:404
	;; [unrolled: 1-line block ×4, first 2 shown]
	v_mov_b32_e32 v104, 0
	s_mov_b32 s4, exec_lo
	ds_read_b64 v[109:110], v104 offset:816
	s_waitcnt vmcnt(2) lgkmcnt(0)
	v_fma_f64 v[105:106], v[105:106], v[109:110], 0
	s_waitcnt vmcnt(0)
	v_add_f64 v[105:106], v[107:108], -v[105:106]
	buffer_store_dword v105, off, s[0:3], 0 offset:392
	buffer_store_dword v106, off, s[0:3], 0 offset:396
	v_cmpx_lt_u32_e32 48, v0
	s_cbranch_execz .LBB50_219
; %bb.218:
	s_clause 0x1
	buffer_load_dword v105, off, s[0:3], 0 offset:384
	buffer_load_dword v106, off, s[0:3], 0 offset:388
	buffer_store_dword v104, off, s[0:3], 0 offset:384
	buffer_store_dword v104, off, s[0:3], 0 offset:388
	s_waitcnt vmcnt(0)
	ds_write_b64 v103, v[105:106]
.LBB50_219:
	s_or_b32 exec_lo, exec_lo, s4
	s_waitcnt lgkmcnt(0)
	s_waitcnt_vscnt null, 0x0
	s_barrier
	buffer_gl0_inv
	s_clause 0x5
	buffer_load_dword v108, off, s[0:3], 0 offset:392
	buffer_load_dword v109, off, s[0:3], 0 offset:396
	;; [unrolled: 1-line block ×6, first 2 shown]
	ds_read2_b64 v[104:107], v104 offset0:101 offset1:102
	s_mov_b32 s4, exec_lo
	s_waitcnt vmcnt(4) lgkmcnt(0)
	v_fma_f64 v[104:105], v[108:109], v[104:105], 0
	s_waitcnt vmcnt(2)
	v_fma_f64 v[104:105], v[110:111], v[106:107], v[104:105]
	s_waitcnt vmcnt(0)
	v_add_f64 v[104:105], v[112:113], -v[104:105]
	buffer_store_dword v104, off, s[0:3], 0 offset:384
	buffer_store_dword v105, off, s[0:3], 0 offset:388
	v_cmpx_lt_u32_e32 47, v0
	s_cbranch_execz .LBB50_221
; %bb.220:
	s_clause 0x1
	buffer_load_dword v104, off, s[0:3], 0 offset:376
	buffer_load_dword v105, off, s[0:3], 0 offset:380
	v_mov_b32_e32 v106, 0
	buffer_store_dword v106, off, s[0:3], 0 offset:376
	buffer_store_dword v106, off, s[0:3], 0 offset:380
	s_waitcnt vmcnt(0)
	ds_write_b64 v103, v[104:105]
.LBB50_221:
	s_or_b32 exec_lo, exec_lo, s4
	s_waitcnt lgkmcnt(0)
	s_waitcnt_vscnt null, 0x0
	s_barrier
	buffer_gl0_inv
	s_clause 0x7
	buffer_load_dword v109, off, s[0:3], 0 offset:384
	buffer_load_dword v110, off, s[0:3], 0 offset:388
	;; [unrolled: 1-line block ×8, first 2 shown]
	v_mov_b32_e32 v104, 0
	ds_read_b128 v[105:108], v104 offset:800
	ds_read_b64 v[117:118], v104 offset:816
	s_mov_b32 s4, exec_lo
	s_waitcnt vmcnt(6) lgkmcnt(1)
	v_fma_f64 v[105:106], v[109:110], v[105:106], 0
	s_waitcnt vmcnt(4)
	v_fma_f64 v[105:106], v[111:112], v[107:108], v[105:106]
	s_waitcnt vmcnt(2) lgkmcnt(0)
	v_fma_f64 v[105:106], v[113:114], v[117:118], v[105:106]
	s_waitcnt vmcnt(0)
	v_add_f64 v[105:106], v[115:116], -v[105:106]
	buffer_store_dword v105, off, s[0:3], 0 offset:376
	buffer_store_dword v106, off, s[0:3], 0 offset:380
	v_cmpx_lt_u32_e32 46, v0
	s_cbranch_execz .LBB50_223
; %bb.222:
	s_clause 0x1
	buffer_load_dword v105, off, s[0:3], 0 offset:368
	buffer_load_dword v106, off, s[0:3], 0 offset:372
	buffer_store_dword v104, off, s[0:3], 0 offset:368
	buffer_store_dword v104, off, s[0:3], 0 offset:372
	s_waitcnt vmcnt(0)
	ds_write_b64 v103, v[105:106]
.LBB50_223:
	s_or_b32 exec_lo, exec_lo, s4
	s_waitcnt lgkmcnt(0)
	s_waitcnt_vscnt null, 0x0
	s_barrier
	buffer_gl0_inv
	s_clause 0x9
	buffer_load_dword v113, off, s[0:3], 0 offset:376
	buffer_load_dword v114, off, s[0:3], 0 offset:380
	;; [unrolled: 1-line block ×10, first 2 shown]
	ds_read2_b64 v[105:108], v104 offset0:99 offset1:100
	ds_read2_b64 v[109:112], v104 offset0:101 offset1:102
	s_mov_b32 s4, exec_lo
	s_waitcnt vmcnt(8) lgkmcnt(1)
	v_fma_f64 v[104:105], v[113:114], v[105:106], 0
	s_waitcnt vmcnt(6)
	v_fma_f64 v[104:105], v[115:116], v[107:108], v[104:105]
	s_waitcnt vmcnt(4) lgkmcnt(0)
	v_fma_f64 v[104:105], v[117:118], v[109:110], v[104:105]
	s_waitcnt vmcnt(2)
	v_fma_f64 v[104:105], v[119:120], v[111:112], v[104:105]
	s_waitcnt vmcnt(0)
	v_add_f64 v[104:105], v[121:122], -v[104:105]
	buffer_store_dword v104, off, s[0:3], 0 offset:368
	buffer_store_dword v105, off, s[0:3], 0 offset:372
	v_cmpx_lt_u32_e32 45, v0
	s_cbranch_execz .LBB50_225
; %bb.224:
	s_clause 0x1
	buffer_load_dword v104, off, s[0:3], 0 offset:360
	buffer_load_dword v105, off, s[0:3], 0 offset:364
	v_mov_b32_e32 v106, 0
	buffer_store_dword v106, off, s[0:3], 0 offset:360
	buffer_store_dword v106, off, s[0:3], 0 offset:364
	s_waitcnt vmcnt(0)
	ds_write_b64 v103, v[104:105]
.LBB50_225:
	s_or_b32 exec_lo, exec_lo, s4
	s_waitcnt lgkmcnt(0)
	s_waitcnt_vscnt null, 0x0
	s_barrier
	buffer_gl0_inv
	s_clause 0xb
	buffer_load_dword v113, off, s[0:3], 0 offset:368
	buffer_load_dword v114, off, s[0:3], 0 offset:372
	;; [unrolled: 1-line block ×12, first 2 shown]
	v_mov_b32_e32 v104, 0
	ds_read_b128 v[105:108], v104 offset:784
	ds_read_b128 v[109:112], v104 offset:800
	s_mov_b32 s4, exec_lo
	s_waitcnt vmcnt(10) lgkmcnt(1)
	v_fma_f64 v[105:106], v[113:114], v[105:106], 0
	s_waitcnt vmcnt(8)
	v_fma_f64 v[105:106], v[115:116], v[107:108], v[105:106]
	ds_read_b64 v[107:108], v104 offset:816
	s_waitcnt vmcnt(6) lgkmcnt(1)
	v_fma_f64 v[105:106], v[117:118], v[109:110], v[105:106]
	s_waitcnt vmcnt(4)
	v_fma_f64 v[105:106], v[119:120], v[111:112], v[105:106]
	s_waitcnt vmcnt(2) lgkmcnt(0)
	v_fma_f64 v[105:106], v[121:122], v[107:108], v[105:106]
	s_waitcnt vmcnt(0)
	v_add_f64 v[105:106], v[123:124], -v[105:106]
	buffer_store_dword v105, off, s[0:3], 0 offset:360
	buffer_store_dword v106, off, s[0:3], 0 offset:364
	v_cmpx_lt_u32_e32 44, v0
	s_cbranch_execz .LBB50_227
; %bb.226:
	s_clause 0x1
	buffer_load_dword v105, off, s[0:3], 0 offset:352
	buffer_load_dword v106, off, s[0:3], 0 offset:356
	buffer_store_dword v104, off, s[0:3], 0 offset:352
	buffer_store_dword v104, off, s[0:3], 0 offset:356
	s_waitcnt vmcnt(0)
	ds_write_b64 v103, v[105:106]
.LBB50_227:
	s_or_b32 exec_lo, exec_lo, s4
	s_waitcnt lgkmcnt(0)
	s_waitcnt_vscnt null, 0x0
	s_barrier
	buffer_gl0_inv
	s_clause 0xd
	buffer_load_dword v113, off, s[0:3], 0 offset:360
	buffer_load_dword v114, off, s[0:3], 0 offset:364
	;; [unrolled: 1-line block ×14, first 2 shown]
	ds_read2_b64 v[105:108], v104 offset0:97 offset1:98
	ds_read2_b64 v[109:112], v104 offset0:99 offset1:100
	s_mov_b32 s4, exec_lo
	s_waitcnt vmcnt(12) lgkmcnt(1)
	v_fma_f64 v[105:106], v[113:114], v[105:106], 0
	s_waitcnt vmcnt(10)
	v_fma_f64 v[105:106], v[115:116], v[107:108], v[105:106]
	s_waitcnt vmcnt(8) lgkmcnt(0)
	v_fma_f64 v[105:106], v[117:118], v[109:110], v[105:106]
	s_waitcnt vmcnt(6)
	v_fma_f64 v[108:109], v[119:120], v[111:112], v[105:106]
	ds_read2_b64 v[104:107], v104 offset0:101 offset1:102
	s_waitcnt vmcnt(4) lgkmcnt(0)
	v_fma_f64 v[104:105], v[121:122], v[104:105], v[108:109]
	s_waitcnt vmcnt(2)
	v_fma_f64 v[104:105], v[123:124], v[106:107], v[104:105]
	s_waitcnt vmcnt(0)
	v_add_f64 v[104:105], v[125:126], -v[104:105]
	buffer_store_dword v104, off, s[0:3], 0 offset:352
	buffer_store_dword v105, off, s[0:3], 0 offset:356
	v_cmpx_lt_u32_e32 43, v0
	s_cbranch_execz .LBB50_229
; %bb.228:
	s_clause 0x1
	buffer_load_dword v104, off, s[0:3], 0 offset:344
	buffer_load_dword v105, off, s[0:3], 0 offset:348
	v_mov_b32_e32 v106, 0
	buffer_store_dword v106, off, s[0:3], 0 offset:344
	buffer_store_dword v106, off, s[0:3], 0 offset:348
	s_waitcnt vmcnt(0)
	ds_write_b64 v103, v[104:105]
.LBB50_229:
	s_or_b32 exec_lo, exec_lo, s4
	s_waitcnt lgkmcnt(0)
	s_waitcnt_vscnt null, 0x0
	s_barrier
	buffer_gl0_inv
	s_clause 0xf
	buffer_load_dword v113, off, s[0:3], 0 offset:352
	buffer_load_dword v114, off, s[0:3], 0 offset:356
	;; [unrolled: 1-line block ×16, first 2 shown]
	v_mov_b32_e32 v104, 0
	ds_read_b128 v[105:108], v104 offset:768
	ds_read_b128 v[109:112], v104 offset:784
	s_mov_b32 s4, exec_lo
	s_waitcnt vmcnt(14) lgkmcnt(1)
	v_fma_f64 v[105:106], v[113:114], v[105:106], 0
	s_waitcnt vmcnt(12)
	v_fma_f64 v[105:106], v[115:116], v[107:108], v[105:106]
	s_waitcnt vmcnt(10) lgkmcnt(0)
	v_fma_f64 v[105:106], v[117:118], v[109:110], v[105:106]
	s_waitcnt vmcnt(8)
	v_fma_f64 v[109:110], v[119:120], v[111:112], v[105:106]
	ds_read_b128 v[105:108], v104 offset:800
	ds_read_b64 v[111:112], v104 offset:816
	s_waitcnt vmcnt(6) lgkmcnt(1)
	v_fma_f64 v[105:106], v[121:122], v[105:106], v[109:110]
	s_waitcnt vmcnt(4)
	v_fma_f64 v[105:106], v[123:124], v[107:108], v[105:106]
	s_waitcnt vmcnt(2) lgkmcnt(0)
	v_fma_f64 v[105:106], v[125:126], v[111:112], v[105:106]
	s_waitcnt vmcnt(0)
	v_add_f64 v[105:106], v[127:128], -v[105:106]
	buffer_store_dword v105, off, s[0:3], 0 offset:344
	buffer_store_dword v106, off, s[0:3], 0 offset:348
	v_cmpx_lt_u32_e32 42, v0
	s_cbranch_execz .LBB50_231
; %bb.230:
	s_clause 0x1
	buffer_load_dword v105, off, s[0:3], 0 offset:336
	buffer_load_dword v106, off, s[0:3], 0 offset:340
	buffer_store_dword v104, off, s[0:3], 0 offset:336
	buffer_store_dword v104, off, s[0:3], 0 offset:340
	s_waitcnt vmcnt(0)
	ds_write_b64 v103, v[105:106]
.LBB50_231:
	s_or_b32 exec_lo, exec_lo, s4
	s_waitcnt lgkmcnt(0)
	s_waitcnt_vscnt null, 0x0
	s_barrier
	buffer_gl0_inv
	s_clause 0x11
	buffer_load_dword v113, off, s[0:3], 0 offset:344
	buffer_load_dword v114, off, s[0:3], 0 offset:348
	buffer_load_dword v115, off, s[0:3], 0 offset:352
	buffer_load_dword v116, off, s[0:3], 0 offset:356
	buffer_load_dword v117, off, s[0:3], 0 offset:360
	buffer_load_dword v118, off, s[0:3], 0 offset:364
	buffer_load_dword v119, off, s[0:3], 0 offset:368
	buffer_load_dword v120, off, s[0:3], 0 offset:372
	buffer_load_dword v121, off, s[0:3], 0 offset:376
	buffer_load_dword v122, off, s[0:3], 0 offset:380
	buffer_load_dword v123, off, s[0:3], 0 offset:384
	buffer_load_dword v124, off, s[0:3], 0 offset:388
	buffer_load_dword v125, off, s[0:3], 0 offset:392
	buffer_load_dword v126, off, s[0:3], 0 offset:396
	buffer_load_dword v128, off, s[0:3], 0 offset:404
	buffer_load_dword v127, off, s[0:3], 0 offset:400
	buffer_load_dword v129, off, s[0:3], 0 offset:336
	buffer_load_dword v130, off, s[0:3], 0 offset:340
	ds_read2_b64 v[105:108], v104 offset0:95 offset1:96
	ds_read2_b64 v[109:112], v104 offset0:97 offset1:98
	s_mov_b32 s4, exec_lo
	s_waitcnt vmcnt(16) lgkmcnt(1)
	v_fma_f64 v[105:106], v[113:114], v[105:106], 0
	s_waitcnt vmcnt(14)
	v_fma_f64 v[105:106], v[115:116], v[107:108], v[105:106]
	s_waitcnt vmcnt(12) lgkmcnt(0)
	v_fma_f64 v[105:106], v[117:118], v[109:110], v[105:106]
	s_waitcnt vmcnt(10)
	v_fma_f64 v[113:114], v[119:120], v[111:112], v[105:106]
	ds_read2_b64 v[105:108], v104 offset0:99 offset1:100
	ds_read2_b64 v[109:112], v104 offset0:101 offset1:102
	s_waitcnt vmcnt(8) lgkmcnt(1)
	v_fma_f64 v[104:105], v[121:122], v[105:106], v[113:114]
	s_waitcnt vmcnt(6)
	v_fma_f64 v[104:105], v[123:124], v[107:108], v[104:105]
	s_waitcnt vmcnt(4) lgkmcnt(0)
	v_fma_f64 v[104:105], v[125:126], v[109:110], v[104:105]
	s_waitcnt vmcnt(2)
	v_fma_f64 v[104:105], v[127:128], v[111:112], v[104:105]
	s_waitcnt vmcnt(0)
	v_add_f64 v[104:105], v[129:130], -v[104:105]
	buffer_store_dword v104, off, s[0:3], 0 offset:336
	buffer_store_dword v105, off, s[0:3], 0 offset:340
	v_cmpx_lt_u32_e32 41, v0
	s_cbranch_execz .LBB50_233
; %bb.232:
	s_clause 0x1
	buffer_load_dword v104, off, s[0:3], 0 offset:328
	buffer_load_dword v105, off, s[0:3], 0 offset:332
	v_mov_b32_e32 v106, 0
	buffer_store_dword v106, off, s[0:3], 0 offset:328
	buffer_store_dword v106, off, s[0:3], 0 offset:332
	s_waitcnt vmcnt(0)
	ds_write_b64 v103, v[104:105]
.LBB50_233:
	s_or_b32 exec_lo, exec_lo, s4
	s_waitcnt lgkmcnt(0)
	s_waitcnt_vscnt null, 0x0
	s_barrier
	buffer_gl0_inv
	s_clause 0x13
	buffer_load_dword v113, off, s[0:3], 0 offset:336
	buffer_load_dword v114, off, s[0:3], 0 offset:340
	;; [unrolled: 1-line block ×20, first 2 shown]
	v_mov_b32_e32 v104, 0
	ds_read_b128 v[105:108], v104 offset:752
	ds_read_b128 v[109:112], v104 offset:768
	s_mov_b32 s4, exec_lo
	s_waitcnt vmcnt(18) lgkmcnt(1)
	v_fma_f64 v[105:106], v[113:114], v[105:106], 0
	s_waitcnt vmcnt(16)
	v_fma_f64 v[105:106], v[115:116], v[107:108], v[105:106]
	s_waitcnt vmcnt(14) lgkmcnt(0)
	v_fma_f64 v[105:106], v[117:118], v[109:110], v[105:106]
	s_waitcnt vmcnt(12)
	v_fma_f64 v[113:114], v[119:120], v[111:112], v[105:106]
	ds_read_b128 v[105:108], v104 offset:784
	ds_read_b128 v[109:112], v104 offset:800
	s_waitcnt vmcnt(10) lgkmcnt(1)
	v_fma_f64 v[105:106], v[121:122], v[105:106], v[113:114]
	s_waitcnt vmcnt(8)
	v_fma_f64 v[105:106], v[123:124], v[107:108], v[105:106]
	ds_read_b64 v[107:108], v104 offset:816
	s_waitcnt vmcnt(6) lgkmcnt(1)
	v_fma_f64 v[105:106], v[125:126], v[109:110], v[105:106]
	s_waitcnt vmcnt(3)
	v_fma_f64 v[105:106], v[127:128], v[111:112], v[105:106]
	s_waitcnt vmcnt(2) lgkmcnt(0)
	v_fma_f64 v[105:106], v[129:130], v[107:108], v[105:106]
	s_waitcnt vmcnt(0)
	v_add_f64 v[105:106], v[131:132], -v[105:106]
	buffer_store_dword v105, off, s[0:3], 0 offset:328
	buffer_store_dword v106, off, s[0:3], 0 offset:332
	v_cmpx_lt_u32_e32 40, v0
	s_cbranch_execz .LBB50_235
; %bb.234:
	s_clause 0x1
	buffer_load_dword v105, off, s[0:3], 0 offset:320
	buffer_load_dword v106, off, s[0:3], 0 offset:324
	buffer_store_dword v104, off, s[0:3], 0 offset:320
	buffer_store_dword v104, off, s[0:3], 0 offset:324
	s_waitcnt vmcnt(0)
	ds_write_b64 v103, v[105:106]
.LBB50_235:
	s_or_b32 exec_lo, exec_lo, s4
	s_waitcnt lgkmcnt(0)
	s_waitcnt_vscnt null, 0x0
	s_barrier
	buffer_gl0_inv
	s_clause 0x15
	buffer_load_dword v113, off, s[0:3], 0 offset:328
	buffer_load_dword v114, off, s[0:3], 0 offset:332
	;; [unrolled: 1-line block ×22, first 2 shown]
	ds_read2_b64 v[105:108], v104 offset0:93 offset1:94
	ds_read2_b64 v[109:112], v104 offset0:95 offset1:96
	s_mov_b32 s4, exec_lo
	s_waitcnt vmcnt(20) lgkmcnt(1)
	v_fma_f64 v[105:106], v[113:114], v[105:106], 0
	s_waitcnt vmcnt(18)
	v_fma_f64 v[105:106], v[115:116], v[107:108], v[105:106]
	s_waitcnt vmcnt(16) lgkmcnt(0)
	v_fma_f64 v[105:106], v[117:118], v[109:110], v[105:106]
	s_waitcnt vmcnt(14)
	v_fma_f64 v[113:114], v[119:120], v[111:112], v[105:106]
	ds_read2_b64 v[105:108], v104 offset0:97 offset1:98
	ds_read2_b64 v[109:112], v104 offset0:99 offset1:100
	s_waitcnt vmcnt(12) lgkmcnt(1)
	v_fma_f64 v[105:106], v[121:122], v[105:106], v[113:114]
	s_waitcnt vmcnt(10)
	v_fma_f64 v[105:106], v[123:124], v[107:108], v[105:106]
	s_waitcnt vmcnt(8) lgkmcnt(0)
	v_fma_f64 v[105:106], v[125:126], v[109:110], v[105:106]
	s_waitcnt vmcnt(4)
	v_fma_f64 v[108:109], v[127:128], v[111:112], v[105:106]
	ds_read2_b64 v[104:107], v104 offset0:101 offset1:102
	s_waitcnt vmcnt(3) lgkmcnt(0)
	v_fma_f64 v[104:105], v[131:132], v[104:105], v[108:109]
	s_waitcnt vmcnt(2)
	v_fma_f64 v[104:105], v[129:130], v[106:107], v[104:105]
	s_waitcnt vmcnt(0)
	v_add_f64 v[104:105], v[133:134], -v[104:105]
	buffer_store_dword v104, off, s[0:3], 0 offset:320
	buffer_store_dword v105, off, s[0:3], 0 offset:324
	v_cmpx_lt_u32_e32 39, v0
	s_cbranch_execz .LBB50_237
; %bb.236:
	s_clause 0x1
	buffer_load_dword v104, off, s[0:3], 0 offset:312
	buffer_load_dword v105, off, s[0:3], 0 offset:316
	v_mov_b32_e32 v106, 0
	buffer_store_dword v106, off, s[0:3], 0 offset:312
	buffer_store_dword v106, off, s[0:3], 0 offset:316
	s_waitcnt vmcnt(0)
	ds_write_b64 v103, v[104:105]
.LBB50_237:
	s_or_b32 exec_lo, exec_lo, s4
	s_waitcnt lgkmcnt(0)
	s_waitcnt_vscnt null, 0x0
	s_barrier
	buffer_gl0_inv
	s_clause 0x17
	buffer_load_dword v113, off, s[0:3], 0 offset:320
	buffer_load_dword v114, off, s[0:3], 0 offset:324
	;; [unrolled: 1-line block ×24, first 2 shown]
	v_mov_b32_e32 v104, 0
	ds_read_b128 v[105:108], v104 offset:736
	ds_read_b128 v[109:112], v104 offset:752
	s_mov_b32 s4, exec_lo
	s_waitcnt vmcnt(22) lgkmcnt(1)
	v_fma_f64 v[105:106], v[113:114], v[105:106], 0
	s_waitcnt vmcnt(20)
	v_fma_f64 v[105:106], v[115:116], v[107:108], v[105:106]
	s_waitcnt vmcnt(18) lgkmcnt(0)
	v_fma_f64 v[105:106], v[117:118], v[109:110], v[105:106]
	s_waitcnt vmcnt(16)
	v_fma_f64 v[113:114], v[119:120], v[111:112], v[105:106]
	ds_read_b128 v[105:108], v104 offset:768
	ds_read_b128 v[109:112], v104 offset:784
	s_waitcnt vmcnt(14) lgkmcnt(1)
	v_fma_f64 v[105:106], v[121:122], v[105:106], v[113:114]
	s_waitcnt vmcnt(12)
	v_fma_f64 v[105:106], v[123:124], v[107:108], v[105:106]
	s_waitcnt vmcnt(10) lgkmcnt(0)
	v_fma_f64 v[105:106], v[125:126], v[109:110], v[105:106]
	s_waitcnt vmcnt(5)
	v_fma_f64 v[109:110], v[127:128], v[111:112], v[105:106]
	ds_read_b128 v[105:108], v104 offset:800
	ds_read_b64 v[111:112], v104 offset:816
	s_waitcnt vmcnt(4) lgkmcnt(1)
	v_fma_f64 v[105:106], v[133:134], v[105:106], v[109:110]
	s_waitcnt vmcnt(3)
	v_fma_f64 v[105:106], v[131:132], v[107:108], v[105:106]
	s_waitcnt vmcnt(2) lgkmcnt(0)
	v_fma_f64 v[105:106], v[129:130], v[111:112], v[105:106]
	s_waitcnt vmcnt(0)
	v_add_f64 v[105:106], v[135:136], -v[105:106]
	buffer_store_dword v106, off, s[0:3], 0 offset:316
	buffer_store_dword v105, off, s[0:3], 0 offset:312
	v_cmpx_lt_u32_e32 38, v0
	s_cbranch_execz .LBB50_239
; %bb.238:
	s_clause 0x1
	buffer_load_dword v105, off, s[0:3], 0 offset:304
	buffer_load_dword v106, off, s[0:3], 0 offset:308
	buffer_store_dword v104, off, s[0:3], 0 offset:304
	buffer_store_dword v104, off, s[0:3], 0 offset:308
	s_waitcnt vmcnt(0)
	ds_write_b64 v103, v[105:106]
.LBB50_239:
	s_or_b32 exec_lo, exec_lo, s4
	s_waitcnt lgkmcnt(0)
	s_waitcnt_vscnt null, 0x0
	s_barrier
	buffer_gl0_inv
	s_clause 0x19
	buffer_load_dword v113, off, s[0:3], 0 offset:312
	buffer_load_dword v114, off, s[0:3], 0 offset:316
	;; [unrolled: 1-line block ×26, first 2 shown]
	ds_read2_b64 v[105:108], v104 offset0:91 offset1:92
	ds_read2_b64 v[109:112], v104 offset0:93 offset1:94
	s_mov_b32 s4, exec_lo
	s_waitcnt vmcnt(24) lgkmcnt(1)
	v_fma_f64 v[105:106], v[113:114], v[105:106], 0
	s_waitcnt vmcnt(22)
	v_fma_f64 v[105:106], v[115:116], v[107:108], v[105:106]
	s_waitcnt vmcnt(20) lgkmcnt(0)
	v_fma_f64 v[105:106], v[117:118], v[109:110], v[105:106]
	s_waitcnt vmcnt(18)
	v_fma_f64 v[113:114], v[119:120], v[111:112], v[105:106]
	ds_read2_b64 v[105:108], v104 offset0:95 offset1:96
	ds_read2_b64 v[109:112], v104 offset0:97 offset1:98
	s_waitcnt vmcnt(16) lgkmcnt(1)
	v_fma_f64 v[105:106], v[121:122], v[105:106], v[113:114]
	s_waitcnt vmcnt(14)
	v_fma_f64 v[105:106], v[123:124], v[107:108], v[105:106]
	s_waitcnt vmcnt(12) lgkmcnt(0)
	v_fma_f64 v[105:106], v[125:126], v[109:110], v[105:106]
	s_waitcnt vmcnt(7)
	v_fma_f64 v[113:114], v[127:128], v[111:112], v[105:106]
	ds_read2_b64 v[105:108], v104 offset0:99 offset1:100
	ds_read2_b64 v[109:112], v104 offset0:101 offset1:102
	s_waitcnt vmcnt(6) lgkmcnt(1)
	v_fma_f64 v[104:105], v[133:134], v[105:106], v[113:114]
	s_waitcnt vmcnt(5)
	v_fma_f64 v[104:105], v[131:132], v[107:108], v[104:105]
	s_waitcnt vmcnt(4) lgkmcnt(0)
	v_fma_f64 v[104:105], v[129:130], v[109:110], v[104:105]
	s_waitcnt vmcnt(2)
	v_fma_f64 v[104:105], v[135:136], v[111:112], v[104:105]
	s_waitcnt vmcnt(0)
	v_add_f64 v[104:105], v[137:138], -v[104:105]
	buffer_store_dword v105, off, s[0:3], 0 offset:308
	buffer_store_dword v104, off, s[0:3], 0 offset:304
	v_cmpx_lt_u32_e32 37, v0
	s_cbranch_execz .LBB50_241
; %bb.240:
	s_clause 0x1
	buffer_load_dword v104, off, s[0:3], 0 offset:296
	buffer_load_dword v105, off, s[0:3], 0 offset:300
	v_mov_b32_e32 v106, 0
	buffer_store_dword v106, off, s[0:3], 0 offset:296
	buffer_store_dword v106, off, s[0:3], 0 offset:300
	s_waitcnt vmcnt(0)
	ds_write_b64 v103, v[104:105]
.LBB50_241:
	s_or_b32 exec_lo, exec_lo, s4
	s_waitcnt lgkmcnt(0)
	s_waitcnt_vscnt null, 0x0
	s_barrier
	buffer_gl0_inv
	s_clause 0x1b
	buffer_load_dword v113, off, s[0:3], 0 offset:304
	buffer_load_dword v114, off, s[0:3], 0 offset:308
	;; [unrolled: 1-line block ×28, first 2 shown]
	v_mov_b32_e32 v104, 0
	ds_read_b128 v[105:108], v104 offset:720
	ds_read_b128 v[109:112], v104 offset:736
	s_mov_b32 s4, exec_lo
	s_waitcnt vmcnt(26) lgkmcnt(1)
	v_fma_f64 v[105:106], v[113:114], v[105:106], 0
	s_waitcnt vmcnt(24)
	v_fma_f64 v[105:106], v[115:116], v[107:108], v[105:106]
	s_waitcnt vmcnt(22) lgkmcnt(0)
	v_fma_f64 v[105:106], v[117:118], v[109:110], v[105:106]
	s_waitcnt vmcnt(20)
	v_fma_f64 v[113:114], v[119:120], v[111:112], v[105:106]
	ds_read_b128 v[105:108], v104 offset:752
	ds_read_b128 v[109:112], v104 offset:768
	s_waitcnt vmcnt(18) lgkmcnt(1)
	v_fma_f64 v[105:106], v[121:122], v[105:106], v[113:114]
	s_waitcnt vmcnt(16)
	v_fma_f64 v[105:106], v[123:124], v[107:108], v[105:106]
	s_waitcnt vmcnt(14) lgkmcnt(0)
	v_fma_f64 v[105:106], v[125:126], v[109:110], v[105:106]
	s_waitcnt vmcnt(9)
	v_fma_f64 v[113:114], v[127:128], v[111:112], v[105:106]
	ds_read_b128 v[105:108], v104 offset:784
	ds_read_b128 v[109:112], v104 offset:800
	s_waitcnt vmcnt(8) lgkmcnt(1)
	v_fma_f64 v[105:106], v[133:134], v[105:106], v[113:114]
	s_waitcnt vmcnt(7)
	v_fma_f64 v[105:106], v[131:132], v[107:108], v[105:106]
	ds_read_b64 v[107:108], v104 offset:816
	s_waitcnt vmcnt(6) lgkmcnt(1)
	v_fma_f64 v[105:106], v[129:130], v[109:110], v[105:106]
	s_waitcnt vmcnt(3)
	v_fma_f64 v[105:106], v[135:136], v[111:112], v[105:106]
	s_waitcnt vmcnt(2) lgkmcnt(0)
	v_fma_f64 v[105:106], v[137:138], v[107:108], v[105:106]
	s_waitcnt vmcnt(0)
	v_add_f64 v[105:106], v[139:140], -v[105:106]
	buffer_store_dword v106, off, s[0:3], 0 offset:300
	buffer_store_dword v105, off, s[0:3], 0 offset:296
	v_cmpx_lt_u32_e32 36, v0
	s_cbranch_execz .LBB50_243
; %bb.242:
	s_clause 0x1
	buffer_load_dword v105, off, s[0:3], 0 offset:288
	buffer_load_dword v106, off, s[0:3], 0 offset:292
	buffer_store_dword v104, off, s[0:3], 0 offset:288
	buffer_store_dword v104, off, s[0:3], 0 offset:292
	s_waitcnt vmcnt(0)
	ds_write_b64 v103, v[105:106]
.LBB50_243:
	s_or_b32 exec_lo, exec_lo, s4
	s_waitcnt lgkmcnt(0)
	s_waitcnt_vscnt null, 0x0
	s_barrier
	buffer_gl0_inv
	s_clause 0x1b
	buffer_load_dword v109, off, s[0:3], 0 offset:296
	buffer_load_dword v110, off, s[0:3], 0 offset:300
	;; [unrolled: 1-line block ×28, first 2 shown]
	ds_read2_b64 v[105:108], v104 offset0:89 offset1:90
	s_clause 0x1
	buffer_load_dword v137, off, s[0:3], 0 offset:288
	buffer_load_dword v138, off, s[0:3], 0 offset:292
	s_mov_b32 s4, exec_lo
	s_waitcnt vmcnt(28) lgkmcnt(0)
	v_fma_f64 v[105:106], v[109:110], v[105:106], 0
	s_waitcnt vmcnt(26)
	v_fma_f64 v[109:110], v[111:112], v[107:108], v[105:106]
	ds_read2_b64 v[105:108], v104 offset0:91 offset1:92
	s_waitcnt vmcnt(24) lgkmcnt(0)
	v_fma_f64 v[105:106], v[113:114], v[105:106], v[109:110]
	s_waitcnt vmcnt(22)
	v_fma_f64 v[109:110], v[115:116], v[107:108], v[105:106]
	ds_read2_b64 v[105:108], v104 offset0:93 offset1:94
	;; [unrolled: 5-line block ×6, first 2 shown]
	s_waitcnt vmcnt(4) lgkmcnt(0)
	v_fma_f64 v[104:105], v[133:134], v[104:105], v[108:109]
	s_waitcnt vmcnt(2)
	v_fma_f64 v[104:105], v[135:136], v[106:107], v[104:105]
	s_waitcnt vmcnt(0)
	v_add_f64 v[104:105], v[137:138], -v[104:105]
	buffer_store_dword v105, off, s[0:3], 0 offset:292
	buffer_store_dword v104, off, s[0:3], 0 offset:288
	v_cmpx_lt_u32_e32 35, v0
	s_cbranch_execz .LBB50_245
; %bb.244:
	s_clause 0x1
	buffer_load_dword v104, off, s[0:3], 0 offset:280
	buffer_load_dword v105, off, s[0:3], 0 offset:284
	v_mov_b32_e32 v106, 0
	buffer_store_dword v106, off, s[0:3], 0 offset:280
	buffer_store_dword v106, off, s[0:3], 0 offset:284
	s_waitcnt vmcnt(0)
	ds_write_b64 v103, v[104:105]
.LBB50_245:
	s_or_b32 exec_lo, exec_lo, s4
	s_waitcnt lgkmcnt(0)
	s_waitcnt_vscnt null, 0x0
	s_barrier
	buffer_gl0_inv
	s_clause 0x1b
	buffer_load_dword v109, off, s[0:3], 0 offset:288
	buffer_load_dword v110, off, s[0:3], 0 offset:292
	;; [unrolled: 1-line block ×28, first 2 shown]
	v_mov_b32_e32 v104, 0
	s_mov_b32 s4, exec_lo
	ds_read_b128 v[105:108], v104 offset:704
	s_clause 0x1
	buffer_load_dword v137, off, s[0:3], 0 offset:400
	buffer_load_dword v138, off, s[0:3], 0 offset:404
	s_waitcnt vmcnt(28) lgkmcnt(0)
	v_fma_f64 v[105:106], v[109:110], v[105:106], 0
	s_clause 0x1
	buffer_load_dword v109, off, s[0:3], 0 offset:280
	buffer_load_dword v110, off, s[0:3], 0 offset:284
	s_waitcnt vmcnt(28)
	v_fma_f64 v[111:112], v[111:112], v[107:108], v[105:106]
	ds_read_b128 v[105:108], v104 offset:720
	s_waitcnt vmcnt(26) lgkmcnt(0)
	v_fma_f64 v[105:106], v[113:114], v[105:106], v[111:112]
	s_waitcnt vmcnt(24)
	v_fma_f64 v[111:112], v[115:116], v[107:108], v[105:106]
	ds_read_b128 v[105:108], v104 offset:736
	s_waitcnt vmcnt(22) lgkmcnt(0)
	v_fma_f64 v[105:106], v[117:118], v[105:106], v[111:112]
	;; [unrolled: 5-line block ×6, first 2 shown]
	s_waitcnt vmcnt(4)
	v_fma_f64 v[105:106], v[135:136], v[107:108], v[105:106]
	ds_read_b64 v[107:108], v104 offset:816
	s_waitcnt vmcnt(2) lgkmcnt(0)
	v_fma_f64 v[105:106], v[137:138], v[107:108], v[105:106]
	s_waitcnt vmcnt(0)
	v_add_f64 v[105:106], v[109:110], -v[105:106]
	buffer_store_dword v106, off, s[0:3], 0 offset:284
	buffer_store_dword v105, off, s[0:3], 0 offset:280
	v_cmpx_lt_u32_e32 34, v0
	s_cbranch_execz .LBB50_247
; %bb.246:
	s_clause 0x1
	buffer_load_dword v105, off, s[0:3], 0 offset:272
	buffer_load_dword v106, off, s[0:3], 0 offset:276
	buffer_store_dword v104, off, s[0:3], 0 offset:272
	buffer_store_dword v104, off, s[0:3], 0 offset:276
	s_waitcnt vmcnt(0)
	ds_write_b64 v103, v[105:106]
.LBB50_247:
	s_or_b32 exec_lo, exec_lo, s4
	s_waitcnt lgkmcnt(0)
	s_waitcnt_vscnt null, 0x0
	s_barrier
	buffer_gl0_inv
	s_clause 0x1b
	buffer_load_dword v109, off, s[0:3], 0 offset:280
	buffer_load_dword v110, off, s[0:3], 0 offset:284
	;; [unrolled: 1-line block ×28, first 2 shown]
	ds_read2_b64 v[105:108], v104 offset0:87 offset1:88
	s_clause 0x1
	buffer_load_dword v137, off, s[0:3], 0 offset:392
	buffer_load_dword v138, off, s[0:3], 0 offset:396
	s_mov_b32 s4, exec_lo
	s_waitcnt vmcnt(28) lgkmcnt(0)
	v_fma_f64 v[105:106], v[109:110], v[105:106], 0
	s_clause 0x1
	buffer_load_dword v110, off, s[0:3], 0 offset:404
	buffer_load_dword v109, off, s[0:3], 0 offset:400
	s_waitcnt vmcnt(28)
	v_fma_f64 v[111:112], v[111:112], v[107:108], v[105:106]
	ds_read2_b64 v[105:108], v104 offset0:89 offset1:90
	s_clause 0x1
	buffer_load_dword v139, off, s[0:3], 0 offset:272
	buffer_load_dword v140, off, s[0:3], 0 offset:276
	s_waitcnt vmcnt(28) lgkmcnt(0)
	v_fma_f64 v[105:106], v[113:114], v[105:106], v[111:112]
	s_waitcnt vmcnt(26)
	v_fma_f64 v[111:112], v[115:116], v[107:108], v[105:106]
	ds_read2_b64 v[105:108], v104 offset0:91 offset1:92
	s_waitcnt vmcnt(24) lgkmcnt(0)
	v_fma_f64 v[105:106], v[117:118], v[105:106], v[111:112]
	s_waitcnt vmcnt(22)
	v_fma_f64 v[111:112], v[119:120], v[107:108], v[105:106]
	ds_read2_b64 v[105:108], v104 offset0:93 offset1:94
	;; [unrolled: 5-line block ×6, first 2 shown]
	s_waitcnt vmcnt(4) lgkmcnt(0)
	v_fma_f64 v[104:105], v[137:138], v[104:105], v[111:112]
	s_waitcnt vmcnt(2)
	v_fma_f64 v[104:105], v[109:110], v[106:107], v[104:105]
	s_waitcnt vmcnt(0)
	v_add_f64 v[104:105], v[139:140], -v[104:105]
	buffer_store_dword v105, off, s[0:3], 0 offset:276
	buffer_store_dword v104, off, s[0:3], 0 offset:272
	v_cmpx_lt_u32_e32 33, v0
	s_cbranch_execz .LBB50_249
; %bb.248:
	s_clause 0x1
	buffer_load_dword v104, off, s[0:3], 0 offset:264
	buffer_load_dword v105, off, s[0:3], 0 offset:268
	v_mov_b32_e32 v106, 0
	buffer_store_dword v106, off, s[0:3], 0 offset:264
	buffer_store_dword v106, off, s[0:3], 0 offset:268
	s_waitcnt vmcnt(0)
	ds_write_b64 v103, v[104:105]
.LBB50_249:
	s_or_b32 exec_lo, exec_lo, s4
	s_waitcnt lgkmcnt(0)
	s_waitcnt_vscnt null, 0x0
	s_barrier
	buffer_gl0_inv
	s_clause 0x1b
	buffer_load_dword v109, off, s[0:3], 0 offset:272
	buffer_load_dword v110, off, s[0:3], 0 offset:276
	;; [unrolled: 1-line block ×28, first 2 shown]
	v_mov_b32_e32 v104, 0
	s_mov_b32 s4, exec_lo
	ds_read_b128 v[105:108], v104 offset:688
	s_clause 0x1
	buffer_load_dword v137, off, s[0:3], 0 offset:384
	buffer_load_dword v138, off, s[0:3], 0 offset:388
	s_waitcnt vmcnt(28) lgkmcnt(0)
	v_fma_f64 v[105:106], v[109:110], v[105:106], 0
	s_clause 0x1
	buffer_load_dword v110, off, s[0:3], 0 offset:396
	buffer_load_dword v109, off, s[0:3], 0 offset:392
	s_waitcnt vmcnt(28)
	v_fma_f64 v[111:112], v[111:112], v[107:108], v[105:106]
	ds_read_b128 v[105:108], v104 offset:704
	s_clause 0x1
	buffer_load_dword v139, off, s[0:3], 0 offset:400
	buffer_load_dword v140, off, s[0:3], 0 offset:404
	s_waitcnt vmcnt(28) lgkmcnt(0)
	v_fma_f64 v[105:106], v[113:114], v[105:106], v[111:112]
	s_clause 0x1
	buffer_load_dword v111, off, s[0:3], 0 offset:264
	buffer_load_dword v112, off, s[0:3], 0 offset:268
	s_waitcnt vmcnt(28)
	v_fma_f64 v[113:114], v[115:116], v[107:108], v[105:106]
	ds_read_b128 v[105:108], v104 offset:720
	s_waitcnt vmcnt(26) lgkmcnt(0)
	v_fma_f64 v[105:106], v[117:118], v[105:106], v[113:114]
	s_waitcnt vmcnt(24)
	v_fma_f64 v[113:114], v[119:120], v[107:108], v[105:106]
	ds_read_b128 v[105:108], v104 offset:736
	s_waitcnt vmcnt(22) lgkmcnt(0)
	v_fma_f64 v[105:106], v[121:122], v[105:106], v[113:114]
	;; [unrolled: 5-line block ×6, first 2 shown]
	s_waitcnt vmcnt(4)
	v_fma_f64 v[105:106], v[109:110], v[107:108], v[105:106]
	ds_read_b64 v[107:108], v104 offset:816
	s_waitcnt vmcnt(2) lgkmcnt(0)
	v_fma_f64 v[105:106], v[139:140], v[107:108], v[105:106]
	s_waitcnt vmcnt(0)
	v_add_f64 v[105:106], v[111:112], -v[105:106]
	buffer_store_dword v106, off, s[0:3], 0 offset:268
	buffer_store_dword v105, off, s[0:3], 0 offset:264
	v_cmpx_lt_u32_e32 32, v0
	s_cbranch_execz .LBB50_251
; %bb.250:
	s_clause 0x1
	buffer_load_dword v105, off, s[0:3], 0 offset:256
	buffer_load_dword v106, off, s[0:3], 0 offset:260
	buffer_store_dword v104, off, s[0:3], 0 offset:256
	buffer_store_dword v104, off, s[0:3], 0 offset:260
	s_waitcnt vmcnt(0)
	ds_write_b64 v103, v[105:106]
.LBB50_251:
	s_or_b32 exec_lo, exec_lo, s4
	s_waitcnt lgkmcnt(0)
	s_waitcnt_vscnt null, 0x0
	s_barrier
	buffer_gl0_inv
	s_clause 0x1b
	buffer_load_dword v109, off, s[0:3], 0 offset:264
	buffer_load_dword v110, off, s[0:3], 0 offset:268
	;; [unrolled: 1-line block ×28, first 2 shown]
	ds_read2_b64 v[105:108], v104 offset0:85 offset1:86
	s_clause 0x1
	buffer_load_dword v137, off, s[0:3], 0 offset:376
	buffer_load_dword v138, off, s[0:3], 0 offset:380
	s_mov_b32 s4, exec_lo
	s_waitcnt vmcnt(28) lgkmcnt(0)
	v_fma_f64 v[105:106], v[109:110], v[105:106], 0
	s_clause 0x1
	buffer_load_dword v110, off, s[0:3], 0 offset:388
	buffer_load_dword v109, off, s[0:3], 0 offset:384
	s_waitcnt vmcnt(28)
	v_fma_f64 v[111:112], v[111:112], v[107:108], v[105:106]
	ds_read2_b64 v[105:108], v104 offset0:87 offset1:88
	s_clause 0x1
	buffer_load_dword v139, off, s[0:3], 0 offset:392
	buffer_load_dword v140, off, s[0:3], 0 offset:396
	s_waitcnt vmcnt(28) lgkmcnt(0)
	v_fma_f64 v[105:106], v[113:114], v[105:106], v[111:112]
	s_clause 0x1
	buffer_load_dword v111, off, s[0:3], 0 offset:400
	buffer_load_dword v112, off, s[0:3], 0 offset:404
	s_waitcnt vmcnt(28)
	v_fma_f64 v[113:114], v[115:116], v[107:108], v[105:106]
	ds_read2_b64 v[105:108], v104 offset0:89 offset1:90
	s_clause 0x1
	buffer_load_dword v115, off, s[0:3], 0 offset:256
	buffer_load_dword v116, off, s[0:3], 0 offset:260
	s_waitcnt vmcnt(28) lgkmcnt(0)
	v_fma_f64 v[105:106], v[117:118], v[105:106], v[113:114]
	s_waitcnt vmcnt(26)
	v_fma_f64 v[113:114], v[119:120], v[107:108], v[105:106]
	ds_read2_b64 v[105:108], v104 offset0:91 offset1:92
	s_waitcnt vmcnt(24) lgkmcnt(0)
	v_fma_f64 v[105:106], v[121:122], v[105:106], v[113:114]
	s_waitcnt vmcnt(22)
	v_fma_f64 v[113:114], v[123:124], v[107:108], v[105:106]
	ds_read2_b64 v[105:108], v104 offset0:93 offset1:94
	;; [unrolled: 5-line block ×6, first 2 shown]
	s_waitcnt vmcnt(4) lgkmcnt(0)
	v_fma_f64 v[104:105], v[139:140], v[104:105], v[108:109]
	s_waitcnt vmcnt(2)
	v_fma_f64 v[104:105], v[111:112], v[106:107], v[104:105]
	s_waitcnt vmcnt(0)
	v_add_f64 v[104:105], v[115:116], -v[104:105]
	buffer_store_dword v105, off, s[0:3], 0 offset:260
	buffer_store_dword v104, off, s[0:3], 0 offset:256
	v_cmpx_lt_u32_e32 31, v0
	s_cbranch_execz .LBB50_253
; %bb.252:
	s_clause 0x1
	buffer_load_dword v104, off, s[0:3], 0 offset:248
	buffer_load_dword v105, off, s[0:3], 0 offset:252
	v_mov_b32_e32 v106, 0
	buffer_store_dword v106, off, s[0:3], 0 offset:248
	buffer_store_dword v106, off, s[0:3], 0 offset:252
	s_waitcnt vmcnt(0)
	ds_write_b64 v103, v[104:105]
.LBB50_253:
	s_or_b32 exec_lo, exec_lo, s4
	s_waitcnt lgkmcnt(0)
	s_waitcnt_vscnt null, 0x0
	s_barrier
	buffer_gl0_inv
	s_clause 0x1b
	buffer_load_dword v109, off, s[0:3], 0 offset:256
	buffer_load_dword v110, off, s[0:3], 0 offset:260
	buffer_load_dword v111, off, s[0:3], 0 offset:264
	buffer_load_dword v112, off, s[0:3], 0 offset:268
	buffer_load_dword v113, off, s[0:3], 0 offset:272
	buffer_load_dword v114, off, s[0:3], 0 offset:276
	buffer_load_dword v115, off, s[0:3], 0 offset:280
	buffer_load_dword v116, off, s[0:3], 0 offset:284
	buffer_load_dword v117, off, s[0:3], 0 offset:288
	buffer_load_dword v118, off, s[0:3], 0 offset:292
	buffer_load_dword v119, off, s[0:3], 0 offset:296
	buffer_load_dword v120, off, s[0:3], 0 offset:300
	buffer_load_dword v121, off, s[0:3], 0 offset:304
	buffer_load_dword v122, off, s[0:3], 0 offset:308
	buffer_load_dword v124, off, s[0:3], 0 offset:316
	buffer_load_dword v123, off, s[0:3], 0 offset:312
	buffer_load_dword v125, off, s[0:3], 0 offset:320
	buffer_load_dword v126, off, s[0:3], 0 offset:324
	buffer_load_dword v127, off, s[0:3], 0 offset:328
	buffer_load_dword v128, off, s[0:3], 0 offset:332
	buffer_load_dword v129, off, s[0:3], 0 offset:336
	buffer_load_dword v130, off, s[0:3], 0 offset:340
	buffer_load_dword v132, off, s[0:3], 0 offset:348
	buffer_load_dword v131, off, s[0:3], 0 offset:344
	buffer_load_dword v133, off, s[0:3], 0 offset:352
	buffer_load_dword v134, off, s[0:3], 0 offset:356
	buffer_load_dword v135, off, s[0:3], 0 offset:360
	buffer_load_dword v136, off, s[0:3], 0 offset:364
	v_mov_b32_e32 v104, 0
	s_mov_b32 s4, exec_lo
	ds_read_b128 v[105:108], v104 offset:672
	s_clause 0x1
	buffer_load_dword v137, off, s[0:3], 0 offset:368
	buffer_load_dword v138, off, s[0:3], 0 offset:372
	s_waitcnt vmcnt(28) lgkmcnt(0)
	v_fma_f64 v[105:106], v[109:110], v[105:106], 0
	s_clause 0x1
	buffer_load_dword v110, off, s[0:3], 0 offset:380
	buffer_load_dword v109, off, s[0:3], 0 offset:376
	s_waitcnt vmcnt(28)
	v_fma_f64 v[111:112], v[111:112], v[107:108], v[105:106]
	ds_read_b128 v[105:108], v104 offset:688
	s_clause 0x1
	buffer_load_dword v139, off, s[0:3], 0 offset:384
	buffer_load_dword v140, off, s[0:3], 0 offset:388
	s_waitcnt vmcnt(28) lgkmcnt(0)
	v_fma_f64 v[105:106], v[113:114], v[105:106], v[111:112]
	s_clause 0x1
	buffer_load_dword v111, off, s[0:3], 0 offset:392
	buffer_load_dword v112, off, s[0:3], 0 offset:396
	s_waitcnt vmcnt(28)
	v_fma_f64 v[113:114], v[115:116], v[107:108], v[105:106]
	ds_read_b128 v[105:108], v104 offset:704
	s_clause 0x1
	buffer_load_dword v115, off, s[0:3], 0 offset:400
	buffer_load_dword v116, off, s[0:3], 0 offset:404
	s_waitcnt vmcnt(28) lgkmcnt(0)
	v_fma_f64 v[105:106], v[117:118], v[105:106], v[113:114]
	s_clause 0x1
	buffer_load_dword v113, off, s[0:3], 0 offset:248
	buffer_load_dword v114, off, s[0:3], 0 offset:252
	s_waitcnt vmcnt(28)
	v_fma_f64 v[117:118], v[119:120], v[107:108], v[105:106]
	ds_read_b128 v[105:108], v104 offset:720
	s_waitcnt vmcnt(26) lgkmcnt(0)
	v_fma_f64 v[105:106], v[121:122], v[105:106], v[117:118]
	s_waitcnt vmcnt(24)
	v_fma_f64 v[117:118], v[123:124], v[107:108], v[105:106]
	ds_read_b128 v[105:108], v104 offset:736
	s_waitcnt vmcnt(22) lgkmcnt(0)
	v_fma_f64 v[105:106], v[125:126], v[105:106], v[117:118]
	s_waitcnt vmcnt(20)
	v_fma_f64 v[117:118], v[127:128], v[107:108], v[105:106]
	;; [unrolled: 5-line block ×6, first 2 shown]
	ds_read_b64 v[107:108], v104 offset:816
	s_waitcnt vmcnt(2) lgkmcnt(0)
	v_fma_f64 v[105:106], v[115:116], v[107:108], v[105:106]
	s_waitcnt vmcnt(0)
	v_add_f64 v[105:106], v[113:114], -v[105:106]
	buffer_store_dword v106, off, s[0:3], 0 offset:252
	buffer_store_dword v105, off, s[0:3], 0 offset:248
	v_cmpx_lt_u32_e32 30, v0
	s_cbranch_execz .LBB50_255
; %bb.254:
	s_clause 0x1
	buffer_load_dword v105, off, s[0:3], 0 offset:240
	buffer_load_dword v106, off, s[0:3], 0 offset:244
	buffer_store_dword v104, off, s[0:3], 0 offset:240
	buffer_store_dword v104, off, s[0:3], 0 offset:244
	s_waitcnt vmcnt(0)
	ds_write_b64 v103, v[105:106]
.LBB50_255:
	s_or_b32 exec_lo, exec_lo, s4
	s_waitcnt lgkmcnt(0)
	s_waitcnt_vscnt null, 0x0
	s_barrier
	buffer_gl0_inv
	s_clause 0x1b
	buffer_load_dword v109, off, s[0:3], 0 offset:248
	buffer_load_dword v110, off, s[0:3], 0 offset:252
	;; [unrolled: 1-line block ×28, first 2 shown]
	ds_read2_b64 v[105:108], v104 offset0:83 offset1:84
	s_clause 0x1
	buffer_load_dword v137, off, s[0:3], 0 offset:360
	buffer_load_dword v138, off, s[0:3], 0 offset:364
	s_mov_b32 s4, exec_lo
	s_waitcnt vmcnt(28) lgkmcnt(0)
	v_fma_f64 v[105:106], v[109:110], v[105:106], 0
	s_clause 0x1
	buffer_load_dword v110, off, s[0:3], 0 offset:372
	buffer_load_dword v109, off, s[0:3], 0 offset:368
	s_waitcnt vmcnt(28)
	v_fma_f64 v[111:112], v[111:112], v[107:108], v[105:106]
	ds_read2_b64 v[105:108], v104 offset0:85 offset1:86
	s_clause 0x1
	buffer_load_dword v139, off, s[0:3], 0 offset:376
	buffer_load_dword v140, off, s[0:3], 0 offset:380
	s_waitcnt vmcnt(28) lgkmcnt(0)
	v_fma_f64 v[105:106], v[113:114], v[105:106], v[111:112]
	s_clause 0x1
	buffer_load_dword v111, off, s[0:3], 0 offset:384
	buffer_load_dword v112, off, s[0:3], 0 offset:388
	s_waitcnt vmcnt(28)
	v_fma_f64 v[113:114], v[115:116], v[107:108], v[105:106]
	ds_read2_b64 v[105:108], v104 offset0:87 offset1:88
	s_clause 0x1
	buffer_load_dword v115, off, s[0:3], 0 offset:392
	buffer_load_dword v116, off, s[0:3], 0 offset:396
	;; [unrolled: 11-line block ×3, first 2 shown]
	s_waitcnt vmcnt(28) lgkmcnt(0)
	v_fma_f64 v[105:106], v[121:122], v[105:106], v[117:118]
	s_waitcnt vmcnt(26)
	v_fma_f64 v[117:118], v[123:124], v[107:108], v[105:106]
	ds_read2_b64 v[105:108], v104 offset0:91 offset1:92
	s_waitcnt vmcnt(24) lgkmcnt(0)
	v_fma_f64 v[105:106], v[125:126], v[105:106], v[117:118]
	s_waitcnt vmcnt(22)
	v_fma_f64 v[117:118], v[127:128], v[107:108], v[105:106]
	ds_read2_b64 v[105:108], v104 offset0:93 offset1:94
	;; [unrolled: 5-line block ×6, first 2 shown]
	s_waitcnt vmcnt(4) lgkmcnt(0)
	v_fma_f64 v[104:105], v[115:116], v[104:105], v[108:109]
	s_waitcnt vmcnt(2)
	v_fma_f64 v[104:105], v[113:114], v[106:107], v[104:105]
	s_waitcnt vmcnt(0)
	v_add_f64 v[104:105], v[119:120], -v[104:105]
	buffer_store_dword v105, off, s[0:3], 0 offset:244
	buffer_store_dword v104, off, s[0:3], 0 offset:240
	v_cmpx_lt_u32_e32 29, v0
	s_cbranch_execz .LBB50_257
; %bb.256:
	s_clause 0x1
	buffer_load_dword v104, off, s[0:3], 0 offset:232
	buffer_load_dword v105, off, s[0:3], 0 offset:236
	v_mov_b32_e32 v106, 0
	buffer_store_dword v106, off, s[0:3], 0 offset:232
	buffer_store_dword v106, off, s[0:3], 0 offset:236
	s_waitcnt vmcnt(0)
	ds_write_b64 v103, v[104:105]
.LBB50_257:
	s_or_b32 exec_lo, exec_lo, s4
	s_waitcnt lgkmcnt(0)
	s_waitcnt_vscnt null, 0x0
	s_barrier
	buffer_gl0_inv
	s_clause 0x1b
	buffer_load_dword v109, off, s[0:3], 0 offset:240
	buffer_load_dword v110, off, s[0:3], 0 offset:244
	;; [unrolled: 1-line block ×28, first 2 shown]
	v_mov_b32_e32 v104, 0
	s_mov_b32 s4, exec_lo
	ds_read_b128 v[105:108], v104 offset:656
	s_clause 0x1
	buffer_load_dword v137, off, s[0:3], 0 offset:352
	buffer_load_dword v138, off, s[0:3], 0 offset:356
	s_waitcnt vmcnt(28) lgkmcnt(0)
	v_fma_f64 v[105:106], v[109:110], v[105:106], 0
	s_clause 0x1
	buffer_load_dword v110, off, s[0:3], 0 offset:364
	buffer_load_dword v109, off, s[0:3], 0 offset:360
	s_waitcnt vmcnt(28)
	v_fma_f64 v[111:112], v[111:112], v[107:108], v[105:106]
	ds_read_b128 v[105:108], v104 offset:672
	s_clause 0x1
	buffer_load_dword v139, off, s[0:3], 0 offset:368
	buffer_load_dword v140, off, s[0:3], 0 offset:372
	s_waitcnt vmcnt(28) lgkmcnt(0)
	v_fma_f64 v[105:106], v[113:114], v[105:106], v[111:112]
	s_clause 0x1
	buffer_load_dword v111, off, s[0:3], 0 offset:376
	buffer_load_dword v112, off, s[0:3], 0 offset:380
	s_waitcnt vmcnt(28)
	v_fma_f64 v[113:114], v[115:116], v[107:108], v[105:106]
	;; [unrolled: 11-line block ×4, first 2 shown]
	ds_read_b128 v[105:108], v104 offset:720
	s_waitcnt vmcnt(26) lgkmcnt(0)
	v_fma_f64 v[105:106], v[125:126], v[105:106], v[121:122]
	s_waitcnt vmcnt(24)
	v_fma_f64 v[121:122], v[127:128], v[107:108], v[105:106]
	ds_read_b128 v[105:108], v104 offset:736
	s_waitcnt vmcnt(22) lgkmcnt(0)
	v_fma_f64 v[105:106], v[129:130], v[105:106], v[121:122]
	s_waitcnt vmcnt(20)
	v_fma_f64 v[121:122], v[131:132], v[107:108], v[105:106]
	;; [unrolled: 5-line block ×6, first 2 shown]
	ds_read_b64 v[107:108], v104 offset:816
	s_waitcnt vmcnt(2) lgkmcnt(0)
	v_fma_f64 v[105:106], v[119:120], v[107:108], v[105:106]
	s_waitcnt vmcnt(0)
	v_add_f64 v[105:106], v[117:118], -v[105:106]
	buffer_store_dword v106, off, s[0:3], 0 offset:236
	buffer_store_dword v105, off, s[0:3], 0 offset:232
	v_cmpx_lt_u32_e32 28, v0
	s_cbranch_execz .LBB50_259
; %bb.258:
	s_clause 0x1
	buffer_load_dword v105, off, s[0:3], 0 offset:224
	buffer_load_dword v106, off, s[0:3], 0 offset:228
	buffer_store_dword v104, off, s[0:3], 0 offset:224
	buffer_store_dword v104, off, s[0:3], 0 offset:228
	s_waitcnt vmcnt(0)
	ds_write_b64 v103, v[105:106]
.LBB50_259:
	s_or_b32 exec_lo, exec_lo, s4
	s_waitcnt lgkmcnt(0)
	s_waitcnt_vscnt null, 0x0
	s_barrier
	buffer_gl0_inv
	s_clause 0x1b
	buffer_load_dword v109, off, s[0:3], 0 offset:232
	buffer_load_dword v110, off, s[0:3], 0 offset:236
	;; [unrolled: 1-line block ×28, first 2 shown]
	ds_read2_b64 v[105:108], v104 offset0:81 offset1:82
	s_clause 0x1
	buffer_load_dword v137, off, s[0:3], 0 offset:344
	buffer_load_dword v138, off, s[0:3], 0 offset:348
	s_mov_b32 s4, exec_lo
	s_waitcnt vmcnt(28) lgkmcnt(0)
	v_fma_f64 v[105:106], v[109:110], v[105:106], 0
	s_clause 0x1
	buffer_load_dword v110, off, s[0:3], 0 offset:356
	buffer_load_dword v109, off, s[0:3], 0 offset:352
	s_waitcnt vmcnt(28)
	v_fma_f64 v[111:112], v[111:112], v[107:108], v[105:106]
	ds_read2_b64 v[105:108], v104 offset0:83 offset1:84
	s_clause 0x1
	buffer_load_dword v139, off, s[0:3], 0 offset:360
	buffer_load_dword v140, off, s[0:3], 0 offset:364
	s_waitcnt vmcnt(28) lgkmcnt(0)
	v_fma_f64 v[105:106], v[113:114], v[105:106], v[111:112]
	s_clause 0x1
	buffer_load_dword v111, off, s[0:3], 0 offset:368
	buffer_load_dword v112, off, s[0:3], 0 offset:372
	s_waitcnt vmcnt(28)
	v_fma_f64 v[113:114], v[115:116], v[107:108], v[105:106]
	ds_read2_b64 v[105:108], v104 offset0:85 offset1:86
	s_clause 0x1
	buffer_load_dword v115, off, s[0:3], 0 offset:376
	buffer_load_dword v116, off, s[0:3], 0 offset:380
	;; [unrolled: 11-line block ×4, first 2 shown]
	s_waitcnt vmcnt(28) lgkmcnt(0)
	v_fma_f64 v[105:106], v[125:126], v[105:106], v[121:122]
	s_waitcnt vmcnt(26)
	v_fma_f64 v[121:122], v[127:128], v[107:108], v[105:106]
	ds_read2_b64 v[105:108], v104 offset0:91 offset1:92
	s_waitcnt vmcnt(24) lgkmcnt(0)
	v_fma_f64 v[105:106], v[129:130], v[105:106], v[121:122]
	s_waitcnt vmcnt(22)
	v_fma_f64 v[121:122], v[131:132], v[107:108], v[105:106]
	ds_read2_b64 v[105:108], v104 offset0:93 offset1:94
	;; [unrolled: 5-line block ×6, first 2 shown]
	s_waitcnt vmcnt(4) lgkmcnt(0)
	v_fma_f64 v[104:105], v[119:120], v[104:105], v[108:109]
	s_waitcnt vmcnt(2)
	v_fma_f64 v[104:105], v[117:118], v[106:107], v[104:105]
	s_waitcnt vmcnt(0)
	v_add_f64 v[104:105], v[123:124], -v[104:105]
	buffer_store_dword v105, off, s[0:3], 0 offset:228
	buffer_store_dword v104, off, s[0:3], 0 offset:224
	v_cmpx_lt_u32_e32 27, v0
	s_cbranch_execz .LBB50_261
; %bb.260:
	s_clause 0x1
	buffer_load_dword v104, off, s[0:3], 0 offset:216
	buffer_load_dword v105, off, s[0:3], 0 offset:220
	v_mov_b32_e32 v106, 0
	buffer_store_dword v106, off, s[0:3], 0 offset:216
	buffer_store_dword v106, off, s[0:3], 0 offset:220
	s_waitcnt vmcnt(0)
	ds_write_b64 v103, v[104:105]
.LBB50_261:
	s_or_b32 exec_lo, exec_lo, s4
	s_waitcnt lgkmcnt(0)
	s_waitcnt_vscnt null, 0x0
	s_barrier
	buffer_gl0_inv
	s_clause 0x1b
	buffer_load_dword v109, off, s[0:3], 0 offset:224
	buffer_load_dword v110, off, s[0:3], 0 offset:228
	buffer_load_dword v111, off, s[0:3], 0 offset:232
	buffer_load_dword v112, off, s[0:3], 0 offset:236
	buffer_load_dword v113, off, s[0:3], 0 offset:240
	buffer_load_dword v114, off, s[0:3], 0 offset:244
	buffer_load_dword v115, off, s[0:3], 0 offset:248
	buffer_load_dword v116, off, s[0:3], 0 offset:252
	buffer_load_dword v117, off, s[0:3], 0 offset:256
	buffer_load_dword v118, off, s[0:3], 0 offset:260
	buffer_load_dword v119, off, s[0:3], 0 offset:264
	buffer_load_dword v120, off, s[0:3], 0 offset:268
	buffer_load_dword v121, off, s[0:3], 0 offset:272
	buffer_load_dword v122, off, s[0:3], 0 offset:276
	buffer_load_dword v124, off, s[0:3], 0 offset:284
	buffer_load_dword v123, off, s[0:3], 0 offset:280
	buffer_load_dword v125, off, s[0:3], 0 offset:288
	buffer_load_dword v126, off, s[0:3], 0 offset:292
	buffer_load_dword v127, off, s[0:3], 0 offset:296
	buffer_load_dword v128, off, s[0:3], 0 offset:300
	buffer_load_dword v129, off, s[0:3], 0 offset:304
	buffer_load_dword v130, off, s[0:3], 0 offset:308
	buffer_load_dword v132, off, s[0:3], 0 offset:316
	buffer_load_dword v131, off, s[0:3], 0 offset:312
	buffer_load_dword v133, off, s[0:3], 0 offset:320
	buffer_load_dword v134, off, s[0:3], 0 offset:324
	buffer_load_dword v135, off, s[0:3], 0 offset:328
	buffer_load_dword v136, off, s[0:3], 0 offset:332
	v_mov_b32_e32 v104, 0
	s_mov_b32 s4, exec_lo
	ds_read_b128 v[105:108], v104 offset:640
	s_clause 0x1
	buffer_load_dword v137, off, s[0:3], 0 offset:336
	buffer_load_dword v138, off, s[0:3], 0 offset:340
	s_waitcnt vmcnt(28) lgkmcnt(0)
	v_fma_f64 v[105:106], v[109:110], v[105:106], 0
	s_clause 0x1
	buffer_load_dword v110, off, s[0:3], 0 offset:348
	buffer_load_dword v109, off, s[0:3], 0 offset:344
	s_waitcnt vmcnt(28)
	v_fma_f64 v[111:112], v[111:112], v[107:108], v[105:106]
	ds_read_b128 v[105:108], v104 offset:656
	s_clause 0x1
	buffer_load_dword v139, off, s[0:3], 0 offset:352
	buffer_load_dword v140, off, s[0:3], 0 offset:356
	s_waitcnt vmcnt(28) lgkmcnt(0)
	v_fma_f64 v[105:106], v[113:114], v[105:106], v[111:112]
	s_clause 0x1
	buffer_load_dword v111, off, s[0:3], 0 offset:360
	buffer_load_dword v112, off, s[0:3], 0 offset:364
	s_waitcnt vmcnt(28)
	v_fma_f64 v[113:114], v[115:116], v[107:108], v[105:106]
	;; [unrolled: 11-line block ×5, first 2 shown]
	ds_read_b128 v[105:108], v104 offset:720
	s_waitcnt vmcnt(26) lgkmcnt(0)
	v_fma_f64 v[105:106], v[129:130], v[105:106], v[125:126]
	s_waitcnt vmcnt(24)
	v_fma_f64 v[125:126], v[131:132], v[107:108], v[105:106]
	ds_read_b128 v[105:108], v104 offset:736
	s_waitcnt vmcnt(22) lgkmcnt(0)
	v_fma_f64 v[105:106], v[133:134], v[105:106], v[125:126]
	s_waitcnt vmcnt(20)
	v_fma_f64 v[125:126], v[135:136], v[107:108], v[105:106]
	ds_read_b128 v[105:108], v104 offset:752
	s_waitcnt vmcnt(18) lgkmcnt(0)
	v_fma_f64 v[105:106], v[137:138], v[105:106], v[125:126]
	s_waitcnt vmcnt(16)
	v_fma_f64 v[109:110], v[109:110], v[107:108], v[105:106]
	ds_read_b128 v[105:108], v104 offset:768
	s_waitcnt vmcnt(14) lgkmcnt(0)
	v_fma_f64 v[105:106], v[139:140], v[105:106], v[109:110]
	s_waitcnt vmcnt(12)
	v_fma_f64 v[109:110], v[111:112], v[107:108], v[105:106]
	ds_read_b128 v[105:108], v104 offset:784
	s_waitcnt vmcnt(10) lgkmcnt(0)
	v_fma_f64 v[105:106], v[115:116], v[105:106], v[109:110]
	s_waitcnt vmcnt(8)
	v_fma_f64 v[109:110], v[113:114], v[107:108], v[105:106]
	ds_read_b128 v[105:108], v104 offset:800
	s_waitcnt vmcnt(6) lgkmcnt(0)
	v_fma_f64 v[105:106], v[119:120], v[105:106], v[109:110]
	s_waitcnt vmcnt(4)
	v_fma_f64 v[105:106], v[117:118], v[107:108], v[105:106]
	ds_read_b64 v[107:108], v104 offset:816
	s_waitcnt vmcnt(2) lgkmcnt(0)
	v_fma_f64 v[105:106], v[123:124], v[107:108], v[105:106]
	s_waitcnt vmcnt(0)
	v_add_f64 v[105:106], v[121:122], -v[105:106]
	buffer_store_dword v106, off, s[0:3], 0 offset:220
	buffer_store_dword v105, off, s[0:3], 0 offset:216
	v_cmpx_lt_u32_e32 26, v0
	s_cbranch_execz .LBB50_263
; %bb.262:
	s_clause 0x1
	buffer_load_dword v105, off, s[0:3], 0 offset:208
	buffer_load_dword v106, off, s[0:3], 0 offset:212
	buffer_store_dword v104, off, s[0:3], 0 offset:208
	buffer_store_dword v104, off, s[0:3], 0 offset:212
	s_waitcnt vmcnt(0)
	ds_write_b64 v103, v[105:106]
.LBB50_263:
	s_or_b32 exec_lo, exec_lo, s4
	s_waitcnt lgkmcnt(0)
	s_waitcnt_vscnt null, 0x0
	s_barrier
	buffer_gl0_inv
	s_clause 0x1b
	buffer_load_dword v109, off, s[0:3], 0 offset:216
	buffer_load_dword v110, off, s[0:3], 0 offset:220
	buffer_load_dword v111, off, s[0:3], 0 offset:224
	buffer_load_dword v112, off, s[0:3], 0 offset:228
	buffer_load_dword v113, off, s[0:3], 0 offset:232
	buffer_load_dword v114, off, s[0:3], 0 offset:236
	buffer_load_dword v115, off, s[0:3], 0 offset:240
	buffer_load_dword v116, off, s[0:3], 0 offset:244
	buffer_load_dword v117, off, s[0:3], 0 offset:248
	buffer_load_dword v118, off, s[0:3], 0 offset:252
	buffer_load_dword v119, off, s[0:3], 0 offset:256
	buffer_load_dword v120, off, s[0:3], 0 offset:260
	buffer_load_dword v121, off, s[0:3], 0 offset:264
	buffer_load_dword v122, off, s[0:3], 0 offset:268
	buffer_load_dword v124, off, s[0:3], 0 offset:276
	buffer_load_dword v123, off, s[0:3], 0 offset:272
	buffer_load_dword v125, off, s[0:3], 0 offset:280
	buffer_load_dword v126, off, s[0:3], 0 offset:284
	buffer_load_dword v127, off, s[0:3], 0 offset:288
	buffer_load_dword v128, off, s[0:3], 0 offset:292
	buffer_load_dword v129, off, s[0:3], 0 offset:296
	buffer_load_dword v130, off, s[0:3], 0 offset:300
	buffer_load_dword v132, off, s[0:3], 0 offset:308
	buffer_load_dword v131, off, s[0:3], 0 offset:304
	buffer_load_dword v133, off, s[0:3], 0 offset:312
	buffer_load_dword v134, off, s[0:3], 0 offset:316
	buffer_load_dword v135, off, s[0:3], 0 offset:320
	buffer_load_dword v136, off, s[0:3], 0 offset:324
	ds_read2_b64 v[105:108], v104 offset0:79 offset1:80
	s_clause 0x1
	buffer_load_dword v137, off, s[0:3], 0 offset:328
	buffer_load_dword v138, off, s[0:3], 0 offset:332
	s_mov_b32 s4, exec_lo
	s_waitcnt vmcnt(28) lgkmcnt(0)
	v_fma_f64 v[105:106], v[109:110], v[105:106], 0
	s_clause 0x1
	buffer_load_dword v110, off, s[0:3], 0 offset:340
	buffer_load_dword v109, off, s[0:3], 0 offset:336
	s_waitcnt vmcnt(28)
	v_fma_f64 v[111:112], v[111:112], v[107:108], v[105:106]
	ds_read2_b64 v[105:108], v104 offset0:81 offset1:82
	s_clause 0x1
	buffer_load_dword v139, off, s[0:3], 0 offset:344
	buffer_load_dword v140, off, s[0:3], 0 offset:348
	s_waitcnt vmcnt(28) lgkmcnt(0)
	v_fma_f64 v[105:106], v[113:114], v[105:106], v[111:112]
	s_clause 0x1
	buffer_load_dword v111, off, s[0:3], 0 offset:352
	buffer_load_dword v112, off, s[0:3], 0 offset:356
	s_waitcnt vmcnt(28)
	v_fma_f64 v[113:114], v[115:116], v[107:108], v[105:106]
	ds_read2_b64 v[105:108], v104 offset0:83 offset1:84
	s_clause 0x1
	buffer_load_dword v115, off, s[0:3], 0 offset:360
	buffer_load_dword v116, off, s[0:3], 0 offset:364
	;; [unrolled: 11-line block ×5, first 2 shown]
	s_waitcnt vmcnt(28) lgkmcnt(0)
	v_fma_f64 v[105:106], v[129:130], v[105:106], v[125:126]
	s_waitcnt vmcnt(26)
	v_fma_f64 v[125:126], v[131:132], v[107:108], v[105:106]
	ds_read2_b64 v[105:108], v104 offset0:91 offset1:92
	s_waitcnt vmcnt(24) lgkmcnt(0)
	v_fma_f64 v[105:106], v[133:134], v[105:106], v[125:126]
	s_waitcnt vmcnt(22)
	v_fma_f64 v[125:126], v[135:136], v[107:108], v[105:106]
	ds_read2_b64 v[105:108], v104 offset0:93 offset1:94
	;; [unrolled: 5-line block ×6, first 2 shown]
	s_waitcnt vmcnt(4) lgkmcnt(0)
	v_fma_f64 v[104:105], v[123:124], v[104:105], v[108:109]
	s_waitcnt vmcnt(2)
	v_fma_f64 v[104:105], v[121:122], v[106:107], v[104:105]
	s_waitcnt vmcnt(0)
	v_add_f64 v[104:105], v[127:128], -v[104:105]
	buffer_store_dword v105, off, s[0:3], 0 offset:212
	buffer_store_dword v104, off, s[0:3], 0 offset:208
	v_cmpx_lt_u32_e32 25, v0
	s_cbranch_execz .LBB50_265
; %bb.264:
	s_clause 0x1
	buffer_load_dword v104, off, s[0:3], 0 offset:200
	buffer_load_dword v105, off, s[0:3], 0 offset:204
	v_mov_b32_e32 v106, 0
	buffer_store_dword v106, off, s[0:3], 0 offset:200
	buffer_store_dword v106, off, s[0:3], 0 offset:204
	s_waitcnt vmcnt(0)
	ds_write_b64 v103, v[104:105]
.LBB50_265:
	s_or_b32 exec_lo, exec_lo, s4
	s_waitcnt lgkmcnt(0)
	s_waitcnt_vscnt null, 0x0
	s_barrier
	buffer_gl0_inv
	s_clause 0x1b
	buffer_load_dword v109, off, s[0:3], 0 offset:208
	buffer_load_dword v110, off, s[0:3], 0 offset:212
	buffer_load_dword v111, off, s[0:3], 0 offset:216
	buffer_load_dword v112, off, s[0:3], 0 offset:220
	buffer_load_dword v113, off, s[0:3], 0 offset:224
	buffer_load_dword v114, off, s[0:3], 0 offset:228
	buffer_load_dword v115, off, s[0:3], 0 offset:232
	buffer_load_dword v116, off, s[0:3], 0 offset:236
	buffer_load_dword v117, off, s[0:3], 0 offset:240
	buffer_load_dword v118, off, s[0:3], 0 offset:244
	buffer_load_dword v119, off, s[0:3], 0 offset:248
	buffer_load_dword v120, off, s[0:3], 0 offset:252
	buffer_load_dword v121, off, s[0:3], 0 offset:256
	buffer_load_dword v122, off, s[0:3], 0 offset:260
	buffer_load_dword v124, off, s[0:3], 0 offset:268
	buffer_load_dword v123, off, s[0:3], 0 offset:264
	buffer_load_dword v125, off, s[0:3], 0 offset:272
	buffer_load_dword v126, off, s[0:3], 0 offset:276
	buffer_load_dword v127, off, s[0:3], 0 offset:280
	buffer_load_dword v128, off, s[0:3], 0 offset:284
	buffer_load_dword v129, off, s[0:3], 0 offset:288
	buffer_load_dword v130, off, s[0:3], 0 offset:292
	buffer_load_dword v132, off, s[0:3], 0 offset:300
	buffer_load_dword v131, off, s[0:3], 0 offset:296
	buffer_load_dword v133, off, s[0:3], 0 offset:304
	buffer_load_dword v134, off, s[0:3], 0 offset:308
	buffer_load_dword v135, off, s[0:3], 0 offset:312
	buffer_load_dword v136, off, s[0:3], 0 offset:316
	v_mov_b32_e32 v104, 0
	s_mov_b32 s4, exec_lo
	ds_read_b128 v[105:108], v104 offset:624
	s_clause 0x1
	buffer_load_dword v137, off, s[0:3], 0 offset:320
	buffer_load_dword v138, off, s[0:3], 0 offset:324
	s_waitcnt vmcnt(28) lgkmcnt(0)
	v_fma_f64 v[105:106], v[109:110], v[105:106], 0
	s_clause 0x1
	buffer_load_dword v110, off, s[0:3], 0 offset:332
	buffer_load_dword v109, off, s[0:3], 0 offset:328
	s_waitcnt vmcnt(28)
	v_fma_f64 v[111:112], v[111:112], v[107:108], v[105:106]
	ds_read_b128 v[105:108], v104 offset:640
	s_clause 0x1
	buffer_load_dword v139, off, s[0:3], 0 offset:336
	buffer_load_dword v140, off, s[0:3], 0 offset:340
	s_waitcnt vmcnt(28) lgkmcnt(0)
	v_fma_f64 v[105:106], v[113:114], v[105:106], v[111:112]
	s_clause 0x1
	buffer_load_dword v111, off, s[0:3], 0 offset:344
	buffer_load_dword v112, off, s[0:3], 0 offset:348
	s_waitcnt vmcnt(28)
	v_fma_f64 v[113:114], v[115:116], v[107:108], v[105:106]
	;; [unrolled: 11-line block ×6, first 2 shown]
	ds_read_b128 v[105:108], v104 offset:720
	s_waitcnt vmcnt(26) lgkmcnt(0)
	v_fma_f64 v[105:106], v[133:134], v[105:106], v[129:130]
	s_waitcnt vmcnt(24)
	v_fma_f64 v[129:130], v[135:136], v[107:108], v[105:106]
	ds_read_b128 v[105:108], v104 offset:736
	s_waitcnt vmcnt(22) lgkmcnt(0)
	v_fma_f64 v[105:106], v[137:138], v[105:106], v[129:130]
	s_waitcnt vmcnt(20)
	v_fma_f64 v[109:110], v[109:110], v[107:108], v[105:106]
	;; [unrolled: 5-line block ×6, first 2 shown]
	ds_read_b64 v[107:108], v104 offset:816
	s_waitcnt vmcnt(2) lgkmcnt(0)
	v_fma_f64 v[105:106], v[127:128], v[107:108], v[105:106]
	s_waitcnt vmcnt(0)
	v_add_f64 v[105:106], v[125:126], -v[105:106]
	buffer_store_dword v106, off, s[0:3], 0 offset:204
	buffer_store_dword v105, off, s[0:3], 0 offset:200
	v_cmpx_lt_u32_e32 24, v0
	s_cbranch_execz .LBB50_267
; %bb.266:
	s_clause 0x1
	buffer_load_dword v105, off, s[0:3], 0 offset:192
	buffer_load_dword v106, off, s[0:3], 0 offset:196
	buffer_store_dword v104, off, s[0:3], 0 offset:192
	buffer_store_dword v104, off, s[0:3], 0 offset:196
	s_waitcnt vmcnt(0)
	ds_write_b64 v103, v[105:106]
.LBB50_267:
	s_or_b32 exec_lo, exec_lo, s4
	s_waitcnt lgkmcnt(0)
	s_waitcnt_vscnt null, 0x0
	s_barrier
	buffer_gl0_inv
	s_clause 0x1b
	buffer_load_dword v109, off, s[0:3], 0 offset:200
	buffer_load_dword v110, off, s[0:3], 0 offset:204
	;; [unrolled: 1-line block ×28, first 2 shown]
	ds_read2_b64 v[105:108], v104 offset0:77 offset1:78
	s_clause 0x1
	buffer_load_dword v137, off, s[0:3], 0 offset:312
	buffer_load_dword v138, off, s[0:3], 0 offset:316
	s_mov_b32 s4, exec_lo
	s_waitcnt vmcnt(28) lgkmcnt(0)
	v_fma_f64 v[105:106], v[109:110], v[105:106], 0
	s_clause 0x1
	buffer_load_dword v110, off, s[0:3], 0 offset:324
	buffer_load_dword v109, off, s[0:3], 0 offset:320
	s_waitcnt vmcnt(28)
	v_fma_f64 v[111:112], v[111:112], v[107:108], v[105:106]
	ds_read2_b64 v[105:108], v104 offset0:79 offset1:80
	s_clause 0x1
	buffer_load_dword v139, off, s[0:3], 0 offset:328
	buffer_load_dword v140, off, s[0:3], 0 offset:332
	s_waitcnt vmcnt(28) lgkmcnt(0)
	v_fma_f64 v[105:106], v[113:114], v[105:106], v[111:112]
	s_clause 0x1
	buffer_load_dword v111, off, s[0:3], 0 offset:336
	buffer_load_dword v112, off, s[0:3], 0 offset:340
	s_waitcnt vmcnt(28)
	v_fma_f64 v[113:114], v[115:116], v[107:108], v[105:106]
	ds_read2_b64 v[105:108], v104 offset0:81 offset1:82
	s_clause 0x1
	buffer_load_dword v115, off, s[0:3], 0 offset:344
	buffer_load_dword v116, off, s[0:3], 0 offset:348
	;; [unrolled: 11-line block ×6, first 2 shown]
	s_waitcnt vmcnt(28) lgkmcnt(0)
	v_fma_f64 v[105:106], v[133:134], v[105:106], v[129:130]
	s_waitcnt vmcnt(26)
	v_fma_f64 v[129:130], v[135:136], v[107:108], v[105:106]
	ds_read2_b64 v[105:108], v104 offset0:91 offset1:92
	s_waitcnt vmcnt(24) lgkmcnt(0)
	v_fma_f64 v[105:106], v[137:138], v[105:106], v[129:130]
	s_waitcnt vmcnt(22)
	v_fma_f64 v[109:110], v[109:110], v[107:108], v[105:106]
	ds_read2_b64 v[105:108], v104 offset0:93 offset1:94
	;; [unrolled: 5-line block ×6, first 2 shown]
	s_waitcnt vmcnt(4) lgkmcnt(0)
	v_fma_f64 v[104:105], v[127:128], v[104:105], v[108:109]
	s_waitcnt vmcnt(2)
	v_fma_f64 v[104:105], v[125:126], v[106:107], v[104:105]
	s_waitcnt vmcnt(0)
	v_add_f64 v[104:105], v[131:132], -v[104:105]
	buffer_store_dword v105, off, s[0:3], 0 offset:196
	buffer_store_dword v104, off, s[0:3], 0 offset:192
	v_cmpx_lt_u32_e32 23, v0
	s_cbranch_execz .LBB50_269
; %bb.268:
	s_clause 0x1
	buffer_load_dword v104, off, s[0:3], 0 offset:184
	buffer_load_dword v105, off, s[0:3], 0 offset:188
	v_mov_b32_e32 v106, 0
	buffer_store_dword v106, off, s[0:3], 0 offset:184
	buffer_store_dword v106, off, s[0:3], 0 offset:188
	s_waitcnt vmcnt(0)
	ds_write_b64 v103, v[104:105]
.LBB50_269:
	s_or_b32 exec_lo, exec_lo, s4
	s_waitcnt lgkmcnt(0)
	s_waitcnt_vscnt null, 0x0
	s_barrier
	buffer_gl0_inv
	s_clause 0x1b
	buffer_load_dword v109, off, s[0:3], 0 offset:192
	buffer_load_dword v110, off, s[0:3], 0 offset:196
	;; [unrolled: 1-line block ×28, first 2 shown]
	v_mov_b32_e32 v104, 0
	s_mov_b32 s4, exec_lo
	ds_read_b128 v[105:108], v104 offset:608
	s_clause 0x1
	buffer_load_dword v137, off, s[0:3], 0 offset:304
	buffer_load_dword v138, off, s[0:3], 0 offset:308
	s_waitcnt vmcnt(28) lgkmcnt(0)
	v_fma_f64 v[105:106], v[109:110], v[105:106], 0
	s_clause 0x1
	buffer_load_dword v110, off, s[0:3], 0 offset:316
	buffer_load_dword v109, off, s[0:3], 0 offset:312
	s_waitcnt vmcnt(28)
	v_fma_f64 v[111:112], v[111:112], v[107:108], v[105:106]
	ds_read_b128 v[105:108], v104 offset:624
	s_clause 0x1
	buffer_load_dword v139, off, s[0:3], 0 offset:320
	buffer_load_dword v140, off, s[0:3], 0 offset:324
	s_waitcnt vmcnt(28) lgkmcnt(0)
	v_fma_f64 v[105:106], v[113:114], v[105:106], v[111:112]
	s_clause 0x1
	buffer_load_dword v111, off, s[0:3], 0 offset:328
	buffer_load_dword v112, off, s[0:3], 0 offset:332
	s_waitcnt vmcnt(28)
	v_fma_f64 v[113:114], v[115:116], v[107:108], v[105:106]
	;; [unrolled: 11-line block ×7, first 2 shown]
	ds_read_b128 v[105:108], v104 offset:720
	s_waitcnt vmcnt(26) lgkmcnt(0)
	v_fma_f64 v[105:106], v[137:138], v[105:106], v[133:134]
	s_waitcnt vmcnt(24)
	v_fma_f64 v[109:110], v[109:110], v[107:108], v[105:106]
	ds_read_b128 v[105:108], v104 offset:736
	s_waitcnt vmcnt(22) lgkmcnt(0)
	v_fma_f64 v[105:106], v[139:140], v[105:106], v[109:110]
	s_waitcnt vmcnt(20)
	v_fma_f64 v[109:110], v[111:112], v[107:108], v[105:106]
	;; [unrolled: 5-line block ×6, first 2 shown]
	ds_read_b64 v[107:108], v104 offset:816
	s_waitcnt vmcnt(2) lgkmcnt(0)
	v_fma_f64 v[105:106], v[131:132], v[107:108], v[105:106]
	s_waitcnt vmcnt(0)
	v_add_f64 v[105:106], v[129:130], -v[105:106]
	buffer_store_dword v106, off, s[0:3], 0 offset:188
	buffer_store_dword v105, off, s[0:3], 0 offset:184
	v_cmpx_lt_u32_e32 22, v0
	s_cbranch_execz .LBB50_271
; %bb.270:
	s_clause 0x1
	buffer_load_dword v105, off, s[0:3], 0 offset:176
	buffer_load_dword v106, off, s[0:3], 0 offset:180
	buffer_store_dword v104, off, s[0:3], 0 offset:176
	buffer_store_dword v104, off, s[0:3], 0 offset:180
	s_waitcnt vmcnt(0)
	ds_write_b64 v103, v[105:106]
.LBB50_271:
	s_or_b32 exec_lo, exec_lo, s4
	s_waitcnt lgkmcnt(0)
	s_waitcnt_vscnt null, 0x0
	s_barrier
	buffer_gl0_inv
	s_clause 0x1b
	buffer_load_dword v109, off, s[0:3], 0 offset:184
	buffer_load_dword v110, off, s[0:3], 0 offset:188
	;; [unrolled: 1-line block ×28, first 2 shown]
	ds_read2_b64 v[105:108], v104 offset0:75 offset1:76
	s_clause 0x1
	buffer_load_dword v137, off, s[0:3], 0 offset:296
	buffer_load_dword v138, off, s[0:3], 0 offset:300
	s_mov_b32 s4, exec_lo
	s_waitcnt vmcnt(28) lgkmcnt(0)
	v_fma_f64 v[105:106], v[109:110], v[105:106], 0
	s_clause 0x1
	buffer_load_dword v110, off, s[0:3], 0 offset:308
	buffer_load_dword v109, off, s[0:3], 0 offset:304
	s_waitcnt vmcnt(28)
	v_fma_f64 v[111:112], v[111:112], v[107:108], v[105:106]
	ds_read2_b64 v[105:108], v104 offset0:77 offset1:78
	s_clause 0x1
	buffer_load_dword v139, off, s[0:3], 0 offset:312
	buffer_load_dword v140, off, s[0:3], 0 offset:316
	s_waitcnt vmcnt(28) lgkmcnt(0)
	v_fma_f64 v[105:106], v[113:114], v[105:106], v[111:112]
	s_clause 0x1
	buffer_load_dword v111, off, s[0:3], 0 offset:320
	buffer_load_dword v112, off, s[0:3], 0 offset:324
	s_waitcnt vmcnt(28)
	v_fma_f64 v[113:114], v[115:116], v[107:108], v[105:106]
	ds_read2_b64 v[105:108], v104 offset0:79 offset1:80
	s_clause 0x1
	buffer_load_dword v115, off, s[0:3], 0 offset:328
	buffer_load_dword v116, off, s[0:3], 0 offset:332
	;; [unrolled: 11-line block ×7, first 2 shown]
	s_waitcnt vmcnt(28) lgkmcnt(0)
	v_fma_f64 v[105:106], v[137:138], v[105:106], v[133:134]
	s_waitcnt vmcnt(26)
	v_fma_f64 v[109:110], v[109:110], v[107:108], v[105:106]
	ds_read2_b64 v[105:108], v104 offset0:91 offset1:92
	s_waitcnt vmcnt(24) lgkmcnt(0)
	v_fma_f64 v[105:106], v[139:140], v[105:106], v[109:110]
	s_waitcnt vmcnt(22)
	v_fma_f64 v[109:110], v[111:112], v[107:108], v[105:106]
	ds_read2_b64 v[105:108], v104 offset0:93 offset1:94
	s_waitcnt vmcnt(20) lgkmcnt(0)
	v_fma_f64 v[105:106], v[115:116], v[105:106], v[109:110]
	s_waitcnt vmcnt(18)
	v_fma_f64 v[109:110], v[113:114], v[107:108], v[105:106]
	ds_read2_b64 v[105:108], v104 offset0:95 offset1:96
	s_waitcnt vmcnt(16) lgkmcnt(0)
	v_fma_f64 v[105:106], v[119:120], v[105:106], v[109:110]
	s_waitcnt vmcnt(14)
	v_fma_f64 v[109:110], v[117:118], v[107:108], v[105:106]
	ds_read2_b64 v[105:108], v104 offset0:97 offset1:98
	s_waitcnt vmcnt(12) lgkmcnt(0)
	v_fma_f64 v[105:106], v[123:124], v[105:106], v[109:110]
	s_waitcnt vmcnt(10)
	v_fma_f64 v[109:110], v[121:122], v[107:108], v[105:106]
	ds_read2_b64 v[105:108], v104 offset0:99 offset1:100
	s_waitcnt vmcnt(8) lgkmcnt(0)
	v_fma_f64 v[105:106], v[127:128], v[105:106], v[109:110]
	s_waitcnt vmcnt(6)
	v_fma_f64 v[108:109], v[125:126], v[107:108], v[105:106]
	ds_read2_b64 v[104:107], v104 offset0:101 offset1:102
	s_waitcnt vmcnt(4) lgkmcnt(0)
	v_fma_f64 v[104:105], v[131:132], v[104:105], v[108:109]
	s_waitcnt vmcnt(2)
	v_fma_f64 v[104:105], v[129:130], v[106:107], v[104:105]
	s_waitcnt vmcnt(0)
	v_add_f64 v[104:105], v[135:136], -v[104:105]
	buffer_store_dword v105, off, s[0:3], 0 offset:180
	buffer_store_dword v104, off, s[0:3], 0 offset:176
	v_cmpx_lt_u32_e32 21, v0
	s_cbranch_execz .LBB50_273
; %bb.272:
	s_clause 0x1
	buffer_load_dword v104, off, s[0:3], 0 offset:168
	buffer_load_dword v105, off, s[0:3], 0 offset:172
	v_mov_b32_e32 v106, 0
	buffer_store_dword v106, off, s[0:3], 0 offset:168
	buffer_store_dword v106, off, s[0:3], 0 offset:172
	s_waitcnt vmcnt(0)
	ds_write_b64 v103, v[104:105]
.LBB50_273:
	s_or_b32 exec_lo, exec_lo, s4
	s_waitcnt lgkmcnt(0)
	s_waitcnt_vscnt null, 0x0
	s_barrier
	buffer_gl0_inv
	s_clause 0x1b
	buffer_load_dword v109, off, s[0:3], 0 offset:176
	buffer_load_dword v110, off, s[0:3], 0 offset:180
	;; [unrolled: 1-line block ×28, first 2 shown]
	v_mov_b32_e32 v104, 0
	s_mov_b32 s4, exec_lo
	ds_read_b128 v[105:108], v104 offset:592
	s_clause 0x1
	buffer_load_dword v137, off, s[0:3], 0 offset:288
	buffer_load_dword v138, off, s[0:3], 0 offset:292
	s_waitcnt vmcnt(28) lgkmcnt(0)
	v_fma_f64 v[105:106], v[109:110], v[105:106], 0
	s_clause 0x1
	buffer_load_dword v110, off, s[0:3], 0 offset:300
	buffer_load_dword v109, off, s[0:3], 0 offset:296
	s_waitcnt vmcnt(28)
	v_fma_f64 v[111:112], v[111:112], v[107:108], v[105:106]
	ds_read_b128 v[105:108], v104 offset:608
	s_clause 0x1
	buffer_load_dword v139, off, s[0:3], 0 offset:304
	buffer_load_dword v140, off, s[0:3], 0 offset:308
	s_waitcnt vmcnt(28) lgkmcnt(0)
	v_fma_f64 v[105:106], v[113:114], v[105:106], v[111:112]
	s_clause 0x1
	buffer_load_dword v111, off, s[0:3], 0 offset:312
	buffer_load_dword v112, off, s[0:3], 0 offset:316
	s_waitcnt vmcnt(28)
	v_fma_f64 v[113:114], v[115:116], v[107:108], v[105:106]
	;; [unrolled: 11-line block ×8, first 2 shown]
	ds_read_b128 v[105:108], v104 offset:720
	s_waitcnt vmcnt(26) lgkmcnt(0)
	v_fma_f64 v[105:106], v[139:140], v[105:106], v[109:110]
	s_waitcnt vmcnt(24)
	v_fma_f64 v[109:110], v[111:112], v[107:108], v[105:106]
	ds_read_b128 v[105:108], v104 offset:736
	s_waitcnt vmcnt(22) lgkmcnt(0)
	v_fma_f64 v[105:106], v[115:116], v[105:106], v[109:110]
	s_waitcnt vmcnt(20)
	v_fma_f64 v[109:110], v[113:114], v[107:108], v[105:106]
	;; [unrolled: 5-line block ×6, first 2 shown]
	ds_read_b64 v[107:108], v104 offset:816
	s_waitcnt vmcnt(2) lgkmcnt(0)
	v_fma_f64 v[105:106], v[135:136], v[107:108], v[105:106]
	s_waitcnt vmcnt(0)
	v_add_f64 v[105:106], v[133:134], -v[105:106]
	buffer_store_dword v106, off, s[0:3], 0 offset:172
	buffer_store_dword v105, off, s[0:3], 0 offset:168
	v_cmpx_lt_u32_e32 20, v0
	s_cbranch_execz .LBB50_275
; %bb.274:
	s_clause 0x1
	buffer_load_dword v105, off, s[0:3], 0 offset:160
	buffer_load_dword v106, off, s[0:3], 0 offset:164
	buffer_store_dword v104, off, s[0:3], 0 offset:160
	buffer_store_dword v104, off, s[0:3], 0 offset:164
	s_waitcnt vmcnt(0)
	ds_write_b64 v103, v[105:106]
.LBB50_275:
	s_or_b32 exec_lo, exec_lo, s4
	s_waitcnt lgkmcnt(0)
	s_waitcnt_vscnt null, 0x0
	s_barrier
	buffer_gl0_inv
	s_clause 0x1b
	buffer_load_dword v109, off, s[0:3], 0 offset:168
	buffer_load_dword v110, off, s[0:3], 0 offset:172
	;; [unrolled: 1-line block ×28, first 2 shown]
	ds_read2_b64 v[105:108], v104 offset0:73 offset1:74
	s_clause 0x1
	buffer_load_dword v137, off, s[0:3], 0 offset:280
	buffer_load_dword v138, off, s[0:3], 0 offset:284
	s_mov_b32 s4, exec_lo
	s_waitcnt vmcnt(28) lgkmcnt(0)
	v_fma_f64 v[105:106], v[109:110], v[105:106], 0
	s_clause 0x1
	buffer_load_dword v110, off, s[0:3], 0 offset:292
	buffer_load_dword v109, off, s[0:3], 0 offset:288
	s_waitcnt vmcnt(28)
	v_fma_f64 v[111:112], v[111:112], v[107:108], v[105:106]
	ds_read2_b64 v[105:108], v104 offset0:75 offset1:76
	s_clause 0x1
	buffer_load_dword v139, off, s[0:3], 0 offset:296
	buffer_load_dword v140, off, s[0:3], 0 offset:300
	s_waitcnt vmcnt(28) lgkmcnt(0)
	v_fma_f64 v[105:106], v[113:114], v[105:106], v[111:112]
	s_clause 0x1
	buffer_load_dword v111, off, s[0:3], 0 offset:304
	buffer_load_dword v112, off, s[0:3], 0 offset:308
	s_waitcnt vmcnt(28)
	v_fma_f64 v[113:114], v[115:116], v[107:108], v[105:106]
	ds_read2_b64 v[105:108], v104 offset0:77 offset1:78
	s_clause 0x1
	buffer_load_dword v115, off, s[0:3], 0 offset:312
	buffer_load_dword v116, off, s[0:3], 0 offset:316
	;; [unrolled: 11-line block ×8, first 2 shown]
	s_waitcnt vmcnt(28) lgkmcnt(0)
	v_fma_f64 v[105:106], v[139:140], v[105:106], v[109:110]
	s_waitcnt vmcnt(26)
	v_fma_f64 v[109:110], v[111:112], v[107:108], v[105:106]
	ds_read2_b64 v[105:108], v104 offset0:91 offset1:92
	s_waitcnt vmcnt(24) lgkmcnt(0)
	v_fma_f64 v[105:106], v[115:116], v[105:106], v[109:110]
	s_waitcnt vmcnt(22)
	v_fma_f64 v[109:110], v[113:114], v[107:108], v[105:106]
	ds_read2_b64 v[105:108], v104 offset0:93 offset1:94
	;; [unrolled: 5-line block ×6, first 2 shown]
	s_waitcnt vmcnt(4) lgkmcnt(0)
	v_fma_f64 v[104:105], v[135:136], v[104:105], v[108:109]
	s_waitcnt vmcnt(2)
	v_fma_f64 v[104:105], v[133:134], v[106:107], v[104:105]
	s_waitcnt vmcnt(0)
	v_add_f64 v[104:105], v[137:138], -v[104:105]
	buffer_store_dword v105, off, s[0:3], 0 offset:164
	buffer_store_dword v104, off, s[0:3], 0 offset:160
	v_cmpx_lt_u32_e32 19, v0
	s_cbranch_execz .LBB50_277
; %bb.276:
	s_clause 0x1
	buffer_load_dword v104, off, s[0:3], 0 offset:152
	buffer_load_dword v105, off, s[0:3], 0 offset:156
	v_mov_b32_e32 v106, 0
	buffer_store_dword v106, off, s[0:3], 0 offset:152
	buffer_store_dword v106, off, s[0:3], 0 offset:156
	s_waitcnt vmcnt(0)
	ds_write_b64 v103, v[104:105]
.LBB50_277:
	s_or_b32 exec_lo, exec_lo, s4
	s_waitcnt lgkmcnt(0)
	s_waitcnt_vscnt null, 0x0
	s_barrier
	buffer_gl0_inv
	s_clause 0x1b
	buffer_load_dword v109, off, s[0:3], 0 offset:160
	buffer_load_dword v110, off, s[0:3], 0 offset:164
	;; [unrolled: 1-line block ×28, first 2 shown]
	v_mov_b32_e32 v104, 0
	s_mov_b32 s4, exec_lo
	ds_read_b128 v[105:108], v104 offset:576
	s_clause 0x1
	buffer_load_dword v137, off, s[0:3], 0 offset:272
	buffer_load_dword v138, off, s[0:3], 0 offset:276
	s_waitcnt vmcnt(28) lgkmcnt(0)
	v_fma_f64 v[105:106], v[109:110], v[105:106], 0
	s_clause 0x1
	buffer_load_dword v110, off, s[0:3], 0 offset:284
	buffer_load_dword v109, off, s[0:3], 0 offset:280
	s_waitcnt vmcnt(28)
	v_fma_f64 v[111:112], v[111:112], v[107:108], v[105:106]
	ds_read_b128 v[105:108], v104 offset:592
	s_clause 0x1
	buffer_load_dword v139, off, s[0:3], 0 offset:288
	buffer_load_dword v140, off, s[0:3], 0 offset:292
	s_waitcnt vmcnt(28) lgkmcnt(0)
	v_fma_f64 v[105:106], v[113:114], v[105:106], v[111:112]
	s_clause 0x1
	buffer_load_dword v111, off, s[0:3], 0 offset:296
	buffer_load_dword v112, off, s[0:3], 0 offset:300
	s_waitcnt vmcnt(28)
	v_fma_f64 v[113:114], v[115:116], v[107:108], v[105:106]
	;; [unrolled: 11-line block ×9, first 2 shown]
	ds_read_b128 v[105:108], v104 offset:720
	s_waitcnt vmcnt(26) lgkmcnt(0)
	v_fma_f64 v[105:106], v[115:116], v[105:106], v[111:112]
	s_waitcnt vmcnt(24)
	v_fma_f64 v[111:112], v[113:114], v[107:108], v[105:106]
	ds_read_b128 v[105:108], v104 offset:736
	s_waitcnt vmcnt(22) lgkmcnt(0)
	v_fma_f64 v[105:106], v[119:120], v[105:106], v[111:112]
	s_waitcnt vmcnt(20)
	v_fma_f64 v[111:112], v[117:118], v[107:108], v[105:106]
	;; [unrolled: 5-line block ×6, first 2 shown]
	ds_read_b64 v[107:108], v104 offset:816
	s_waitcnt vmcnt(2) lgkmcnt(0)
	v_fma_f64 v[105:106], v[137:138], v[107:108], v[105:106]
	s_waitcnt vmcnt(0)
	v_add_f64 v[105:106], v[109:110], -v[105:106]
	buffer_store_dword v106, off, s[0:3], 0 offset:156
	buffer_store_dword v105, off, s[0:3], 0 offset:152
	v_cmpx_lt_u32_e32 18, v0
	s_cbranch_execz .LBB50_279
; %bb.278:
	s_clause 0x1
	buffer_load_dword v105, off, s[0:3], 0 offset:144
	buffer_load_dword v106, off, s[0:3], 0 offset:148
	buffer_store_dword v104, off, s[0:3], 0 offset:144
	buffer_store_dword v104, off, s[0:3], 0 offset:148
	s_waitcnt vmcnt(0)
	ds_write_b64 v103, v[105:106]
.LBB50_279:
	s_or_b32 exec_lo, exec_lo, s4
	s_waitcnt lgkmcnt(0)
	s_waitcnt_vscnt null, 0x0
	s_barrier
	buffer_gl0_inv
	s_clause 0x1b
	buffer_load_dword v109, off, s[0:3], 0 offset:152
	buffer_load_dword v110, off, s[0:3], 0 offset:156
	;; [unrolled: 1-line block ×28, first 2 shown]
	ds_read2_b64 v[105:108], v104 offset0:71 offset1:72
	s_clause 0x1
	buffer_load_dword v137, off, s[0:3], 0 offset:264
	buffer_load_dword v138, off, s[0:3], 0 offset:268
	s_mov_b32 s4, exec_lo
	s_waitcnt vmcnt(28) lgkmcnt(0)
	v_fma_f64 v[105:106], v[109:110], v[105:106], 0
	s_clause 0x1
	buffer_load_dword v110, off, s[0:3], 0 offset:276
	buffer_load_dword v109, off, s[0:3], 0 offset:272
	s_waitcnt vmcnt(28)
	v_fma_f64 v[111:112], v[111:112], v[107:108], v[105:106]
	ds_read2_b64 v[105:108], v104 offset0:73 offset1:74
	s_clause 0x1
	buffer_load_dword v139, off, s[0:3], 0 offset:280
	buffer_load_dword v140, off, s[0:3], 0 offset:284
	s_waitcnt vmcnt(28) lgkmcnt(0)
	v_fma_f64 v[105:106], v[113:114], v[105:106], v[111:112]
	s_clause 0x1
	buffer_load_dword v111, off, s[0:3], 0 offset:288
	buffer_load_dword v112, off, s[0:3], 0 offset:292
	s_waitcnt vmcnt(28)
	v_fma_f64 v[113:114], v[115:116], v[107:108], v[105:106]
	ds_read2_b64 v[105:108], v104 offset0:75 offset1:76
	s_clause 0x1
	buffer_load_dword v115, off, s[0:3], 0 offset:296
	buffer_load_dword v116, off, s[0:3], 0 offset:300
	;; [unrolled: 11-line block ×9, first 2 shown]
	s_waitcnt vmcnt(28) lgkmcnt(0)
	v_fma_f64 v[105:106], v[115:116], v[105:106], v[111:112]
	s_waitcnt vmcnt(26)
	v_fma_f64 v[111:112], v[113:114], v[107:108], v[105:106]
	ds_read2_b64 v[105:108], v104 offset0:91 offset1:92
	s_waitcnt vmcnt(24) lgkmcnt(0)
	v_fma_f64 v[105:106], v[119:120], v[105:106], v[111:112]
	s_waitcnt vmcnt(22)
	v_fma_f64 v[111:112], v[117:118], v[107:108], v[105:106]
	ds_read2_b64 v[105:108], v104 offset0:93 offset1:94
	;; [unrolled: 5-line block ×6, first 2 shown]
	s_waitcnt vmcnt(4) lgkmcnt(0)
	v_fma_f64 v[104:105], v[137:138], v[104:105], v[111:112]
	s_waitcnt vmcnt(2)
	v_fma_f64 v[104:105], v[109:110], v[106:107], v[104:105]
	s_waitcnt vmcnt(0)
	v_add_f64 v[104:105], v[139:140], -v[104:105]
	buffer_store_dword v105, off, s[0:3], 0 offset:148
	buffer_store_dword v104, off, s[0:3], 0 offset:144
	v_cmpx_lt_u32_e32 17, v0
	s_cbranch_execz .LBB50_281
; %bb.280:
	s_clause 0x1
	buffer_load_dword v104, off, s[0:3], 0 offset:136
	buffer_load_dword v105, off, s[0:3], 0 offset:140
	v_mov_b32_e32 v106, 0
	buffer_store_dword v106, off, s[0:3], 0 offset:136
	buffer_store_dword v106, off, s[0:3], 0 offset:140
	s_waitcnt vmcnt(0)
	ds_write_b64 v103, v[104:105]
.LBB50_281:
	s_or_b32 exec_lo, exec_lo, s4
	s_waitcnt lgkmcnt(0)
	s_waitcnt_vscnt null, 0x0
	s_barrier
	buffer_gl0_inv
	s_clause 0x1b
	buffer_load_dword v109, off, s[0:3], 0 offset:144
	buffer_load_dword v110, off, s[0:3], 0 offset:148
	;; [unrolled: 1-line block ×28, first 2 shown]
	v_mov_b32_e32 v104, 0
	s_mov_b32 s4, exec_lo
	ds_read_b128 v[105:108], v104 offset:560
	s_clause 0x1
	buffer_load_dword v137, off, s[0:3], 0 offset:256
	buffer_load_dword v138, off, s[0:3], 0 offset:260
	s_waitcnt vmcnt(28) lgkmcnt(0)
	v_fma_f64 v[105:106], v[109:110], v[105:106], 0
	s_clause 0x1
	buffer_load_dword v110, off, s[0:3], 0 offset:268
	buffer_load_dword v109, off, s[0:3], 0 offset:264
	s_waitcnt vmcnt(28)
	v_fma_f64 v[111:112], v[111:112], v[107:108], v[105:106]
	ds_read_b128 v[105:108], v104 offset:576
	s_clause 0x1
	buffer_load_dword v139, off, s[0:3], 0 offset:272
	buffer_load_dword v140, off, s[0:3], 0 offset:276
	s_waitcnt vmcnt(28) lgkmcnt(0)
	v_fma_f64 v[105:106], v[113:114], v[105:106], v[111:112]
	s_clause 0x1
	buffer_load_dword v111, off, s[0:3], 0 offset:280
	buffer_load_dword v112, off, s[0:3], 0 offset:284
	s_waitcnt vmcnt(28)
	v_fma_f64 v[113:114], v[115:116], v[107:108], v[105:106]
	;; [unrolled: 11-line block ×10, first 2 shown]
	ds_read_b128 v[105:108], v104 offset:720
	s_waitcnt vmcnt(26) lgkmcnt(0)
	v_fma_f64 v[105:106], v[119:120], v[105:106], v[113:114]
	s_waitcnt vmcnt(24)
	v_fma_f64 v[113:114], v[117:118], v[107:108], v[105:106]
	ds_read_b128 v[105:108], v104 offset:736
	s_waitcnt vmcnt(22) lgkmcnt(0)
	v_fma_f64 v[105:106], v[123:124], v[105:106], v[113:114]
	s_waitcnt vmcnt(20)
	v_fma_f64 v[113:114], v[121:122], v[107:108], v[105:106]
	;; [unrolled: 5-line block ×6, first 2 shown]
	ds_read_b64 v[107:108], v104 offset:816
	s_waitcnt vmcnt(2) lgkmcnt(0)
	v_fma_f64 v[105:106], v[139:140], v[107:108], v[105:106]
	s_waitcnt vmcnt(0)
	v_add_f64 v[105:106], v[111:112], -v[105:106]
	buffer_store_dword v106, off, s[0:3], 0 offset:140
	buffer_store_dword v105, off, s[0:3], 0 offset:136
	v_cmpx_lt_u32_e32 16, v0
	s_cbranch_execz .LBB50_283
; %bb.282:
	s_clause 0x1
	buffer_load_dword v105, off, s[0:3], 0 offset:128
	buffer_load_dword v106, off, s[0:3], 0 offset:132
	buffer_store_dword v104, off, s[0:3], 0 offset:128
	buffer_store_dword v104, off, s[0:3], 0 offset:132
	s_waitcnt vmcnt(0)
	ds_write_b64 v103, v[105:106]
.LBB50_283:
	s_or_b32 exec_lo, exec_lo, s4
	s_waitcnt lgkmcnt(0)
	s_waitcnt_vscnt null, 0x0
	s_barrier
	buffer_gl0_inv
	s_clause 0x1b
	buffer_load_dword v109, off, s[0:3], 0 offset:136
	buffer_load_dword v110, off, s[0:3], 0 offset:140
	;; [unrolled: 1-line block ×28, first 2 shown]
	ds_read2_b64 v[105:108], v104 offset0:69 offset1:70
	s_clause 0x1
	buffer_load_dword v137, off, s[0:3], 0 offset:248
	buffer_load_dword v138, off, s[0:3], 0 offset:252
	s_mov_b32 s4, exec_lo
	s_waitcnt vmcnt(28) lgkmcnt(0)
	v_fma_f64 v[105:106], v[109:110], v[105:106], 0
	s_clause 0x1
	buffer_load_dword v110, off, s[0:3], 0 offset:260
	buffer_load_dword v109, off, s[0:3], 0 offset:256
	s_waitcnt vmcnt(28)
	v_fma_f64 v[111:112], v[111:112], v[107:108], v[105:106]
	ds_read2_b64 v[105:108], v104 offset0:71 offset1:72
	s_clause 0x1
	buffer_load_dword v139, off, s[0:3], 0 offset:264
	buffer_load_dword v140, off, s[0:3], 0 offset:268
	s_waitcnt vmcnt(28) lgkmcnt(0)
	v_fma_f64 v[105:106], v[113:114], v[105:106], v[111:112]
	s_clause 0x1
	buffer_load_dword v111, off, s[0:3], 0 offset:272
	buffer_load_dword v112, off, s[0:3], 0 offset:276
	s_waitcnt vmcnt(28)
	v_fma_f64 v[113:114], v[115:116], v[107:108], v[105:106]
	ds_read2_b64 v[105:108], v104 offset0:73 offset1:74
	s_clause 0x1
	buffer_load_dword v115, off, s[0:3], 0 offset:280
	buffer_load_dword v116, off, s[0:3], 0 offset:284
	s_waitcnt vmcnt(28) lgkmcnt(0)
	v_fma_f64 v[105:106], v[117:118], v[105:106], v[113:114]
	s_clause 0x1
	buffer_load_dword v114, off, s[0:3], 0 offset:292
	buffer_load_dword v113, off, s[0:3], 0 offset:288
	s_waitcnt vmcnt(28)
	v_fma_f64 v[117:118], v[119:120], v[107:108], v[105:106]
	ds_read2_b64 v[105:108], v104 offset0:75 offset1:76
	s_clause 0x1
	buffer_load_dword v119, off, s[0:3], 0 offset:296
	buffer_load_dword v120, off, s[0:3], 0 offset:300
	s_waitcnt vmcnt(28) lgkmcnt(0)
	v_fma_f64 v[105:106], v[121:122], v[105:106], v[117:118]
	s_clause 0x1
	buffer_load_dword v117, off, s[0:3], 0 offset:304
	buffer_load_dword v118, off, s[0:3], 0 offset:308
	s_waitcnt vmcnt(28)
	v_fma_f64 v[121:122], v[123:124], v[107:108], v[105:106]
	ds_read2_b64 v[105:108], v104 offset0:77 offset1:78
	s_clause 0x1
	buffer_load_dword v123, off, s[0:3], 0 offset:312
	buffer_load_dword v124, off, s[0:3], 0 offset:316
	s_waitcnt vmcnt(28) lgkmcnt(0)
	v_fma_f64 v[105:106], v[125:126], v[105:106], v[121:122]
	s_clause 0x1
	buffer_load_dword v122, off, s[0:3], 0 offset:324
	buffer_load_dword v121, off, s[0:3], 0 offset:320
	s_waitcnt vmcnt(28)
	v_fma_f64 v[125:126], v[127:128], v[107:108], v[105:106]
	ds_read2_b64 v[105:108], v104 offset0:79 offset1:80
	s_clause 0x1
	buffer_load_dword v127, off, s[0:3], 0 offset:328
	buffer_load_dword v128, off, s[0:3], 0 offset:332
	s_waitcnt vmcnt(28) lgkmcnt(0)
	v_fma_f64 v[105:106], v[129:130], v[105:106], v[125:126]
	s_clause 0x1
	buffer_load_dword v125, off, s[0:3], 0 offset:336
	buffer_load_dword v126, off, s[0:3], 0 offset:340
	s_waitcnt vmcnt(28)
	v_fma_f64 v[129:130], v[131:132], v[107:108], v[105:106]
	ds_read2_b64 v[105:108], v104 offset0:81 offset1:82
	s_clause 0x1
	buffer_load_dword v131, off, s[0:3], 0 offset:344
	buffer_load_dword v132, off, s[0:3], 0 offset:348
	s_waitcnt vmcnt(28) lgkmcnt(0)
	v_fma_f64 v[105:106], v[133:134], v[105:106], v[129:130]
	s_clause 0x1
	buffer_load_dword v130, off, s[0:3], 0 offset:356
	buffer_load_dword v129, off, s[0:3], 0 offset:352
	s_waitcnt vmcnt(28)
	v_fma_f64 v[133:134], v[135:136], v[107:108], v[105:106]
	ds_read2_b64 v[105:108], v104 offset0:83 offset1:84
	s_clause 0x1
	buffer_load_dword v135, off, s[0:3], 0 offset:360
	buffer_load_dword v136, off, s[0:3], 0 offset:364
	s_waitcnt vmcnt(28) lgkmcnt(0)
	v_fma_f64 v[105:106], v[137:138], v[105:106], v[133:134]
	s_clause 0x1
	buffer_load_dword v133, off, s[0:3], 0 offset:368
	buffer_load_dword v134, off, s[0:3], 0 offset:372
	s_waitcnt vmcnt(28)
	v_fma_f64 v[109:110], v[109:110], v[107:108], v[105:106]
	ds_read2_b64 v[105:108], v104 offset0:85 offset1:86
	s_clause 0x1
	buffer_load_dword v137, off, s[0:3], 0 offset:376
	buffer_load_dword v138, off, s[0:3], 0 offset:380
	s_waitcnt vmcnt(28) lgkmcnt(0)
	v_fma_f64 v[105:106], v[139:140], v[105:106], v[109:110]
	s_clause 0x1
	buffer_load_dword v110, off, s[0:3], 0 offset:388
	buffer_load_dword v109, off, s[0:3], 0 offset:384
	s_waitcnt vmcnt(28)
	v_fma_f64 v[111:112], v[111:112], v[107:108], v[105:106]
	ds_read2_b64 v[105:108], v104 offset0:87 offset1:88
	s_clause 0x1
	buffer_load_dword v139, off, s[0:3], 0 offset:392
	buffer_load_dword v140, off, s[0:3], 0 offset:396
	s_waitcnt vmcnt(28) lgkmcnt(0)
	v_fma_f64 v[105:106], v[115:116], v[105:106], v[111:112]
	s_clause 0x1
	buffer_load_dword v111, off, s[0:3], 0 offset:400
	buffer_load_dword v112, off, s[0:3], 0 offset:404
	s_waitcnt vmcnt(28)
	v_fma_f64 v[113:114], v[113:114], v[107:108], v[105:106]
	ds_read2_b64 v[105:108], v104 offset0:89 offset1:90
	s_clause 0x1
	buffer_load_dword v115, off, s[0:3], 0 offset:128
	buffer_load_dword v116, off, s[0:3], 0 offset:132
	s_waitcnt vmcnt(28) lgkmcnt(0)
	v_fma_f64 v[105:106], v[119:120], v[105:106], v[113:114]
	s_waitcnt vmcnt(26)
	v_fma_f64 v[113:114], v[117:118], v[107:108], v[105:106]
	ds_read2_b64 v[105:108], v104 offset0:91 offset1:92
	s_waitcnt vmcnt(24) lgkmcnt(0)
	v_fma_f64 v[105:106], v[123:124], v[105:106], v[113:114]
	s_waitcnt vmcnt(22)
	v_fma_f64 v[113:114], v[121:122], v[107:108], v[105:106]
	ds_read2_b64 v[105:108], v104 offset0:93 offset1:94
	;; [unrolled: 5-line block ×6, first 2 shown]
	s_waitcnt vmcnt(4) lgkmcnt(0)
	v_fma_f64 v[104:105], v[139:140], v[104:105], v[108:109]
	s_waitcnt vmcnt(2)
	v_fma_f64 v[104:105], v[111:112], v[106:107], v[104:105]
	s_waitcnt vmcnt(0)
	v_add_f64 v[104:105], v[115:116], -v[104:105]
	buffer_store_dword v105, off, s[0:3], 0 offset:132
	buffer_store_dword v104, off, s[0:3], 0 offset:128
	v_cmpx_lt_u32_e32 15, v0
	s_cbranch_execz .LBB50_285
; %bb.284:
	s_clause 0x1
	buffer_load_dword v104, off, s[0:3], 0 offset:120
	buffer_load_dword v105, off, s[0:3], 0 offset:124
	v_mov_b32_e32 v106, 0
	buffer_store_dword v106, off, s[0:3], 0 offset:120
	buffer_store_dword v106, off, s[0:3], 0 offset:124
	s_waitcnt vmcnt(0)
	ds_write_b64 v103, v[104:105]
.LBB50_285:
	s_or_b32 exec_lo, exec_lo, s4
	s_waitcnt lgkmcnt(0)
	s_waitcnt_vscnt null, 0x0
	s_barrier
	buffer_gl0_inv
	s_clause 0x1b
	buffer_load_dword v109, off, s[0:3], 0 offset:128
	buffer_load_dword v110, off, s[0:3], 0 offset:132
	;; [unrolled: 1-line block ×28, first 2 shown]
	v_mov_b32_e32 v104, 0
	s_mov_b32 s4, exec_lo
	ds_read_b128 v[105:108], v104 offset:544
	s_clause 0x1
	buffer_load_dword v137, off, s[0:3], 0 offset:240
	buffer_load_dword v138, off, s[0:3], 0 offset:244
	s_waitcnt vmcnt(28) lgkmcnt(0)
	v_fma_f64 v[105:106], v[109:110], v[105:106], 0
	s_clause 0x1
	buffer_load_dword v110, off, s[0:3], 0 offset:252
	buffer_load_dword v109, off, s[0:3], 0 offset:248
	s_waitcnt vmcnt(28)
	v_fma_f64 v[111:112], v[111:112], v[107:108], v[105:106]
	ds_read_b128 v[105:108], v104 offset:560
	s_clause 0x1
	buffer_load_dword v139, off, s[0:3], 0 offset:256
	buffer_load_dword v140, off, s[0:3], 0 offset:260
	s_waitcnt vmcnt(28) lgkmcnt(0)
	v_fma_f64 v[105:106], v[113:114], v[105:106], v[111:112]
	s_clause 0x1
	buffer_load_dword v111, off, s[0:3], 0 offset:264
	buffer_load_dword v112, off, s[0:3], 0 offset:268
	s_waitcnt vmcnt(28)
	v_fma_f64 v[113:114], v[115:116], v[107:108], v[105:106]
	;; [unrolled: 11-line block ×11, first 2 shown]
	ds_read_b128 v[105:108], v104 offset:720
	s_waitcnt vmcnt(26) lgkmcnt(0)
	v_fma_f64 v[105:106], v[123:124], v[105:106], v[117:118]
	s_waitcnt vmcnt(24)
	v_fma_f64 v[117:118], v[121:122], v[107:108], v[105:106]
	ds_read_b128 v[105:108], v104 offset:736
	s_waitcnt vmcnt(22) lgkmcnt(0)
	v_fma_f64 v[105:106], v[127:128], v[105:106], v[117:118]
	s_waitcnt vmcnt(20)
	v_fma_f64 v[117:118], v[125:126], v[107:108], v[105:106]
	;; [unrolled: 5-line block ×6, first 2 shown]
	ds_read_b64 v[107:108], v104 offset:816
	s_waitcnt vmcnt(2) lgkmcnt(0)
	v_fma_f64 v[105:106], v[115:116], v[107:108], v[105:106]
	s_waitcnt vmcnt(0)
	v_add_f64 v[105:106], v[113:114], -v[105:106]
	buffer_store_dword v106, off, s[0:3], 0 offset:124
	buffer_store_dword v105, off, s[0:3], 0 offset:120
	v_cmpx_lt_u32_e32 14, v0
	s_cbranch_execz .LBB50_287
; %bb.286:
	s_clause 0x1
	buffer_load_dword v105, off, s[0:3], 0 offset:112
	buffer_load_dword v106, off, s[0:3], 0 offset:116
	buffer_store_dword v104, off, s[0:3], 0 offset:112
	buffer_store_dword v104, off, s[0:3], 0 offset:116
	s_waitcnt vmcnt(0)
	ds_write_b64 v103, v[105:106]
.LBB50_287:
	s_or_b32 exec_lo, exec_lo, s4
	s_waitcnt lgkmcnt(0)
	s_waitcnt_vscnt null, 0x0
	s_barrier
	buffer_gl0_inv
	s_clause 0x1b
	buffer_load_dword v109, off, s[0:3], 0 offset:120
	buffer_load_dword v110, off, s[0:3], 0 offset:124
	;; [unrolled: 1-line block ×28, first 2 shown]
	ds_read2_b64 v[105:108], v104 offset0:67 offset1:68
	s_clause 0x1
	buffer_load_dword v137, off, s[0:3], 0 offset:232
	buffer_load_dword v138, off, s[0:3], 0 offset:236
	s_mov_b32 s4, exec_lo
	s_waitcnt vmcnt(28) lgkmcnt(0)
	v_fma_f64 v[105:106], v[109:110], v[105:106], 0
	s_clause 0x1
	buffer_load_dword v110, off, s[0:3], 0 offset:244
	buffer_load_dword v109, off, s[0:3], 0 offset:240
	s_waitcnt vmcnt(28)
	v_fma_f64 v[111:112], v[111:112], v[107:108], v[105:106]
	ds_read2_b64 v[105:108], v104 offset0:69 offset1:70
	s_clause 0x1
	buffer_load_dword v139, off, s[0:3], 0 offset:248
	buffer_load_dword v140, off, s[0:3], 0 offset:252
	s_waitcnt vmcnt(28) lgkmcnt(0)
	v_fma_f64 v[105:106], v[113:114], v[105:106], v[111:112]
	s_clause 0x1
	buffer_load_dword v111, off, s[0:3], 0 offset:256
	buffer_load_dword v112, off, s[0:3], 0 offset:260
	s_waitcnt vmcnt(28)
	v_fma_f64 v[113:114], v[115:116], v[107:108], v[105:106]
	ds_read2_b64 v[105:108], v104 offset0:71 offset1:72
	s_clause 0x1
	buffer_load_dword v115, off, s[0:3], 0 offset:264
	buffer_load_dword v116, off, s[0:3], 0 offset:268
	;; [unrolled: 11-line block ×11, first 2 shown]
	s_waitcnt vmcnt(28) lgkmcnt(0)
	v_fma_f64 v[105:106], v[123:124], v[105:106], v[117:118]
	s_waitcnt vmcnt(26)
	v_fma_f64 v[117:118], v[121:122], v[107:108], v[105:106]
	ds_read2_b64 v[105:108], v104 offset0:91 offset1:92
	s_waitcnt vmcnt(24) lgkmcnt(0)
	v_fma_f64 v[105:106], v[127:128], v[105:106], v[117:118]
	s_waitcnt vmcnt(22)
	v_fma_f64 v[117:118], v[125:126], v[107:108], v[105:106]
	ds_read2_b64 v[105:108], v104 offset0:93 offset1:94
	;; [unrolled: 5-line block ×6, first 2 shown]
	s_waitcnt vmcnt(4) lgkmcnt(0)
	v_fma_f64 v[104:105], v[115:116], v[104:105], v[108:109]
	s_waitcnt vmcnt(2)
	v_fma_f64 v[104:105], v[113:114], v[106:107], v[104:105]
	s_waitcnt vmcnt(0)
	v_add_f64 v[104:105], v[119:120], -v[104:105]
	buffer_store_dword v105, off, s[0:3], 0 offset:116
	buffer_store_dword v104, off, s[0:3], 0 offset:112
	v_cmpx_lt_u32_e32 13, v0
	s_cbranch_execz .LBB50_289
; %bb.288:
	s_clause 0x1
	buffer_load_dword v104, off, s[0:3], 0 offset:104
	buffer_load_dword v105, off, s[0:3], 0 offset:108
	v_mov_b32_e32 v106, 0
	buffer_store_dword v106, off, s[0:3], 0 offset:104
	buffer_store_dword v106, off, s[0:3], 0 offset:108
	s_waitcnt vmcnt(0)
	ds_write_b64 v103, v[104:105]
.LBB50_289:
	s_or_b32 exec_lo, exec_lo, s4
	s_waitcnt lgkmcnt(0)
	s_waitcnt_vscnt null, 0x0
	s_barrier
	buffer_gl0_inv
	s_clause 0x1b
	buffer_load_dword v109, off, s[0:3], 0 offset:112
	buffer_load_dword v110, off, s[0:3], 0 offset:116
	;; [unrolled: 1-line block ×28, first 2 shown]
	v_mov_b32_e32 v104, 0
	s_mov_b32 s4, exec_lo
	ds_read_b128 v[105:108], v104 offset:528
	s_clause 0x1
	buffer_load_dword v137, off, s[0:3], 0 offset:224
	buffer_load_dword v138, off, s[0:3], 0 offset:228
	s_waitcnt vmcnt(28) lgkmcnt(0)
	v_fma_f64 v[105:106], v[109:110], v[105:106], 0
	s_clause 0x1
	buffer_load_dword v110, off, s[0:3], 0 offset:236
	buffer_load_dword v109, off, s[0:3], 0 offset:232
	s_waitcnt vmcnt(28)
	v_fma_f64 v[111:112], v[111:112], v[107:108], v[105:106]
	ds_read_b128 v[105:108], v104 offset:544
	s_clause 0x1
	buffer_load_dword v139, off, s[0:3], 0 offset:240
	buffer_load_dword v140, off, s[0:3], 0 offset:244
	s_waitcnt vmcnt(28) lgkmcnt(0)
	v_fma_f64 v[105:106], v[113:114], v[105:106], v[111:112]
	s_clause 0x1
	buffer_load_dword v111, off, s[0:3], 0 offset:248
	buffer_load_dword v112, off, s[0:3], 0 offset:252
	s_waitcnt vmcnt(28)
	v_fma_f64 v[113:114], v[115:116], v[107:108], v[105:106]
	;; [unrolled: 11-line block ×12, first 2 shown]
	ds_read_b128 v[105:108], v104 offset:720
	s_waitcnt vmcnt(26) lgkmcnt(0)
	v_fma_f64 v[105:106], v[127:128], v[105:106], v[121:122]
	s_waitcnt vmcnt(24)
	v_fma_f64 v[121:122], v[125:126], v[107:108], v[105:106]
	ds_read_b128 v[105:108], v104 offset:736
	s_waitcnt vmcnt(22) lgkmcnt(0)
	v_fma_f64 v[105:106], v[131:132], v[105:106], v[121:122]
	s_waitcnt vmcnt(20)
	v_fma_f64 v[121:122], v[129:130], v[107:108], v[105:106]
	;; [unrolled: 5-line block ×6, first 2 shown]
	ds_read_b64 v[107:108], v104 offset:816
	s_waitcnt vmcnt(2) lgkmcnt(0)
	v_fma_f64 v[105:106], v[119:120], v[107:108], v[105:106]
	s_waitcnt vmcnt(0)
	v_add_f64 v[105:106], v[117:118], -v[105:106]
	buffer_store_dword v106, off, s[0:3], 0 offset:108
	buffer_store_dword v105, off, s[0:3], 0 offset:104
	v_cmpx_lt_u32_e32 12, v0
	s_cbranch_execz .LBB50_291
; %bb.290:
	s_clause 0x1
	buffer_load_dword v105, off, s[0:3], 0 offset:96
	buffer_load_dword v106, off, s[0:3], 0 offset:100
	buffer_store_dword v104, off, s[0:3], 0 offset:96
	buffer_store_dword v104, off, s[0:3], 0 offset:100
	s_waitcnt vmcnt(0)
	ds_write_b64 v103, v[105:106]
.LBB50_291:
	s_or_b32 exec_lo, exec_lo, s4
	s_waitcnt lgkmcnt(0)
	s_waitcnt_vscnt null, 0x0
	s_barrier
	buffer_gl0_inv
	s_clause 0x1b
	buffer_load_dword v109, off, s[0:3], 0 offset:104
	buffer_load_dword v110, off, s[0:3], 0 offset:108
	;; [unrolled: 1-line block ×28, first 2 shown]
	ds_read2_b64 v[105:108], v104 offset0:65 offset1:66
	s_clause 0x1
	buffer_load_dword v137, off, s[0:3], 0 offset:216
	buffer_load_dword v138, off, s[0:3], 0 offset:220
	s_mov_b32 s4, exec_lo
	s_waitcnt vmcnt(28) lgkmcnt(0)
	v_fma_f64 v[105:106], v[109:110], v[105:106], 0
	s_clause 0x1
	buffer_load_dword v110, off, s[0:3], 0 offset:228
	buffer_load_dword v109, off, s[0:3], 0 offset:224
	s_waitcnt vmcnt(28)
	v_fma_f64 v[111:112], v[111:112], v[107:108], v[105:106]
	ds_read2_b64 v[105:108], v104 offset0:67 offset1:68
	s_clause 0x1
	buffer_load_dword v139, off, s[0:3], 0 offset:232
	buffer_load_dword v140, off, s[0:3], 0 offset:236
	s_waitcnt vmcnt(28) lgkmcnt(0)
	v_fma_f64 v[105:106], v[113:114], v[105:106], v[111:112]
	s_clause 0x1
	buffer_load_dword v111, off, s[0:3], 0 offset:240
	buffer_load_dword v112, off, s[0:3], 0 offset:244
	s_waitcnt vmcnt(28)
	v_fma_f64 v[113:114], v[115:116], v[107:108], v[105:106]
	ds_read2_b64 v[105:108], v104 offset0:69 offset1:70
	s_clause 0x1
	buffer_load_dword v115, off, s[0:3], 0 offset:248
	buffer_load_dword v116, off, s[0:3], 0 offset:252
	;; [unrolled: 11-line block ×12, first 2 shown]
	s_waitcnt vmcnt(28) lgkmcnt(0)
	v_fma_f64 v[105:106], v[127:128], v[105:106], v[121:122]
	s_waitcnt vmcnt(26)
	v_fma_f64 v[121:122], v[125:126], v[107:108], v[105:106]
	ds_read2_b64 v[105:108], v104 offset0:91 offset1:92
	s_waitcnt vmcnt(24) lgkmcnt(0)
	v_fma_f64 v[105:106], v[131:132], v[105:106], v[121:122]
	s_waitcnt vmcnt(22)
	v_fma_f64 v[121:122], v[129:130], v[107:108], v[105:106]
	ds_read2_b64 v[105:108], v104 offset0:93 offset1:94
	;; [unrolled: 5-line block ×6, first 2 shown]
	s_waitcnt vmcnt(4) lgkmcnt(0)
	v_fma_f64 v[104:105], v[119:120], v[104:105], v[108:109]
	s_waitcnt vmcnt(2)
	v_fma_f64 v[104:105], v[117:118], v[106:107], v[104:105]
	s_waitcnt vmcnt(0)
	v_add_f64 v[104:105], v[123:124], -v[104:105]
	buffer_store_dword v105, off, s[0:3], 0 offset:100
	buffer_store_dword v104, off, s[0:3], 0 offset:96
	v_cmpx_lt_u32_e32 11, v0
	s_cbranch_execz .LBB50_293
; %bb.292:
	s_clause 0x1
	buffer_load_dword v104, off, s[0:3], 0 offset:88
	buffer_load_dword v105, off, s[0:3], 0 offset:92
	v_mov_b32_e32 v106, 0
	buffer_store_dword v106, off, s[0:3], 0 offset:88
	buffer_store_dword v106, off, s[0:3], 0 offset:92
	s_waitcnt vmcnt(0)
	ds_write_b64 v103, v[104:105]
.LBB50_293:
	s_or_b32 exec_lo, exec_lo, s4
	s_waitcnt lgkmcnt(0)
	s_waitcnt_vscnt null, 0x0
	s_barrier
	buffer_gl0_inv
	s_clause 0x1b
	buffer_load_dword v109, off, s[0:3], 0 offset:96
	buffer_load_dword v110, off, s[0:3], 0 offset:100
	;; [unrolled: 1-line block ×28, first 2 shown]
	v_mov_b32_e32 v104, 0
	s_mov_b32 s4, exec_lo
	ds_read_b128 v[105:108], v104 offset:512
	s_clause 0x1
	buffer_load_dword v137, off, s[0:3], 0 offset:208
	buffer_load_dword v138, off, s[0:3], 0 offset:212
	s_waitcnt vmcnt(28) lgkmcnt(0)
	v_fma_f64 v[105:106], v[109:110], v[105:106], 0
	s_clause 0x1
	buffer_load_dword v110, off, s[0:3], 0 offset:220
	buffer_load_dword v109, off, s[0:3], 0 offset:216
	s_waitcnt vmcnt(28)
	v_fma_f64 v[111:112], v[111:112], v[107:108], v[105:106]
	ds_read_b128 v[105:108], v104 offset:528
	s_clause 0x1
	buffer_load_dword v139, off, s[0:3], 0 offset:224
	buffer_load_dword v140, off, s[0:3], 0 offset:228
	s_waitcnt vmcnt(28) lgkmcnt(0)
	v_fma_f64 v[105:106], v[113:114], v[105:106], v[111:112]
	s_clause 0x1
	buffer_load_dword v111, off, s[0:3], 0 offset:232
	buffer_load_dword v112, off, s[0:3], 0 offset:236
	s_waitcnt vmcnt(28)
	v_fma_f64 v[113:114], v[115:116], v[107:108], v[105:106]
	;; [unrolled: 11-line block ×13, first 2 shown]
	ds_read_b128 v[105:108], v104 offset:720
	s_waitcnt vmcnt(26) lgkmcnt(0)
	v_fma_f64 v[105:106], v[131:132], v[105:106], v[125:126]
	s_waitcnt vmcnt(24)
	v_fma_f64 v[125:126], v[129:130], v[107:108], v[105:106]
	ds_read_b128 v[105:108], v104 offset:736
	s_waitcnt vmcnt(22) lgkmcnt(0)
	v_fma_f64 v[105:106], v[135:136], v[105:106], v[125:126]
	s_waitcnt vmcnt(20)
	v_fma_f64 v[125:126], v[133:134], v[107:108], v[105:106]
	;; [unrolled: 5-line block ×6, first 2 shown]
	ds_read_b64 v[107:108], v104 offset:816
	s_waitcnt vmcnt(2) lgkmcnt(0)
	v_fma_f64 v[105:106], v[123:124], v[107:108], v[105:106]
	s_waitcnt vmcnt(0)
	v_add_f64 v[105:106], v[121:122], -v[105:106]
	buffer_store_dword v106, off, s[0:3], 0 offset:92
	buffer_store_dword v105, off, s[0:3], 0 offset:88
	v_cmpx_lt_u32_e32 10, v0
	s_cbranch_execz .LBB50_295
; %bb.294:
	s_clause 0x1
	buffer_load_dword v105, off, s[0:3], 0 offset:80
	buffer_load_dword v106, off, s[0:3], 0 offset:84
	buffer_store_dword v104, off, s[0:3], 0 offset:80
	buffer_store_dword v104, off, s[0:3], 0 offset:84
	s_waitcnt vmcnt(0)
	ds_write_b64 v103, v[105:106]
.LBB50_295:
	s_or_b32 exec_lo, exec_lo, s4
	s_waitcnt lgkmcnt(0)
	s_waitcnt_vscnt null, 0x0
	s_barrier
	buffer_gl0_inv
	s_clause 0x1b
	buffer_load_dword v109, off, s[0:3], 0 offset:88
	buffer_load_dword v110, off, s[0:3], 0 offset:92
	;; [unrolled: 1-line block ×28, first 2 shown]
	ds_read2_b64 v[105:108], v104 offset0:63 offset1:64
	s_clause 0x1
	buffer_load_dword v137, off, s[0:3], 0 offset:200
	buffer_load_dword v138, off, s[0:3], 0 offset:204
	s_mov_b32 s4, exec_lo
	s_waitcnt vmcnt(28) lgkmcnt(0)
	v_fma_f64 v[105:106], v[109:110], v[105:106], 0
	s_clause 0x1
	buffer_load_dword v110, off, s[0:3], 0 offset:212
	buffer_load_dword v109, off, s[0:3], 0 offset:208
	s_waitcnt vmcnt(28)
	v_fma_f64 v[111:112], v[111:112], v[107:108], v[105:106]
	ds_read2_b64 v[105:108], v104 offset0:65 offset1:66
	s_clause 0x1
	buffer_load_dword v139, off, s[0:3], 0 offset:216
	buffer_load_dword v140, off, s[0:3], 0 offset:220
	s_waitcnt vmcnt(28) lgkmcnt(0)
	v_fma_f64 v[105:106], v[113:114], v[105:106], v[111:112]
	s_clause 0x1
	buffer_load_dword v111, off, s[0:3], 0 offset:224
	buffer_load_dword v112, off, s[0:3], 0 offset:228
	s_waitcnt vmcnt(28)
	v_fma_f64 v[113:114], v[115:116], v[107:108], v[105:106]
	ds_read2_b64 v[105:108], v104 offset0:67 offset1:68
	s_clause 0x1
	buffer_load_dword v115, off, s[0:3], 0 offset:232
	buffer_load_dword v116, off, s[0:3], 0 offset:236
	;; [unrolled: 11-line block ×13, first 2 shown]
	s_waitcnt vmcnt(28) lgkmcnt(0)
	v_fma_f64 v[105:106], v[131:132], v[105:106], v[125:126]
	s_waitcnt vmcnt(26)
	v_fma_f64 v[125:126], v[129:130], v[107:108], v[105:106]
	ds_read2_b64 v[105:108], v104 offset0:91 offset1:92
	s_waitcnt vmcnt(24) lgkmcnt(0)
	v_fma_f64 v[105:106], v[135:136], v[105:106], v[125:126]
	s_waitcnt vmcnt(22)
	v_fma_f64 v[125:126], v[133:134], v[107:108], v[105:106]
	ds_read2_b64 v[105:108], v104 offset0:93 offset1:94
	;; [unrolled: 5-line block ×6, first 2 shown]
	s_waitcnt vmcnt(4) lgkmcnt(0)
	v_fma_f64 v[104:105], v[123:124], v[104:105], v[108:109]
	s_waitcnt vmcnt(2)
	v_fma_f64 v[104:105], v[121:122], v[106:107], v[104:105]
	s_waitcnt vmcnt(0)
	v_add_f64 v[104:105], v[127:128], -v[104:105]
	buffer_store_dword v105, off, s[0:3], 0 offset:84
	buffer_store_dword v104, off, s[0:3], 0 offset:80
	v_cmpx_lt_u32_e32 9, v0
	s_cbranch_execz .LBB50_297
; %bb.296:
	s_clause 0x1
	buffer_load_dword v104, off, s[0:3], 0 offset:72
	buffer_load_dword v105, off, s[0:3], 0 offset:76
	v_mov_b32_e32 v106, 0
	buffer_store_dword v106, off, s[0:3], 0 offset:72
	buffer_store_dword v106, off, s[0:3], 0 offset:76
	s_waitcnt vmcnt(0)
	ds_write_b64 v103, v[104:105]
.LBB50_297:
	s_or_b32 exec_lo, exec_lo, s4
	s_waitcnt lgkmcnt(0)
	s_waitcnt_vscnt null, 0x0
	s_barrier
	buffer_gl0_inv
	s_clause 0x1b
	buffer_load_dword v109, off, s[0:3], 0 offset:80
	buffer_load_dword v110, off, s[0:3], 0 offset:84
	;; [unrolled: 1-line block ×28, first 2 shown]
	v_mov_b32_e32 v104, 0
	s_mov_b32 s4, exec_lo
	ds_read_b128 v[105:108], v104 offset:496
	s_clause 0x1
	buffer_load_dword v137, off, s[0:3], 0 offset:192
	buffer_load_dword v138, off, s[0:3], 0 offset:196
	s_waitcnt vmcnt(28) lgkmcnt(0)
	v_fma_f64 v[105:106], v[109:110], v[105:106], 0
	s_clause 0x1
	buffer_load_dword v110, off, s[0:3], 0 offset:204
	buffer_load_dword v109, off, s[0:3], 0 offset:200
	s_waitcnt vmcnt(28)
	v_fma_f64 v[111:112], v[111:112], v[107:108], v[105:106]
	ds_read_b128 v[105:108], v104 offset:512
	s_clause 0x1
	buffer_load_dword v139, off, s[0:3], 0 offset:208
	buffer_load_dword v140, off, s[0:3], 0 offset:212
	s_waitcnt vmcnt(28) lgkmcnt(0)
	v_fma_f64 v[105:106], v[113:114], v[105:106], v[111:112]
	s_clause 0x1
	buffer_load_dword v111, off, s[0:3], 0 offset:216
	buffer_load_dword v112, off, s[0:3], 0 offset:220
	s_waitcnt vmcnt(28)
	v_fma_f64 v[113:114], v[115:116], v[107:108], v[105:106]
	ds_read_b128 v[105:108], v104 offset:528
	s_clause 0x1
	buffer_load_dword v115, off, s[0:3], 0 offset:224
	buffer_load_dword v116, off, s[0:3], 0 offset:228
	s_waitcnt vmcnt(28) lgkmcnt(0)
	v_fma_f64 v[105:106], v[117:118], v[105:106], v[113:114]
	s_clause 0x1
	buffer_load_dword v114, off, s[0:3], 0 offset:236
	buffer_load_dword v113, off, s[0:3], 0 offset:232
	s_waitcnt vmcnt(28)
	v_fma_f64 v[117:118], v[119:120], v[107:108], v[105:106]
	ds_read_b128 v[105:108], v104 offset:544
	s_clause 0x1
	buffer_load_dword v119, off, s[0:3], 0 offset:240
	buffer_load_dword v120, off, s[0:3], 0 offset:244
	s_waitcnt vmcnt(28) lgkmcnt(0)
	v_fma_f64 v[105:106], v[121:122], v[105:106], v[117:118]
	s_clause 0x1
	buffer_load_dword v117, off, s[0:3], 0 offset:248
	buffer_load_dword v118, off, s[0:3], 0 offset:252
	s_waitcnt vmcnt(28)
	v_fma_f64 v[121:122], v[123:124], v[107:108], v[105:106]
	ds_read_b128 v[105:108], v104 offset:560
	s_clause 0x1
	buffer_load_dword v123, off, s[0:3], 0 offset:256
	buffer_load_dword v124, off, s[0:3], 0 offset:260
	s_waitcnt vmcnt(28) lgkmcnt(0)
	v_fma_f64 v[105:106], v[125:126], v[105:106], v[121:122]
	s_clause 0x1
	buffer_load_dword v122, off, s[0:3], 0 offset:268
	buffer_load_dword v121, off, s[0:3], 0 offset:264
	s_waitcnt vmcnt(28)
	v_fma_f64 v[125:126], v[127:128], v[107:108], v[105:106]
	ds_read_b128 v[105:108], v104 offset:576
	s_clause 0x1
	buffer_load_dword v127, off, s[0:3], 0 offset:272
	buffer_load_dword v128, off, s[0:3], 0 offset:276
	s_waitcnt vmcnt(28) lgkmcnt(0)
	v_fma_f64 v[105:106], v[129:130], v[105:106], v[125:126]
	s_clause 0x1
	buffer_load_dword v125, off, s[0:3], 0 offset:280
	buffer_load_dword v126, off, s[0:3], 0 offset:284
	s_waitcnt vmcnt(28)
	v_fma_f64 v[129:130], v[131:132], v[107:108], v[105:106]
	ds_read_b128 v[105:108], v104 offset:592
	s_clause 0x1
	buffer_load_dword v131, off, s[0:3], 0 offset:288
	buffer_load_dword v132, off, s[0:3], 0 offset:292
	s_waitcnt vmcnt(28) lgkmcnt(0)
	v_fma_f64 v[105:106], v[133:134], v[105:106], v[129:130]
	s_clause 0x1
	buffer_load_dword v130, off, s[0:3], 0 offset:300
	buffer_load_dword v129, off, s[0:3], 0 offset:296
	s_waitcnt vmcnt(28)
	v_fma_f64 v[133:134], v[135:136], v[107:108], v[105:106]
	ds_read_b128 v[105:108], v104 offset:608
	s_clause 0x1
	buffer_load_dword v135, off, s[0:3], 0 offset:304
	buffer_load_dword v136, off, s[0:3], 0 offset:308
	s_waitcnt vmcnt(28) lgkmcnt(0)
	v_fma_f64 v[105:106], v[137:138], v[105:106], v[133:134]
	s_clause 0x1
	buffer_load_dword v133, off, s[0:3], 0 offset:312
	buffer_load_dword v134, off, s[0:3], 0 offset:316
	s_waitcnt vmcnt(28)
	v_fma_f64 v[109:110], v[109:110], v[107:108], v[105:106]
	ds_read_b128 v[105:108], v104 offset:624
	s_clause 0x1
	buffer_load_dword v137, off, s[0:3], 0 offset:320
	buffer_load_dword v138, off, s[0:3], 0 offset:324
	s_waitcnt vmcnt(28) lgkmcnt(0)
	v_fma_f64 v[105:106], v[139:140], v[105:106], v[109:110]
	s_clause 0x1
	buffer_load_dword v110, off, s[0:3], 0 offset:332
	buffer_load_dword v109, off, s[0:3], 0 offset:328
	s_waitcnt vmcnt(28)
	v_fma_f64 v[111:112], v[111:112], v[107:108], v[105:106]
	ds_read_b128 v[105:108], v104 offset:640
	s_clause 0x1
	buffer_load_dword v139, off, s[0:3], 0 offset:336
	buffer_load_dword v140, off, s[0:3], 0 offset:340
	s_waitcnt vmcnt(28) lgkmcnt(0)
	v_fma_f64 v[105:106], v[115:116], v[105:106], v[111:112]
	s_clause 0x1
	buffer_load_dword v111, off, s[0:3], 0 offset:344
	buffer_load_dword v112, off, s[0:3], 0 offset:348
	s_waitcnt vmcnt(28)
	v_fma_f64 v[113:114], v[113:114], v[107:108], v[105:106]
	ds_read_b128 v[105:108], v104 offset:656
	s_clause 0x1
	buffer_load_dword v115, off, s[0:3], 0 offset:352
	buffer_load_dword v116, off, s[0:3], 0 offset:356
	s_waitcnt vmcnt(28) lgkmcnt(0)
	v_fma_f64 v[105:106], v[119:120], v[105:106], v[113:114]
	s_clause 0x1
	buffer_load_dword v114, off, s[0:3], 0 offset:364
	buffer_load_dword v113, off, s[0:3], 0 offset:360
	s_waitcnt vmcnt(28)
	v_fma_f64 v[117:118], v[117:118], v[107:108], v[105:106]
	ds_read_b128 v[105:108], v104 offset:672
	s_clause 0x1
	buffer_load_dword v119, off, s[0:3], 0 offset:368
	buffer_load_dword v120, off, s[0:3], 0 offset:372
	s_waitcnt vmcnt(28) lgkmcnt(0)
	v_fma_f64 v[105:106], v[123:124], v[105:106], v[117:118]
	s_clause 0x1
	buffer_load_dword v117, off, s[0:3], 0 offset:376
	buffer_load_dword v118, off, s[0:3], 0 offset:380
	s_waitcnt vmcnt(28)
	v_fma_f64 v[121:122], v[121:122], v[107:108], v[105:106]
	ds_read_b128 v[105:108], v104 offset:688
	s_clause 0x1
	buffer_load_dword v123, off, s[0:3], 0 offset:384
	buffer_load_dword v124, off, s[0:3], 0 offset:388
	s_waitcnt vmcnt(28) lgkmcnt(0)
	v_fma_f64 v[105:106], v[127:128], v[105:106], v[121:122]
	s_clause 0x1
	buffer_load_dword v122, off, s[0:3], 0 offset:396
	buffer_load_dword v121, off, s[0:3], 0 offset:392
	s_waitcnt vmcnt(28)
	v_fma_f64 v[125:126], v[125:126], v[107:108], v[105:106]
	ds_read_b128 v[105:108], v104 offset:704
	s_clause 0x1
	buffer_load_dword v127, off, s[0:3], 0 offset:400
	buffer_load_dword v128, off, s[0:3], 0 offset:404
	s_waitcnt vmcnt(28) lgkmcnt(0)
	v_fma_f64 v[105:106], v[131:132], v[105:106], v[125:126]
	s_clause 0x1
	buffer_load_dword v125, off, s[0:3], 0 offset:72
	buffer_load_dword v126, off, s[0:3], 0 offset:76
	s_waitcnt vmcnt(28)
	v_fma_f64 v[129:130], v[129:130], v[107:108], v[105:106]
	ds_read_b128 v[105:108], v104 offset:720
	s_waitcnt vmcnt(26) lgkmcnt(0)
	v_fma_f64 v[105:106], v[135:136], v[105:106], v[129:130]
	s_waitcnt vmcnt(24)
	v_fma_f64 v[129:130], v[133:134], v[107:108], v[105:106]
	ds_read_b128 v[105:108], v104 offset:736
	s_waitcnt vmcnt(22) lgkmcnt(0)
	v_fma_f64 v[105:106], v[137:138], v[105:106], v[129:130]
	s_waitcnt vmcnt(20)
	v_fma_f64 v[109:110], v[109:110], v[107:108], v[105:106]
	ds_read_b128 v[105:108], v104 offset:752
	s_waitcnt vmcnt(18) lgkmcnt(0)
	v_fma_f64 v[105:106], v[139:140], v[105:106], v[109:110]
	s_waitcnt vmcnt(16)
	v_fma_f64 v[109:110], v[111:112], v[107:108], v[105:106]
	ds_read_b128 v[105:108], v104 offset:768
	s_waitcnt vmcnt(14) lgkmcnt(0)
	v_fma_f64 v[105:106], v[115:116], v[105:106], v[109:110]
	s_waitcnt vmcnt(12)
	v_fma_f64 v[109:110], v[113:114], v[107:108], v[105:106]
	ds_read_b128 v[105:108], v104 offset:784
	s_waitcnt vmcnt(10) lgkmcnt(0)
	v_fma_f64 v[105:106], v[119:120], v[105:106], v[109:110]
	s_waitcnt vmcnt(8)
	v_fma_f64 v[109:110], v[117:118], v[107:108], v[105:106]
	ds_read_b128 v[105:108], v104 offset:800
	s_waitcnt vmcnt(6) lgkmcnt(0)
	v_fma_f64 v[105:106], v[123:124], v[105:106], v[109:110]
	s_waitcnt vmcnt(4)
	v_fma_f64 v[105:106], v[121:122], v[107:108], v[105:106]
	ds_read_b64 v[107:108], v104 offset:816
	s_waitcnt vmcnt(2) lgkmcnt(0)
	v_fma_f64 v[105:106], v[127:128], v[107:108], v[105:106]
	s_waitcnt vmcnt(0)
	v_add_f64 v[105:106], v[125:126], -v[105:106]
	buffer_store_dword v106, off, s[0:3], 0 offset:76
	buffer_store_dword v105, off, s[0:3], 0 offset:72
	v_cmpx_lt_u32_e32 8, v0
	s_cbranch_execz .LBB50_299
; %bb.298:
	s_clause 0x1
	buffer_load_dword v105, off, s[0:3], 0 offset:64
	buffer_load_dword v106, off, s[0:3], 0 offset:68
	buffer_store_dword v104, off, s[0:3], 0 offset:64
	buffer_store_dword v104, off, s[0:3], 0 offset:68
	s_waitcnt vmcnt(0)
	ds_write_b64 v103, v[105:106]
.LBB50_299:
	s_or_b32 exec_lo, exec_lo, s4
	s_waitcnt lgkmcnt(0)
	s_waitcnt_vscnt null, 0x0
	s_barrier
	buffer_gl0_inv
	s_clause 0x1b
	buffer_load_dword v109, off, s[0:3], 0 offset:72
	buffer_load_dword v110, off, s[0:3], 0 offset:76
	;; [unrolled: 1-line block ×28, first 2 shown]
	ds_read2_b64 v[105:108], v104 offset0:61 offset1:62
	s_clause 0x1
	buffer_load_dword v137, off, s[0:3], 0 offset:184
	buffer_load_dword v138, off, s[0:3], 0 offset:188
	s_mov_b32 s4, exec_lo
	s_waitcnt vmcnt(28) lgkmcnt(0)
	v_fma_f64 v[105:106], v[109:110], v[105:106], 0
	s_clause 0x1
	buffer_load_dword v110, off, s[0:3], 0 offset:196
	buffer_load_dword v109, off, s[0:3], 0 offset:192
	s_waitcnt vmcnt(28)
	v_fma_f64 v[111:112], v[111:112], v[107:108], v[105:106]
	ds_read2_b64 v[105:108], v104 offset0:63 offset1:64
	s_clause 0x1
	buffer_load_dword v139, off, s[0:3], 0 offset:200
	buffer_load_dword v140, off, s[0:3], 0 offset:204
	s_waitcnt vmcnt(28) lgkmcnt(0)
	v_fma_f64 v[105:106], v[113:114], v[105:106], v[111:112]
	s_clause 0x1
	buffer_load_dword v111, off, s[0:3], 0 offset:208
	buffer_load_dword v112, off, s[0:3], 0 offset:212
	s_waitcnt vmcnt(28)
	v_fma_f64 v[113:114], v[115:116], v[107:108], v[105:106]
	ds_read2_b64 v[105:108], v104 offset0:65 offset1:66
	s_clause 0x1
	buffer_load_dword v115, off, s[0:3], 0 offset:216
	buffer_load_dword v116, off, s[0:3], 0 offset:220
	;; [unrolled: 11-line block ×14, first 2 shown]
	s_waitcnt vmcnt(28) lgkmcnt(0)
	v_fma_f64 v[105:106], v[135:136], v[105:106], v[129:130]
	s_waitcnt vmcnt(26)
	v_fma_f64 v[129:130], v[133:134], v[107:108], v[105:106]
	ds_read2_b64 v[105:108], v104 offset0:91 offset1:92
	s_waitcnt vmcnt(24) lgkmcnt(0)
	v_fma_f64 v[105:106], v[137:138], v[105:106], v[129:130]
	s_waitcnt vmcnt(22)
	v_fma_f64 v[109:110], v[109:110], v[107:108], v[105:106]
	ds_read2_b64 v[105:108], v104 offset0:93 offset1:94
	;; [unrolled: 5-line block ×6, first 2 shown]
	s_waitcnt vmcnt(4) lgkmcnt(0)
	v_fma_f64 v[104:105], v[127:128], v[104:105], v[108:109]
	s_waitcnt vmcnt(2)
	v_fma_f64 v[104:105], v[125:126], v[106:107], v[104:105]
	s_waitcnt vmcnt(0)
	v_add_f64 v[104:105], v[131:132], -v[104:105]
	buffer_store_dword v105, off, s[0:3], 0 offset:68
	buffer_store_dword v104, off, s[0:3], 0 offset:64
	v_cmpx_lt_u32_e32 7, v0
	s_cbranch_execz .LBB50_301
; %bb.300:
	s_clause 0x1
	buffer_load_dword v104, off, s[0:3], 0 offset:56
	buffer_load_dword v105, off, s[0:3], 0 offset:60
	v_mov_b32_e32 v106, 0
	buffer_store_dword v106, off, s[0:3], 0 offset:56
	buffer_store_dword v106, off, s[0:3], 0 offset:60
	s_waitcnt vmcnt(0)
	ds_write_b64 v103, v[104:105]
.LBB50_301:
	s_or_b32 exec_lo, exec_lo, s4
	s_waitcnt lgkmcnt(0)
	s_waitcnt_vscnt null, 0x0
	s_barrier
	buffer_gl0_inv
	s_clause 0x1b
	buffer_load_dword v109, off, s[0:3], 0 offset:64
	buffer_load_dword v110, off, s[0:3], 0 offset:68
	;; [unrolled: 1-line block ×28, first 2 shown]
	v_mov_b32_e32 v104, 0
	s_mov_b32 s4, exec_lo
	ds_read_b128 v[105:108], v104 offset:480
	s_clause 0x1
	buffer_load_dword v137, off, s[0:3], 0 offset:176
	buffer_load_dword v138, off, s[0:3], 0 offset:180
	s_waitcnt vmcnt(28) lgkmcnt(0)
	v_fma_f64 v[105:106], v[109:110], v[105:106], 0
	s_clause 0x1
	buffer_load_dword v110, off, s[0:3], 0 offset:188
	buffer_load_dword v109, off, s[0:3], 0 offset:184
	s_waitcnt vmcnt(28)
	v_fma_f64 v[111:112], v[111:112], v[107:108], v[105:106]
	ds_read_b128 v[105:108], v104 offset:496
	s_clause 0x1
	buffer_load_dword v139, off, s[0:3], 0 offset:192
	buffer_load_dword v140, off, s[0:3], 0 offset:196
	s_waitcnt vmcnt(28) lgkmcnt(0)
	v_fma_f64 v[105:106], v[113:114], v[105:106], v[111:112]
	s_clause 0x1
	buffer_load_dword v111, off, s[0:3], 0 offset:200
	buffer_load_dword v112, off, s[0:3], 0 offset:204
	s_waitcnt vmcnt(28)
	v_fma_f64 v[113:114], v[115:116], v[107:108], v[105:106]
	;; [unrolled: 11-line block ×15, first 2 shown]
	ds_read_b128 v[105:108], v104 offset:720
	s_waitcnt vmcnt(26) lgkmcnt(0)
	v_fma_f64 v[105:106], v[137:138], v[105:106], v[133:134]
	s_waitcnt vmcnt(24)
	v_fma_f64 v[109:110], v[109:110], v[107:108], v[105:106]
	ds_read_b128 v[105:108], v104 offset:736
	s_waitcnt vmcnt(22) lgkmcnt(0)
	v_fma_f64 v[105:106], v[139:140], v[105:106], v[109:110]
	s_waitcnt vmcnt(20)
	v_fma_f64 v[109:110], v[111:112], v[107:108], v[105:106]
	;; [unrolled: 5-line block ×6, first 2 shown]
	ds_read_b64 v[107:108], v104 offset:816
	s_waitcnt vmcnt(2) lgkmcnt(0)
	v_fma_f64 v[105:106], v[131:132], v[107:108], v[105:106]
	s_waitcnt vmcnt(0)
	v_add_f64 v[105:106], v[129:130], -v[105:106]
	buffer_store_dword v106, off, s[0:3], 0 offset:60
	buffer_store_dword v105, off, s[0:3], 0 offset:56
	v_cmpx_lt_u32_e32 6, v0
	s_cbranch_execz .LBB50_303
; %bb.302:
	s_clause 0x1
	buffer_load_dword v105, off, s[0:3], 0 offset:48
	buffer_load_dword v106, off, s[0:3], 0 offset:52
	buffer_store_dword v104, off, s[0:3], 0 offset:48
	buffer_store_dword v104, off, s[0:3], 0 offset:52
	s_waitcnt vmcnt(0)
	ds_write_b64 v103, v[105:106]
.LBB50_303:
	s_or_b32 exec_lo, exec_lo, s4
	s_waitcnt lgkmcnt(0)
	s_waitcnt_vscnt null, 0x0
	s_barrier
	buffer_gl0_inv
	s_clause 0x1b
	buffer_load_dword v109, off, s[0:3], 0 offset:56
	buffer_load_dword v110, off, s[0:3], 0 offset:60
	;; [unrolled: 1-line block ×28, first 2 shown]
	ds_read2_b64 v[105:108], v104 offset0:59 offset1:60
	s_clause 0x1
	buffer_load_dword v137, off, s[0:3], 0 offset:168
	buffer_load_dword v138, off, s[0:3], 0 offset:172
	s_mov_b32 s4, exec_lo
	s_waitcnt vmcnt(28) lgkmcnt(0)
	v_fma_f64 v[105:106], v[109:110], v[105:106], 0
	s_clause 0x1
	buffer_load_dword v110, off, s[0:3], 0 offset:180
	buffer_load_dword v109, off, s[0:3], 0 offset:176
	s_waitcnt vmcnt(28)
	v_fma_f64 v[111:112], v[111:112], v[107:108], v[105:106]
	ds_read2_b64 v[105:108], v104 offset0:61 offset1:62
	s_clause 0x1
	buffer_load_dword v139, off, s[0:3], 0 offset:184
	buffer_load_dword v140, off, s[0:3], 0 offset:188
	s_waitcnt vmcnt(28) lgkmcnt(0)
	v_fma_f64 v[105:106], v[113:114], v[105:106], v[111:112]
	s_clause 0x1
	buffer_load_dword v111, off, s[0:3], 0 offset:192
	buffer_load_dword v112, off, s[0:3], 0 offset:196
	s_waitcnt vmcnt(28)
	v_fma_f64 v[113:114], v[115:116], v[107:108], v[105:106]
	ds_read2_b64 v[105:108], v104 offset0:63 offset1:64
	s_clause 0x1
	buffer_load_dword v115, off, s[0:3], 0 offset:200
	buffer_load_dword v116, off, s[0:3], 0 offset:204
	;; [unrolled: 11-line block ×15, first 2 shown]
	s_waitcnt vmcnt(28) lgkmcnt(0)
	v_fma_f64 v[105:106], v[137:138], v[105:106], v[133:134]
	s_waitcnt vmcnt(26)
	v_fma_f64 v[109:110], v[109:110], v[107:108], v[105:106]
	ds_read2_b64 v[105:108], v104 offset0:91 offset1:92
	s_waitcnt vmcnt(24) lgkmcnt(0)
	v_fma_f64 v[105:106], v[139:140], v[105:106], v[109:110]
	s_waitcnt vmcnt(22)
	v_fma_f64 v[109:110], v[111:112], v[107:108], v[105:106]
	ds_read2_b64 v[105:108], v104 offset0:93 offset1:94
	;; [unrolled: 5-line block ×6, first 2 shown]
	s_waitcnt vmcnt(4) lgkmcnt(0)
	v_fma_f64 v[104:105], v[131:132], v[104:105], v[108:109]
	s_waitcnt vmcnt(2)
	v_fma_f64 v[104:105], v[129:130], v[106:107], v[104:105]
	s_waitcnt vmcnt(0)
	v_add_f64 v[104:105], v[135:136], -v[104:105]
	buffer_store_dword v105, off, s[0:3], 0 offset:52
	buffer_store_dword v104, off, s[0:3], 0 offset:48
	v_cmpx_lt_u32_e32 5, v0
	s_cbranch_execz .LBB50_305
; %bb.304:
	s_clause 0x1
	buffer_load_dword v104, off, s[0:3], 0 offset:40
	buffer_load_dword v105, off, s[0:3], 0 offset:44
	v_mov_b32_e32 v106, 0
	buffer_store_dword v106, off, s[0:3], 0 offset:40
	buffer_store_dword v106, off, s[0:3], 0 offset:44
	s_waitcnt vmcnt(0)
	ds_write_b64 v103, v[104:105]
.LBB50_305:
	s_or_b32 exec_lo, exec_lo, s4
	s_waitcnt lgkmcnt(0)
	s_waitcnt_vscnt null, 0x0
	s_barrier
	buffer_gl0_inv
	s_clause 0x1b
	buffer_load_dword v109, off, s[0:3], 0 offset:48
	buffer_load_dword v110, off, s[0:3], 0 offset:52
	;; [unrolled: 1-line block ×28, first 2 shown]
	v_mov_b32_e32 v104, 0
	s_mov_b32 s4, exec_lo
	ds_read_b128 v[105:108], v104 offset:464
	s_clause 0x1
	buffer_load_dword v137, off, s[0:3], 0 offset:160
	buffer_load_dword v138, off, s[0:3], 0 offset:164
	s_waitcnt vmcnt(28) lgkmcnt(0)
	v_fma_f64 v[105:106], v[109:110], v[105:106], 0
	s_clause 0x1
	buffer_load_dword v110, off, s[0:3], 0 offset:172
	buffer_load_dword v109, off, s[0:3], 0 offset:168
	s_waitcnt vmcnt(28)
	v_fma_f64 v[111:112], v[111:112], v[107:108], v[105:106]
	ds_read_b128 v[105:108], v104 offset:480
	s_clause 0x1
	buffer_load_dword v139, off, s[0:3], 0 offset:176
	buffer_load_dword v140, off, s[0:3], 0 offset:180
	s_waitcnt vmcnt(28) lgkmcnt(0)
	v_fma_f64 v[105:106], v[113:114], v[105:106], v[111:112]
	s_clause 0x1
	buffer_load_dword v111, off, s[0:3], 0 offset:184
	buffer_load_dword v112, off, s[0:3], 0 offset:188
	s_waitcnt vmcnt(28)
	v_fma_f64 v[113:114], v[115:116], v[107:108], v[105:106]
	;; [unrolled: 11-line block ×16, first 2 shown]
	ds_read_b128 v[105:108], v104 offset:720
	s_waitcnt vmcnt(26) lgkmcnt(0)
	v_fma_f64 v[105:106], v[139:140], v[105:106], v[109:110]
	s_waitcnt vmcnt(24)
	v_fma_f64 v[109:110], v[111:112], v[107:108], v[105:106]
	ds_read_b128 v[105:108], v104 offset:736
	s_waitcnt vmcnt(22) lgkmcnt(0)
	v_fma_f64 v[105:106], v[115:116], v[105:106], v[109:110]
	s_waitcnt vmcnt(20)
	v_fma_f64 v[109:110], v[113:114], v[107:108], v[105:106]
	;; [unrolled: 5-line block ×6, first 2 shown]
	ds_read_b64 v[107:108], v104 offset:816
	s_waitcnt vmcnt(2) lgkmcnt(0)
	v_fma_f64 v[105:106], v[135:136], v[107:108], v[105:106]
	s_waitcnt vmcnt(0)
	v_add_f64 v[105:106], v[133:134], -v[105:106]
	buffer_store_dword v106, off, s[0:3], 0 offset:44
	buffer_store_dword v105, off, s[0:3], 0 offset:40
	v_cmpx_lt_u32_e32 4, v0
	s_cbranch_execz .LBB50_307
; %bb.306:
	s_clause 0x1
	buffer_load_dword v105, off, s[0:3], 0 offset:32
	buffer_load_dword v106, off, s[0:3], 0 offset:36
	buffer_store_dword v104, off, s[0:3], 0 offset:32
	buffer_store_dword v104, off, s[0:3], 0 offset:36
	s_waitcnt vmcnt(0)
	ds_write_b64 v103, v[105:106]
.LBB50_307:
	s_or_b32 exec_lo, exec_lo, s4
	s_waitcnt lgkmcnt(0)
	s_waitcnt_vscnt null, 0x0
	s_barrier
	buffer_gl0_inv
	s_clause 0x1b
	buffer_load_dword v109, off, s[0:3], 0 offset:40
	buffer_load_dword v110, off, s[0:3], 0 offset:44
	buffer_load_dword v111, off, s[0:3], 0 offset:48
	buffer_load_dword v112, off, s[0:3], 0 offset:52
	buffer_load_dword v113, off, s[0:3], 0 offset:56
	buffer_load_dword v114, off, s[0:3], 0 offset:60
	buffer_load_dword v115, off, s[0:3], 0 offset:64
	buffer_load_dword v116, off, s[0:3], 0 offset:68
	buffer_load_dword v117, off, s[0:3], 0 offset:72
	buffer_load_dword v118, off, s[0:3], 0 offset:76
	buffer_load_dword v119, off, s[0:3], 0 offset:80
	buffer_load_dword v120, off, s[0:3], 0 offset:84
	buffer_load_dword v121, off, s[0:3], 0 offset:88
	buffer_load_dword v122, off, s[0:3], 0 offset:92
	buffer_load_dword v124, off, s[0:3], 0 offset:100
	buffer_load_dword v123, off, s[0:3], 0 offset:96
	buffer_load_dword v125, off, s[0:3], 0 offset:104
	buffer_load_dword v126, off, s[0:3], 0 offset:108
	buffer_load_dword v127, off, s[0:3], 0 offset:112
	buffer_load_dword v128, off, s[0:3], 0 offset:116
	buffer_load_dword v129, off, s[0:3], 0 offset:120
	buffer_load_dword v130, off, s[0:3], 0 offset:124
	buffer_load_dword v132, off, s[0:3], 0 offset:132
	buffer_load_dword v131, off, s[0:3], 0 offset:128
	buffer_load_dword v133, off, s[0:3], 0 offset:136
	buffer_load_dword v134, off, s[0:3], 0 offset:140
	buffer_load_dword v135, off, s[0:3], 0 offset:144
	buffer_load_dword v136, off, s[0:3], 0 offset:148
	ds_read2_b64 v[105:108], v104 offset0:57 offset1:58
	s_clause 0x1
	buffer_load_dword v137, off, s[0:3], 0 offset:152
	buffer_load_dword v138, off, s[0:3], 0 offset:156
	s_mov_b32 s4, exec_lo
	s_waitcnt vmcnt(28) lgkmcnt(0)
	v_fma_f64 v[105:106], v[109:110], v[105:106], 0
	s_clause 0x1
	buffer_load_dword v110, off, s[0:3], 0 offset:164
	buffer_load_dword v109, off, s[0:3], 0 offset:160
	s_waitcnt vmcnt(28)
	v_fma_f64 v[111:112], v[111:112], v[107:108], v[105:106]
	ds_read2_b64 v[105:108], v104 offset0:59 offset1:60
	s_clause 0x1
	buffer_load_dword v139, off, s[0:3], 0 offset:168
	buffer_load_dword v140, off, s[0:3], 0 offset:172
	s_waitcnt vmcnt(28) lgkmcnt(0)
	v_fma_f64 v[105:106], v[113:114], v[105:106], v[111:112]
	s_clause 0x1
	buffer_load_dword v111, off, s[0:3], 0 offset:176
	buffer_load_dword v112, off, s[0:3], 0 offset:180
	s_waitcnt vmcnt(28)
	v_fma_f64 v[113:114], v[115:116], v[107:108], v[105:106]
	ds_read2_b64 v[105:108], v104 offset0:61 offset1:62
	s_clause 0x1
	buffer_load_dword v115, off, s[0:3], 0 offset:184
	buffer_load_dword v116, off, s[0:3], 0 offset:188
	s_waitcnt vmcnt(28) lgkmcnt(0)
	v_fma_f64 v[105:106], v[117:118], v[105:106], v[113:114]
	s_clause 0x1
	buffer_load_dword v114, off, s[0:3], 0 offset:196
	buffer_load_dword v113, off, s[0:3], 0 offset:192
	s_waitcnt vmcnt(28)
	v_fma_f64 v[117:118], v[119:120], v[107:108], v[105:106]
	ds_read2_b64 v[105:108], v104 offset0:63 offset1:64
	s_clause 0x1
	buffer_load_dword v119, off, s[0:3], 0 offset:200
	buffer_load_dword v120, off, s[0:3], 0 offset:204
	s_waitcnt vmcnt(28) lgkmcnt(0)
	v_fma_f64 v[105:106], v[121:122], v[105:106], v[117:118]
	s_clause 0x1
	buffer_load_dword v117, off, s[0:3], 0 offset:208
	buffer_load_dword v118, off, s[0:3], 0 offset:212
	s_waitcnt vmcnt(28)
	v_fma_f64 v[121:122], v[123:124], v[107:108], v[105:106]
	ds_read2_b64 v[105:108], v104 offset0:65 offset1:66
	s_clause 0x1
	buffer_load_dword v123, off, s[0:3], 0 offset:216
	buffer_load_dword v124, off, s[0:3], 0 offset:220
	s_waitcnt vmcnt(28) lgkmcnt(0)
	v_fma_f64 v[105:106], v[125:126], v[105:106], v[121:122]
	s_clause 0x1
	buffer_load_dword v122, off, s[0:3], 0 offset:228
	buffer_load_dword v121, off, s[0:3], 0 offset:224
	s_waitcnt vmcnt(28)
	v_fma_f64 v[125:126], v[127:128], v[107:108], v[105:106]
	ds_read2_b64 v[105:108], v104 offset0:67 offset1:68
	s_clause 0x1
	buffer_load_dword v127, off, s[0:3], 0 offset:232
	buffer_load_dword v128, off, s[0:3], 0 offset:236
	s_waitcnt vmcnt(28) lgkmcnt(0)
	v_fma_f64 v[105:106], v[129:130], v[105:106], v[125:126]
	s_clause 0x1
	buffer_load_dword v125, off, s[0:3], 0 offset:240
	buffer_load_dword v126, off, s[0:3], 0 offset:244
	s_waitcnt vmcnt(28)
	v_fma_f64 v[129:130], v[131:132], v[107:108], v[105:106]
	ds_read2_b64 v[105:108], v104 offset0:69 offset1:70
	s_clause 0x1
	buffer_load_dword v131, off, s[0:3], 0 offset:248
	buffer_load_dword v132, off, s[0:3], 0 offset:252
	s_waitcnt vmcnt(28) lgkmcnt(0)
	v_fma_f64 v[105:106], v[133:134], v[105:106], v[129:130]
	s_clause 0x1
	buffer_load_dword v130, off, s[0:3], 0 offset:260
	buffer_load_dword v129, off, s[0:3], 0 offset:256
	s_waitcnt vmcnt(28)
	v_fma_f64 v[133:134], v[135:136], v[107:108], v[105:106]
	ds_read2_b64 v[105:108], v104 offset0:71 offset1:72
	s_clause 0x1
	buffer_load_dword v135, off, s[0:3], 0 offset:264
	buffer_load_dword v136, off, s[0:3], 0 offset:268
	s_waitcnt vmcnt(28) lgkmcnt(0)
	v_fma_f64 v[105:106], v[137:138], v[105:106], v[133:134]
	s_clause 0x1
	buffer_load_dword v133, off, s[0:3], 0 offset:272
	buffer_load_dword v134, off, s[0:3], 0 offset:276
	s_waitcnt vmcnt(28)
	v_fma_f64 v[109:110], v[109:110], v[107:108], v[105:106]
	ds_read2_b64 v[105:108], v104 offset0:73 offset1:74
	s_clause 0x1
	buffer_load_dword v137, off, s[0:3], 0 offset:280
	buffer_load_dword v138, off, s[0:3], 0 offset:284
	s_waitcnt vmcnt(28) lgkmcnt(0)
	v_fma_f64 v[105:106], v[139:140], v[105:106], v[109:110]
	s_clause 0x1
	buffer_load_dword v110, off, s[0:3], 0 offset:292
	buffer_load_dword v109, off, s[0:3], 0 offset:288
	s_waitcnt vmcnt(28)
	v_fma_f64 v[111:112], v[111:112], v[107:108], v[105:106]
	ds_read2_b64 v[105:108], v104 offset0:75 offset1:76
	s_clause 0x1
	buffer_load_dword v139, off, s[0:3], 0 offset:296
	buffer_load_dword v140, off, s[0:3], 0 offset:300
	s_waitcnt vmcnt(28) lgkmcnt(0)
	v_fma_f64 v[105:106], v[115:116], v[105:106], v[111:112]
	s_clause 0x1
	buffer_load_dword v111, off, s[0:3], 0 offset:304
	buffer_load_dword v112, off, s[0:3], 0 offset:308
	s_waitcnt vmcnt(28)
	v_fma_f64 v[113:114], v[113:114], v[107:108], v[105:106]
	ds_read2_b64 v[105:108], v104 offset0:77 offset1:78
	s_clause 0x1
	buffer_load_dword v115, off, s[0:3], 0 offset:312
	buffer_load_dword v116, off, s[0:3], 0 offset:316
	s_waitcnt vmcnt(28) lgkmcnt(0)
	v_fma_f64 v[105:106], v[119:120], v[105:106], v[113:114]
	s_clause 0x1
	buffer_load_dword v114, off, s[0:3], 0 offset:324
	buffer_load_dword v113, off, s[0:3], 0 offset:320
	s_waitcnt vmcnt(28)
	v_fma_f64 v[117:118], v[117:118], v[107:108], v[105:106]
	ds_read2_b64 v[105:108], v104 offset0:79 offset1:80
	s_clause 0x1
	buffer_load_dword v119, off, s[0:3], 0 offset:328
	buffer_load_dword v120, off, s[0:3], 0 offset:332
	s_waitcnt vmcnt(28) lgkmcnt(0)
	v_fma_f64 v[105:106], v[123:124], v[105:106], v[117:118]
	s_clause 0x1
	buffer_load_dword v117, off, s[0:3], 0 offset:336
	buffer_load_dword v118, off, s[0:3], 0 offset:340
	s_waitcnt vmcnt(28)
	v_fma_f64 v[121:122], v[121:122], v[107:108], v[105:106]
	ds_read2_b64 v[105:108], v104 offset0:81 offset1:82
	s_clause 0x1
	buffer_load_dword v123, off, s[0:3], 0 offset:344
	buffer_load_dword v124, off, s[0:3], 0 offset:348
	s_waitcnt vmcnt(28) lgkmcnt(0)
	v_fma_f64 v[105:106], v[127:128], v[105:106], v[121:122]
	s_clause 0x1
	buffer_load_dword v122, off, s[0:3], 0 offset:356
	buffer_load_dword v121, off, s[0:3], 0 offset:352
	s_waitcnt vmcnt(28)
	v_fma_f64 v[125:126], v[125:126], v[107:108], v[105:106]
	ds_read2_b64 v[105:108], v104 offset0:83 offset1:84
	s_clause 0x1
	buffer_load_dword v127, off, s[0:3], 0 offset:360
	buffer_load_dword v128, off, s[0:3], 0 offset:364
	s_waitcnt vmcnt(28) lgkmcnt(0)
	v_fma_f64 v[105:106], v[131:132], v[105:106], v[125:126]
	s_clause 0x1
	buffer_load_dword v125, off, s[0:3], 0 offset:368
	buffer_load_dword v126, off, s[0:3], 0 offset:372
	s_waitcnt vmcnt(28)
	v_fma_f64 v[129:130], v[129:130], v[107:108], v[105:106]
	ds_read2_b64 v[105:108], v104 offset0:85 offset1:86
	s_clause 0x1
	buffer_load_dword v131, off, s[0:3], 0 offset:376
	buffer_load_dword v132, off, s[0:3], 0 offset:380
	s_waitcnt vmcnt(28) lgkmcnt(0)
	v_fma_f64 v[105:106], v[135:136], v[105:106], v[129:130]
	s_clause 0x1
	buffer_load_dword v130, off, s[0:3], 0 offset:388
	buffer_load_dword v129, off, s[0:3], 0 offset:384
	s_waitcnt vmcnt(28)
	v_fma_f64 v[133:134], v[133:134], v[107:108], v[105:106]
	ds_read2_b64 v[105:108], v104 offset0:87 offset1:88
	s_clause 0x1
	buffer_load_dword v135, off, s[0:3], 0 offset:392
	buffer_load_dword v136, off, s[0:3], 0 offset:396
	s_waitcnt vmcnt(28) lgkmcnt(0)
	v_fma_f64 v[105:106], v[137:138], v[105:106], v[133:134]
	s_clause 0x1
	buffer_load_dword v133, off, s[0:3], 0 offset:400
	buffer_load_dword v134, off, s[0:3], 0 offset:404
	s_waitcnt vmcnt(28)
	v_fma_f64 v[109:110], v[109:110], v[107:108], v[105:106]
	ds_read2_b64 v[105:108], v104 offset0:89 offset1:90
	s_clause 0x1
	buffer_load_dword v137, off, s[0:3], 0 offset:32
	buffer_load_dword v138, off, s[0:3], 0 offset:36
	s_waitcnt vmcnt(28) lgkmcnt(0)
	v_fma_f64 v[105:106], v[139:140], v[105:106], v[109:110]
	s_waitcnt vmcnt(26)
	v_fma_f64 v[109:110], v[111:112], v[107:108], v[105:106]
	ds_read2_b64 v[105:108], v104 offset0:91 offset1:92
	s_waitcnt vmcnt(24) lgkmcnt(0)
	v_fma_f64 v[105:106], v[115:116], v[105:106], v[109:110]
	s_waitcnt vmcnt(22)
	v_fma_f64 v[109:110], v[113:114], v[107:108], v[105:106]
	ds_read2_b64 v[105:108], v104 offset0:93 offset1:94
	s_waitcnt vmcnt(20) lgkmcnt(0)
	v_fma_f64 v[105:106], v[119:120], v[105:106], v[109:110]
	s_waitcnt vmcnt(18)
	v_fma_f64 v[109:110], v[117:118], v[107:108], v[105:106]
	ds_read2_b64 v[105:108], v104 offset0:95 offset1:96
	s_waitcnt vmcnt(16) lgkmcnt(0)
	v_fma_f64 v[105:106], v[123:124], v[105:106], v[109:110]
	s_waitcnt vmcnt(14)
	v_fma_f64 v[109:110], v[121:122], v[107:108], v[105:106]
	ds_read2_b64 v[105:108], v104 offset0:97 offset1:98
	s_waitcnt vmcnt(12) lgkmcnt(0)
	v_fma_f64 v[105:106], v[127:128], v[105:106], v[109:110]
	s_waitcnt vmcnt(10)
	v_fma_f64 v[109:110], v[125:126], v[107:108], v[105:106]
	ds_read2_b64 v[105:108], v104 offset0:99 offset1:100
	s_waitcnt vmcnt(8) lgkmcnt(0)
	v_fma_f64 v[105:106], v[131:132], v[105:106], v[109:110]
	s_waitcnt vmcnt(6)
	v_fma_f64 v[108:109], v[129:130], v[107:108], v[105:106]
	ds_read2_b64 v[104:107], v104 offset0:101 offset1:102
	s_waitcnt vmcnt(4) lgkmcnt(0)
	v_fma_f64 v[104:105], v[135:136], v[104:105], v[108:109]
	s_waitcnt vmcnt(2)
	v_fma_f64 v[104:105], v[133:134], v[106:107], v[104:105]
	s_waitcnt vmcnt(0)
	v_add_f64 v[104:105], v[137:138], -v[104:105]
	buffer_store_dword v105, off, s[0:3], 0 offset:36
	buffer_store_dword v104, off, s[0:3], 0 offset:32
	v_cmpx_lt_u32_e32 3, v0
	s_cbranch_execz .LBB50_309
; %bb.308:
	s_clause 0x1
	buffer_load_dword v104, off, s[0:3], 0 offset:24
	buffer_load_dword v105, off, s[0:3], 0 offset:28
	v_mov_b32_e32 v106, 0
	buffer_store_dword v106, off, s[0:3], 0 offset:24
	buffer_store_dword v106, off, s[0:3], 0 offset:28
	s_waitcnt vmcnt(0)
	ds_write_b64 v103, v[104:105]
.LBB50_309:
	s_or_b32 exec_lo, exec_lo, s4
	s_waitcnt lgkmcnt(0)
	s_waitcnt_vscnt null, 0x0
	s_barrier
	buffer_gl0_inv
	s_clause 0x1b
	buffer_load_dword v109, off, s[0:3], 0 offset:32
	buffer_load_dword v110, off, s[0:3], 0 offset:36
	;; [unrolled: 1-line block ×28, first 2 shown]
	v_mov_b32_e32 v104, 0
	s_mov_b32 s4, exec_lo
	ds_read_b128 v[105:108], v104 offset:448
	s_clause 0x1
	buffer_load_dword v137, off, s[0:3], 0 offset:144
	buffer_load_dword v138, off, s[0:3], 0 offset:148
	s_waitcnt vmcnt(28) lgkmcnt(0)
	v_fma_f64 v[105:106], v[109:110], v[105:106], 0
	s_clause 0x1
	buffer_load_dword v110, off, s[0:3], 0 offset:156
	buffer_load_dword v109, off, s[0:3], 0 offset:152
	s_waitcnt vmcnt(28)
	v_fma_f64 v[111:112], v[111:112], v[107:108], v[105:106]
	ds_read_b128 v[105:108], v104 offset:464
	s_clause 0x1
	buffer_load_dword v139, off, s[0:3], 0 offset:160
	buffer_load_dword v140, off, s[0:3], 0 offset:164
	s_waitcnt vmcnt(28) lgkmcnt(0)
	v_fma_f64 v[105:106], v[113:114], v[105:106], v[111:112]
	s_clause 0x1
	buffer_load_dword v111, off, s[0:3], 0 offset:168
	buffer_load_dword v112, off, s[0:3], 0 offset:172
	s_waitcnt vmcnt(28)
	v_fma_f64 v[113:114], v[115:116], v[107:108], v[105:106]
	;; [unrolled: 11-line block ×17, first 2 shown]
	ds_read_b128 v[105:108], v104 offset:720
	s_waitcnt vmcnt(26) lgkmcnt(0)
	v_fma_f64 v[105:106], v[115:116], v[105:106], v[111:112]
	s_waitcnt vmcnt(24)
	v_fma_f64 v[111:112], v[113:114], v[107:108], v[105:106]
	ds_read_b128 v[105:108], v104 offset:736
	s_waitcnt vmcnt(22) lgkmcnt(0)
	v_fma_f64 v[105:106], v[119:120], v[105:106], v[111:112]
	s_waitcnt vmcnt(20)
	v_fma_f64 v[111:112], v[117:118], v[107:108], v[105:106]
	;; [unrolled: 5-line block ×6, first 2 shown]
	ds_read_b64 v[107:108], v104 offset:816
	s_waitcnt vmcnt(2) lgkmcnt(0)
	v_fma_f64 v[105:106], v[137:138], v[107:108], v[105:106]
	s_waitcnt vmcnt(0)
	v_add_f64 v[105:106], v[109:110], -v[105:106]
	buffer_store_dword v106, off, s[0:3], 0 offset:28
	buffer_store_dword v105, off, s[0:3], 0 offset:24
	v_cmpx_lt_u32_e32 2, v0
	s_cbranch_execz .LBB50_311
; %bb.310:
	s_clause 0x1
	buffer_load_dword v105, off, s[0:3], 0 offset:16
	buffer_load_dword v106, off, s[0:3], 0 offset:20
	buffer_store_dword v104, off, s[0:3], 0 offset:16
	buffer_store_dword v104, off, s[0:3], 0 offset:20
	s_waitcnt vmcnt(0)
	ds_write_b64 v103, v[105:106]
.LBB50_311:
	s_or_b32 exec_lo, exec_lo, s4
	s_waitcnt lgkmcnt(0)
	s_waitcnt_vscnt null, 0x0
	s_barrier
	buffer_gl0_inv
	s_clause 0x1b
	buffer_load_dword v109, off, s[0:3], 0 offset:24
	buffer_load_dword v110, off, s[0:3], 0 offset:28
	;; [unrolled: 1-line block ×28, first 2 shown]
	ds_read2_b64 v[105:108], v104 offset0:55 offset1:56
	s_clause 0x1
	buffer_load_dword v137, off, s[0:3], 0 offset:136
	buffer_load_dword v138, off, s[0:3], 0 offset:140
	s_mov_b32 s4, exec_lo
	s_waitcnt vmcnt(28) lgkmcnt(0)
	v_fma_f64 v[105:106], v[109:110], v[105:106], 0
	s_clause 0x1
	buffer_load_dword v110, off, s[0:3], 0 offset:148
	buffer_load_dword v109, off, s[0:3], 0 offset:144
	s_waitcnt vmcnt(28)
	v_fma_f64 v[111:112], v[111:112], v[107:108], v[105:106]
	ds_read2_b64 v[105:108], v104 offset0:57 offset1:58
	s_clause 0x1
	buffer_load_dword v139, off, s[0:3], 0 offset:152
	buffer_load_dword v140, off, s[0:3], 0 offset:156
	s_waitcnt vmcnt(28) lgkmcnt(0)
	v_fma_f64 v[105:106], v[113:114], v[105:106], v[111:112]
	s_clause 0x1
	buffer_load_dword v111, off, s[0:3], 0 offset:160
	buffer_load_dword v112, off, s[0:3], 0 offset:164
	s_waitcnt vmcnt(28)
	v_fma_f64 v[113:114], v[115:116], v[107:108], v[105:106]
	ds_read2_b64 v[105:108], v104 offset0:59 offset1:60
	s_clause 0x1
	buffer_load_dword v115, off, s[0:3], 0 offset:168
	buffer_load_dword v116, off, s[0:3], 0 offset:172
	;; [unrolled: 11-line block ×17, first 2 shown]
	s_waitcnt vmcnt(28) lgkmcnt(0)
	v_fma_f64 v[105:106], v[115:116], v[105:106], v[111:112]
	s_waitcnt vmcnt(26)
	v_fma_f64 v[111:112], v[113:114], v[107:108], v[105:106]
	ds_read2_b64 v[105:108], v104 offset0:91 offset1:92
	s_waitcnt vmcnt(24) lgkmcnt(0)
	v_fma_f64 v[105:106], v[119:120], v[105:106], v[111:112]
	s_waitcnt vmcnt(22)
	v_fma_f64 v[111:112], v[117:118], v[107:108], v[105:106]
	ds_read2_b64 v[105:108], v104 offset0:93 offset1:94
	;; [unrolled: 5-line block ×6, first 2 shown]
	s_waitcnt vmcnt(4) lgkmcnt(0)
	v_fma_f64 v[104:105], v[137:138], v[104:105], v[111:112]
	s_waitcnt vmcnt(2)
	v_fma_f64 v[104:105], v[109:110], v[106:107], v[104:105]
	s_waitcnt vmcnt(0)
	v_add_f64 v[104:105], v[139:140], -v[104:105]
	buffer_store_dword v105, off, s[0:3], 0 offset:20
	buffer_store_dword v104, off, s[0:3], 0 offset:16
	v_cmpx_lt_u32_e32 1, v0
	s_cbranch_execz .LBB50_313
; %bb.312:
	s_clause 0x1
	buffer_load_dword v104, off, s[0:3], 0 offset:8
	buffer_load_dword v105, off, s[0:3], 0 offset:12
	v_mov_b32_e32 v106, 0
	buffer_store_dword v106, off, s[0:3], 0 offset:8
	buffer_store_dword v106, off, s[0:3], 0 offset:12
	s_waitcnt vmcnt(0)
	ds_write_b64 v103, v[104:105]
.LBB50_313:
	s_or_b32 exec_lo, exec_lo, s4
	s_waitcnt lgkmcnt(0)
	s_waitcnt_vscnt null, 0x0
	s_barrier
	buffer_gl0_inv
	s_clause 0x1b
	buffer_load_dword v109, off, s[0:3], 0 offset:16
	buffer_load_dword v110, off, s[0:3], 0 offset:20
	;; [unrolled: 1-line block ×28, first 2 shown]
	v_mov_b32_e32 v104, 0
	s_mov_b32 s4, exec_lo
	ds_read_b128 v[105:108], v104 offset:432
	s_clause 0x1
	buffer_load_dword v137, off, s[0:3], 0 offset:128
	buffer_load_dword v138, off, s[0:3], 0 offset:132
	s_waitcnt vmcnt(28) lgkmcnt(0)
	v_fma_f64 v[105:106], v[109:110], v[105:106], 0
	s_clause 0x1
	buffer_load_dword v110, off, s[0:3], 0 offset:140
	buffer_load_dword v109, off, s[0:3], 0 offset:136
	s_waitcnt vmcnt(28)
	v_fma_f64 v[111:112], v[111:112], v[107:108], v[105:106]
	ds_read_b128 v[105:108], v104 offset:448
	s_clause 0x1
	buffer_load_dword v139, off, s[0:3], 0 offset:144
	buffer_load_dword v140, off, s[0:3], 0 offset:148
	s_waitcnt vmcnt(28) lgkmcnt(0)
	v_fma_f64 v[105:106], v[113:114], v[105:106], v[111:112]
	s_clause 0x1
	buffer_load_dword v111, off, s[0:3], 0 offset:152
	buffer_load_dword v112, off, s[0:3], 0 offset:156
	s_waitcnt vmcnt(28)
	v_fma_f64 v[113:114], v[115:116], v[107:108], v[105:106]
	;; [unrolled: 11-line block ×18, first 2 shown]
	ds_read_b128 v[105:108], v104 offset:720
	s_waitcnt vmcnt(26) lgkmcnt(0)
	v_fma_f64 v[105:106], v[119:120], v[105:106], v[113:114]
	s_waitcnt vmcnt(24)
	v_fma_f64 v[113:114], v[117:118], v[107:108], v[105:106]
	ds_read_b128 v[105:108], v104 offset:736
	s_waitcnt vmcnt(22) lgkmcnt(0)
	v_fma_f64 v[105:106], v[123:124], v[105:106], v[113:114]
	s_waitcnt vmcnt(20)
	v_fma_f64 v[113:114], v[121:122], v[107:108], v[105:106]
	;; [unrolled: 5-line block ×6, first 2 shown]
	ds_read_b64 v[107:108], v104 offset:816
	s_waitcnt vmcnt(2) lgkmcnt(0)
	v_fma_f64 v[105:106], v[139:140], v[107:108], v[105:106]
	s_waitcnt vmcnt(0)
	v_add_f64 v[105:106], v[111:112], -v[105:106]
	buffer_store_dword v106, off, s[0:3], 0 offset:12
	buffer_store_dword v105, off, s[0:3], 0 offset:8
	v_cmpx_ne_u32_e32 0, v0
	s_cbranch_execz .LBB50_315
; %bb.314:
	s_clause 0x1
	buffer_load_dword v105, off, s[0:3], 0
	buffer_load_dword v106, off, s[0:3], 0 offset:4
	buffer_store_dword v104, off, s[0:3], 0
	buffer_store_dword v104, off, s[0:3], 0 offset:4
	s_waitcnt vmcnt(0)
	ds_write_b64 v103, v[105:106]
.LBB50_315:
	s_or_b32 exec_lo, exec_lo, s4
	s_waitcnt lgkmcnt(0)
	s_waitcnt_vscnt null, 0x0
	s_barrier
	buffer_gl0_inv
	s_clause 0x1b
	buffer_load_dword v109, off, s[0:3], 0 offset:8
	buffer_load_dword v110, off, s[0:3], 0 offset:12
	;; [unrolled: 1-line block ×28, first 2 shown]
	ds_read2_b64 v[105:108], v104 offset0:53 offset1:54
	s_clause 0x1
	buffer_load_dword v137, off, s[0:3], 0 offset:120
	buffer_load_dword v138, off, s[0:3], 0 offset:124
	s_and_b32 vcc_lo, exec_lo, s22
	s_waitcnt vmcnt(28) lgkmcnt(0)
	v_fma_f64 v[105:106], v[109:110], v[105:106], 0
	s_clause 0x1
	buffer_load_dword v110, off, s[0:3], 0 offset:132
	buffer_load_dword v109, off, s[0:3], 0 offset:128
	s_waitcnt vmcnt(28)
	v_fma_f64 v[111:112], v[111:112], v[107:108], v[105:106]
	ds_read2_b64 v[105:108], v104 offset0:55 offset1:56
	s_clause 0x1
	buffer_load_dword v139, off, s[0:3], 0 offset:136
	buffer_load_dword v140, off, s[0:3], 0 offset:140
	s_waitcnt vmcnt(28) lgkmcnt(0)
	v_fma_f64 v[105:106], v[113:114], v[105:106], v[111:112]
	s_clause 0x1
	buffer_load_dword v111, off, s[0:3], 0 offset:144
	buffer_load_dword v112, off, s[0:3], 0 offset:148
	s_waitcnt vmcnt(28)
	v_fma_f64 v[113:114], v[115:116], v[107:108], v[105:106]
	ds_read2_b64 v[105:108], v104 offset0:57 offset1:58
	s_clause 0x1
	buffer_load_dword v115, off, s[0:3], 0 offset:152
	buffer_load_dword v116, off, s[0:3], 0 offset:156
	;; [unrolled: 11-line block ×17, first 2 shown]
	s_waitcnt vmcnt(28) lgkmcnt(0)
	v_fma_f64 v[107:108], v[115:116], v[107:108], v[111:112]
	s_clause 0x1
	buffer_load_dword v111, off, s[0:3], 0 offset:400
	buffer_load_dword v112, off, s[0:3], 0 offset:404
	s_waitcnt vmcnt(28)
	v_fma_f64 v[113:114], v[113:114], v[109:110], v[107:108]
	ds_read2_b64 v[107:110], v104 offset0:89 offset1:90
	s_clause 0x1
	buffer_load_dword v115, off, s[0:3], 0
	buffer_load_dword v116, off, s[0:3], 0 offset:4
	s_waitcnt vmcnt(28) lgkmcnt(0)
	v_fma_f64 v[107:108], v[119:120], v[107:108], v[113:114]
	s_waitcnt vmcnt(26)
	v_fma_f64 v[113:114], v[117:118], v[109:110], v[107:108]
	ds_read2_b64 v[107:110], v104 offset0:91 offset1:92
	s_waitcnt vmcnt(24) lgkmcnt(0)
	v_fma_f64 v[107:108], v[123:124], v[107:108], v[113:114]
	s_waitcnt vmcnt(22)
	v_fma_f64 v[113:114], v[121:122], v[109:110], v[107:108]
	ds_read2_b64 v[107:110], v104 offset0:93 offset1:94
	;; [unrolled: 5-line block ×6, first 2 shown]
	s_waitcnt vmcnt(4) lgkmcnt(0)
	v_fma_f64 v[103:104], v[105:106], v[107:108], v[113:114]
	s_waitcnt vmcnt(2)
	v_fma_f64 v[103:104], v[111:112], v[109:110], v[103:104]
	s_waitcnt vmcnt(0)
	v_add_f64 v[103:104], v[115:116], -v[103:104]
	buffer_store_dword v104, off, s[0:3], 0 offset:4
	buffer_store_dword v103, off, s[0:3], 0
	s_cbranch_vccz .LBB50_416
; %bb.316:
	v_mov_b32_e32 v0, 0
	global_load_dword v103, v0, s[20:21] offset:196
	s_waitcnt vmcnt(0)
	v_add_nc_u32_e32 v103, -1, v103
	v_cmp_ne_u32_e32 vcc_lo, 49, v103
	s_cbranch_vccz .LBB50_318
; %bb.317:
	v_lshlrev_b32_e32 v103, 3, v103
	s_clause 0x1
	buffer_load_dword v104, v103, s[0:3], 0 offen
	buffer_load_dword v107, v103, s[0:3], 0 offen offset:4
	s_waitcnt vmcnt(1)
	buffer_store_dword v104, off, s[0:3], 0 offset:392
	s_waitcnt vmcnt(0)
	buffer_store_dword v107, off, s[0:3], 0 offset:396
	buffer_store_dword v105, v103, s[0:3], 0 offen
	buffer_store_dword v106, v103, s[0:3], 0 offen offset:4
.LBB50_318:
	global_load_dword v0, v0, s[20:21] offset:192
	s_waitcnt vmcnt(0)
	v_add_nc_u32_e32 v0, -1, v0
	v_cmp_eq_u32_e32 vcc_lo, 48, v0
	s_cbranch_vccnz .LBB50_320
; %bb.319:
	v_lshlrev_b32_e32 v0, 3, v0
	s_clause 0x3
	buffer_load_dword v103, v0, s[0:3], 0 offen
	buffer_load_dword v104, v0, s[0:3], 0 offen offset:4
	buffer_load_dword v105, off, s[0:3], 0 offset:388
	buffer_load_dword v106, off, s[0:3], 0 offset:384
	s_waitcnt vmcnt(3)
	buffer_store_dword v103, off, s[0:3], 0 offset:384
	s_waitcnt vmcnt(2)
	buffer_store_dword v104, off, s[0:3], 0 offset:388
	s_waitcnt vmcnt(1)
	buffer_store_dword v105, v0, s[0:3], 0 offen offset:4
	s_waitcnt vmcnt(0)
	buffer_store_dword v106, v0, s[0:3], 0 offen
.LBB50_320:
	v_mov_b32_e32 v0, 0
	global_load_dword v103, v0, s[20:21] offset:188
	s_waitcnt vmcnt(0)
	v_add_nc_u32_e32 v103, -1, v103
	v_cmp_eq_u32_e32 vcc_lo, 47, v103
	s_cbranch_vccnz .LBB50_322
; %bb.321:
	v_lshlrev_b32_e32 v103, 3, v103
	s_clause 0x3
	buffer_load_dword v104, v103, s[0:3], 0 offen
	buffer_load_dword v105, v103, s[0:3], 0 offen offset:4
	buffer_load_dword v106, off, s[0:3], 0 offset:376
	buffer_load_dword v107, off, s[0:3], 0 offset:380
	s_waitcnt vmcnt(3)
	buffer_store_dword v104, off, s[0:3], 0 offset:376
	s_waitcnt vmcnt(2)
	buffer_store_dword v105, off, s[0:3], 0 offset:380
	s_waitcnt vmcnt(1)
	buffer_store_dword v106, v103, s[0:3], 0 offen
	s_waitcnt vmcnt(0)
	buffer_store_dword v107, v103, s[0:3], 0 offen offset:4
.LBB50_322:
	global_load_dword v0, v0, s[20:21] offset:184
	s_waitcnt vmcnt(0)
	v_add_nc_u32_e32 v0, -1, v0
	v_cmp_eq_u32_e32 vcc_lo, 46, v0
	s_cbranch_vccnz .LBB50_324
; %bb.323:
	v_lshlrev_b32_e32 v0, 3, v0
	s_clause 0x3
	buffer_load_dword v103, v0, s[0:3], 0 offen
	buffer_load_dword v104, v0, s[0:3], 0 offen offset:4
	buffer_load_dword v105, off, s[0:3], 0 offset:372
	buffer_load_dword v106, off, s[0:3], 0 offset:368
	s_waitcnt vmcnt(3)
	buffer_store_dword v103, off, s[0:3], 0 offset:368
	s_waitcnt vmcnt(2)
	buffer_store_dword v104, off, s[0:3], 0 offset:372
	s_waitcnt vmcnt(1)
	buffer_store_dword v105, v0, s[0:3], 0 offen offset:4
	s_waitcnt vmcnt(0)
	buffer_store_dword v106, v0, s[0:3], 0 offen
.LBB50_324:
	v_mov_b32_e32 v0, 0
	global_load_dword v103, v0, s[20:21] offset:180
	s_waitcnt vmcnt(0)
	v_add_nc_u32_e32 v103, -1, v103
	v_cmp_eq_u32_e32 vcc_lo, 45, v103
	s_cbranch_vccnz .LBB50_326
; %bb.325:
	v_lshlrev_b32_e32 v103, 3, v103
	s_clause 0x3
	buffer_load_dword v104, v103, s[0:3], 0 offen
	buffer_load_dword v105, v103, s[0:3], 0 offen offset:4
	buffer_load_dword v106, off, s[0:3], 0 offset:360
	buffer_load_dword v107, off, s[0:3], 0 offset:364
	s_waitcnt vmcnt(3)
	buffer_store_dword v104, off, s[0:3], 0 offset:360
	s_waitcnt vmcnt(2)
	buffer_store_dword v105, off, s[0:3], 0 offset:364
	s_waitcnt vmcnt(1)
	buffer_store_dword v106, v103, s[0:3], 0 offen
	s_waitcnt vmcnt(0)
	buffer_store_dword v107, v103, s[0:3], 0 offen offset:4
.LBB50_326:
	;; [unrolled: 43-line block ×24, first 2 shown]
	global_load_dword v0, v0, s[20:21]
	s_clause 0x1
	buffer_load_dword v103, off, s[0:3], 0
	buffer_load_dword v104, off, s[0:3], 0 offset:4
	s_waitcnt vmcnt(2)
	v_add_nc_u32_e32 v0, -1, v0
	v_cmp_eq_u32_e32 vcc_lo, 0, v0
	s_cbranch_vccnz .LBB50_416
; %bb.415:
	v_lshlrev_b32_e32 v0, 3, v0
	s_clause 0x1
	buffer_load_dword v105, v0, s[0:3], 0 offen offset:4
	buffer_load_dword v106, v0, s[0:3], 0 offen
	s_waitcnt vmcnt(1)
	buffer_store_dword v105, off, s[0:3], 0 offset:4
	s_waitcnt vmcnt(0)
	buffer_store_dword v106, off, s[0:3], 0
	buffer_store_dword v104, v0, s[0:3], 0 offen offset:4
	buffer_store_dword v103, v0, s[0:3], 0 offen
	s_clause 0x1
	buffer_load_dword v103, off, s[0:3], 0
	buffer_load_dword v104, off, s[0:3], 0 offset:4
.LBB50_416:
	s_clause 0x1d
	buffer_load_dword v105, off, s[0:3], 0 offset:8
	buffer_load_dword v106, off, s[0:3], 0 offset:12
	buffer_load_dword v107, off, s[0:3], 0 offset:16
	buffer_load_dword v108, off, s[0:3], 0 offset:20
	buffer_load_dword v109, off, s[0:3], 0 offset:24
	buffer_load_dword v110, off, s[0:3], 0 offset:28
	buffer_load_dword v111, off, s[0:3], 0 offset:32
	buffer_load_dword v112, off, s[0:3], 0 offset:36
	buffer_load_dword v113, off, s[0:3], 0 offset:40
	buffer_load_dword v114, off, s[0:3], 0 offset:44
	buffer_load_dword v115, off, s[0:3], 0 offset:48
	buffer_load_dword v116, off, s[0:3], 0 offset:52
	buffer_load_dword v117, off, s[0:3], 0 offset:56
	buffer_load_dword v118, off, s[0:3], 0 offset:60
	buffer_load_dword v119, off, s[0:3], 0 offset:64
	buffer_load_dword v120, off, s[0:3], 0 offset:68
	buffer_load_dword v121, off, s[0:3], 0 offset:72
	buffer_load_dword v122, off, s[0:3], 0 offset:76
	buffer_load_dword v123, off, s[0:3], 0 offset:80
	buffer_load_dword v124, off, s[0:3], 0 offset:84
	buffer_load_dword v125, off, s[0:3], 0 offset:88
	buffer_load_dword v126, off, s[0:3], 0 offset:92
	buffer_load_dword v127, off, s[0:3], 0 offset:96
	buffer_load_dword v128, off, s[0:3], 0 offset:100
	buffer_load_dword v129, off, s[0:3], 0 offset:104
	buffer_load_dword v130, off, s[0:3], 0 offset:108
	buffer_load_dword v131, off, s[0:3], 0 offset:112
	buffer_load_dword v132, off, s[0:3], 0 offset:116
	buffer_load_dword v133, off, s[0:3], 0 offset:120
	buffer_load_dword v134, off, s[0:3], 0 offset:124
	s_waitcnt vmcnt(30)
	global_store_dwordx2 v[99:100], v[103:104], off
	s_clause 0x9
	buffer_load_dword v99, off, s[0:3], 0 offset:128
	buffer_load_dword v100, off, s[0:3], 0 offset:132
	;; [unrolled: 1-line block ×10, first 2 shown]
	s_waitcnt vmcnt(38)
	global_store_dwordx2 v[75:76], v[105:106], off
	s_waitcnt vmcnt(36)
	global_store_dwordx2 v[51:52], v[107:108], off
	s_clause 0x7
	buffer_load_dword v51, off, s[0:3], 0 offset:168
	buffer_load_dword v52, off, s[0:3], 0 offset:172
	buffer_load_dword v75, off, s[0:3], 0 offset:176
	buffer_load_dword v76, off, s[0:3], 0 offset:180
	buffer_load_dword v105, off, s[0:3], 0 offset:184
	buffer_load_dword v106, off, s[0:3], 0 offset:188
	buffer_load_dword v107, off, s[0:3], 0 offset:192
	buffer_load_dword v108, off, s[0:3], 0 offset:196
	s_waitcnt vmcnt(42)
	global_store_dwordx2 v[33:34], v[109:110], off
	s_waitcnt vmcnt(40)
	global_store_dwordx2 v[37:38], v[111:112], off
	s_clause 0x7
	buffer_load_dword v33, off, s[0:3], 0 offset:200
	buffer_load_dword v34, off, s[0:3], 0 offset:204
	buffer_load_dword v37, off, s[0:3], 0 offset:208
	buffer_load_dword v38, off, s[0:3], 0 offset:212
	buffer_load_dword v109, off, s[0:3], 0 offset:216
	buffer_load_dword v110, off, s[0:3], 0 offset:220
	buffer_load_dword v111, off, s[0:3], 0 offset:224
	buffer_load_dword v112, off, s[0:3], 0 offset:228
	;; [unrolled: 13-line block ×7, first 2 shown]
	s_waitcnt vmcnt(62)
	global_store_dwordx2 v[19:20], v[133:134], off
	s_clause 0x3
	buffer_load_dword v19, off, s[0:3], 0 offset:392
	buffer_load_dword v20, off, s[0:3], 0 offset:396
	;; [unrolled: 1-line block ×4, first 2 shown]
	global_store_dwordx2 v[15:16], v[99:100], off
	global_store_dwordx2 v[21:22], v[103:104], off
	s_waitcnt vmcnt(62)
	global_store_dwordx2 v[27:28], v[135:136], off
	global_store_dwordx2 v[29:30], v[137:138], off
	s_waitcnt vmcnt(60)
	global_store_dwordx2 v[31:32], v[139:140], off
	s_waitcnt vmcnt(58)
	;; [unrolled: 2-line block ×31, first 2 shown]
	global_store_dwordx2 v[101:102], v[133:134], off
	s_endpgm
	.section	.rodata,"a",@progbits
	.p2align	6, 0x0
	.amdhsa_kernel _ZN9rocsolver6v33100L18getri_kernel_smallILi51EdPdEEvT1_iilPiilS4_bb
		.amdhsa_group_segment_fixed_size 824
		.amdhsa_private_segment_fixed_size 416
		.amdhsa_kernarg_size 60
		.amdhsa_user_sgpr_count 6
		.amdhsa_user_sgpr_private_segment_buffer 1
		.amdhsa_user_sgpr_dispatch_ptr 0
		.amdhsa_user_sgpr_queue_ptr 0
		.amdhsa_user_sgpr_kernarg_segment_ptr 1
		.amdhsa_user_sgpr_dispatch_id 0
		.amdhsa_user_sgpr_flat_scratch_init 0
		.amdhsa_user_sgpr_private_segment_size 0
		.amdhsa_wavefront_size32 1
		.amdhsa_uses_dynamic_stack 0
		.amdhsa_system_sgpr_private_segment_wavefront_offset 1
		.amdhsa_system_sgpr_workgroup_id_x 1
		.amdhsa_system_sgpr_workgroup_id_y 0
		.amdhsa_system_sgpr_workgroup_id_z 0
		.amdhsa_system_sgpr_workgroup_info 0
		.amdhsa_system_vgpr_workitem_id 0
		.amdhsa_next_free_vgpr 141
		.amdhsa_next_free_sgpr 23
		.amdhsa_reserve_vcc 1
		.amdhsa_reserve_flat_scratch 0
		.amdhsa_float_round_mode_32 0
		.amdhsa_float_round_mode_16_64 0
		.amdhsa_float_denorm_mode_32 3
		.amdhsa_float_denorm_mode_16_64 3
		.amdhsa_dx10_clamp 1
		.amdhsa_ieee_mode 1
		.amdhsa_fp16_overflow 0
		.amdhsa_workgroup_processor_mode 1
		.amdhsa_memory_ordered 1
		.amdhsa_forward_progress 1
		.amdhsa_shared_vgpr_count 0
		.amdhsa_exception_fp_ieee_invalid_op 0
		.amdhsa_exception_fp_denorm_src 0
		.amdhsa_exception_fp_ieee_div_zero 0
		.amdhsa_exception_fp_ieee_overflow 0
		.amdhsa_exception_fp_ieee_underflow 0
		.amdhsa_exception_fp_ieee_inexact 0
		.amdhsa_exception_int_div_zero 0
	.end_amdhsa_kernel
	.section	.text._ZN9rocsolver6v33100L18getri_kernel_smallILi51EdPdEEvT1_iilPiilS4_bb,"axG",@progbits,_ZN9rocsolver6v33100L18getri_kernel_smallILi51EdPdEEvT1_iilPiilS4_bb,comdat
.Lfunc_end50:
	.size	_ZN9rocsolver6v33100L18getri_kernel_smallILi51EdPdEEvT1_iilPiilS4_bb, .Lfunc_end50-_ZN9rocsolver6v33100L18getri_kernel_smallILi51EdPdEEvT1_iilPiilS4_bb
                                        ; -- End function
	.set _ZN9rocsolver6v33100L18getri_kernel_smallILi51EdPdEEvT1_iilPiilS4_bb.num_vgpr, 141
	.set _ZN9rocsolver6v33100L18getri_kernel_smallILi51EdPdEEvT1_iilPiilS4_bb.num_agpr, 0
	.set _ZN9rocsolver6v33100L18getri_kernel_smallILi51EdPdEEvT1_iilPiilS4_bb.numbered_sgpr, 23
	.set _ZN9rocsolver6v33100L18getri_kernel_smallILi51EdPdEEvT1_iilPiilS4_bb.num_named_barrier, 0
	.set _ZN9rocsolver6v33100L18getri_kernel_smallILi51EdPdEEvT1_iilPiilS4_bb.private_seg_size, 416
	.set _ZN9rocsolver6v33100L18getri_kernel_smallILi51EdPdEEvT1_iilPiilS4_bb.uses_vcc, 1
	.set _ZN9rocsolver6v33100L18getri_kernel_smallILi51EdPdEEvT1_iilPiilS4_bb.uses_flat_scratch, 0
	.set _ZN9rocsolver6v33100L18getri_kernel_smallILi51EdPdEEvT1_iilPiilS4_bb.has_dyn_sized_stack, 0
	.set _ZN9rocsolver6v33100L18getri_kernel_smallILi51EdPdEEvT1_iilPiilS4_bb.has_recursion, 0
	.set _ZN9rocsolver6v33100L18getri_kernel_smallILi51EdPdEEvT1_iilPiilS4_bb.has_indirect_call, 0
	.section	.AMDGPU.csdata,"",@progbits
; Kernel info:
; codeLenInByte = 72380
; TotalNumSgprs: 25
; NumVgprs: 141
; ScratchSize: 416
; MemoryBound: 1
; FloatMode: 240
; IeeeMode: 1
; LDSByteSize: 824 bytes/workgroup (compile time only)
; SGPRBlocks: 0
; VGPRBlocks: 17
; NumSGPRsForWavesPerEU: 25
; NumVGPRsForWavesPerEU: 141
; Occupancy: 7
; WaveLimiterHint : 1
; COMPUTE_PGM_RSRC2:SCRATCH_EN: 1
; COMPUTE_PGM_RSRC2:USER_SGPR: 6
; COMPUTE_PGM_RSRC2:TRAP_HANDLER: 0
; COMPUTE_PGM_RSRC2:TGID_X_EN: 1
; COMPUTE_PGM_RSRC2:TGID_Y_EN: 0
; COMPUTE_PGM_RSRC2:TGID_Z_EN: 0
; COMPUTE_PGM_RSRC2:TIDIG_COMP_CNT: 0
	.section	.text._ZN9rocsolver6v33100L18getri_kernel_smallILi52EdPdEEvT1_iilPiilS4_bb,"axG",@progbits,_ZN9rocsolver6v33100L18getri_kernel_smallILi52EdPdEEvT1_iilPiilS4_bb,comdat
	.globl	_ZN9rocsolver6v33100L18getri_kernel_smallILi52EdPdEEvT1_iilPiilS4_bb ; -- Begin function _ZN9rocsolver6v33100L18getri_kernel_smallILi52EdPdEEvT1_iilPiilS4_bb
	.p2align	8
	.type	_ZN9rocsolver6v33100L18getri_kernel_smallILi52EdPdEEvT1_iilPiilS4_bb,@function
_ZN9rocsolver6v33100L18getri_kernel_smallILi52EdPdEEvT1_iilPiilS4_bb: ; @_ZN9rocsolver6v33100L18getri_kernel_smallILi52EdPdEEvT1_iilPiilS4_bb
; %bb.0:
	s_add_u32 s0, s0, s7
	s_addc_u32 s1, s1, 0
	s_mov_b32 s7, exec_lo
	v_cmpx_gt_u32_e32 52, v0
	s_cbranch_execz .LBB51_218
; %bb.1:
	s_clause 0x2
	s_load_dword s7, s[4:5], 0x38
	s_load_dwordx4 s[16:19], s[4:5], 0x10
	s_load_dwordx4 s[8:11], s[4:5], 0x28
                                        ; implicit-def: $sgpr20_sgpr21
	s_waitcnt lgkmcnt(0)
	s_bitcmp1_b32 s7, 8
	s_cselect_b32 s22, -1, 0
	s_bfe_u32 s12, s7, 0x10008
	s_ashr_i32 s7, s6, 31
	s_cmp_eq_u32 s12, 0
	s_cbranch_scc1 .LBB51_3
; %bb.2:
	s_load_dword s12, s[4:5], 0x20
	s_mul_i32 s13, s8, s7
	s_mul_hi_u32 s14, s8, s6
	s_mul_i32 s9, s9, s6
	s_add_i32 s13, s14, s13
	s_mul_i32 s8, s8, s6
	s_add_i32 s9, s13, s9
	s_lshl_b64 s[8:9], s[8:9], 2
	s_waitcnt lgkmcnt(0)
	s_ashr_i32 s13, s12, 31
	s_add_u32 s14, s18, s8
	s_addc_u32 s15, s19, s9
	s_lshl_b64 s[8:9], s[12:13], 2
	s_add_u32 s20, s14, s8
	s_addc_u32 s21, s15, s9
.LBB51_3:
	s_clause 0x1
	s_load_dwordx4 s[12:15], s[4:5], 0x0
	s_load_dword s8, s[4:5], 0x38
	s_mul_i32 s4, s16, s7
	s_mul_hi_u32 s5, s16, s6
	s_mul_i32 s9, s17, s6
	s_add_i32 s5, s5, s4
	s_mul_i32 s4, s16, s6
	s_add_i32 s5, s5, s9
	v_lshlrev_b32_e32 v107, 3, v0
	s_lshl_b64 s[4:5], s[4:5], 3
	s_waitcnt lgkmcnt(0)
	v_add3_u32 v1, s15, s15, v0
	s_ashr_i32 s17, s14, 31
	s_mov_b32 s16, s14
	s_add_u32 s9, s12, s4
	s_addc_u32 s13, s13, s5
	v_add_nc_u32_e32 v3, s15, v1
	s_lshl_b64 s[4:5], s[16:17], 3
	v_ashrrev_i32_e32 v2, 31, v1
	s_add_u32 s4, s9, s4
	s_addc_u32 s5, s13, s5
	v_ashrrev_i32_e32 v4, 31, v3
	global_load_dwordx2 v[97:98], v107, s[4:5]
	v_lshlrev_b64 v[1:2], 3, v[1:2]
	v_add_nc_u32_e32 v5, s15, v3
	v_add_co_u32 v93, s9, s4, v107
	v_lshlrev_b64 v[3:4], 3, v[3:4]
	s_mov_b32 s12, s15
	s_ashr_i32 s13, s15, 31
	v_add_co_u32 v53, vcc_lo, s4, v1
	v_add_co_ci_u32_e64 v94, null, s5, 0, s9
	v_add_co_ci_u32_e64 v54, null, s5, v2, vcc_lo
	v_add_co_u32 v57, vcc_lo, s4, v3
	s_lshl_b64 s[12:13], s[12:13], 3
	v_add_co_ci_u32_e64 v58, null, s5, v4, vcc_lo
	v_add_co_u32 v73, vcc_lo, v93, s12
	v_add_co_ci_u32_e64 v74, null, s13, v94, vcc_lo
	v_ashrrev_i32_e32 v6, 31, v5
	v_add_nc_u32_e32 v7, s15, v5
	s_clause 0x1
	global_load_dwordx2 v[105:106], v[53:54], off
	global_load_dwordx2 v[99:100], v[73:74], off
	s_bitcmp0_b32 s8, 0
	v_lshlrev_b64 v[1:2], 3, v[5:6]
	v_ashrrev_i32_e32 v8, 31, v7
	v_add_nc_u32_e32 v5, s15, v7
	v_lshlrev_b64 v[3:4], 3, v[7:8]
	v_ashrrev_i32_e32 v6, 31, v5
	v_add_nc_u32_e32 v7, s15, v5
	v_add_co_u32 v45, vcc_lo, s4, v1
	v_add_co_ci_u32_e64 v46, null, s5, v2, vcc_lo
	v_lshlrev_b64 v[1:2], 3, v[5:6]
	v_ashrrev_i32_e32 v8, 31, v7
	v_add_nc_u32_e32 v5, s15, v7
	v_add_co_u32 v49, vcc_lo, s4, v3
	v_add_co_ci_u32_e64 v50, null, s5, v4, vcc_lo
	;; [unrolled: 5-line block ×7, first 2 shown]
	v_lshlrev_b64 v[1:2], 3, v[5:6]
	v_add_nc_u32_e32 v5, s15, v7
	v_ashrrev_i32_e32 v8, 31, v7
	v_add_co_u32 v19, vcc_lo, s4, v3
	v_add_co_ci_u32_e64 v20, null, s5, v4, vcc_lo
	v_add_nc_u32_e32 v9, s15, v5
	v_ashrrev_i32_e32 v6, 31, v5
	v_lshlrev_b64 v[3:4], 3, v[7:8]
	v_add_co_u32 v7, vcc_lo, s4, v1
	v_add_nc_u32_e32 v11, s15, v9
	v_ashrrev_i32_e32 v10, 31, v9
	v_lshlrev_b64 v[5:6], 3, v[5:6]
	v_add_co_ci_u32_e64 v8, null, s5, v2, vcc_lo
	v_add_nc_u32_e32 v13, s15, v11
	v_ashrrev_i32_e32 v12, 31, v11
	v_lshlrev_b64 v[9:10], 3, v[9:10]
	v_add_co_u32 v1, vcc_lo, s4, v3
	v_add_nc_u32_e32 v17, s15, v13
	v_ashrrev_i32_e32 v14, 31, v13
	v_lshlrev_b64 v[11:12], 3, v[11:12]
	v_add_co_ci_u32_e64 v2, null, s5, v4, vcc_lo
	v_add_nc_u32_e32 v21, s15, v17
	v_ashrrev_i32_e32 v18, 31, v17
	v_add_co_u32 v3, vcc_lo, s4, v5
	v_lshlrev_b64 v[13:14], 3, v[13:14]
	v_add_nc_u32_e32 v23, s15, v21
	v_ashrrev_i32_e32 v22, 31, v21
	v_add_co_ci_u32_e64 v4, null, s5, v6, vcc_lo
	v_add_co_u32 v5, vcc_lo, s4, v9
	v_add_nc_u32_e32 v27, s15, v23
	v_ashrrev_i32_e32 v24, 31, v23
	v_lshlrev_b64 v[17:18], 3, v[17:18]
	v_add_co_ci_u32_e64 v6, null, s5, v10, vcc_lo
	v_add_nc_u32_e32 v31, s15, v27
	v_ashrrev_i32_e32 v28, 31, v27
	v_add_co_u32 v9, vcc_lo, s4, v11
	v_lshlrev_b64 v[21:22], 3, v[21:22]
	v_add_nc_u32_e32 v33, s15, v31
	v_ashrrev_i32_e32 v32, 31, v31
	v_add_co_ci_u32_e64 v10, null, s5, v12, vcc_lo
	v_add_co_u32 v11, vcc_lo, s4, v13
	v_add_nc_u32_e32 v37, s15, v33
	v_lshlrev_b64 v[23:24], 3, v[23:24]
	v_ashrrev_i32_e32 v34, 31, v33
	v_add_co_ci_u32_e64 v12, null, s5, v14, vcc_lo
	v_add_nc_u32_e32 v41, s15, v37
	v_add_co_u32 v13, vcc_lo, s4, v17
	v_lshlrev_b64 v[27:28], 3, v[27:28]
	v_ashrrev_i32_e32 v38, 31, v37
	v_add_nc_u32_e32 v43, s15, v41
	v_add_co_ci_u32_e64 v14, null, s5, v18, vcc_lo
	v_add_co_u32 v17, vcc_lo, s4, v21
	v_add_nc_u32_e32 v47, s15, v43
	v_lshlrev_b64 v[31:32], 3, v[31:32]
	v_ashrrev_i32_e32 v42, 31, v41
	v_add_co_ci_u32_e64 v18, null, s5, v22, vcc_lo
	v_add_nc_u32_e32 v51, s15, v47
	v_add_co_u32 v21, vcc_lo, s4, v23
	v_lshlrev_b64 v[33:34], 3, v[33:34]
	v_ashrrev_i32_e32 v44, 31, v43
	v_add_nc_u32_e32 v55, s15, v51
	;; [unrolled: 11-line block ×6, first 2 shown]
	v_add_co_ci_u32_e64 v48, null, s5, v52, vcc_lo
	v_add_co_u32 v51, vcc_lo, s4, v55
	v_lshlrev_b64 v[63:64], 3, v[63:64]
	v_ashrrev_i32_e32 v70, 31, v69
	v_add_co_ci_u32_e64 v52, null, s5, v56, vcc_lo
	v_add_co_u32 v55, vcc_lo, s4, v59
	v_lshlrev_b64 v[65:66], 3, v[65:66]
	v_ashrrev_i32_e32 v72, 31, v71
	v_add_co_ci_u32_e64 v56, null, s5, v60, vcc_lo
	v_add_co_u32 v59, vcc_lo, s4, v61
	v_lshlrev_b64 v[67:68], 3, v[67:68]
	v_add_nc_u32_e32 v85, s15, v83
	v_ashrrev_i32_e32 v76, 31, v75
	v_add_co_ci_u32_e64 v60, null, s5, v62, vcc_lo
	v_add_co_u32 v61, vcc_lo, s4, v63
	v_lshlrev_b64 v[69:70], 3, v[69:70]
	v_ashrrev_i32_e32 v78, 31, v77
	v_add_co_ci_u32_e64 v62, null, s5, v64, vcc_lo
	v_add_co_u32 v63, vcc_lo, s4, v65
	v_lshlrev_b64 v[71:72], 3, v[71:72]
	v_ashrrev_i32_e32 v80, 31, v79
	v_add_nc_u32_e32 v87, s15, v85
	v_add_co_ci_u32_e64 v64, null, s5, v66, vcc_lo
	v_add_co_u32 v65, vcc_lo, s4, v67
	v_lshlrev_b64 v[75:76], 3, v[75:76]
	v_ashrrev_i32_e32 v82, 31, v81
	v_add_co_ci_u32_e64 v66, null, s5, v68, vcc_lo
	v_add_co_u32 v67, vcc_lo, s4, v69
	v_lshlrev_b64 v[77:78], 3, v[77:78]
	v_ashrrev_i32_e32 v84, 31, v83
	v_add_co_ci_u32_e64 v68, null, s5, v70, vcc_lo
	v_add_co_u32 v69, vcc_lo, s4, v71
	v_lshlrev_b64 v[79:80], 3, v[79:80]
	v_add_nc_u32_e32 v89, s15, v87
	v_ashrrev_i32_e32 v86, 31, v85
	v_add_co_ci_u32_e64 v70, null, s5, v72, vcc_lo
	v_add_co_u32 v71, vcc_lo, s4, v75
	v_lshlrev_b64 v[81:82], 3, v[81:82]
	v_ashrrev_i32_e32 v88, 31, v87
	v_add_co_ci_u32_e64 v72, null, s5, v76, vcc_lo
	v_add_co_u32 v75, vcc_lo, s4, v77
	v_lshlrev_b64 v[83:84], 3, v[83:84]
	;; [unrolled: 4-line block ×3, first 2 shown]
	v_add_nc_u32_e32 v95, s15, v89
	v_add_co_ci_u32_e64 v78, null, s5, v80, vcc_lo
	v_add_co_u32 v79, vcc_lo, s4, v81
	v_lshlrev_b64 v[87:88], 3, v[87:88]
	v_add_co_ci_u32_e64 v80, null, s5, v82, vcc_lo
	v_add_co_u32 v81, vcc_lo, s4, v83
	v_lshlrev_b64 v[90:91], 3, v[89:90]
	v_ashrrev_i32_e32 v96, 31, v95
	v_add_nc_u32_e32 v101, s15, v95
	v_add_co_ci_u32_e64 v82, null, s5, v84, vcc_lo
	v_add_co_u32 v83, vcc_lo, s4, v85
	v_add_co_ci_u32_e64 v84, null, s5, v86, vcc_lo
	v_add_co_u32 v85, vcc_lo, s4, v87
	;; [unrolled: 2-line block ×3, first 2 shown]
	v_lshlrev_b64 v[89:90], 3, v[95:96]
	v_ashrrev_i32_e32 v102, 31, v101
	v_add_nc_u32_e32 v95, s15, v101
	v_add_co_ci_u32_e64 v88, null, s5, v91, vcc_lo
	s_clause 0x1
	global_load_dwordx2 v[108:109], v[57:58], off
	global_load_dwordx2 v[110:111], v[45:46], off
	v_lshlrev_b64 v[91:92], 3, v[101:102]
	v_add_nc_u32_e32 v101, s15, v95
	s_clause 0x4
	global_load_dwordx2 v[112:113], v[49:50], off
	global_load_dwordx2 v[114:115], v[35:36], off
	;; [unrolled: 1-line block ×5, first 2 shown]
	v_ashrrev_i32_e32 v102, 31, v101
	s_clause 0x1
	global_load_dwordx2 v[122:123], v[15:16], off
	global_load_dwordx2 v[124:125], v[19:20], off
	s_waitcnt vmcnt(11)
	buffer_store_dword v98, off, s[0:3], 0 offset:4
	buffer_store_dword v97, off, s[0:3], 0
	s_clause 0x1
	global_load_dwordx2 v[126:127], v[7:8], off
	global_load_dwordx2 v[128:129], v[1:2], off
	v_lshlrev_b64 v[97:98], 3, v[101:102]
	v_add_nc_u32_e32 v101, s15, v101
	s_clause 0x5
	global_load_dwordx2 v[130:131], v[3:4], off
	global_load_dwordx2 v[132:133], v[5:6], off
	;; [unrolled: 1-line block ×6, first 2 shown]
	v_add_nc_u32_e32 v103, s15, v101
	v_ashrrev_i32_e32 v102, 31, v101
	v_ashrrev_i32_e32 v96, 31, v95
	v_add_co_u32 v89, vcc_lo, s4, v89
	v_add_nc_u32_e32 v140, s15, v103
	v_ashrrev_i32_e32 v104, 31, v103
	s_waitcnt vmcnt(17)
	buffer_store_dword v100, off, s[0:3], 0 offset:12
	buffer_store_dword v99, off, s[0:3], 0 offset:8
	s_clause 0x2
	global_load_dwordx2 v[144:145], v[21:22], off
	global_load_dwordx2 v[146:147], v[23:24], off
	;; [unrolled: 1-line block ×3, first 2 shown]
	v_ashrrev_i32_e32 v141, 31, v140
	v_lshlrev_b64 v[99:100], 3, v[101:102]
	v_lshlrev_b64 v[101:102], 3, v[103:104]
	global_load_dwordx2 v[150:151], v[31:32], off
	v_lshlrev_b64 v[95:96], 3, v[95:96]
	v_lshlrev_b64 v[103:104], 3, v[140:141]
	s_clause 0x2
	global_load_dwordx2 v[140:141], v[33:34], off
	global_load_dwordx2 v[152:153], v[37:38], off
	;; [unrolled: 1-line block ×3, first 2 shown]
	v_add_co_ci_u32_e64 v90, null, s5, v90, vcc_lo
	v_add_co_u32 v91, vcc_lo, s4, v91
	v_add_co_ci_u32_e64 v92, null, s5, v92, vcc_lo
	v_add_co_u32 v95, vcc_lo, s4, v95
	;; [unrolled: 2-line block ×4, first 2 shown]
	buffer_store_dword v106, off, s[0:3], 0 offset:20
	buffer_store_dword v105, off, s[0:3], 0 offset:16
	s_waitcnt vmcnt(23)
	buffer_store_dword v109, off, s[0:3], 0 offset:28
	buffer_store_dword v108, off, s[0:3], 0 offset:24
	v_add_co_ci_u32_e64 v100, null, s5, v100, vcc_lo
	v_add_co_u32 v101, vcc_lo, s4, v101
	s_clause 0x1
	global_load_dwordx2 v[105:106], v[43:44], off
	global_load_dwordx2 v[108:109], v[47:48], off
	s_waitcnt vmcnt(24)
	buffer_store_dword v111, off, s[0:3], 0 offset:36
	buffer_store_dword v110, off, s[0:3], 0 offset:32
	s_waitcnt vmcnt(23)
	buffer_store_dword v113, off, s[0:3], 0 offset:44
	buffer_store_dword v112, off, s[0:3], 0 offset:40
	;; [unrolled: 3-line block ×4, first 2 shown]
	s_clause 0x3
	global_load_dwordx2 v[110:111], v[51:52], off
	global_load_dwordx2 v[112:113], v[55:56], off
	;; [unrolled: 1-line block ×4, first 2 shown]
	s_waitcnt vmcnt(24)
	buffer_store_dword v119, off, s[0:3], 0 offset:68
	buffer_store_dword v118, off, s[0:3], 0 offset:64
	s_waitcnt vmcnt(23)
	buffer_store_dword v120, off, s[0:3], 0 offset:72
	buffer_store_dword v121, off, s[0:3], 0 offset:76
	;; [unrolled: 3-line block ×4, first 2 shown]
	v_add_co_ci_u32_e64 v102, null, s5, v102, vcc_lo
	s_clause 0x3
	global_load_dwordx2 v[118:119], v[63:64], off
	global_load_dwordx2 v[120:121], v[65:66], off
	global_load_dwordx2 v[122:123], v[67:68], off
	global_load_dwordx2 v[124:125], v[69:70], off
	s_waitcnt vmcnt(24)
	buffer_store_dword v126, off, s[0:3], 0 offset:96
	buffer_store_dword v127, off, s[0:3], 0 offset:100
	s_waitcnt vmcnt(23)
	buffer_store_dword v128, off, s[0:3], 0 offset:104
	buffer_store_dword v129, off, s[0:3], 0 offset:108
	s_waitcnt vmcnt(22)
	buffer_store_dword v131, off, s[0:3], 0 offset:116
	buffer_store_dword v130, off, s[0:3], 0 offset:112
	s_waitcnt vmcnt(21)
	buffer_store_dword v132, off, s[0:3], 0 offset:120
	buffer_store_dword v133, off, s[0:3], 0 offset:124
	s_clause 0x3
	global_load_dwordx2 v[126:127], v[71:72], off
	global_load_dwordx2 v[128:129], v[75:76], off
	global_load_dwordx2 v[130:131], v[77:78], off
	global_load_dwordx2 v[132:133], v[79:80], off
	s_waitcnt vmcnt(24)
	buffer_store_dword v134, off, s[0:3], 0 offset:128
	buffer_store_dword v135, off, s[0:3], 0 offset:132
	s_waitcnt vmcnt(23)
	buffer_store_dword v136, off, s[0:3], 0 offset:136
	buffer_store_dword v137, off, s[0:3], 0 offset:140
	s_waitcnt vmcnt(22)
	buffer_store_dword v138, off, s[0:3], 0 offset:144
	buffer_store_dword v139, off, s[0:3], 0 offset:148
	s_waitcnt vmcnt(21)
	buffer_store_dword v143, off, s[0:3], 0 offset:156
	buffer_store_dword v142, off, s[0:3], 0 offset:152
	;; [unrolled: 17-line block ×3, first 2 shown]
	s_clause 0x3
	global_load_dwordx2 v[144:145], v[89:90], off
	global_load_dwordx2 v[146:147], v[91:92], off
	;; [unrolled: 1-line block ×4, first 2 shown]
	s_waitcnt vmcnt(24)
	buffer_store_dword v140, off, s[0:3], 0 offset:192
	buffer_store_dword v141, off, s[0:3], 0 offset:196
	s_waitcnt vmcnt(23)
	buffer_store_dword v153, off, s[0:3], 0 offset:204
	buffer_store_dword v152, off, s[0:3], 0 offset:200
	s_clause 0x1
	global_load_dwordx2 v[140:141], v[99:100], off
	global_load_dwordx2 v[152:153], v[101:102], off
	v_add_co_u32 v103, vcc_lo, s4, v103
	v_add_co_ci_u32_e64 v104, null, s5, v104, vcc_lo
	s_waitcnt vmcnt(24)
	buffer_store_dword v155, off, s[0:3], 0 offset:212
	buffer_store_dword v154, off, s[0:3], 0 offset:208
	s_mov_b32 s5, -1
	global_load_dwordx2 v[154:155], v[103:104], off
	s_waitcnt vmcnt(24)
	buffer_store_dword v105, off, s[0:3], 0 offset:216
	buffer_store_dword v106, off, s[0:3], 0 offset:220
	s_waitcnt vmcnt(23)
	buffer_store_dword v108, off, s[0:3], 0 offset:224
	buffer_store_dword v109, off, s[0:3], 0 offset:228
	;; [unrolled: 3-line block ×25, first 2 shown]
	s_cbranch_scc1 .LBB51_216
; %bb.4:
	v_cmp_eq_u32_e64 s4, 0, v0
	s_and_saveexec_b32 s5, s4
; %bb.5:
	v_mov_b32_e32 v105, 0
	ds_write_b32 v105, v105 offset:832
; %bb.6:
	s_or_b32 exec_lo, exec_lo, s5
	v_lshl_add_u32 v105, v0, 3, 0
	s_waitcnt lgkmcnt(0)
	s_waitcnt_vscnt null, 0x0
	s_barrier
	buffer_gl0_inv
	s_mov_b32 s8, exec_lo
	s_clause 0x1
	buffer_load_dword v108, v105, s[0:3], 0 offen
	buffer_load_dword v109, v105, s[0:3], 0 offen offset:4
	s_waitcnt vmcnt(0)
	v_cmpx_eq_f64_e32 0, v[108:109]
	s_cbranch_execz .LBB51_10
; %bb.7:
	v_mov_b32_e32 v106, 0
	s_mov_b32 s9, 0
	ds_read_b32 v108, v106 offset:832
	s_waitcnt lgkmcnt(0)
	v_readfirstlane_b32 s5, v108
	v_add_nc_u32_e32 v108, 1, v0
	s_cmp_eq_u32 s5, 0
	v_cmp_gt_i32_e32 vcc_lo, s5, v108
	s_cselect_b32 s12, -1, 0
	s_or_b32 s12, s12, vcc_lo
	s_and_b32 exec_lo, exec_lo, s12
	s_cbranch_execz .LBB51_10
; %bb.8:
	v_mov_b32_e32 v109, s5
.LBB51_9:                               ; =>This Inner Loop Header: Depth=1
	ds_cmpst_rtn_b32 v109, v106, v109, v108 offset:832
	s_waitcnt lgkmcnt(0)
	v_cmp_ne_u32_e32 vcc_lo, 0, v109
	v_cmp_le_i32_e64 s5, v109, v108
	s_and_b32 s5, vcc_lo, s5
	s_and_b32 s5, exec_lo, s5
	s_or_b32 s9, s5, s9
	s_andn2_b32 exec_lo, exec_lo, s9
	s_cbranch_execnz .LBB51_9
.LBB51_10:
	s_or_b32 exec_lo, exec_lo, s8
	v_mov_b32_e32 v106, 0
	s_barrier
	buffer_gl0_inv
	ds_read_b32 v108, v106 offset:832
	s_and_saveexec_b32 s5, s4
	s_cbranch_execz .LBB51_12
; %bb.11:
	s_lshl_b64 s[8:9], s[6:7], 2
	s_add_u32 s8, s10, s8
	s_addc_u32 s9, s11, s9
	s_waitcnt lgkmcnt(0)
	global_store_dword v106, v108, s[8:9]
.LBB51_12:
	s_or_b32 exec_lo, exec_lo, s5
	s_waitcnt lgkmcnt(0)
	v_cmp_ne_u32_e32 vcc_lo, 0, v108
	s_mov_b32 s5, 0
	s_cbranch_vccnz .LBB51_216
; %bb.13:
	s_clause 0x1
	buffer_load_dword v108, v105, s[0:3], 0 offen
	buffer_load_dword v109, v105, s[0:3], 0 offen offset:4
	s_waitcnt vmcnt(0)
	v_div_scale_f64 v[110:111], null, v[108:109], v[108:109], 1.0
	v_div_scale_f64 v[116:117], vcc_lo, 1.0, v[108:109], 1.0
	v_rcp_f64_e32 v[112:113], v[110:111]
	v_fma_f64 v[114:115], -v[110:111], v[112:113], 1.0
	v_fma_f64 v[112:113], v[112:113], v[114:115], v[112:113]
	v_fma_f64 v[114:115], -v[110:111], v[112:113], 1.0
	v_fma_f64 v[112:113], v[112:113], v[114:115], v[112:113]
	v_mul_f64 v[114:115], v[116:117], v[112:113]
	v_fma_f64 v[110:111], -v[110:111], v[114:115], v[116:117]
	v_div_fmas_f64 v[110:111], v[110:111], v[112:113], v[114:115]
	v_div_fixup_f64 v[109:110], v[110:111], v[108:109], 1.0
	v_add_nc_u32_e32 v108, 0x1a0, v107
	buffer_store_dword v110, v105, s[0:3], 0 offen offset:4
	buffer_store_dword v109, v105, s[0:3], 0 offen
	s_clause 0x1
	buffer_load_dword v112, off, s[0:3], 0 offset:12
	buffer_load_dword v111, off, s[0:3], 0 offset:8
	v_xor_b32_e32 v110, 0x80000000, v110
	s_waitcnt vmcnt(0)
	ds_write2_b64 v107, v[109:110], v[111:112] offset1:52
	s_waitcnt lgkmcnt(0)
	s_waitcnt_vscnt null, 0x0
	s_barrier
	buffer_gl0_inv
	s_and_saveexec_b32 s5, s4
	s_cbranch_execz .LBB51_15
; %bb.14:
	s_clause 0x1
	buffer_load_dword v109, v105, s[0:3], 0 offen
	buffer_load_dword v110, v105, s[0:3], 0 offen offset:4
	ds_read_b64 v[111:112], v108
	v_mov_b32_e32 v106, 0
	ds_read_b64 v[113:114], v106 offset:8
	s_waitcnt vmcnt(0) lgkmcnt(1)
	v_fma_f64 v[109:110], v[109:110], v[111:112], 0
	s_waitcnt lgkmcnt(0)
	v_mul_f64 v[109:110], v[109:110], v[113:114]
	buffer_store_dword v109, off, s[0:3], 0 offset:8
	buffer_store_dword v110, off, s[0:3], 0 offset:12
.LBB51_15:
	s_or_b32 exec_lo, exec_lo, s5
	s_waitcnt_vscnt null, 0x0
	s_barrier
	buffer_gl0_inv
	s_clause 0x1
	buffer_load_dword v109, off, s[0:3], 0 offset:16
	buffer_load_dword v110, off, s[0:3], 0 offset:20
	s_mov_b32 s5, exec_lo
	s_waitcnt vmcnt(0)
	ds_write_b64 v108, v[109:110]
	s_waitcnt lgkmcnt(0)
	s_barrier
	buffer_gl0_inv
	v_cmpx_gt_u32_e32 2, v0
	s_cbranch_execz .LBB51_19
; %bb.16:
	s_clause 0x1
	buffer_load_dword v109, v105, s[0:3], 0 offen
	buffer_load_dword v110, v105, s[0:3], 0 offen offset:4
	ds_read_b64 v[105:106], v108
	s_waitcnt vmcnt(0) lgkmcnt(0)
	v_fma_f64 v[105:106], v[109:110], v[105:106], 0
	s_and_saveexec_b32 s8, s4
	s_cbranch_execz .LBB51_18
; %bb.17:
	s_clause 0x1
	buffer_load_dword v109, off, s[0:3], 0 offset:8
	buffer_load_dword v110, off, s[0:3], 0 offset:12
	v_mov_b32_e32 v111, 0
	ds_read_b64 v[111:112], v111 offset:424
	s_waitcnt vmcnt(0) lgkmcnt(0)
	v_fma_f64 v[105:106], v[109:110], v[111:112], v[105:106]
.LBB51_18:
	s_or_b32 exec_lo, exec_lo, s8
	v_mov_b32_e32 v109, 0
	ds_read_b64 v[109:110], v109 offset:16
	s_waitcnt lgkmcnt(0)
	v_mul_f64 v[105:106], v[105:106], v[109:110]
	buffer_store_dword v106, off, s[0:3], 0 offset:20
	buffer_store_dword v105, off, s[0:3], 0 offset:16
.LBB51_19:
	s_or_b32 exec_lo, exec_lo, s5
	s_waitcnt_vscnt null, 0x0
	s_barrier
	buffer_gl0_inv
	s_clause 0x1
	buffer_load_dword v105, off, s[0:3], 0 offset:24
	buffer_load_dword v106, off, s[0:3], 0 offset:28
	v_add_nc_u32_e32 v109, -1, v0
	s_mov_b32 s4, exec_lo
	s_waitcnt vmcnt(0)
	ds_write_b64 v108, v[105:106]
	s_waitcnt lgkmcnt(0)
	s_barrier
	buffer_gl0_inv
	v_cmpx_gt_u32_e32 3, v0
	s_cbranch_execz .LBB51_23
; %bb.20:
	v_mov_b32_e32 v105, 0
	v_add_nc_u32_e32 v110, -1, v0
	v_add_nc_u32_e32 v111, 0x1a0, v107
	v_mov_b32_e32 v106, 0
	v_mov_b32_e32 v112, v107
	s_mov_b32 s5, 0
.LBB51_21:                              ; =>This Inner Loop Header: Depth=1
	s_clause 0x1
	buffer_load_dword v113, v112, s[0:3], 0 offen
	buffer_load_dword v114, v112, s[0:3], 0 offen offset:4
	ds_read_b64 v[115:116], v111
	v_add_nc_u32_e32 v110, 1, v110
	v_add_nc_u32_e32 v111, 8, v111
	v_add_nc_u32_e32 v112, 8, v112
	v_cmp_lt_u32_e32 vcc_lo, 1, v110
	s_or_b32 s5, vcc_lo, s5
	s_waitcnt vmcnt(0) lgkmcnt(0)
	v_fma_f64 v[105:106], v[113:114], v[115:116], v[105:106]
	s_andn2_b32 exec_lo, exec_lo, s5
	s_cbranch_execnz .LBB51_21
; %bb.22:
	s_or_b32 exec_lo, exec_lo, s5
	v_mov_b32_e32 v110, 0
	ds_read_b64 v[110:111], v110 offset:24
	s_waitcnt lgkmcnt(0)
	v_mul_f64 v[105:106], v[105:106], v[110:111]
	buffer_store_dword v106, off, s[0:3], 0 offset:28
	buffer_store_dword v105, off, s[0:3], 0 offset:24
.LBB51_23:
	s_or_b32 exec_lo, exec_lo, s4
	s_waitcnt_vscnt null, 0x0
	s_barrier
	buffer_gl0_inv
	s_clause 0x1
	buffer_load_dword v105, off, s[0:3], 0 offset:32
	buffer_load_dword v106, off, s[0:3], 0 offset:36
	s_mov_b32 s4, exec_lo
	s_waitcnt vmcnt(0)
	ds_write_b64 v108, v[105:106]
	s_waitcnt lgkmcnt(0)
	s_barrier
	buffer_gl0_inv
	v_cmpx_gt_u32_e32 4, v0
	s_cbranch_execz .LBB51_27
; %bb.24:
	v_mov_b32_e32 v105, 0
	v_add_nc_u32_e32 v110, -1, v0
	v_add_nc_u32_e32 v111, 0x1a0, v107
	v_mov_b32_e32 v106, 0
	v_mov_b32_e32 v112, v107
	s_mov_b32 s5, 0
.LBB51_25:                              ; =>This Inner Loop Header: Depth=1
	s_clause 0x1
	buffer_load_dword v113, v112, s[0:3], 0 offen
	buffer_load_dword v114, v112, s[0:3], 0 offen offset:4
	ds_read_b64 v[115:116], v111
	v_add_nc_u32_e32 v110, 1, v110
	v_add_nc_u32_e32 v111, 8, v111
	v_add_nc_u32_e32 v112, 8, v112
	v_cmp_lt_u32_e32 vcc_lo, 2, v110
	s_or_b32 s5, vcc_lo, s5
	s_waitcnt vmcnt(0) lgkmcnt(0)
	v_fma_f64 v[105:106], v[113:114], v[115:116], v[105:106]
	s_andn2_b32 exec_lo, exec_lo, s5
	s_cbranch_execnz .LBB51_25
; %bb.26:
	s_or_b32 exec_lo, exec_lo, s5
	v_mov_b32_e32 v110, 0
	ds_read_b64 v[110:111], v110 offset:32
	s_waitcnt lgkmcnt(0)
	v_mul_f64 v[105:106], v[105:106], v[110:111]
	buffer_store_dword v106, off, s[0:3], 0 offset:36
	buffer_store_dword v105, off, s[0:3], 0 offset:32
.LBB51_27:
	s_or_b32 exec_lo, exec_lo, s4
	s_waitcnt_vscnt null, 0x0
	s_barrier
	buffer_gl0_inv
	s_clause 0x1
	buffer_load_dword v105, off, s[0:3], 0 offset:40
	buffer_load_dword v106, off, s[0:3], 0 offset:44
	;; [unrolled: 45-line block ×20, first 2 shown]
	s_mov_b32 s4, exec_lo
	s_waitcnt vmcnt(0)
	ds_write_b64 v108, v[105:106]
	s_waitcnt lgkmcnt(0)
	s_barrier
	buffer_gl0_inv
	v_cmpx_gt_u32_e32 23, v0
	s_cbranch_execz .LBB51_103
; %bb.100:
	v_mov_b32_e32 v105, 0
	v_add_nc_u32_e32 v110, -1, v0
	v_add_nc_u32_e32 v111, 0x1a0, v107
	v_mov_b32_e32 v106, 0
	v_mov_b32_e32 v112, v107
	s_mov_b32 s5, 0
.LBB51_101:                             ; =>This Inner Loop Header: Depth=1
	s_clause 0x1
	buffer_load_dword v113, v112, s[0:3], 0 offen
	buffer_load_dword v114, v112, s[0:3], 0 offen offset:4
	ds_read_b64 v[115:116], v111
	v_add_nc_u32_e32 v110, 1, v110
	v_add_nc_u32_e32 v111, 8, v111
	v_add_nc_u32_e32 v112, 8, v112
	v_cmp_lt_u32_e32 vcc_lo, 21, v110
	s_or_b32 s5, vcc_lo, s5
	s_waitcnt vmcnt(0) lgkmcnt(0)
	v_fma_f64 v[105:106], v[113:114], v[115:116], v[105:106]
	s_andn2_b32 exec_lo, exec_lo, s5
	s_cbranch_execnz .LBB51_101
; %bb.102:
	s_or_b32 exec_lo, exec_lo, s5
	v_mov_b32_e32 v110, 0
	ds_read_b64 v[110:111], v110 offset:184
	s_waitcnt lgkmcnt(0)
	v_mul_f64 v[105:106], v[105:106], v[110:111]
	buffer_store_dword v106, off, s[0:3], 0 offset:188
	buffer_store_dword v105, off, s[0:3], 0 offset:184
.LBB51_103:
	s_or_b32 exec_lo, exec_lo, s4
	s_waitcnt_vscnt null, 0x0
	s_barrier
	buffer_gl0_inv
	s_clause 0x1
	buffer_load_dword v105, off, s[0:3], 0 offset:192
	buffer_load_dword v106, off, s[0:3], 0 offset:196
	s_mov_b32 s4, exec_lo
	s_waitcnt vmcnt(0)
	ds_write_b64 v108, v[105:106]
	s_waitcnt lgkmcnt(0)
	s_barrier
	buffer_gl0_inv
	v_cmpx_gt_u32_e32 24, v0
	s_cbranch_execz .LBB51_107
; %bb.104:
	v_mov_b32_e32 v105, 0
	v_add_nc_u32_e32 v110, -1, v0
	v_add_nc_u32_e32 v111, 0x1a0, v107
	v_mov_b32_e32 v106, 0
	v_mov_b32_e32 v112, v107
	s_mov_b32 s5, 0
.LBB51_105:                             ; =>This Inner Loop Header: Depth=1
	s_clause 0x1
	buffer_load_dword v113, v112, s[0:3], 0 offen
	buffer_load_dword v114, v112, s[0:3], 0 offen offset:4
	ds_read_b64 v[115:116], v111
	v_add_nc_u32_e32 v110, 1, v110
	v_add_nc_u32_e32 v111, 8, v111
	v_add_nc_u32_e32 v112, 8, v112
	v_cmp_lt_u32_e32 vcc_lo, 22, v110
	s_or_b32 s5, vcc_lo, s5
	s_waitcnt vmcnt(0) lgkmcnt(0)
	v_fma_f64 v[105:106], v[113:114], v[115:116], v[105:106]
	s_andn2_b32 exec_lo, exec_lo, s5
	s_cbranch_execnz .LBB51_105
; %bb.106:
	s_or_b32 exec_lo, exec_lo, s5
	v_mov_b32_e32 v110, 0
	ds_read_b64 v[110:111], v110 offset:192
	s_waitcnt lgkmcnt(0)
	v_mul_f64 v[105:106], v[105:106], v[110:111]
	buffer_store_dword v106, off, s[0:3], 0 offset:196
	buffer_store_dword v105, off, s[0:3], 0 offset:192
.LBB51_107:
	s_or_b32 exec_lo, exec_lo, s4
	s_waitcnt_vscnt null, 0x0
	s_barrier
	buffer_gl0_inv
	s_clause 0x1
	buffer_load_dword v105, off, s[0:3], 0 offset:200
	buffer_load_dword v106, off, s[0:3], 0 offset:204
	s_mov_b32 s4, exec_lo
	s_waitcnt vmcnt(0)
	ds_write_b64 v108, v[105:106]
	s_waitcnt lgkmcnt(0)
	s_barrier
	buffer_gl0_inv
	v_cmpx_gt_u32_e32 25, v0
	s_cbranch_execz .LBB51_111
; %bb.108:
	v_mov_b32_e32 v105, 0
	v_add_nc_u32_e32 v110, -1, v0
	v_add_nc_u32_e32 v111, 0x1a0, v107
	v_mov_b32_e32 v106, 0
	v_mov_b32_e32 v112, v107
	s_mov_b32 s5, 0
.LBB51_109:                             ; =>This Inner Loop Header: Depth=1
	s_clause 0x1
	buffer_load_dword v113, v112, s[0:3], 0 offen
	buffer_load_dword v114, v112, s[0:3], 0 offen offset:4
	ds_read_b64 v[115:116], v111
	v_add_nc_u32_e32 v110, 1, v110
	v_add_nc_u32_e32 v111, 8, v111
	v_add_nc_u32_e32 v112, 8, v112
	v_cmp_lt_u32_e32 vcc_lo, 23, v110
	s_or_b32 s5, vcc_lo, s5
	s_waitcnt vmcnt(0) lgkmcnt(0)
	v_fma_f64 v[105:106], v[113:114], v[115:116], v[105:106]
	s_andn2_b32 exec_lo, exec_lo, s5
	s_cbranch_execnz .LBB51_109
; %bb.110:
	s_or_b32 exec_lo, exec_lo, s5
	v_mov_b32_e32 v110, 0
	ds_read_b64 v[110:111], v110 offset:200
	s_waitcnt lgkmcnt(0)
	v_mul_f64 v[105:106], v[105:106], v[110:111]
	buffer_store_dword v106, off, s[0:3], 0 offset:204
	buffer_store_dword v105, off, s[0:3], 0 offset:200
.LBB51_111:
	s_or_b32 exec_lo, exec_lo, s4
	s_waitcnt_vscnt null, 0x0
	s_barrier
	buffer_gl0_inv
	s_clause 0x1
	buffer_load_dword v105, off, s[0:3], 0 offset:208
	buffer_load_dword v106, off, s[0:3], 0 offset:212
	s_mov_b32 s4, exec_lo
	s_waitcnt vmcnt(0)
	ds_write_b64 v108, v[105:106]
	s_waitcnt lgkmcnt(0)
	s_barrier
	buffer_gl0_inv
	v_cmpx_gt_u32_e32 26, v0
	s_cbranch_execz .LBB51_115
; %bb.112:
	v_mov_b32_e32 v105, 0
	v_add_nc_u32_e32 v110, -1, v0
	v_add_nc_u32_e32 v111, 0x1a0, v107
	v_mov_b32_e32 v106, 0
	v_mov_b32_e32 v112, v107
	s_mov_b32 s5, 0
.LBB51_113:                             ; =>This Inner Loop Header: Depth=1
	s_clause 0x1
	buffer_load_dword v113, v112, s[0:3], 0 offen
	buffer_load_dword v114, v112, s[0:3], 0 offen offset:4
	ds_read_b64 v[115:116], v111
	v_add_nc_u32_e32 v110, 1, v110
	v_add_nc_u32_e32 v111, 8, v111
	v_add_nc_u32_e32 v112, 8, v112
	v_cmp_lt_u32_e32 vcc_lo, 24, v110
	s_or_b32 s5, vcc_lo, s5
	s_waitcnt vmcnt(0) lgkmcnt(0)
	v_fma_f64 v[105:106], v[113:114], v[115:116], v[105:106]
	s_andn2_b32 exec_lo, exec_lo, s5
	s_cbranch_execnz .LBB51_113
; %bb.114:
	s_or_b32 exec_lo, exec_lo, s5
	v_mov_b32_e32 v110, 0
	ds_read_b64 v[110:111], v110 offset:208
	s_waitcnt lgkmcnt(0)
	v_mul_f64 v[105:106], v[105:106], v[110:111]
	buffer_store_dword v106, off, s[0:3], 0 offset:212
	buffer_store_dword v105, off, s[0:3], 0 offset:208
.LBB51_115:
	s_or_b32 exec_lo, exec_lo, s4
	s_waitcnt_vscnt null, 0x0
	s_barrier
	buffer_gl0_inv
	s_clause 0x1
	buffer_load_dword v105, off, s[0:3], 0 offset:216
	buffer_load_dword v106, off, s[0:3], 0 offset:220
	s_mov_b32 s4, exec_lo
	s_waitcnt vmcnt(0)
	ds_write_b64 v108, v[105:106]
	s_waitcnt lgkmcnt(0)
	s_barrier
	buffer_gl0_inv
	v_cmpx_gt_u32_e32 27, v0
	s_cbranch_execz .LBB51_119
; %bb.116:
	v_mov_b32_e32 v105, 0
	v_add_nc_u32_e32 v110, -1, v0
	v_add_nc_u32_e32 v111, 0x1a0, v107
	v_mov_b32_e32 v106, 0
	v_mov_b32_e32 v112, v107
	s_mov_b32 s5, 0
.LBB51_117:                             ; =>This Inner Loop Header: Depth=1
	s_clause 0x1
	buffer_load_dword v113, v112, s[0:3], 0 offen
	buffer_load_dword v114, v112, s[0:3], 0 offen offset:4
	ds_read_b64 v[115:116], v111
	v_add_nc_u32_e32 v110, 1, v110
	v_add_nc_u32_e32 v111, 8, v111
	v_add_nc_u32_e32 v112, 8, v112
	v_cmp_lt_u32_e32 vcc_lo, 25, v110
	s_or_b32 s5, vcc_lo, s5
	s_waitcnt vmcnt(0) lgkmcnt(0)
	v_fma_f64 v[105:106], v[113:114], v[115:116], v[105:106]
	s_andn2_b32 exec_lo, exec_lo, s5
	s_cbranch_execnz .LBB51_117
; %bb.118:
	s_or_b32 exec_lo, exec_lo, s5
	v_mov_b32_e32 v110, 0
	ds_read_b64 v[110:111], v110 offset:216
	s_waitcnt lgkmcnt(0)
	v_mul_f64 v[105:106], v[105:106], v[110:111]
	buffer_store_dword v106, off, s[0:3], 0 offset:220
	buffer_store_dword v105, off, s[0:3], 0 offset:216
.LBB51_119:
	s_or_b32 exec_lo, exec_lo, s4
	s_waitcnt_vscnt null, 0x0
	s_barrier
	buffer_gl0_inv
	s_clause 0x1
	buffer_load_dword v105, off, s[0:3], 0 offset:224
	buffer_load_dword v106, off, s[0:3], 0 offset:228
	s_mov_b32 s4, exec_lo
	s_waitcnt vmcnt(0)
	ds_write_b64 v108, v[105:106]
	s_waitcnt lgkmcnt(0)
	s_barrier
	buffer_gl0_inv
	v_cmpx_gt_u32_e32 28, v0
	s_cbranch_execz .LBB51_123
; %bb.120:
	v_mov_b32_e32 v105, 0
	v_add_nc_u32_e32 v110, -1, v0
	v_add_nc_u32_e32 v111, 0x1a0, v107
	v_mov_b32_e32 v106, 0
	v_mov_b32_e32 v112, v107
	s_mov_b32 s5, 0
.LBB51_121:                             ; =>This Inner Loop Header: Depth=1
	s_clause 0x1
	buffer_load_dword v113, v112, s[0:3], 0 offen
	buffer_load_dword v114, v112, s[0:3], 0 offen offset:4
	ds_read_b64 v[115:116], v111
	v_add_nc_u32_e32 v110, 1, v110
	v_add_nc_u32_e32 v111, 8, v111
	v_add_nc_u32_e32 v112, 8, v112
	v_cmp_lt_u32_e32 vcc_lo, 26, v110
	s_or_b32 s5, vcc_lo, s5
	s_waitcnt vmcnt(0) lgkmcnt(0)
	v_fma_f64 v[105:106], v[113:114], v[115:116], v[105:106]
	s_andn2_b32 exec_lo, exec_lo, s5
	s_cbranch_execnz .LBB51_121
; %bb.122:
	s_or_b32 exec_lo, exec_lo, s5
	v_mov_b32_e32 v110, 0
	ds_read_b64 v[110:111], v110 offset:224
	s_waitcnt lgkmcnt(0)
	v_mul_f64 v[105:106], v[105:106], v[110:111]
	buffer_store_dword v106, off, s[0:3], 0 offset:228
	buffer_store_dword v105, off, s[0:3], 0 offset:224
.LBB51_123:
	s_or_b32 exec_lo, exec_lo, s4
	s_waitcnt_vscnt null, 0x0
	s_barrier
	buffer_gl0_inv
	s_clause 0x1
	buffer_load_dword v105, off, s[0:3], 0 offset:232
	buffer_load_dword v106, off, s[0:3], 0 offset:236
	s_mov_b32 s4, exec_lo
	s_waitcnt vmcnt(0)
	ds_write_b64 v108, v[105:106]
	s_waitcnt lgkmcnt(0)
	s_barrier
	buffer_gl0_inv
	v_cmpx_gt_u32_e32 29, v0
	s_cbranch_execz .LBB51_127
; %bb.124:
	v_mov_b32_e32 v105, 0
	v_add_nc_u32_e32 v110, -1, v0
	v_add_nc_u32_e32 v111, 0x1a0, v107
	v_mov_b32_e32 v106, 0
	v_mov_b32_e32 v112, v107
	s_mov_b32 s5, 0
.LBB51_125:                             ; =>This Inner Loop Header: Depth=1
	s_clause 0x1
	buffer_load_dword v113, v112, s[0:3], 0 offen
	buffer_load_dword v114, v112, s[0:3], 0 offen offset:4
	ds_read_b64 v[115:116], v111
	v_add_nc_u32_e32 v110, 1, v110
	v_add_nc_u32_e32 v111, 8, v111
	v_add_nc_u32_e32 v112, 8, v112
	v_cmp_lt_u32_e32 vcc_lo, 27, v110
	s_or_b32 s5, vcc_lo, s5
	s_waitcnt vmcnt(0) lgkmcnt(0)
	v_fma_f64 v[105:106], v[113:114], v[115:116], v[105:106]
	s_andn2_b32 exec_lo, exec_lo, s5
	s_cbranch_execnz .LBB51_125
; %bb.126:
	s_or_b32 exec_lo, exec_lo, s5
	v_mov_b32_e32 v110, 0
	ds_read_b64 v[110:111], v110 offset:232
	s_waitcnt lgkmcnt(0)
	v_mul_f64 v[105:106], v[105:106], v[110:111]
	buffer_store_dword v106, off, s[0:3], 0 offset:236
	buffer_store_dword v105, off, s[0:3], 0 offset:232
.LBB51_127:
	s_or_b32 exec_lo, exec_lo, s4
	s_waitcnt_vscnt null, 0x0
	s_barrier
	buffer_gl0_inv
	s_clause 0x1
	buffer_load_dword v105, off, s[0:3], 0 offset:240
	buffer_load_dword v106, off, s[0:3], 0 offset:244
	s_mov_b32 s4, exec_lo
	s_waitcnt vmcnt(0)
	ds_write_b64 v108, v[105:106]
	s_waitcnt lgkmcnt(0)
	s_barrier
	buffer_gl0_inv
	v_cmpx_gt_u32_e32 30, v0
	s_cbranch_execz .LBB51_131
; %bb.128:
	v_mov_b32_e32 v105, 0
	v_add_nc_u32_e32 v110, -1, v0
	v_add_nc_u32_e32 v111, 0x1a0, v107
	v_mov_b32_e32 v106, 0
	v_mov_b32_e32 v112, v107
	s_mov_b32 s5, 0
.LBB51_129:                             ; =>This Inner Loop Header: Depth=1
	s_clause 0x1
	buffer_load_dword v113, v112, s[0:3], 0 offen
	buffer_load_dword v114, v112, s[0:3], 0 offen offset:4
	ds_read_b64 v[115:116], v111
	v_add_nc_u32_e32 v110, 1, v110
	v_add_nc_u32_e32 v111, 8, v111
	v_add_nc_u32_e32 v112, 8, v112
	v_cmp_lt_u32_e32 vcc_lo, 28, v110
	s_or_b32 s5, vcc_lo, s5
	s_waitcnt vmcnt(0) lgkmcnt(0)
	v_fma_f64 v[105:106], v[113:114], v[115:116], v[105:106]
	s_andn2_b32 exec_lo, exec_lo, s5
	s_cbranch_execnz .LBB51_129
; %bb.130:
	s_or_b32 exec_lo, exec_lo, s5
	v_mov_b32_e32 v110, 0
	ds_read_b64 v[110:111], v110 offset:240
	s_waitcnt lgkmcnt(0)
	v_mul_f64 v[105:106], v[105:106], v[110:111]
	buffer_store_dword v106, off, s[0:3], 0 offset:244
	buffer_store_dword v105, off, s[0:3], 0 offset:240
.LBB51_131:
	s_or_b32 exec_lo, exec_lo, s4
	s_waitcnt_vscnt null, 0x0
	s_barrier
	buffer_gl0_inv
	s_clause 0x1
	buffer_load_dword v105, off, s[0:3], 0 offset:248
	buffer_load_dword v106, off, s[0:3], 0 offset:252
	s_mov_b32 s4, exec_lo
	s_waitcnt vmcnt(0)
	ds_write_b64 v108, v[105:106]
	s_waitcnt lgkmcnt(0)
	s_barrier
	buffer_gl0_inv
	v_cmpx_gt_u32_e32 31, v0
	s_cbranch_execz .LBB51_135
; %bb.132:
	v_mov_b32_e32 v105, 0
	v_add_nc_u32_e32 v110, -1, v0
	v_add_nc_u32_e32 v111, 0x1a0, v107
	v_mov_b32_e32 v106, 0
	v_mov_b32_e32 v112, v107
	s_mov_b32 s5, 0
.LBB51_133:                             ; =>This Inner Loop Header: Depth=1
	s_clause 0x1
	buffer_load_dword v113, v112, s[0:3], 0 offen
	buffer_load_dword v114, v112, s[0:3], 0 offen offset:4
	ds_read_b64 v[115:116], v111
	v_add_nc_u32_e32 v110, 1, v110
	v_add_nc_u32_e32 v111, 8, v111
	v_add_nc_u32_e32 v112, 8, v112
	v_cmp_lt_u32_e32 vcc_lo, 29, v110
	s_or_b32 s5, vcc_lo, s5
	s_waitcnt vmcnt(0) lgkmcnt(0)
	v_fma_f64 v[105:106], v[113:114], v[115:116], v[105:106]
	s_andn2_b32 exec_lo, exec_lo, s5
	s_cbranch_execnz .LBB51_133
; %bb.134:
	s_or_b32 exec_lo, exec_lo, s5
	v_mov_b32_e32 v110, 0
	ds_read_b64 v[110:111], v110 offset:248
	s_waitcnt lgkmcnt(0)
	v_mul_f64 v[105:106], v[105:106], v[110:111]
	buffer_store_dword v106, off, s[0:3], 0 offset:252
	buffer_store_dword v105, off, s[0:3], 0 offset:248
.LBB51_135:
	s_or_b32 exec_lo, exec_lo, s4
	s_waitcnt_vscnt null, 0x0
	s_barrier
	buffer_gl0_inv
	s_clause 0x1
	buffer_load_dword v105, off, s[0:3], 0 offset:256
	buffer_load_dword v106, off, s[0:3], 0 offset:260
	s_mov_b32 s4, exec_lo
	s_waitcnt vmcnt(0)
	ds_write_b64 v108, v[105:106]
	s_waitcnt lgkmcnt(0)
	s_barrier
	buffer_gl0_inv
	v_cmpx_gt_u32_e32 32, v0
	s_cbranch_execz .LBB51_139
; %bb.136:
	v_mov_b32_e32 v105, 0
	v_add_nc_u32_e32 v110, -1, v0
	v_add_nc_u32_e32 v111, 0x1a0, v107
	v_mov_b32_e32 v106, 0
	v_mov_b32_e32 v112, v107
	s_mov_b32 s5, 0
.LBB51_137:                             ; =>This Inner Loop Header: Depth=1
	s_clause 0x1
	buffer_load_dword v113, v112, s[0:3], 0 offen
	buffer_load_dword v114, v112, s[0:3], 0 offen offset:4
	ds_read_b64 v[115:116], v111
	v_add_nc_u32_e32 v110, 1, v110
	v_add_nc_u32_e32 v111, 8, v111
	v_add_nc_u32_e32 v112, 8, v112
	v_cmp_lt_u32_e32 vcc_lo, 30, v110
	s_or_b32 s5, vcc_lo, s5
	s_waitcnt vmcnt(0) lgkmcnt(0)
	v_fma_f64 v[105:106], v[113:114], v[115:116], v[105:106]
	s_andn2_b32 exec_lo, exec_lo, s5
	s_cbranch_execnz .LBB51_137
; %bb.138:
	s_or_b32 exec_lo, exec_lo, s5
	v_mov_b32_e32 v110, 0
	ds_read_b64 v[110:111], v110 offset:256
	s_waitcnt lgkmcnt(0)
	v_mul_f64 v[105:106], v[105:106], v[110:111]
	buffer_store_dword v106, off, s[0:3], 0 offset:260
	buffer_store_dword v105, off, s[0:3], 0 offset:256
.LBB51_139:
	s_or_b32 exec_lo, exec_lo, s4
	s_waitcnt_vscnt null, 0x0
	s_barrier
	buffer_gl0_inv
	s_clause 0x1
	buffer_load_dword v105, off, s[0:3], 0 offset:264
	buffer_load_dword v106, off, s[0:3], 0 offset:268
	s_mov_b32 s4, exec_lo
	s_waitcnt vmcnt(0)
	ds_write_b64 v108, v[105:106]
	s_waitcnt lgkmcnt(0)
	s_barrier
	buffer_gl0_inv
	v_cmpx_gt_u32_e32 33, v0
	s_cbranch_execz .LBB51_143
; %bb.140:
	v_mov_b32_e32 v105, 0
	v_add_nc_u32_e32 v110, -1, v0
	v_add_nc_u32_e32 v111, 0x1a0, v107
	v_mov_b32_e32 v106, 0
	v_mov_b32_e32 v112, v107
	s_mov_b32 s5, 0
.LBB51_141:                             ; =>This Inner Loop Header: Depth=1
	s_clause 0x1
	buffer_load_dword v113, v112, s[0:3], 0 offen
	buffer_load_dword v114, v112, s[0:3], 0 offen offset:4
	ds_read_b64 v[115:116], v111
	v_add_nc_u32_e32 v110, 1, v110
	v_add_nc_u32_e32 v111, 8, v111
	v_add_nc_u32_e32 v112, 8, v112
	v_cmp_lt_u32_e32 vcc_lo, 31, v110
	s_or_b32 s5, vcc_lo, s5
	s_waitcnt vmcnt(0) lgkmcnt(0)
	v_fma_f64 v[105:106], v[113:114], v[115:116], v[105:106]
	s_andn2_b32 exec_lo, exec_lo, s5
	s_cbranch_execnz .LBB51_141
; %bb.142:
	s_or_b32 exec_lo, exec_lo, s5
	v_mov_b32_e32 v110, 0
	ds_read_b64 v[110:111], v110 offset:264
	s_waitcnt lgkmcnt(0)
	v_mul_f64 v[105:106], v[105:106], v[110:111]
	buffer_store_dword v106, off, s[0:3], 0 offset:268
	buffer_store_dword v105, off, s[0:3], 0 offset:264
.LBB51_143:
	s_or_b32 exec_lo, exec_lo, s4
	s_waitcnt_vscnt null, 0x0
	s_barrier
	buffer_gl0_inv
	s_clause 0x1
	buffer_load_dword v105, off, s[0:3], 0 offset:272
	buffer_load_dword v106, off, s[0:3], 0 offset:276
	s_mov_b32 s4, exec_lo
	s_waitcnt vmcnt(0)
	ds_write_b64 v108, v[105:106]
	s_waitcnt lgkmcnt(0)
	s_barrier
	buffer_gl0_inv
	v_cmpx_gt_u32_e32 34, v0
	s_cbranch_execz .LBB51_147
; %bb.144:
	v_mov_b32_e32 v105, 0
	v_add_nc_u32_e32 v110, -1, v0
	v_add_nc_u32_e32 v111, 0x1a0, v107
	v_mov_b32_e32 v106, 0
	v_mov_b32_e32 v112, v107
	s_mov_b32 s5, 0
.LBB51_145:                             ; =>This Inner Loop Header: Depth=1
	s_clause 0x1
	buffer_load_dword v113, v112, s[0:3], 0 offen
	buffer_load_dword v114, v112, s[0:3], 0 offen offset:4
	ds_read_b64 v[115:116], v111
	v_add_nc_u32_e32 v110, 1, v110
	v_add_nc_u32_e32 v111, 8, v111
	v_add_nc_u32_e32 v112, 8, v112
	v_cmp_lt_u32_e32 vcc_lo, 32, v110
	s_or_b32 s5, vcc_lo, s5
	s_waitcnt vmcnt(0) lgkmcnt(0)
	v_fma_f64 v[105:106], v[113:114], v[115:116], v[105:106]
	s_andn2_b32 exec_lo, exec_lo, s5
	s_cbranch_execnz .LBB51_145
; %bb.146:
	s_or_b32 exec_lo, exec_lo, s5
	v_mov_b32_e32 v110, 0
	ds_read_b64 v[110:111], v110 offset:272
	s_waitcnt lgkmcnt(0)
	v_mul_f64 v[105:106], v[105:106], v[110:111]
	buffer_store_dword v106, off, s[0:3], 0 offset:276
	buffer_store_dword v105, off, s[0:3], 0 offset:272
.LBB51_147:
	s_or_b32 exec_lo, exec_lo, s4
	s_waitcnt_vscnt null, 0x0
	s_barrier
	buffer_gl0_inv
	s_clause 0x1
	buffer_load_dword v105, off, s[0:3], 0 offset:280
	buffer_load_dword v106, off, s[0:3], 0 offset:284
	s_mov_b32 s4, exec_lo
	s_waitcnt vmcnt(0)
	ds_write_b64 v108, v[105:106]
	s_waitcnt lgkmcnt(0)
	s_barrier
	buffer_gl0_inv
	v_cmpx_gt_u32_e32 35, v0
	s_cbranch_execz .LBB51_151
; %bb.148:
	v_mov_b32_e32 v105, 0
	v_add_nc_u32_e32 v110, -1, v0
	v_add_nc_u32_e32 v111, 0x1a0, v107
	v_mov_b32_e32 v106, 0
	v_mov_b32_e32 v112, v107
	s_mov_b32 s5, 0
.LBB51_149:                             ; =>This Inner Loop Header: Depth=1
	s_clause 0x1
	buffer_load_dword v113, v112, s[0:3], 0 offen
	buffer_load_dword v114, v112, s[0:3], 0 offen offset:4
	ds_read_b64 v[115:116], v111
	v_add_nc_u32_e32 v110, 1, v110
	v_add_nc_u32_e32 v111, 8, v111
	v_add_nc_u32_e32 v112, 8, v112
	v_cmp_lt_u32_e32 vcc_lo, 33, v110
	s_or_b32 s5, vcc_lo, s5
	s_waitcnt vmcnt(0) lgkmcnt(0)
	v_fma_f64 v[105:106], v[113:114], v[115:116], v[105:106]
	s_andn2_b32 exec_lo, exec_lo, s5
	s_cbranch_execnz .LBB51_149
; %bb.150:
	s_or_b32 exec_lo, exec_lo, s5
	v_mov_b32_e32 v110, 0
	ds_read_b64 v[110:111], v110 offset:280
	s_waitcnt lgkmcnt(0)
	v_mul_f64 v[105:106], v[105:106], v[110:111]
	buffer_store_dword v106, off, s[0:3], 0 offset:284
	buffer_store_dword v105, off, s[0:3], 0 offset:280
.LBB51_151:
	s_or_b32 exec_lo, exec_lo, s4
	s_waitcnt_vscnt null, 0x0
	s_barrier
	buffer_gl0_inv
	s_clause 0x1
	buffer_load_dword v105, off, s[0:3], 0 offset:288
	buffer_load_dword v106, off, s[0:3], 0 offset:292
	s_mov_b32 s4, exec_lo
	s_waitcnt vmcnt(0)
	ds_write_b64 v108, v[105:106]
	s_waitcnt lgkmcnt(0)
	s_barrier
	buffer_gl0_inv
	v_cmpx_gt_u32_e32 36, v0
	s_cbranch_execz .LBB51_155
; %bb.152:
	v_mov_b32_e32 v105, 0
	v_add_nc_u32_e32 v110, -1, v0
	v_add_nc_u32_e32 v111, 0x1a0, v107
	v_mov_b32_e32 v106, 0
	v_mov_b32_e32 v112, v107
	s_mov_b32 s5, 0
.LBB51_153:                             ; =>This Inner Loop Header: Depth=1
	s_clause 0x1
	buffer_load_dword v113, v112, s[0:3], 0 offen
	buffer_load_dword v114, v112, s[0:3], 0 offen offset:4
	ds_read_b64 v[115:116], v111
	v_add_nc_u32_e32 v110, 1, v110
	v_add_nc_u32_e32 v111, 8, v111
	v_add_nc_u32_e32 v112, 8, v112
	v_cmp_lt_u32_e32 vcc_lo, 34, v110
	s_or_b32 s5, vcc_lo, s5
	s_waitcnt vmcnt(0) lgkmcnt(0)
	v_fma_f64 v[105:106], v[113:114], v[115:116], v[105:106]
	s_andn2_b32 exec_lo, exec_lo, s5
	s_cbranch_execnz .LBB51_153
; %bb.154:
	s_or_b32 exec_lo, exec_lo, s5
	v_mov_b32_e32 v110, 0
	ds_read_b64 v[110:111], v110 offset:288
	s_waitcnt lgkmcnt(0)
	v_mul_f64 v[105:106], v[105:106], v[110:111]
	buffer_store_dword v106, off, s[0:3], 0 offset:292
	buffer_store_dword v105, off, s[0:3], 0 offset:288
.LBB51_155:
	s_or_b32 exec_lo, exec_lo, s4
	s_waitcnt_vscnt null, 0x0
	s_barrier
	buffer_gl0_inv
	s_clause 0x1
	buffer_load_dword v105, off, s[0:3], 0 offset:296
	buffer_load_dword v106, off, s[0:3], 0 offset:300
	s_mov_b32 s4, exec_lo
	s_waitcnt vmcnt(0)
	ds_write_b64 v108, v[105:106]
	s_waitcnt lgkmcnt(0)
	s_barrier
	buffer_gl0_inv
	v_cmpx_gt_u32_e32 37, v0
	s_cbranch_execz .LBB51_159
; %bb.156:
	v_mov_b32_e32 v105, 0
	v_add_nc_u32_e32 v110, -1, v0
	v_add_nc_u32_e32 v111, 0x1a0, v107
	v_mov_b32_e32 v106, 0
	v_mov_b32_e32 v112, v107
	s_mov_b32 s5, 0
.LBB51_157:                             ; =>This Inner Loop Header: Depth=1
	s_clause 0x1
	buffer_load_dword v113, v112, s[0:3], 0 offen
	buffer_load_dword v114, v112, s[0:3], 0 offen offset:4
	ds_read_b64 v[115:116], v111
	v_add_nc_u32_e32 v110, 1, v110
	v_add_nc_u32_e32 v111, 8, v111
	v_add_nc_u32_e32 v112, 8, v112
	v_cmp_lt_u32_e32 vcc_lo, 35, v110
	s_or_b32 s5, vcc_lo, s5
	s_waitcnt vmcnt(0) lgkmcnt(0)
	v_fma_f64 v[105:106], v[113:114], v[115:116], v[105:106]
	s_andn2_b32 exec_lo, exec_lo, s5
	s_cbranch_execnz .LBB51_157
; %bb.158:
	s_or_b32 exec_lo, exec_lo, s5
	v_mov_b32_e32 v110, 0
	ds_read_b64 v[110:111], v110 offset:296
	s_waitcnt lgkmcnt(0)
	v_mul_f64 v[105:106], v[105:106], v[110:111]
	buffer_store_dword v106, off, s[0:3], 0 offset:300
	buffer_store_dword v105, off, s[0:3], 0 offset:296
.LBB51_159:
	s_or_b32 exec_lo, exec_lo, s4
	s_waitcnt_vscnt null, 0x0
	s_barrier
	buffer_gl0_inv
	s_clause 0x1
	buffer_load_dword v105, off, s[0:3], 0 offset:304
	buffer_load_dword v106, off, s[0:3], 0 offset:308
	s_mov_b32 s4, exec_lo
	s_waitcnt vmcnt(0)
	ds_write_b64 v108, v[105:106]
	s_waitcnt lgkmcnt(0)
	s_barrier
	buffer_gl0_inv
	v_cmpx_gt_u32_e32 38, v0
	s_cbranch_execz .LBB51_163
; %bb.160:
	v_mov_b32_e32 v105, 0
	v_add_nc_u32_e32 v110, -1, v0
	v_add_nc_u32_e32 v111, 0x1a0, v107
	v_mov_b32_e32 v106, 0
	v_mov_b32_e32 v112, v107
	s_mov_b32 s5, 0
.LBB51_161:                             ; =>This Inner Loop Header: Depth=1
	s_clause 0x1
	buffer_load_dword v113, v112, s[0:3], 0 offen
	buffer_load_dword v114, v112, s[0:3], 0 offen offset:4
	ds_read_b64 v[115:116], v111
	v_add_nc_u32_e32 v110, 1, v110
	v_add_nc_u32_e32 v111, 8, v111
	v_add_nc_u32_e32 v112, 8, v112
	v_cmp_lt_u32_e32 vcc_lo, 36, v110
	s_or_b32 s5, vcc_lo, s5
	s_waitcnt vmcnt(0) lgkmcnt(0)
	v_fma_f64 v[105:106], v[113:114], v[115:116], v[105:106]
	s_andn2_b32 exec_lo, exec_lo, s5
	s_cbranch_execnz .LBB51_161
; %bb.162:
	s_or_b32 exec_lo, exec_lo, s5
	v_mov_b32_e32 v110, 0
	ds_read_b64 v[110:111], v110 offset:304
	s_waitcnt lgkmcnt(0)
	v_mul_f64 v[105:106], v[105:106], v[110:111]
	buffer_store_dword v106, off, s[0:3], 0 offset:308
	buffer_store_dword v105, off, s[0:3], 0 offset:304
.LBB51_163:
	s_or_b32 exec_lo, exec_lo, s4
	s_waitcnt_vscnt null, 0x0
	s_barrier
	buffer_gl0_inv
	s_clause 0x1
	buffer_load_dword v105, off, s[0:3], 0 offset:312
	buffer_load_dword v106, off, s[0:3], 0 offset:316
	s_mov_b32 s4, exec_lo
	s_waitcnt vmcnt(0)
	ds_write_b64 v108, v[105:106]
	s_waitcnt lgkmcnt(0)
	s_barrier
	buffer_gl0_inv
	v_cmpx_gt_u32_e32 39, v0
	s_cbranch_execz .LBB51_167
; %bb.164:
	v_mov_b32_e32 v105, 0
	v_add_nc_u32_e32 v110, -1, v0
	v_add_nc_u32_e32 v111, 0x1a0, v107
	v_mov_b32_e32 v106, 0
	v_mov_b32_e32 v112, v107
	s_mov_b32 s5, 0
.LBB51_165:                             ; =>This Inner Loop Header: Depth=1
	s_clause 0x1
	buffer_load_dword v113, v112, s[0:3], 0 offen
	buffer_load_dword v114, v112, s[0:3], 0 offen offset:4
	ds_read_b64 v[115:116], v111
	v_add_nc_u32_e32 v110, 1, v110
	v_add_nc_u32_e32 v111, 8, v111
	v_add_nc_u32_e32 v112, 8, v112
	v_cmp_lt_u32_e32 vcc_lo, 37, v110
	s_or_b32 s5, vcc_lo, s5
	s_waitcnt vmcnt(0) lgkmcnt(0)
	v_fma_f64 v[105:106], v[113:114], v[115:116], v[105:106]
	s_andn2_b32 exec_lo, exec_lo, s5
	s_cbranch_execnz .LBB51_165
; %bb.166:
	s_or_b32 exec_lo, exec_lo, s5
	v_mov_b32_e32 v110, 0
	ds_read_b64 v[110:111], v110 offset:312
	s_waitcnt lgkmcnt(0)
	v_mul_f64 v[105:106], v[105:106], v[110:111]
	buffer_store_dword v106, off, s[0:3], 0 offset:316
	buffer_store_dword v105, off, s[0:3], 0 offset:312
.LBB51_167:
	s_or_b32 exec_lo, exec_lo, s4
	s_waitcnt_vscnt null, 0x0
	s_barrier
	buffer_gl0_inv
	s_clause 0x1
	buffer_load_dword v105, off, s[0:3], 0 offset:320
	buffer_load_dword v106, off, s[0:3], 0 offset:324
	s_mov_b32 s4, exec_lo
	s_waitcnt vmcnt(0)
	ds_write_b64 v108, v[105:106]
	s_waitcnt lgkmcnt(0)
	s_barrier
	buffer_gl0_inv
	v_cmpx_gt_u32_e32 40, v0
	s_cbranch_execz .LBB51_171
; %bb.168:
	v_mov_b32_e32 v105, 0
	v_add_nc_u32_e32 v110, -1, v0
	v_add_nc_u32_e32 v111, 0x1a0, v107
	v_mov_b32_e32 v106, 0
	v_mov_b32_e32 v112, v107
	s_mov_b32 s5, 0
.LBB51_169:                             ; =>This Inner Loop Header: Depth=1
	s_clause 0x1
	buffer_load_dword v113, v112, s[0:3], 0 offen
	buffer_load_dword v114, v112, s[0:3], 0 offen offset:4
	ds_read_b64 v[115:116], v111
	v_add_nc_u32_e32 v110, 1, v110
	v_add_nc_u32_e32 v111, 8, v111
	v_add_nc_u32_e32 v112, 8, v112
	v_cmp_lt_u32_e32 vcc_lo, 38, v110
	s_or_b32 s5, vcc_lo, s5
	s_waitcnt vmcnt(0) lgkmcnt(0)
	v_fma_f64 v[105:106], v[113:114], v[115:116], v[105:106]
	s_andn2_b32 exec_lo, exec_lo, s5
	s_cbranch_execnz .LBB51_169
; %bb.170:
	s_or_b32 exec_lo, exec_lo, s5
	v_mov_b32_e32 v110, 0
	ds_read_b64 v[110:111], v110 offset:320
	s_waitcnt lgkmcnt(0)
	v_mul_f64 v[105:106], v[105:106], v[110:111]
	buffer_store_dword v106, off, s[0:3], 0 offset:324
	buffer_store_dword v105, off, s[0:3], 0 offset:320
.LBB51_171:
	s_or_b32 exec_lo, exec_lo, s4
	s_waitcnt_vscnt null, 0x0
	s_barrier
	buffer_gl0_inv
	s_clause 0x1
	buffer_load_dword v105, off, s[0:3], 0 offset:328
	buffer_load_dword v106, off, s[0:3], 0 offset:332
	s_mov_b32 s4, exec_lo
	s_waitcnt vmcnt(0)
	ds_write_b64 v108, v[105:106]
	s_waitcnt lgkmcnt(0)
	s_barrier
	buffer_gl0_inv
	v_cmpx_gt_u32_e32 41, v0
	s_cbranch_execz .LBB51_175
; %bb.172:
	v_mov_b32_e32 v105, 0
	v_add_nc_u32_e32 v110, -1, v0
	v_add_nc_u32_e32 v111, 0x1a0, v107
	v_mov_b32_e32 v106, 0
	v_mov_b32_e32 v112, v107
	s_mov_b32 s5, 0
.LBB51_173:                             ; =>This Inner Loop Header: Depth=1
	s_clause 0x1
	buffer_load_dword v113, v112, s[0:3], 0 offen
	buffer_load_dword v114, v112, s[0:3], 0 offen offset:4
	ds_read_b64 v[115:116], v111
	v_add_nc_u32_e32 v110, 1, v110
	v_add_nc_u32_e32 v111, 8, v111
	v_add_nc_u32_e32 v112, 8, v112
	v_cmp_lt_u32_e32 vcc_lo, 39, v110
	s_or_b32 s5, vcc_lo, s5
	s_waitcnt vmcnt(0) lgkmcnt(0)
	v_fma_f64 v[105:106], v[113:114], v[115:116], v[105:106]
	s_andn2_b32 exec_lo, exec_lo, s5
	s_cbranch_execnz .LBB51_173
; %bb.174:
	s_or_b32 exec_lo, exec_lo, s5
	v_mov_b32_e32 v110, 0
	ds_read_b64 v[110:111], v110 offset:328
	s_waitcnt lgkmcnt(0)
	v_mul_f64 v[105:106], v[105:106], v[110:111]
	buffer_store_dword v106, off, s[0:3], 0 offset:332
	buffer_store_dword v105, off, s[0:3], 0 offset:328
.LBB51_175:
	s_or_b32 exec_lo, exec_lo, s4
	s_waitcnt_vscnt null, 0x0
	s_barrier
	buffer_gl0_inv
	s_clause 0x1
	buffer_load_dword v105, off, s[0:3], 0 offset:336
	buffer_load_dword v106, off, s[0:3], 0 offset:340
	s_mov_b32 s4, exec_lo
	s_waitcnt vmcnt(0)
	ds_write_b64 v108, v[105:106]
	s_waitcnt lgkmcnt(0)
	s_barrier
	buffer_gl0_inv
	v_cmpx_gt_u32_e32 42, v0
	s_cbranch_execz .LBB51_179
; %bb.176:
	v_mov_b32_e32 v105, 0
	v_add_nc_u32_e32 v110, -1, v0
	v_add_nc_u32_e32 v111, 0x1a0, v107
	v_mov_b32_e32 v106, 0
	v_mov_b32_e32 v112, v107
	s_mov_b32 s5, 0
.LBB51_177:                             ; =>This Inner Loop Header: Depth=1
	s_clause 0x1
	buffer_load_dword v113, v112, s[0:3], 0 offen
	buffer_load_dword v114, v112, s[0:3], 0 offen offset:4
	ds_read_b64 v[115:116], v111
	v_add_nc_u32_e32 v110, 1, v110
	v_add_nc_u32_e32 v111, 8, v111
	v_add_nc_u32_e32 v112, 8, v112
	v_cmp_lt_u32_e32 vcc_lo, 40, v110
	s_or_b32 s5, vcc_lo, s5
	s_waitcnt vmcnt(0) lgkmcnt(0)
	v_fma_f64 v[105:106], v[113:114], v[115:116], v[105:106]
	s_andn2_b32 exec_lo, exec_lo, s5
	s_cbranch_execnz .LBB51_177
; %bb.178:
	s_or_b32 exec_lo, exec_lo, s5
	v_mov_b32_e32 v110, 0
	ds_read_b64 v[110:111], v110 offset:336
	s_waitcnt lgkmcnt(0)
	v_mul_f64 v[105:106], v[105:106], v[110:111]
	buffer_store_dword v106, off, s[0:3], 0 offset:340
	buffer_store_dword v105, off, s[0:3], 0 offset:336
.LBB51_179:
	s_or_b32 exec_lo, exec_lo, s4
	s_waitcnt_vscnt null, 0x0
	s_barrier
	buffer_gl0_inv
	s_clause 0x1
	buffer_load_dword v105, off, s[0:3], 0 offset:344
	buffer_load_dword v106, off, s[0:3], 0 offset:348
	s_mov_b32 s4, exec_lo
	s_waitcnt vmcnt(0)
	ds_write_b64 v108, v[105:106]
	s_waitcnt lgkmcnt(0)
	s_barrier
	buffer_gl0_inv
	v_cmpx_gt_u32_e32 43, v0
	s_cbranch_execz .LBB51_183
; %bb.180:
	v_mov_b32_e32 v105, 0
	v_add_nc_u32_e32 v110, -1, v0
	v_add_nc_u32_e32 v111, 0x1a0, v107
	v_mov_b32_e32 v106, 0
	v_mov_b32_e32 v112, v107
	s_mov_b32 s5, 0
.LBB51_181:                             ; =>This Inner Loop Header: Depth=1
	s_clause 0x1
	buffer_load_dword v113, v112, s[0:3], 0 offen
	buffer_load_dword v114, v112, s[0:3], 0 offen offset:4
	ds_read_b64 v[115:116], v111
	v_add_nc_u32_e32 v110, 1, v110
	v_add_nc_u32_e32 v111, 8, v111
	v_add_nc_u32_e32 v112, 8, v112
	v_cmp_lt_u32_e32 vcc_lo, 41, v110
	s_or_b32 s5, vcc_lo, s5
	s_waitcnt vmcnt(0) lgkmcnt(0)
	v_fma_f64 v[105:106], v[113:114], v[115:116], v[105:106]
	s_andn2_b32 exec_lo, exec_lo, s5
	s_cbranch_execnz .LBB51_181
; %bb.182:
	s_or_b32 exec_lo, exec_lo, s5
	v_mov_b32_e32 v110, 0
	ds_read_b64 v[110:111], v110 offset:344
	s_waitcnt lgkmcnt(0)
	v_mul_f64 v[105:106], v[105:106], v[110:111]
	buffer_store_dword v106, off, s[0:3], 0 offset:348
	buffer_store_dword v105, off, s[0:3], 0 offset:344
.LBB51_183:
	s_or_b32 exec_lo, exec_lo, s4
	s_waitcnt_vscnt null, 0x0
	s_barrier
	buffer_gl0_inv
	s_clause 0x1
	buffer_load_dword v105, off, s[0:3], 0 offset:352
	buffer_load_dword v106, off, s[0:3], 0 offset:356
	s_mov_b32 s4, exec_lo
	s_waitcnt vmcnt(0)
	ds_write_b64 v108, v[105:106]
	s_waitcnt lgkmcnt(0)
	s_barrier
	buffer_gl0_inv
	v_cmpx_gt_u32_e32 44, v0
	s_cbranch_execz .LBB51_187
; %bb.184:
	v_mov_b32_e32 v105, 0
	v_add_nc_u32_e32 v110, -1, v0
	v_add_nc_u32_e32 v111, 0x1a0, v107
	v_mov_b32_e32 v106, 0
	v_mov_b32_e32 v112, v107
	s_mov_b32 s5, 0
.LBB51_185:                             ; =>This Inner Loop Header: Depth=1
	s_clause 0x1
	buffer_load_dword v113, v112, s[0:3], 0 offen
	buffer_load_dword v114, v112, s[0:3], 0 offen offset:4
	ds_read_b64 v[115:116], v111
	v_add_nc_u32_e32 v110, 1, v110
	v_add_nc_u32_e32 v111, 8, v111
	v_add_nc_u32_e32 v112, 8, v112
	v_cmp_lt_u32_e32 vcc_lo, 42, v110
	s_or_b32 s5, vcc_lo, s5
	s_waitcnt vmcnt(0) lgkmcnt(0)
	v_fma_f64 v[105:106], v[113:114], v[115:116], v[105:106]
	s_andn2_b32 exec_lo, exec_lo, s5
	s_cbranch_execnz .LBB51_185
; %bb.186:
	s_or_b32 exec_lo, exec_lo, s5
	v_mov_b32_e32 v110, 0
	ds_read_b64 v[110:111], v110 offset:352
	s_waitcnt lgkmcnt(0)
	v_mul_f64 v[105:106], v[105:106], v[110:111]
	buffer_store_dword v106, off, s[0:3], 0 offset:356
	buffer_store_dword v105, off, s[0:3], 0 offset:352
.LBB51_187:
	s_or_b32 exec_lo, exec_lo, s4
	s_waitcnt_vscnt null, 0x0
	s_barrier
	buffer_gl0_inv
	s_clause 0x1
	buffer_load_dword v105, off, s[0:3], 0 offset:360
	buffer_load_dword v106, off, s[0:3], 0 offset:364
	s_mov_b32 s4, exec_lo
	s_waitcnt vmcnt(0)
	ds_write_b64 v108, v[105:106]
	s_waitcnt lgkmcnt(0)
	s_barrier
	buffer_gl0_inv
	v_cmpx_gt_u32_e32 45, v0
	s_cbranch_execz .LBB51_191
; %bb.188:
	v_mov_b32_e32 v105, 0
	v_add_nc_u32_e32 v110, -1, v0
	v_add_nc_u32_e32 v111, 0x1a0, v107
	v_mov_b32_e32 v106, 0
	v_mov_b32_e32 v112, v107
	s_mov_b32 s5, 0
.LBB51_189:                             ; =>This Inner Loop Header: Depth=1
	s_clause 0x1
	buffer_load_dword v113, v112, s[0:3], 0 offen
	buffer_load_dword v114, v112, s[0:3], 0 offen offset:4
	ds_read_b64 v[115:116], v111
	v_add_nc_u32_e32 v110, 1, v110
	v_add_nc_u32_e32 v111, 8, v111
	v_add_nc_u32_e32 v112, 8, v112
	v_cmp_lt_u32_e32 vcc_lo, 43, v110
	s_or_b32 s5, vcc_lo, s5
	s_waitcnt vmcnt(0) lgkmcnt(0)
	v_fma_f64 v[105:106], v[113:114], v[115:116], v[105:106]
	s_andn2_b32 exec_lo, exec_lo, s5
	s_cbranch_execnz .LBB51_189
; %bb.190:
	s_or_b32 exec_lo, exec_lo, s5
	v_mov_b32_e32 v110, 0
	ds_read_b64 v[110:111], v110 offset:360
	s_waitcnt lgkmcnt(0)
	v_mul_f64 v[105:106], v[105:106], v[110:111]
	buffer_store_dword v106, off, s[0:3], 0 offset:364
	buffer_store_dword v105, off, s[0:3], 0 offset:360
.LBB51_191:
	s_or_b32 exec_lo, exec_lo, s4
	s_waitcnt_vscnt null, 0x0
	s_barrier
	buffer_gl0_inv
	s_clause 0x1
	buffer_load_dword v105, off, s[0:3], 0 offset:368
	buffer_load_dword v106, off, s[0:3], 0 offset:372
	s_mov_b32 s4, exec_lo
	s_waitcnt vmcnt(0)
	ds_write_b64 v108, v[105:106]
	s_waitcnt lgkmcnt(0)
	s_barrier
	buffer_gl0_inv
	v_cmpx_gt_u32_e32 46, v0
	s_cbranch_execz .LBB51_195
; %bb.192:
	v_mov_b32_e32 v105, 0
	v_add_nc_u32_e32 v110, -1, v0
	v_add_nc_u32_e32 v111, 0x1a0, v107
	v_mov_b32_e32 v106, 0
	v_mov_b32_e32 v112, v107
	s_mov_b32 s5, 0
.LBB51_193:                             ; =>This Inner Loop Header: Depth=1
	s_clause 0x1
	buffer_load_dword v113, v112, s[0:3], 0 offen
	buffer_load_dword v114, v112, s[0:3], 0 offen offset:4
	ds_read_b64 v[115:116], v111
	v_add_nc_u32_e32 v110, 1, v110
	v_add_nc_u32_e32 v111, 8, v111
	v_add_nc_u32_e32 v112, 8, v112
	v_cmp_lt_u32_e32 vcc_lo, 44, v110
	s_or_b32 s5, vcc_lo, s5
	s_waitcnt vmcnt(0) lgkmcnt(0)
	v_fma_f64 v[105:106], v[113:114], v[115:116], v[105:106]
	s_andn2_b32 exec_lo, exec_lo, s5
	s_cbranch_execnz .LBB51_193
; %bb.194:
	s_or_b32 exec_lo, exec_lo, s5
	v_mov_b32_e32 v110, 0
	ds_read_b64 v[110:111], v110 offset:368
	s_waitcnt lgkmcnt(0)
	v_mul_f64 v[105:106], v[105:106], v[110:111]
	buffer_store_dword v106, off, s[0:3], 0 offset:372
	buffer_store_dword v105, off, s[0:3], 0 offset:368
.LBB51_195:
	s_or_b32 exec_lo, exec_lo, s4
	s_waitcnt_vscnt null, 0x0
	s_barrier
	buffer_gl0_inv
	s_clause 0x1
	buffer_load_dword v105, off, s[0:3], 0 offset:376
	buffer_load_dword v106, off, s[0:3], 0 offset:380
	s_mov_b32 s4, exec_lo
	s_waitcnt vmcnt(0)
	ds_write_b64 v108, v[105:106]
	s_waitcnt lgkmcnt(0)
	s_barrier
	buffer_gl0_inv
	v_cmpx_gt_u32_e32 47, v0
	s_cbranch_execz .LBB51_199
; %bb.196:
	v_mov_b32_e32 v105, 0
	v_add_nc_u32_e32 v110, -1, v0
	v_add_nc_u32_e32 v111, 0x1a0, v107
	v_mov_b32_e32 v106, 0
	v_mov_b32_e32 v112, v107
	s_mov_b32 s5, 0
.LBB51_197:                             ; =>This Inner Loop Header: Depth=1
	s_clause 0x1
	buffer_load_dword v113, v112, s[0:3], 0 offen
	buffer_load_dword v114, v112, s[0:3], 0 offen offset:4
	ds_read_b64 v[115:116], v111
	v_add_nc_u32_e32 v110, 1, v110
	v_add_nc_u32_e32 v111, 8, v111
	v_add_nc_u32_e32 v112, 8, v112
	v_cmp_lt_u32_e32 vcc_lo, 45, v110
	s_or_b32 s5, vcc_lo, s5
	s_waitcnt vmcnt(0) lgkmcnt(0)
	v_fma_f64 v[105:106], v[113:114], v[115:116], v[105:106]
	s_andn2_b32 exec_lo, exec_lo, s5
	s_cbranch_execnz .LBB51_197
; %bb.198:
	s_or_b32 exec_lo, exec_lo, s5
	v_mov_b32_e32 v110, 0
	ds_read_b64 v[110:111], v110 offset:376
	s_waitcnt lgkmcnt(0)
	v_mul_f64 v[105:106], v[105:106], v[110:111]
	buffer_store_dword v106, off, s[0:3], 0 offset:380
	buffer_store_dword v105, off, s[0:3], 0 offset:376
.LBB51_199:
	s_or_b32 exec_lo, exec_lo, s4
	s_waitcnt_vscnt null, 0x0
	s_barrier
	buffer_gl0_inv
	s_clause 0x1
	buffer_load_dword v105, off, s[0:3], 0 offset:384
	buffer_load_dword v106, off, s[0:3], 0 offset:388
	s_mov_b32 s4, exec_lo
	s_waitcnt vmcnt(0)
	ds_write_b64 v108, v[105:106]
	s_waitcnt lgkmcnt(0)
	s_barrier
	buffer_gl0_inv
	v_cmpx_gt_u32_e32 48, v0
	s_cbranch_execz .LBB51_203
; %bb.200:
	v_mov_b32_e32 v105, 0
	v_add_nc_u32_e32 v110, -1, v0
	v_add_nc_u32_e32 v111, 0x1a0, v107
	v_mov_b32_e32 v106, 0
	v_mov_b32_e32 v112, v107
	s_mov_b32 s5, 0
.LBB51_201:                             ; =>This Inner Loop Header: Depth=1
	s_clause 0x1
	buffer_load_dword v113, v112, s[0:3], 0 offen
	buffer_load_dword v114, v112, s[0:3], 0 offen offset:4
	ds_read_b64 v[115:116], v111
	v_add_nc_u32_e32 v110, 1, v110
	v_add_nc_u32_e32 v111, 8, v111
	v_add_nc_u32_e32 v112, 8, v112
	v_cmp_lt_u32_e32 vcc_lo, 46, v110
	s_or_b32 s5, vcc_lo, s5
	s_waitcnt vmcnt(0) lgkmcnt(0)
	v_fma_f64 v[105:106], v[113:114], v[115:116], v[105:106]
	s_andn2_b32 exec_lo, exec_lo, s5
	s_cbranch_execnz .LBB51_201
; %bb.202:
	s_or_b32 exec_lo, exec_lo, s5
	v_mov_b32_e32 v110, 0
	ds_read_b64 v[110:111], v110 offset:384
	s_waitcnt lgkmcnt(0)
	v_mul_f64 v[105:106], v[105:106], v[110:111]
	buffer_store_dword v106, off, s[0:3], 0 offset:388
	buffer_store_dword v105, off, s[0:3], 0 offset:384
.LBB51_203:
	s_or_b32 exec_lo, exec_lo, s4
	s_waitcnt_vscnt null, 0x0
	s_barrier
	buffer_gl0_inv
	s_clause 0x1
	buffer_load_dword v105, off, s[0:3], 0 offset:392
	buffer_load_dword v106, off, s[0:3], 0 offset:396
	s_mov_b32 s4, exec_lo
	s_waitcnt vmcnt(0)
	ds_write_b64 v108, v[105:106]
	s_waitcnt lgkmcnt(0)
	s_barrier
	buffer_gl0_inv
	v_cmpx_gt_u32_e32 49, v0
	s_cbranch_execz .LBB51_207
; %bb.204:
	v_mov_b32_e32 v105, 0
	v_add_nc_u32_e32 v110, -1, v0
	v_add_nc_u32_e32 v111, 0x1a0, v107
	v_mov_b32_e32 v106, 0
	v_mov_b32_e32 v112, v107
	s_mov_b32 s5, 0
.LBB51_205:                             ; =>This Inner Loop Header: Depth=1
	s_clause 0x1
	buffer_load_dword v113, v112, s[0:3], 0 offen
	buffer_load_dword v114, v112, s[0:3], 0 offen offset:4
	ds_read_b64 v[115:116], v111
	v_add_nc_u32_e32 v110, 1, v110
	v_add_nc_u32_e32 v111, 8, v111
	v_add_nc_u32_e32 v112, 8, v112
	v_cmp_lt_u32_e32 vcc_lo, 47, v110
	s_or_b32 s5, vcc_lo, s5
	s_waitcnt vmcnt(0) lgkmcnt(0)
	v_fma_f64 v[105:106], v[113:114], v[115:116], v[105:106]
	s_andn2_b32 exec_lo, exec_lo, s5
	s_cbranch_execnz .LBB51_205
; %bb.206:
	s_or_b32 exec_lo, exec_lo, s5
	v_mov_b32_e32 v110, 0
	ds_read_b64 v[110:111], v110 offset:392
	s_waitcnt lgkmcnt(0)
	v_mul_f64 v[105:106], v[105:106], v[110:111]
	buffer_store_dword v106, off, s[0:3], 0 offset:396
	buffer_store_dword v105, off, s[0:3], 0 offset:392
.LBB51_207:
	s_or_b32 exec_lo, exec_lo, s4
	s_waitcnt_vscnt null, 0x0
	s_barrier
	buffer_gl0_inv
	s_clause 0x1
	buffer_load_dword v105, off, s[0:3], 0 offset:400
	buffer_load_dword v106, off, s[0:3], 0 offset:404
	s_mov_b32 s4, exec_lo
	s_waitcnt vmcnt(0)
	ds_write_b64 v108, v[105:106]
	s_waitcnt lgkmcnt(0)
	s_barrier
	buffer_gl0_inv
	v_cmpx_gt_u32_e32 50, v0
	s_cbranch_execz .LBB51_211
; %bb.208:
	v_mov_b32_e32 v105, 0
	v_add_nc_u32_e32 v110, -1, v0
	v_add_nc_u32_e32 v111, 0x1a0, v107
	v_mov_b32_e32 v106, 0
	v_mov_b32_e32 v112, v107
	s_mov_b32 s5, 0
.LBB51_209:                             ; =>This Inner Loop Header: Depth=1
	s_clause 0x1
	buffer_load_dword v113, v112, s[0:3], 0 offen
	buffer_load_dword v114, v112, s[0:3], 0 offen offset:4
	ds_read_b64 v[115:116], v111
	v_add_nc_u32_e32 v110, 1, v110
	v_add_nc_u32_e32 v111, 8, v111
	v_add_nc_u32_e32 v112, 8, v112
	v_cmp_lt_u32_e32 vcc_lo, 48, v110
	s_or_b32 s5, vcc_lo, s5
	s_waitcnt vmcnt(0) lgkmcnt(0)
	v_fma_f64 v[105:106], v[113:114], v[115:116], v[105:106]
	s_andn2_b32 exec_lo, exec_lo, s5
	s_cbranch_execnz .LBB51_209
; %bb.210:
	s_or_b32 exec_lo, exec_lo, s5
	v_mov_b32_e32 v110, 0
	ds_read_b64 v[110:111], v110 offset:400
	s_waitcnt lgkmcnt(0)
	v_mul_f64 v[105:106], v[105:106], v[110:111]
	buffer_store_dword v106, off, s[0:3], 0 offset:404
	buffer_store_dword v105, off, s[0:3], 0 offset:400
.LBB51_211:
	s_or_b32 exec_lo, exec_lo, s4
	s_waitcnt_vscnt null, 0x0
	s_barrier
	buffer_gl0_inv
	s_clause 0x1
	buffer_load_dword v105, off, s[0:3], 0 offset:408
	buffer_load_dword v106, off, s[0:3], 0 offset:412
	s_mov_b32 s4, exec_lo
	s_waitcnt vmcnt(0)
	ds_write_b64 v108, v[105:106]
	s_waitcnt lgkmcnt(0)
	s_barrier
	buffer_gl0_inv
	v_cmpx_ne_u32_e32 51, v0
	s_cbranch_execz .LBB51_215
; %bb.212:
	v_mov_b32_e32 v105, 0
	v_mov_b32_e32 v106, 0
	s_mov_b32 s5, 0
.LBB51_213:                             ; =>This Inner Loop Header: Depth=1
	s_clause 0x1
	buffer_load_dword v110, v107, s[0:3], 0 offen
	buffer_load_dword v111, v107, s[0:3], 0 offen offset:4
	ds_read_b64 v[112:113], v108
	v_add_nc_u32_e32 v109, 1, v109
	v_add_nc_u32_e32 v108, 8, v108
	;; [unrolled: 1-line block ×3, first 2 shown]
	v_cmp_lt_u32_e32 vcc_lo, 49, v109
	s_or_b32 s5, vcc_lo, s5
	s_waitcnt vmcnt(0) lgkmcnt(0)
	v_fma_f64 v[105:106], v[110:111], v[112:113], v[105:106]
	s_andn2_b32 exec_lo, exec_lo, s5
	s_cbranch_execnz .LBB51_213
; %bb.214:
	s_or_b32 exec_lo, exec_lo, s5
	v_mov_b32_e32 v107, 0
	ds_read_b64 v[107:108], v107 offset:408
	s_waitcnt lgkmcnt(0)
	v_mul_f64 v[105:106], v[105:106], v[107:108]
	buffer_store_dword v106, off, s[0:3], 0 offset:412
	buffer_store_dword v105, off, s[0:3], 0 offset:408
.LBB51_215:
	s_or_b32 exec_lo, exec_lo, s4
	s_mov_b32 s5, -1
	s_waitcnt_vscnt null, 0x0
	s_barrier
	buffer_gl0_inv
.LBB51_216:
	s_and_b32 vcc_lo, exec_lo, s5
	s_cbranch_vccz .LBB51_218
; %bb.217:
	s_lshl_b64 s[4:5], s[6:7], 2
	v_mov_b32_e32 v105, 0
	s_add_u32 s4, s10, s4
	s_addc_u32 s5, s11, s5
	global_load_dword v105, v105, s[4:5]
	s_waitcnt vmcnt(0)
	v_cmp_ne_u32_e32 vcc_lo, 0, v105
	s_cbranch_vccz .LBB51_219
.LBB51_218:
	s_endpgm
.LBB51_219:
	v_lshl_add_u32 v105, v0, 3, 0x1a0
	s_mov_b32 s4, exec_lo
	v_cmpx_eq_u32_e32 51, v0
	s_cbranch_execz .LBB51_221
; %bb.220:
	s_clause 0x1
	buffer_load_dword v106, off, s[0:3], 0 offset:400
	buffer_load_dword v107, off, s[0:3], 0 offset:404
	v_mov_b32_e32 v108, 0
	buffer_store_dword v108, off, s[0:3], 0 offset:400
	buffer_store_dword v108, off, s[0:3], 0 offset:404
	s_waitcnt vmcnt(0)
	ds_write_b64 v105, v[106:107]
.LBB51_221:
	s_or_b32 exec_lo, exec_lo, s4
	s_waitcnt lgkmcnt(0)
	s_waitcnt_vscnt null, 0x0
	s_barrier
	buffer_gl0_inv
	s_clause 0x3
	buffer_load_dword v107, off, s[0:3], 0 offset:408
	buffer_load_dword v108, off, s[0:3], 0 offset:412
	buffer_load_dword v109, off, s[0:3], 0 offset:400
	buffer_load_dword v110, off, s[0:3], 0 offset:404
	v_mov_b32_e32 v106, 0
	s_mov_b32 s4, exec_lo
	ds_read_b64 v[111:112], v106 offset:824
	s_waitcnt vmcnt(2) lgkmcnt(0)
	v_fma_f64 v[107:108], v[107:108], v[111:112], 0
	s_waitcnt vmcnt(0)
	v_add_f64 v[107:108], v[109:110], -v[107:108]
	buffer_store_dword v107, off, s[0:3], 0 offset:400
	buffer_store_dword v108, off, s[0:3], 0 offset:404
	v_cmpx_lt_u32_e32 49, v0
	s_cbranch_execz .LBB51_223
; %bb.222:
	s_clause 0x1
	buffer_load_dword v107, off, s[0:3], 0 offset:392
	buffer_load_dword v108, off, s[0:3], 0 offset:396
	buffer_store_dword v106, off, s[0:3], 0 offset:392
	buffer_store_dword v106, off, s[0:3], 0 offset:396
	s_waitcnt vmcnt(0)
	ds_write_b64 v105, v[107:108]
.LBB51_223:
	s_or_b32 exec_lo, exec_lo, s4
	s_waitcnt lgkmcnt(0)
	s_waitcnt_vscnt null, 0x0
	s_barrier
	buffer_gl0_inv
	s_clause 0x5
	buffer_load_dword v110, off, s[0:3], 0 offset:400
	buffer_load_dword v111, off, s[0:3], 0 offset:404
	;; [unrolled: 1-line block ×6, first 2 shown]
	ds_read_b128 v[106:109], v106 offset:816
	s_mov_b32 s4, exec_lo
	s_waitcnt vmcnt(4) lgkmcnt(0)
	v_fma_f64 v[106:107], v[110:111], v[106:107], 0
	s_waitcnt vmcnt(2)
	v_fma_f64 v[106:107], v[112:113], v[108:109], v[106:107]
	s_waitcnt vmcnt(0)
	v_add_f64 v[106:107], v[114:115], -v[106:107]
	buffer_store_dword v106, off, s[0:3], 0 offset:392
	buffer_store_dword v107, off, s[0:3], 0 offset:396
	v_cmpx_lt_u32_e32 48, v0
	s_cbranch_execz .LBB51_225
; %bb.224:
	s_clause 0x1
	buffer_load_dword v106, off, s[0:3], 0 offset:384
	buffer_load_dword v107, off, s[0:3], 0 offset:388
	v_mov_b32_e32 v108, 0
	buffer_store_dword v108, off, s[0:3], 0 offset:384
	buffer_store_dword v108, off, s[0:3], 0 offset:388
	s_waitcnt vmcnt(0)
	ds_write_b64 v105, v[106:107]
.LBB51_225:
	s_or_b32 exec_lo, exec_lo, s4
	s_waitcnt lgkmcnt(0)
	s_waitcnt_vscnt null, 0x0
	s_barrier
	buffer_gl0_inv
	s_clause 0x7
	buffer_load_dword v111, off, s[0:3], 0 offset:392
	buffer_load_dword v112, off, s[0:3], 0 offset:396
	;; [unrolled: 1-line block ×8, first 2 shown]
	v_mov_b32_e32 v106, 0
	ds_read2_b64 v[107:110], v106 offset0:101 offset1:102
	ds_read_b64 v[119:120], v106 offset:824
	s_mov_b32 s4, exec_lo
	s_waitcnt vmcnt(6) lgkmcnt(1)
	v_fma_f64 v[107:108], v[111:112], v[107:108], 0
	s_waitcnt vmcnt(4)
	v_fma_f64 v[107:108], v[113:114], v[109:110], v[107:108]
	s_waitcnt vmcnt(2) lgkmcnt(0)
	v_fma_f64 v[107:108], v[115:116], v[119:120], v[107:108]
	s_waitcnt vmcnt(0)
	v_add_f64 v[107:108], v[117:118], -v[107:108]
	buffer_store_dword v107, off, s[0:3], 0 offset:384
	buffer_store_dword v108, off, s[0:3], 0 offset:388
	v_cmpx_lt_u32_e32 47, v0
	s_cbranch_execz .LBB51_227
; %bb.226:
	s_clause 0x1
	buffer_load_dword v107, off, s[0:3], 0 offset:376
	buffer_load_dword v108, off, s[0:3], 0 offset:380
	buffer_store_dword v106, off, s[0:3], 0 offset:376
	buffer_store_dword v106, off, s[0:3], 0 offset:380
	s_waitcnt vmcnt(0)
	ds_write_b64 v105, v[107:108]
.LBB51_227:
	s_or_b32 exec_lo, exec_lo, s4
	s_waitcnt lgkmcnt(0)
	s_waitcnt_vscnt null, 0x0
	s_barrier
	buffer_gl0_inv
	s_clause 0x9
	buffer_load_dword v115, off, s[0:3], 0 offset:384
	buffer_load_dword v116, off, s[0:3], 0 offset:388
	;; [unrolled: 1-line block ×10, first 2 shown]
	ds_read_b128 v[107:110], v106 offset:800
	ds_read_b128 v[111:114], v106 offset:816
	s_mov_b32 s4, exec_lo
	s_waitcnt vmcnt(8) lgkmcnt(1)
	v_fma_f64 v[106:107], v[115:116], v[107:108], 0
	s_waitcnt vmcnt(6)
	v_fma_f64 v[106:107], v[117:118], v[109:110], v[106:107]
	s_waitcnt vmcnt(4) lgkmcnt(0)
	v_fma_f64 v[106:107], v[119:120], v[111:112], v[106:107]
	s_waitcnt vmcnt(2)
	v_fma_f64 v[106:107], v[121:122], v[113:114], v[106:107]
	s_waitcnt vmcnt(0)
	v_add_f64 v[106:107], v[123:124], -v[106:107]
	buffer_store_dword v106, off, s[0:3], 0 offset:376
	buffer_store_dword v107, off, s[0:3], 0 offset:380
	v_cmpx_lt_u32_e32 46, v0
	s_cbranch_execz .LBB51_229
; %bb.228:
	s_clause 0x1
	buffer_load_dword v106, off, s[0:3], 0 offset:368
	buffer_load_dword v107, off, s[0:3], 0 offset:372
	v_mov_b32_e32 v108, 0
	buffer_store_dword v108, off, s[0:3], 0 offset:368
	buffer_store_dword v108, off, s[0:3], 0 offset:372
	s_waitcnt vmcnt(0)
	ds_write_b64 v105, v[106:107]
.LBB51_229:
	s_or_b32 exec_lo, exec_lo, s4
	s_waitcnt lgkmcnt(0)
	s_waitcnt_vscnt null, 0x0
	s_barrier
	buffer_gl0_inv
	s_clause 0xb
	buffer_load_dword v115, off, s[0:3], 0 offset:376
	buffer_load_dword v116, off, s[0:3], 0 offset:380
	;; [unrolled: 1-line block ×12, first 2 shown]
	v_mov_b32_e32 v106, 0
	ds_read2_b64 v[107:110], v106 offset0:99 offset1:100
	ds_read2_b64 v[111:114], v106 offset0:101 offset1:102
	s_mov_b32 s4, exec_lo
	s_waitcnt vmcnt(10) lgkmcnt(1)
	v_fma_f64 v[107:108], v[115:116], v[107:108], 0
	s_waitcnt vmcnt(8)
	v_fma_f64 v[107:108], v[117:118], v[109:110], v[107:108]
	ds_read_b64 v[109:110], v106 offset:824
	s_waitcnt vmcnt(6) lgkmcnt(1)
	v_fma_f64 v[107:108], v[119:120], v[111:112], v[107:108]
	s_waitcnt vmcnt(4)
	v_fma_f64 v[107:108], v[121:122], v[113:114], v[107:108]
	s_waitcnt vmcnt(2) lgkmcnt(0)
	v_fma_f64 v[107:108], v[123:124], v[109:110], v[107:108]
	s_waitcnt vmcnt(0)
	v_add_f64 v[107:108], v[125:126], -v[107:108]
	buffer_store_dword v107, off, s[0:3], 0 offset:368
	buffer_store_dword v108, off, s[0:3], 0 offset:372
	v_cmpx_lt_u32_e32 45, v0
	s_cbranch_execz .LBB51_231
; %bb.230:
	s_clause 0x1
	buffer_load_dword v107, off, s[0:3], 0 offset:360
	buffer_load_dword v108, off, s[0:3], 0 offset:364
	buffer_store_dword v106, off, s[0:3], 0 offset:360
	buffer_store_dword v106, off, s[0:3], 0 offset:364
	s_waitcnt vmcnt(0)
	ds_write_b64 v105, v[107:108]
.LBB51_231:
	s_or_b32 exec_lo, exec_lo, s4
	s_waitcnt lgkmcnt(0)
	s_waitcnt_vscnt null, 0x0
	s_barrier
	buffer_gl0_inv
	s_clause 0xd
	buffer_load_dword v115, off, s[0:3], 0 offset:368
	buffer_load_dword v116, off, s[0:3], 0 offset:372
	;; [unrolled: 1-line block ×14, first 2 shown]
	ds_read_b128 v[107:110], v106 offset:784
	ds_read_b128 v[111:114], v106 offset:800
	s_mov_b32 s4, exec_lo
	s_waitcnt vmcnt(12) lgkmcnt(1)
	v_fma_f64 v[107:108], v[115:116], v[107:108], 0
	s_waitcnt vmcnt(10)
	v_fma_f64 v[107:108], v[117:118], v[109:110], v[107:108]
	s_waitcnt vmcnt(8) lgkmcnt(0)
	v_fma_f64 v[107:108], v[119:120], v[111:112], v[107:108]
	s_waitcnt vmcnt(6)
	v_fma_f64 v[110:111], v[121:122], v[113:114], v[107:108]
	ds_read_b128 v[106:109], v106 offset:816
	s_waitcnt vmcnt(4) lgkmcnt(0)
	v_fma_f64 v[106:107], v[123:124], v[106:107], v[110:111]
	s_waitcnt vmcnt(2)
	v_fma_f64 v[106:107], v[125:126], v[108:109], v[106:107]
	s_waitcnt vmcnt(0)
	v_add_f64 v[106:107], v[127:128], -v[106:107]
	buffer_store_dword v106, off, s[0:3], 0 offset:360
	buffer_store_dword v107, off, s[0:3], 0 offset:364
	v_cmpx_lt_u32_e32 44, v0
	s_cbranch_execz .LBB51_233
; %bb.232:
	s_clause 0x1
	buffer_load_dword v106, off, s[0:3], 0 offset:352
	buffer_load_dword v107, off, s[0:3], 0 offset:356
	v_mov_b32_e32 v108, 0
	buffer_store_dword v108, off, s[0:3], 0 offset:352
	buffer_store_dword v108, off, s[0:3], 0 offset:356
	s_waitcnt vmcnt(0)
	ds_write_b64 v105, v[106:107]
.LBB51_233:
	s_or_b32 exec_lo, exec_lo, s4
	s_waitcnt lgkmcnt(0)
	s_waitcnt_vscnt null, 0x0
	s_barrier
	buffer_gl0_inv
	s_clause 0xf
	buffer_load_dword v115, off, s[0:3], 0 offset:360
	buffer_load_dword v116, off, s[0:3], 0 offset:364
	;; [unrolled: 1-line block ×16, first 2 shown]
	v_mov_b32_e32 v106, 0
	ds_read2_b64 v[107:110], v106 offset0:97 offset1:98
	ds_read2_b64 v[111:114], v106 offset0:99 offset1:100
	s_mov_b32 s4, exec_lo
	s_waitcnt vmcnt(14) lgkmcnt(1)
	v_fma_f64 v[107:108], v[115:116], v[107:108], 0
	s_waitcnt vmcnt(12)
	v_fma_f64 v[107:108], v[117:118], v[109:110], v[107:108]
	s_waitcnt vmcnt(10) lgkmcnt(0)
	v_fma_f64 v[107:108], v[119:120], v[111:112], v[107:108]
	s_waitcnt vmcnt(8)
	v_fma_f64 v[111:112], v[121:122], v[113:114], v[107:108]
	ds_read2_b64 v[107:110], v106 offset0:101 offset1:102
	ds_read_b64 v[113:114], v106 offset:824
	s_waitcnt vmcnt(6) lgkmcnt(1)
	v_fma_f64 v[107:108], v[123:124], v[107:108], v[111:112]
	s_waitcnt vmcnt(4)
	v_fma_f64 v[107:108], v[125:126], v[109:110], v[107:108]
	s_waitcnt vmcnt(2) lgkmcnt(0)
	v_fma_f64 v[107:108], v[127:128], v[113:114], v[107:108]
	s_waitcnt vmcnt(0)
	v_add_f64 v[107:108], v[129:130], -v[107:108]
	buffer_store_dword v107, off, s[0:3], 0 offset:352
	buffer_store_dword v108, off, s[0:3], 0 offset:356
	v_cmpx_lt_u32_e32 43, v0
	s_cbranch_execz .LBB51_235
; %bb.234:
	s_clause 0x1
	buffer_load_dword v107, off, s[0:3], 0 offset:344
	buffer_load_dword v108, off, s[0:3], 0 offset:348
	buffer_store_dword v106, off, s[0:3], 0 offset:344
	buffer_store_dword v106, off, s[0:3], 0 offset:348
	s_waitcnt vmcnt(0)
	ds_write_b64 v105, v[107:108]
.LBB51_235:
	s_or_b32 exec_lo, exec_lo, s4
	s_waitcnt lgkmcnt(0)
	s_waitcnt_vscnt null, 0x0
	s_barrier
	buffer_gl0_inv
	s_clause 0x11
	buffer_load_dword v115, off, s[0:3], 0 offset:352
	buffer_load_dword v116, off, s[0:3], 0 offset:356
	;; [unrolled: 1-line block ×18, first 2 shown]
	ds_read_b128 v[107:110], v106 offset:768
	ds_read_b128 v[111:114], v106 offset:784
	s_mov_b32 s4, exec_lo
	s_waitcnt vmcnt(16) lgkmcnt(1)
	v_fma_f64 v[107:108], v[115:116], v[107:108], 0
	s_waitcnt vmcnt(14)
	v_fma_f64 v[107:108], v[117:118], v[109:110], v[107:108]
	s_waitcnt vmcnt(12) lgkmcnt(0)
	v_fma_f64 v[107:108], v[119:120], v[111:112], v[107:108]
	s_waitcnt vmcnt(10)
	v_fma_f64 v[115:116], v[121:122], v[113:114], v[107:108]
	ds_read_b128 v[107:110], v106 offset:800
	ds_read_b128 v[111:114], v106 offset:816
	s_waitcnt vmcnt(8) lgkmcnt(1)
	v_fma_f64 v[106:107], v[123:124], v[107:108], v[115:116]
	s_waitcnt vmcnt(6)
	v_fma_f64 v[106:107], v[125:126], v[109:110], v[106:107]
	s_waitcnt vmcnt(4) lgkmcnt(0)
	v_fma_f64 v[106:107], v[127:128], v[111:112], v[106:107]
	s_waitcnt vmcnt(2)
	v_fma_f64 v[106:107], v[129:130], v[113:114], v[106:107]
	s_waitcnt vmcnt(0)
	v_add_f64 v[106:107], v[131:132], -v[106:107]
	buffer_store_dword v106, off, s[0:3], 0 offset:344
	buffer_store_dword v107, off, s[0:3], 0 offset:348
	v_cmpx_lt_u32_e32 42, v0
	s_cbranch_execz .LBB51_237
; %bb.236:
	s_clause 0x1
	buffer_load_dword v106, off, s[0:3], 0 offset:336
	buffer_load_dword v107, off, s[0:3], 0 offset:340
	v_mov_b32_e32 v108, 0
	buffer_store_dword v108, off, s[0:3], 0 offset:336
	buffer_store_dword v108, off, s[0:3], 0 offset:340
	s_waitcnt vmcnt(0)
	ds_write_b64 v105, v[106:107]
.LBB51_237:
	s_or_b32 exec_lo, exec_lo, s4
	s_waitcnt lgkmcnt(0)
	s_waitcnt_vscnt null, 0x0
	s_barrier
	buffer_gl0_inv
	s_clause 0x13
	buffer_load_dword v115, off, s[0:3], 0 offset:344
	buffer_load_dword v116, off, s[0:3], 0 offset:348
	;; [unrolled: 1-line block ×20, first 2 shown]
	v_mov_b32_e32 v106, 0
	ds_read2_b64 v[107:110], v106 offset0:95 offset1:96
	ds_read2_b64 v[111:114], v106 offset0:97 offset1:98
	s_mov_b32 s4, exec_lo
	s_waitcnt vmcnt(18) lgkmcnt(1)
	v_fma_f64 v[107:108], v[115:116], v[107:108], 0
	s_waitcnt vmcnt(16)
	v_fma_f64 v[107:108], v[117:118], v[109:110], v[107:108]
	s_waitcnt vmcnt(14) lgkmcnt(0)
	v_fma_f64 v[107:108], v[119:120], v[111:112], v[107:108]
	s_waitcnt vmcnt(12)
	v_fma_f64 v[115:116], v[121:122], v[113:114], v[107:108]
	ds_read2_b64 v[107:110], v106 offset0:99 offset1:100
	ds_read2_b64 v[111:114], v106 offset0:101 offset1:102
	s_waitcnt vmcnt(10) lgkmcnt(1)
	v_fma_f64 v[107:108], v[123:124], v[107:108], v[115:116]
	s_waitcnt vmcnt(8)
	v_fma_f64 v[107:108], v[125:126], v[109:110], v[107:108]
	ds_read_b64 v[109:110], v106 offset:824
	s_waitcnt vmcnt(6) lgkmcnt(1)
	v_fma_f64 v[107:108], v[127:128], v[111:112], v[107:108]
	s_waitcnt vmcnt(3)
	v_fma_f64 v[107:108], v[129:130], v[113:114], v[107:108]
	s_waitcnt vmcnt(2) lgkmcnt(0)
	v_fma_f64 v[107:108], v[131:132], v[109:110], v[107:108]
	s_waitcnt vmcnt(0)
	v_add_f64 v[107:108], v[133:134], -v[107:108]
	buffer_store_dword v107, off, s[0:3], 0 offset:336
	buffer_store_dword v108, off, s[0:3], 0 offset:340
	v_cmpx_lt_u32_e32 41, v0
	s_cbranch_execz .LBB51_239
; %bb.238:
	s_clause 0x1
	buffer_load_dword v107, off, s[0:3], 0 offset:328
	buffer_load_dword v108, off, s[0:3], 0 offset:332
	buffer_store_dword v106, off, s[0:3], 0 offset:328
	buffer_store_dword v106, off, s[0:3], 0 offset:332
	s_waitcnt vmcnt(0)
	ds_write_b64 v105, v[107:108]
.LBB51_239:
	s_or_b32 exec_lo, exec_lo, s4
	s_waitcnt lgkmcnt(0)
	s_waitcnt_vscnt null, 0x0
	s_barrier
	buffer_gl0_inv
	s_clause 0x15
	buffer_load_dword v115, off, s[0:3], 0 offset:336
	buffer_load_dword v116, off, s[0:3], 0 offset:340
	;; [unrolled: 1-line block ×22, first 2 shown]
	ds_read_b128 v[107:110], v106 offset:752
	ds_read_b128 v[111:114], v106 offset:768
	s_mov_b32 s4, exec_lo
	s_waitcnt vmcnt(20) lgkmcnt(1)
	v_fma_f64 v[107:108], v[115:116], v[107:108], 0
	s_waitcnt vmcnt(18)
	v_fma_f64 v[107:108], v[117:118], v[109:110], v[107:108]
	s_waitcnt vmcnt(16) lgkmcnt(0)
	v_fma_f64 v[107:108], v[119:120], v[111:112], v[107:108]
	s_waitcnt vmcnt(14)
	v_fma_f64 v[115:116], v[121:122], v[113:114], v[107:108]
	ds_read_b128 v[107:110], v106 offset:784
	ds_read_b128 v[111:114], v106 offset:800
	s_waitcnt vmcnt(12) lgkmcnt(1)
	v_fma_f64 v[107:108], v[123:124], v[107:108], v[115:116]
	s_waitcnt vmcnt(10)
	v_fma_f64 v[107:108], v[125:126], v[109:110], v[107:108]
	s_waitcnt vmcnt(8) lgkmcnt(0)
	v_fma_f64 v[107:108], v[127:128], v[111:112], v[107:108]
	s_waitcnt vmcnt(4)
	v_fma_f64 v[110:111], v[129:130], v[113:114], v[107:108]
	ds_read_b128 v[106:109], v106 offset:816
	s_waitcnt vmcnt(3) lgkmcnt(0)
	v_fma_f64 v[106:107], v[133:134], v[106:107], v[110:111]
	s_waitcnt vmcnt(2)
	v_fma_f64 v[106:107], v[131:132], v[108:109], v[106:107]
	s_waitcnt vmcnt(0)
	v_add_f64 v[106:107], v[135:136], -v[106:107]
	buffer_store_dword v106, off, s[0:3], 0 offset:328
	buffer_store_dword v107, off, s[0:3], 0 offset:332
	v_cmpx_lt_u32_e32 40, v0
	s_cbranch_execz .LBB51_241
; %bb.240:
	s_clause 0x1
	buffer_load_dword v106, off, s[0:3], 0 offset:320
	buffer_load_dword v107, off, s[0:3], 0 offset:324
	v_mov_b32_e32 v108, 0
	buffer_store_dword v108, off, s[0:3], 0 offset:320
	buffer_store_dword v108, off, s[0:3], 0 offset:324
	s_waitcnt vmcnt(0)
	ds_write_b64 v105, v[106:107]
.LBB51_241:
	s_or_b32 exec_lo, exec_lo, s4
	s_waitcnt lgkmcnt(0)
	s_waitcnt_vscnt null, 0x0
	s_barrier
	buffer_gl0_inv
	s_clause 0x17
	buffer_load_dword v115, off, s[0:3], 0 offset:328
	buffer_load_dword v116, off, s[0:3], 0 offset:332
	;; [unrolled: 1-line block ×24, first 2 shown]
	v_mov_b32_e32 v106, 0
	ds_read2_b64 v[107:110], v106 offset0:93 offset1:94
	ds_read2_b64 v[111:114], v106 offset0:95 offset1:96
	s_mov_b32 s4, exec_lo
	s_waitcnt vmcnt(22) lgkmcnt(1)
	v_fma_f64 v[107:108], v[115:116], v[107:108], 0
	s_waitcnt vmcnt(20)
	v_fma_f64 v[107:108], v[117:118], v[109:110], v[107:108]
	s_waitcnt vmcnt(18) lgkmcnt(0)
	v_fma_f64 v[107:108], v[119:120], v[111:112], v[107:108]
	s_waitcnt vmcnt(16)
	v_fma_f64 v[115:116], v[121:122], v[113:114], v[107:108]
	ds_read2_b64 v[107:110], v106 offset0:97 offset1:98
	ds_read2_b64 v[111:114], v106 offset0:99 offset1:100
	s_waitcnt vmcnt(14) lgkmcnt(1)
	v_fma_f64 v[107:108], v[123:124], v[107:108], v[115:116]
	s_waitcnt vmcnt(12)
	v_fma_f64 v[107:108], v[125:126], v[109:110], v[107:108]
	s_waitcnt vmcnt(10) lgkmcnt(0)
	v_fma_f64 v[107:108], v[127:128], v[111:112], v[107:108]
	s_waitcnt vmcnt(5)
	v_fma_f64 v[111:112], v[129:130], v[113:114], v[107:108]
	ds_read2_b64 v[107:110], v106 offset0:101 offset1:102
	ds_read_b64 v[113:114], v106 offset:824
	s_waitcnt vmcnt(4) lgkmcnt(1)
	v_fma_f64 v[107:108], v[135:136], v[107:108], v[111:112]
	s_waitcnt vmcnt(3)
	v_fma_f64 v[107:108], v[133:134], v[109:110], v[107:108]
	s_waitcnt vmcnt(2) lgkmcnt(0)
	v_fma_f64 v[107:108], v[131:132], v[113:114], v[107:108]
	s_waitcnt vmcnt(0)
	v_add_f64 v[107:108], v[137:138], -v[107:108]
	buffer_store_dword v108, off, s[0:3], 0 offset:324
	buffer_store_dword v107, off, s[0:3], 0 offset:320
	v_cmpx_lt_u32_e32 39, v0
	s_cbranch_execz .LBB51_243
; %bb.242:
	s_clause 0x1
	buffer_load_dword v107, off, s[0:3], 0 offset:312
	buffer_load_dword v108, off, s[0:3], 0 offset:316
	buffer_store_dword v106, off, s[0:3], 0 offset:312
	buffer_store_dword v106, off, s[0:3], 0 offset:316
	s_waitcnt vmcnt(0)
	ds_write_b64 v105, v[107:108]
.LBB51_243:
	s_or_b32 exec_lo, exec_lo, s4
	s_waitcnt lgkmcnt(0)
	s_waitcnt_vscnt null, 0x0
	s_barrier
	buffer_gl0_inv
	s_clause 0x19
	buffer_load_dword v115, off, s[0:3], 0 offset:320
	buffer_load_dword v116, off, s[0:3], 0 offset:324
	;; [unrolled: 1-line block ×26, first 2 shown]
	ds_read_b128 v[107:110], v106 offset:736
	ds_read_b128 v[111:114], v106 offset:752
	s_mov_b32 s4, exec_lo
	s_waitcnt vmcnt(24) lgkmcnt(1)
	v_fma_f64 v[107:108], v[115:116], v[107:108], 0
	s_waitcnt vmcnt(22)
	v_fma_f64 v[107:108], v[117:118], v[109:110], v[107:108]
	s_waitcnt vmcnt(20) lgkmcnt(0)
	v_fma_f64 v[107:108], v[119:120], v[111:112], v[107:108]
	s_waitcnt vmcnt(18)
	v_fma_f64 v[115:116], v[121:122], v[113:114], v[107:108]
	ds_read_b128 v[107:110], v106 offset:768
	ds_read_b128 v[111:114], v106 offset:784
	s_waitcnt vmcnt(16) lgkmcnt(1)
	v_fma_f64 v[107:108], v[123:124], v[107:108], v[115:116]
	s_waitcnt vmcnt(14)
	v_fma_f64 v[107:108], v[125:126], v[109:110], v[107:108]
	s_waitcnt vmcnt(12) lgkmcnt(0)
	v_fma_f64 v[107:108], v[127:128], v[111:112], v[107:108]
	s_waitcnt vmcnt(7)
	v_fma_f64 v[115:116], v[129:130], v[113:114], v[107:108]
	ds_read_b128 v[107:110], v106 offset:800
	ds_read_b128 v[111:114], v106 offset:816
	s_waitcnt vmcnt(6) lgkmcnt(1)
	v_fma_f64 v[106:107], v[135:136], v[107:108], v[115:116]
	s_waitcnt vmcnt(5)
	v_fma_f64 v[106:107], v[133:134], v[109:110], v[106:107]
	s_waitcnt vmcnt(4) lgkmcnt(0)
	v_fma_f64 v[106:107], v[131:132], v[111:112], v[106:107]
	s_waitcnt vmcnt(2)
	v_fma_f64 v[106:107], v[137:138], v[113:114], v[106:107]
	s_waitcnt vmcnt(0)
	v_add_f64 v[106:107], v[139:140], -v[106:107]
	buffer_store_dword v107, off, s[0:3], 0 offset:316
	buffer_store_dword v106, off, s[0:3], 0 offset:312
	v_cmpx_lt_u32_e32 38, v0
	s_cbranch_execz .LBB51_245
; %bb.244:
	s_clause 0x1
	buffer_load_dword v106, off, s[0:3], 0 offset:304
	buffer_load_dword v107, off, s[0:3], 0 offset:308
	v_mov_b32_e32 v108, 0
	buffer_store_dword v108, off, s[0:3], 0 offset:304
	buffer_store_dword v108, off, s[0:3], 0 offset:308
	s_waitcnt vmcnt(0)
	ds_write_b64 v105, v[106:107]
.LBB51_245:
	s_or_b32 exec_lo, exec_lo, s4
	s_waitcnt lgkmcnt(0)
	s_waitcnt_vscnt null, 0x0
	s_barrier
	buffer_gl0_inv
	s_clause 0x1b
	buffer_load_dword v111, off, s[0:3], 0 offset:312
	buffer_load_dword v112, off, s[0:3], 0 offset:316
	;; [unrolled: 1-line block ×28, first 2 shown]
	v_mov_b32_e32 v106, 0
	s_mov_b32 s4, exec_lo
	ds_read2_b64 v[107:110], v106 offset0:91 offset1:92
	s_waitcnt vmcnt(26) lgkmcnt(0)
	v_fma_f64 v[107:108], v[111:112], v[107:108], 0
	s_waitcnt vmcnt(24)
	v_fma_f64 v[111:112], v[113:114], v[109:110], v[107:108]
	ds_read2_b64 v[107:110], v106 offset0:93 offset1:94
	s_waitcnt vmcnt(22) lgkmcnt(0)
	v_fma_f64 v[107:108], v[115:116], v[107:108], v[111:112]
	s_waitcnt vmcnt(20)
	v_fma_f64 v[111:112], v[117:118], v[109:110], v[107:108]
	;; [unrolled: 5-line block ×6, first 2 shown]
	ds_read_b64 v[109:110], v106 offset:824
	s_waitcnt vmcnt(2) lgkmcnt(0)
	v_fma_f64 v[107:108], v[135:136], v[109:110], v[107:108]
	s_waitcnt vmcnt(0)
	v_add_f64 v[107:108], v[137:138], -v[107:108]
	buffer_store_dword v108, off, s[0:3], 0 offset:308
	buffer_store_dword v107, off, s[0:3], 0 offset:304
	v_cmpx_lt_u32_e32 37, v0
	s_cbranch_execz .LBB51_247
; %bb.246:
	s_clause 0x1
	buffer_load_dword v107, off, s[0:3], 0 offset:296
	buffer_load_dword v108, off, s[0:3], 0 offset:300
	buffer_store_dword v106, off, s[0:3], 0 offset:296
	buffer_store_dword v106, off, s[0:3], 0 offset:300
	s_waitcnt vmcnt(0)
	ds_write_b64 v105, v[107:108]
.LBB51_247:
	s_or_b32 exec_lo, exec_lo, s4
	s_waitcnt lgkmcnt(0)
	s_waitcnt_vscnt null, 0x0
	s_barrier
	buffer_gl0_inv
	s_clause 0x1b
	buffer_load_dword v111, off, s[0:3], 0 offset:304
	buffer_load_dword v112, off, s[0:3], 0 offset:308
	buffer_load_dword v113, off, s[0:3], 0 offset:312
	buffer_load_dword v114, off, s[0:3], 0 offset:316
	buffer_load_dword v115, off, s[0:3], 0 offset:320
	buffer_load_dword v116, off, s[0:3], 0 offset:324
	buffer_load_dword v117, off, s[0:3], 0 offset:328
	buffer_load_dword v118, off, s[0:3], 0 offset:332
	buffer_load_dword v119, off, s[0:3], 0 offset:336
	buffer_load_dword v120, off, s[0:3], 0 offset:340
	buffer_load_dword v121, off, s[0:3], 0 offset:344
	buffer_load_dword v122, off, s[0:3], 0 offset:348
	buffer_load_dword v123, off, s[0:3], 0 offset:352
	buffer_load_dword v124, off, s[0:3], 0 offset:356
	buffer_load_dword v126, off, s[0:3], 0 offset:364
	buffer_load_dword v125, off, s[0:3], 0 offset:360
	buffer_load_dword v127, off, s[0:3], 0 offset:368
	buffer_load_dword v128, off, s[0:3], 0 offset:372
	buffer_load_dword v129, off, s[0:3], 0 offset:376
	buffer_load_dword v130, off, s[0:3], 0 offset:380
	buffer_load_dword v131, off, s[0:3], 0 offset:384
	buffer_load_dword v132, off, s[0:3], 0 offset:388
	buffer_load_dword v134, off, s[0:3], 0 offset:396
	buffer_load_dword v133, off, s[0:3], 0 offset:392
	buffer_load_dword v135, off, s[0:3], 0 offset:400
	buffer_load_dword v136, off, s[0:3], 0 offset:404
	buffer_load_dword v137, off, s[0:3], 0 offset:408
	buffer_load_dword v138, off, s[0:3], 0 offset:412
	ds_read_b128 v[107:110], v106 offset:720
	s_clause 0x1
	buffer_load_dword v139, off, s[0:3], 0 offset:296
	buffer_load_dword v140, off, s[0:3], 0 offset:300
	s_mov_b32 s4, exec_lo
	s_waitcnt vmcnt(28) lgkmcnt(0)
	v_fma_f64 v[107:108], v[111:112], v[107:108], 0
	s_waitcnt vmcnt(26)
	v_fma_f64 v[111:112], v[113:114], v[109:110], v[107:108]
	ds_read_b128 v[107:110], v106 offset:736
	s_waitcnt vmcnt(24) lgkmcnt(0)
	v_fma_f64 v[107:108], v[115:116], v[107:108], v[111:112]
	s_waitcnt vmcnt(22)
	v_fma_f64 v[111:112], v[117:118], v[109:110], v[107:108]
	ds_read_b128 v[107:110], v106 offset:752
	;; [unrolled: 5-line block ×6, first 2 shown]
	s_waitcnt vmcnt(4) lgkmcnt(0)
	v_fma_f64 v[106:107], v[135:136], v[106:107], v[110:111]
	s_waitcnt vmcnt(2)
	v_fma_f64 v[106:107], v[137:138], v[108:109], v[106:107]
	s_waitcnt vmcnt(0)
	v_add_f64 v[106:107], v[139:140], -v[106:107]
	buffer_store_dword v107, off, s[0:3], 0 offset:300
	buffer_store_dword v106, off, s[0:3], 0 offset:296
	v_cmpx_lt_u32_e32 36, v0
	s_cbranch_execz .LBB51_249
; %bb.248:
	s_clause 0x1
	buffer_load_dword v106, off, s[0:3], 0 offset:288
	buffer_load_dword v107, off, s[0:3], 0 offset:292
	v_mov_b32_e32 v108, 0
	buffer_store_dword v108, off, s[0:3], 0 offset:288
	buffer_store_dword v108, off, s[0:3], 0 offset:292
	s_waitcnt vmcnt(0)
	ds_write_b64 v105, v[106:107]
.LBB51_249:
	s_or_b32 exec_lo, exec_lo, s4
	s_waitcnt lgkmcnt(0)
	s_waitcnt_vscnt null, 0x0
	s_barrier
	buffer_gl0_inv
	s_clause 0x1b
	buffer_load_dword v111, off, s[0:3], 0 offset:296
	buffer_load_dword v112, off, s[0:3], 0 offset:300
	;; [unrolled: 1-line block ×28, first 2 shown]
	v_mov_b32_e32 v106, 0
	s_mov_b32 s4, exec_lo
	ds_read2_b64 v[107:110], v106 offset0:89 offset1:90
	s_clause 0x1
	buffer_load_dword v139, off, s[0:3], 0 offset:408
	buffer_load_dword v140, off, s[0:3], 0 offset:412
	s_waitcnt vmcnt(28) lgkmcnt(0)
	v_fma_f64 v[107:108], v[111:112], v[107:108], 0
	s_clause 0x1
	buffer_load_dword v111, off, s[0:3], 0 offset:288
	buffer_load_dword v112, off, s[0:3], 0 offset:292
	s_waitcnt vmcnt(28)
	v_fma_f64 v[113:114], v[113:114], v[109:110], v[107:108]
	ds_read2_b64 v[107:110], v106 offset0:91 offset1:92
	s_waitcnt vmcnt(26) lgkmcnt(0)
	v_fma_f64 v[107:108], v[115:116], v[107:108], v[113:114]
	s_waitcnt vmcnt(24)
	v_fma_f64 v[113:114], v[117:118], v[109:110], v[107:108]
	ds_read2_b64 v[107:110], v106 offset0:93 offset1:94
	s_waitcnt vmcnt(22) lgkmcnt(0)
	v_fma_f64 v[107:108], v[119:120], v[107:108], v[113:114]
	;; [unrolled: 5-line block ×6, first 2 shown]
	s_waitcnt vmcnt(4)
	v_fma_f64 v[107:108], v[137:138], v[109:110], v[107:108]
	ds_read_b64 v[109:110], v106 offset:824
	s_waitcnt vmcnt(2) lgkmcnt(0)
	v_fma_f64 v[107:108], v[139:140], v[109:110], v[107:108]
	s_waitcnt vmcnt(0)
	v_add_f64 v[107:108], v[111:112], -v[107:108]
	buffer_store_dword v108, off, s[0:3], 0 offset:292
	buffer_store_dword v107, off, s[0:3], 0 offset:288
	v_cmpx_lt_u32_e32 35, v0
	s_cbranch_execz .LBB51_251
; %bb.250:
	s_clause 0x1
	buffer_load_dword v107, off, s[0:3], 0 offset:280
	buffer_load_dword v108, off, s[0:3], 0 offset:284
	buffer_store_dword v106, off, s[0:3], 0 offset:280
	buffer_store_dword v106, off, s[0:3], 0 offset:284
	s_waitcnt vmcnt(0)
	ds_write_b64 v105, v[107:108]
.LBB51_251:
	s_or_b32 exec_lo, exec_lo, s4
	s_waitcnt lgkmcnt(0)
	s_waitcnt_vscnt null, 0x0
	s_barrier
	buffer_gl0_inv
	s_clause 0x1b
	buffer_load_dword v111, off, s[0:3], 0 offset:288
	buffer_load_dword v112, off, s[0:3], 0 offset:292
	;; [unrolled: 1-line block ×28, first 2 shown]
	ds_read_b128 v[107:110], v106 offset:704
	s_clause 0x1
	buffer_load_dword v139, off, s[0:3], 0 offset:400
	buffer_load_dword v140, off, s[0:3], 0 offset:404
	s_mov_b32 s4, exec_lo
	s_waitcnt vmcnt(28) lgkmcnt(0)
	v_fma_f64 v[107:108], v[111:112], v[107:108], 0
	s_clause 0x1
	buffer_load_dword v112, off, s[0:3], 0 offset:412
	buffer_load_dword v111, off, s[0:3], 0 offset:408
	s_waitcnt vmcnt(28)
	v_fma_f64 v[113:114], v[113:114], v[109:110], v[107:108]
	ds_read_b128 v[107:110], v106 offset:720
	s_clause 0x1
	buffer_load_dword v141, off, s[0:3], 0 offset:280
	buffer_load_dword v142, off, s[0:3], 0 offset:284
	s_waitcnt vmcnt(28) lgkmcnt(0)
	v_fma_f64 v[107:108], v[115:116], v[107:108], v[113:114]
	s_waitcnt vmcnt(26)
	v_fma_f64 v[113:114], v[117:118], v[109:110], v[107:108]
	ds_read_b128 v[107:110], v106 offset:736
	s_waitcnt vmcnt(24) lgkmcnt(0)
	v_fma_f64 v[107:108], v[119:120], v[107:108], v[113:114]
	s_waitcnt vmcnt(22)
	v_fma_f64 v[113:114], v[121:122], v[109:110], v[107:108]
	ds_read_b128 v[107:110], v106 offset:752
	;; [unrolled: 5-line block ×6, first 2 shown]
	s_waitcnt vmcnt(4) lgkmcnt(0)
	v_fma_f64 v[106:107], v[139:140], v[106:107], v[113:114]
	s_waitcnt vmcnt(2)
	v_fma_f64 v[106:107], v[111:112], v[108:109], v[106:107]
	s_waitcnt vmcnt(0)
	v_add_f64 v[106:107], v[141:142], -v[106:107]
	buffer_store_dword v107, off, s[0:3], 0 offset:284
	buffer_store_dword v106, off, s[0:3], 0 offset:280
	v_cmpx_lt_u32_e32 34, v0
	s_cbranch_execz .LBB51_253
; %bb.252:
	s_clause 0x1
	buffer_load_dword v106, off, s[0:3], 0 offset:272
	buffer_load_dword v107, off, s[0:3], 0 offset:276
	v_mov_b32_e32 v108, 0
	buffer_store_dword v108, off, s[0:3], 0 offset:272
	buffer_store_dword v108, off, s[0:3], 0 offset:276
	s_waitcnt vmcnt(0)
	ds_write_b64 v105, v[106:107]
.LBB51_253:
	s_or_b32 exec_lo, exec_lo, s4
	s_waitcnt lgkmcnt(0)
	s_waitcnt_vscnt null, 0x0
	s_barrier
	buffer_gl0_inv
	s_clause 0x1c
	buffer_load_dword v115, off, s[0:3], 0 offset:280
	buffer_load_dword v116, off, s[0:3], 0 offset:284
	;; [unrolled: 1-line block ×29, first 2 shown]
	v_mov_b32_e32 v106, 0
	buffer_load_dword v140, off, s[0:3], 0 offset:396
	s_mov_b32 s4, exec_lo
	ds_read2_b64 v[107:110], v106 offset0:87 offset1:88
	ds_read2_b64 v[111:114], v106 offset0:89 offset1:90
	s_waitcnt vmcnt(28) lgkmcnt(1)
	v_fma_f64 v[107:108], v[115:116], v[107:108], 0
	s_clause 0x3
	buffer_load_dword v116, off, s[0:3], 0 offset:404
	buffer_load_dword v145, off, s[0:3], 0 offset:408
	;; [unrolled: 1-line block ×4, first 2 shown]
	s_waitcnt vmcnt(30)
	v_fma_f64 v[107:108], v[117:118], v[109:110], v[107:108]
	s_clause 0x1
	buffer_load_dword v117, off, s[0:3], 0 offset:272
	buffer_load_dword v118, off, s[0:3], 0 offset:276
	s_waitcnt vmcnt(30) lgkmcnt(0)
	v_fma_f64 v[107:108], v[119:120], v[111:112], v[107:108]
	s_waitcnt vmcnt(28)
	v_fma_f64 v[119:120], v[121:122], v[113:114], v[107:108]
	ds_read2_b64 v[107:110], v106 offset0:91 offset1:92
	ds_read2_b64 v[111:114], v106 offset0:93 offset1:94
	s_waitcnt vmcnt(26) lgkmcnt(1)
	v_fma_f64 v[107:108], v[123:124], v[107:108], v[119:120]
	s_waitcnt vmcnt(24)
	v_fma_f64 v[107:108], v[125:126], v[109:110], v[107:108]
	s_waitcnt vmcnt(22) lgkmcnt(0)
	v_fma_f64 v[107:108], v[127:128], v[111:112], v[107:108]
	s_waitcnt vmcnt(17)
	v_fma_f64 v[119:120], v[129:130], v[113:114], v[107:108]
	ds_read2_b64 v[107:110], v106 offset0:95 offset1:96
	ds_read2_b64 v[111:114], v106 offset0:97 offset1:98
	s_waitcnt vmcnt(16) lgkmcnt(1)
	v_fma_f64 v[107:108], v[135:136], v[107:108], v[119:120]
	s_waitcnt vmcnt(15)
	v_fma_f64 v[107:108], v[133:134], v[109:110], v[107:108]
	;; [unrolled: 10-line block ×3, first 2 shown]
	ds_read_b64 v[109:110], v106 offset:824
	s_waitcnt vmcnt(6) lgkmcnt(1)
	v_fma_f64 v[107:108], v[139:140], v[111:112], v[107:108]
	s_waitcnt vmcnt(3)
	v_fma_f64 v[107:108], v[115:116], v[113:114], v[107:108]
	s_waitcnt vmcnt(2) lgkmcnt(0)
	v_fma_f64 v[107:108], v[145:146], v[109:110], v[107:108]
	s_waitcnt vmcnt(0)
	v_add_f64 v[107:108], v[117:118], -v[107:108]
	buffer_store_dword v108, off, s[0:3], 0 offset:276
	buffer_store_dword v107, off, s[0:3], 0 offset:272
	v_cmpx_lt_u32_e32 33, v0
	s_cbranch_execz .LBB51_255
; %bb.254:
	s_clause 0x1
	buffer_load_dword v107, off, s[0:3], 0 offset:264
	buffer_load_dword v108, off, s[0:3], 0 offset:268
	buffer_store_dword v106, off, s[0:3], 0 offset:264
	buffer_store_dword v106, off, s[0:3], 0 offset:268
	s_waitcnt vmcnt(0)
	ds_write_b64 v105, v[107:108]
.LBB51_255:
	s_or_b32 exec_lo, exec_lo, s4
	s_waitcnt lgkmcnt(0)
	s_waitcnt_vscnt null, 0x0
	s_barrier
	buffer_gl0_inv
	s_clause 0x1c
	buffer_load_dword v115, off, s[0:3], 0 offset:272
	buffer_load_dword v116, off, s[0:3], 0 offset:276
	;; [unrolled: 1-line block ×29, first 2 shown]
	ds_read_b128 v[107:110], v106 offset:688
	ds_read_b128 v[111:114], v106 offset:704
	buffer_load_dword v140, off, s[0:3], 0 offset:388
	s_mov_b32 s4, exec_lo
	s_waitcnt vmcnt(28) lgkmcnt(1)
	v_fma_f64 v[107:108], v[115:116], v[107:108], 0
	s_clause 0x5
	buffer_load_dword v116, off, s[0:3], 0 offset:396
	buffer_load_dword v145, off, s[0:3], 0 offset:408
	;; [unrolled: 1-line block ×6, first 2 shown]
	s_waitcnt vmcnt(32)
	v_fma_f64 v[107:108], v[117:118], v[109:110], v[107:108]
	s_waitcnt vmcnt(30) lgkmcnt(0)
	v_fma_f64 v[107:108], v[119:120], v[111:112], v[107:108]
	s_waitcnt vmcnt(28)
	v_fma_f64 v[117:118], v[121:122], v[113:114], v[107:108]
	ds_read_b128 v[107:110], v106 offset:720
	s_clause 0x1
	buffer_load_dword v119, off, s[0:3], 0 offset:264
	buffer_load_dword v120, off, s[0:3], 0 offset:268
	ds_read_b128 v[111:114], v106 offset:736
	s_waitcnt vmcnt(28) lgkmcnt(1)
	v_fma_f64 v[107:108], v[123:124], v[107:108], v[117:118]
	s_waitcnt vmcnt(26)
	v_fma_f64 v[107:108], v[125:126], v[109:110], v[107:108]
	s_waitcnt vmcnt(24) lgkmcnt(0)
	v_fma_f64 v[107:108], v[127:128], v[111:112], v[107:108]
	s_waitcnt vmcnt(19)
	v_fma_f64 v[117:118], v[129:130], v[113:114], v[107:108]
	ds_read_b128 v[107:110], v106 offset:752
	ds_read_b128 v[111:114], v106 offset:768
	s_waitcnt vmcnt(18) lgkmcnt(1)
	v_fma_f64 v[107:108], v[135:136], v[107:108], v[117:118]
	s_waitcnt vmcnt(17)
	v_fma_f64 v[107:108], v[133:134], v[109:110], v[107:108]
	s_waitcnt vmcnt(16) lgkmcnt(0)
	v_fma_f64 v[107:108], v[131:132], v[111:112], v[107:108]
	s_waitcnt vmcnt(11)
	v_fma_f64 v[117:118], v[137:138], v[113:114], v[107:108]
	ds_read_b128 v[107:110], v106 offset:784
	;; [unrolled: 10-line block ×3, first 2 shown]
	s_waitcnt vmcnt(3) lgkmcnt(0)
	v_fma_f64 v[106:107], v[147:148], v[106:107], v[110:111]
	s_waitcnt vmcnt(2)
	v_fma_f64 v[106:107], v[145:146], v[108:109], v[106:107]
	s_waitcnt vmcnt(0)
	v_add_f64 v[106:107], v[119:120], -v[106:107]
	buffer_store_dword v107, off, s[0:3], 0 offset:268
	buffer_store_dword v106, off, s[0:3], 0 offset:264
	v_cmpx_lt_u32_e32 32, v0
	s_cbranch_execz .LBB51_257
; %bb.256:
	s_clause 0x1
	buffer_load_dword v106, off, s[0:3], 0 offset:256
	buffer_load_dword v107, off, s[0:3], 0 offset:260
	v_mov_b32_e32 v108, 0
	buffer_store_dword v108, off, s[0:3], 0 offset:256
	buffer_store_dword v108, off, s[0:3], 0 offset:260
	s_waitcnt vmcnt(0)
	ds_write_b64 v105, v[106:107]
.LBB51_257:
	s_or_b32 exec_lo, exec_lo, s4
	s_waitcnt lgkmcnt(0)
	s_waitcnt_vscnt null, 0x0
	s_barrier
	buffer_gl0_inv
	s_clause 0x1c
	buffer_load_dword v115, off, s[0:3], 0 offset:264
	buffer_load_dword v116, off, s[0:3], 0 offset:268
	;; [unrolled: 1-line block ×29, first 2 shown]
	v_mov_b32_e32 v106, 0
	buffer_load_dword v140, off, s[0:3], 0 offset:380
	s_mov_b32 s4, exec_lo
	ds_read2_b64 v[107:110], v106 offset0:85 offset1:86
	ds_read2_b64 v[111:114], v106 offset0:87 offset1:88
	s_waitcnt vmcnt(28) lgkmcnt(1)
	v_fma_f64 v[107:108], v[115:116], v[107:108], 0
	s_clause 0x7
	buffer_load_dword v116, off, s[0:3], 0 offset:388
	buffer_load_dword v145, off, s[0:3], 0 offset:408
	;; [unrolled: 1-line block ×8, first 2 shown]
	s_waitcnt vmcnt(34)
	v_fma_f64 v[107:108], v[117:118], v[109:110], v[107:108]
	s_waitcnt vmcnt(32) lgkmcnt(0)
	v_fma_f64 v[107:108], v[119:120], v[111:112], v[107:108]
	s_waitcnt vmcnt(30)
	v_fma_f64 v[117:118], v[121:122], v[113:114], v[107:108]
	ds_read2_b64 v[107:110], v106 offset0:89 offset1:90
	ds_read2_b64 v[111:114], v106 offset0:91 offset1:92
	s_waitcnt vmcnt(28) lgkmcnt(1)
	v_fma_f64 v[107:108], v[123:124], v[107:108], v[117:118]
	s_clause 0x1
	buffer_load_dword v117, off, s[0:3], 0 offset:256
	buffer_load_dword v118, off, s[0:3], 0 offset:260
	s_waitcnt vmcnt(28)
	v_fma_f64 v[107:108], v[125:126], v[109:110], v[107:108]
	s_waitcnt vmcnt(26) lgkmcnt(0)
	v_fma_f64 v[107:108], v[127:128], v[111:112], v[107:108]
	s_waitcnt vmcnt(21)
	v_fma_f64 v[119:120], v[129:130], v[113:114], v[107:108]
	ds_read2_b64 v[107:110], v106 offset0:93 offset1:94
	ds_read2_b64 v[111:114], v106 offset0:95 offset1:96
	s_waitcnt vmcnt(20) lgkmcnt(1)
	v_fma_f64 v[107:108], v[135:136], v[107:108], v[119:120]
	s_waitcnt vmcnt(19)
	v_fma_f64 v[107:108], v[133:134], v[109:110], v[107:108]
	s_waitcnt vmcnt(18) lgkmcnt(0)
	v_fma_f64 v[107:108], v[131:132], v[111:112], v[107:108]
	s_waitcnt vmcnt(13)
	v_fma_f64 v[119:120], v[137:138], v[113:114], v[107:108]
	ds_read2_b64 v[107:110], v106 offset0:97 offset1:98
	ds_read2_b64 v[111:114], v106 offset0:99 offset1:100
	s_waitcnt vmcnt(12) lgkmcnt(1)
	v_fma_f64 v[107:108], v[143:144], v[107:108], v[119:120]
	s_waitcnt vmcnt(11)
	v_fma_f64 v[107:108], v[141:142], v[109:110], v[107:108]
	s_waitcnt vmcnt(10) lgkmcnt(0)
	v_fma_f64 v[107:108], v[139:140], v[111:112], v[107:108]
	s_waitcnt vmcnt(5)
	v_fma_f64 v[111:112], v[115:116], v[113:114], v[107:108]
	ds_read2_b64 v[107:110], v106 offset0:101 offset1:102
	ds_read_b64 v[113:114], v106 offset:824
	s_waitcnt vmcnt(4) lgkmcnt(1)
	v_fma_f64 v[107:108], v[149:150], v[107:108], v[111:112]
	s_waitcnt vmcnt(3)
	v_fma_f64 v[107:108], v[147:148], v[109:110], v[107:108]
	s_waitcnt vmcnt(2) lgkmcnt(0)
	v_fma_f64 v[107:108], v[145:146], v[113:114], v[107:108]
	s_waitcnt vmcnt(0)
	v_add_f64 v[107:108], v[117:118], -v[107:108]
	buffer_store_dword v108, off, s[0:3], 0 offset:260
	buffer_store_dword v107, off, s[0:3], 0 offset:256
	v_cmpx_lt_u32_e32 31, v0
	s_cbranch_execz .LBB51_259
; %bb.258:
	s_clause 0x1
	buffer_load_dword v107, off, s[0:3], 0 offset:248
	buffer_load_dword v108, off, s[0:3], 0 offset:252
	buffer_store_dword v106, off, s[0:3], 0 offset:248
	buffer_store_dword v106, off, s[0:3], 0 offset:252
	s_waitcnt vmcnt(0)
	ds_write_b64 v105, v[107:108]
.LBB51_259:
	s_or_b32 exec_lo, exec_lo, s4
	s_waitcnt lgkmcnt(0)
	s_waitcnt_vscnt null, 0x0
	s_barrier
	buffer_gl0_inv
	s_clause 0x1c
	buffer_load_dword v115, off, s[0:3], 0 offset:256
	buffer_load_dword v116, off, s[0:3], 0 offset:260
	;; [unrolled: 1-line block ×29, first 2 shown]
	ds_read_b128 v[107:110], v106 offset:672
	ds_read_b128 v[111:114], v106 offset:688
	buffer_load_dword v140, off, s[0:3], 0 offset:372
	s_mov_b32 s4, exec_lo
	s_waitcnt vmcnt(28) lgkmcnt(1)
	v_fma_f64 v[107:108], v[115:116], v[107:108], 0
	s_clause 0x7
	buffer_load_dword v116, off, s[0:3], 0 offset:380
	buffer_load_dword v145, off, s[0:3], 0 offset:400
	;; [unrolled: 1-line block ×8, first 2 shown]
	s_waitcnt vmcnt(34)
	v_fma_f64 v[107:108], v[117:118], v[109:110], v[107:108]
	s_waitcnt vmcnt(32) lgkmcnt(0)
	v_fma_f64 v[107:108], v[119:120], v[111:112], v[107:108]
	s_waitcnt vmcnt(30)
	v_fma_f64 v[117:118], v[121:122], v[113:114], v[107:108]
	ds_read_b128 v[107:110], v106 offset:704
	ds_read_b128 v[111:114], v106 offset:720
	s_waitcnt vmcnt(28) lgkmcnt(1)
	v_fma_f64 v[107:108], v[123:124], v[107:108], v[117:118]
	s_clause 0x3
	buffer_load_dword v118, off, s[0:3], 0 offset:412
	buffer_load_dword v117, off, s[0:3], 0 offset:408
	buffer_load_dword v119, off, s[0:3], 0 offset:248
	buffer_load_dword v120, off, s[0:3], 0 offset:252
	s_waitcnt vmcnt(30)
	v_fma_f64 v[107:108], v[125:126], v[109:110], v[107:108]
	s_waitcnt vmcnt(28) lgkmcnt(0)
	v_fma_f64 v[107:108], v[127:128], v[111:112], v[107:108]
	s_waitcnt vmcnt(23)
	v_fma_f64 v[121:122], v[129:130], v[113:114], v[107:108]
	ds_read_b128 v[107:110], v106 offset:736
	ds_read_b128 v[111:114], v106 offset:752
	s_waitcnt vmcnt(22) lgkmcnt(1)
	v_fma_f64 v[107:108], v[135:136], v[107:108], v[121:122]
	s_waitcnt vmcnt(21)
	v_fma_f64 v[107:108], v[133:134], v[109:110], v[107:108]
	s_waitcnt vmcnt(20) lgkmcnt(0)
	v_fma_f64 v[107:108], v[131:132], v[111:112], v[107:108]
	s_waitcnt vmcnt(15)
	v_fma_f64 v[121:122], v[137:138], v[113:114], v[107:108]
	ds_read_b128 v[107:110], v106 offset:768
	ds_read_b128 v[111:114], v106 offset:784
	s_waitcnt vmcnt(14) lgkmcnt(1)
	v_fma_f64 v[107:108], v[143:144], v[107:108], v[121:122]
	;; [unrolled: 10-line block ×3, first 2 shown]
	s_waitcnt vmcnt(5)
	v_fma_f64 v[106:107], v[147:148], v[109:110], v[106:107]
	s_waitcnt vmcnt(4) lgkmcnt(0)
	v_fma_f64 v[106:107], v[145:146], v[111:112], v[106:107]
	s_waitcnt vmcnt(2)
	v_fma_f64 v[106:107], v[117:118], v[113:114], v[106:107]
	s_waitcnt vmcnt(0)
	v_add_f64 v[106:107], v[119:120], -v[106:107]
	buffer_store_dword v107, off, s[0:3], 0 offset:252
	buffer_store_dword v106, off, s[0:3], 0 offset:248
	v_cmpx_lt_u32_e32 30, v0
	s_cbranch_execz .LBB51_261
; %bb.260:
	s_clause 0x1
	buffer_load_dword v106, off, s[0:3], 0 offset:240
	buffer_load_dword v107, off, s[0:3], 0 offset:244
	v_mov_b32_e32 v108, 0
	buffer_store_dword v108, off, s[0:3], 0 offset:240
	buffer_store_dword v108, off, s[0:3], 0 offset:244
	s_waitcnt vmcnt(0)
	ds_write_b64 v105, v[106:107]
.LBB51_261:
	s_or_b32 exec_lo, exec_lo, s4
	s_waitcnt lgkmcnt(0)
	s_waitcnt_vscnt null, 0x0
	s_barrier
	buffer_gl0_inv
	s_clause 0x1c
	buffer_load_dword v115, off, s[0:3], 0 offset:248
	buffer_load_dword v116, off, s[0:3], 0 offset:252
	;; [unrolled: 1-line block ×29, first 2 shown]
	v_mov_b32_e32 v106, 0
	buffer_load_dword v140, off, s[0:3], 0 offset:364
	s_mov_b32 s4, exec_lo
	ds_read2_b64 v[107:110], v106 offset0:83 offset1:84
	ds_read2_b64 v[111:114], v106 offset0:85 offset1:86
	s_waitcnt vmcnt(28) lgkmcnt(1)
	v_fma_f64 v[107:108], v[115:116], v[107:108], 0
	s_clause 0x7
	buffer_load_dword v116, off, s[0:3], 0 offset:372
	buffer_load_dword v145, off, s[0:3], 0 offset:392
	;; [unrolled: 1-line block ×8, first 2 shown]
	s_waitcnt vmcnt(34)
	v_fma_f64 v[107:108], v[117:118], v[109:110], v[107:108]
	s_waitcnt vmcnt(32) lgkmcnt(0)
	v_fma_f64 v[107:108], v[119:120], v[111:112], v[107:108]
	s_waitcnt vmcnt(30)
	v_fma_f64 v[117:118], v[121:122], v[113:114], v[107:108]
	ds_read2_b64 v[107:110], v106 offset0:87 offset1:88
	ds_read2_b64 v[111:114], v106 offset0:89 offset1:90
	s_waitcnt vmcnt(28) lgkmcnt(1)
	v_fma_f64 v[107:108], v[123:124], v[107:108], v[117:118]
	s_clause 0x5
	buffer_load_dword v118, off, s[0:3], 0 offset:404
	buffer_load_dword v119, off, s[0:3], 0 offset:408
	;; [unrolled: 1-line block ×6, first 2 shown]
	s_waitcnt vmcnt(32)
	v_fma_f64 v[107:108], v[125:126], v[109:110], v[107:108]
	s_waitcnt vmcnt(30) lgkmcnt(0)
	v_fma_f64 v[107:108], v[127:128], v[111:112], v[107:108]
	s_waitcnt vmcnt(25)
	v_fma_f64 v[123:124], v[129:130], v[113:114], v[107:108]
	ds_read2_b64 v[107:110], v106 offset0:91 offset1:92
	ds_read2_b64 v[111:114], v106 offset0:93 offset1:94
	s_waitcnt vmcnt(24) lgkmcnt(1)
	v_fma_f64 v[107:108], v[135:136], v[107:108], v[123:124]
	s_waitcnt vmcnt(23)
	v_fma_f64 v[107:108], v[133:134], v[109:110], v[107:108]
	s_waitcnt vmcnt(22) lgkmcnt(0)
	v_fma_f64 v[107:108], v[131:132], v[111:112], v[107:108]
	s_waitcnt vmcnt(17)
	v_fma_f64 v[123:124], v[137:138], v[113:114], v[107:108]
	ds_read2_b64 v[107:110], v106 offset0:95 offset1:96
	ds_read2_b64 v[111:114], v106 offset0:97 offset1:98
	s_waitcnt vmcnt(16) lgkmcnt(1)
	v_fma_f64 v[107:108], v[143:144], v[107:108], v[123:124]
	;; [unrolled: 10-line block ×3, first 2 shown]
	s_waitcnt vmcnt(7)
	v_fma_f64 v[107:108], v[147:148], v[109:110], v[107:108]
	ds_read_b64 v[109:110], v106 offset:824
	s_waitcnt vmcnt(6) lgkmcnt(1)
	v_fma_f64 v[107:108], v[145:146], v[111:112], v[107:108]
	s_waitcnt vmcnt(3)
	v_fma_f64 v[107:108], v[117:118], v[113:114], v[107:108]
	s_waitcnt vmcnt(2) lgkmcnt(0)
	v_fma_f64 v[107:108], v[119:120], v[109:110], v[107:108]
	s_waitcnt vmcnt(0)
	v_add_f64 v[107:108], v[121:122], -v[107:108]
	buffer_store_dword v108, off, s[0:3], 0 offset:244
	buffer_store_dword v107, off, s[0:3], 0 offset:240
	v_cmpx_lt_u32_e32 29, v0
	s_cbranch_execz .LBB51_263
; %bb.262:
	s_clause 0x1
	buffer_load_dword v107, off, s[0:3], 0 offset:232
	buffer_load_dword v108, off, s[0:3], 0 offset:236
	buffer_store_dword v106, off, s[0:3], 0 offset:232
	buffer_store_dword v106, off, s[0:3], 0 offset:236
	s_waitcnt vmcnt(0)
	ds_write_b64 v105, v[107:108]
.LBB51_263:
	s_or_b32 exec_lo, exec_lo, s4
	s_waitcnt lgkmcnt(0)
	s_waitcnt_vscnt null, 0x0
	s_barrier
	buffer_gl0_inv
	s_clause 0x1c
	buffer_load_dword v115, off, s[0:3], 0 offset:240
	buffer_load_dword v116, off, s[0:3], 0 offset:244
	;; [unrolled: 1-line block ×29, first 2 shown]
	ds_read_b128 v[107:110], v106 offset:656
	ds_read_b128 v[111:114], v106 offset:672
	buffer_load_dword v140, off, s[0:3], 0 offset:356
	s_mov_b32 s4, exec_lo
	s_waitcnt vmcnt(28) lgkmcnt(1)
	v_fma_f64 v[107:108], v[115:116], v[107:108], 0
	s_clause 0x7
	buffer_load_dword v116, off, s[0:3], 0 offset:364
	buffer_load_dword v145, off, s[0:3], 0 offset:384
	;; [unrolled: 1-line block ×8, first 2 shown]
	s_waitcnt vmcnt(34)
	v_fma_f64 v[107:108], v[117:118], v[109:110], v[107:108]
	s_waitcnt vmcnt(32) lgkmcnt(0)
	v_fma_f64 v[107:108], v[119:120], v[111:112], v[107:108]
	s_waitcnt vmcnt(30)
	v_fma_f64 v[117:118], v[121:122], v[113:114], v[107:108]
	ds_read_b128 v[107:110], v106 offset:688
	ds_read_b128 v[111:114], v106 offset:704
	s_waitcnt vmcnt(28) lgkmcnt(1)
	v_fma_f64 v[107:108], v[123:124], v[107:108], v[117:118]
	s_clause 0x5
	buffer_load_dword v118, off, s[0:3], 0 offset:396
	buffer_load_dword v119, off, s[0:3], 0 offset:408
	;; [unrolled: 1-line block ×6, first 2 shown]
	s_waitcnt vmcnt(32)
	v_fma_f64 v[107:108], v[125:126], v[109:110], v[107:108]
	s_waitcnt vmcnt(30) lgkmcnt(0)
	v_fma_f64 v[107:108], v[127:128], v[111:112], v[107:108]
	s_waitcnt vmcnt(25)
	v_fma_f64 v[123:124], v[129:130], v[113:114], v[107:108]
	ds_read_b128 v[107:110], v106 offset:720
	s_clause 0x1
	buffer_load_dword v125, off, s[0:3], 0 offset:232
	buffer_load_dword v126, off, s[0:3], 0 offset:236
	ds_read_b128 v[111:114], v106 offset:736
	s_waitcnt vmcnt(26) lgkmcnt(1)
	v_fma_f64 v[107:108], v[135:136], v[107:108], v[123:124]
	s_waitcnt vmcnt(25)
	v_fma_f64 v[107:108], v[133:134], v[109:110], v[107:108]
	s_waitcnt vmcnt(24) lgkmcnt(0)
	v_fma_f64 v[107:108], v[131:132], v[111:112], v[107:108]
	s_waitcnt vmcnt(19)
	v_fma_f64 v[123:124], v[137:138], v[113:114], v[107:108]
	ds_read_b128 v[107:110], v106 offset:752
	ds_read_b128 v[111:114], v106 offset:768
	s_waitcnt vmcnt(18) lgkmcnt(1)
	v_fma_f64 v[107:108], v[143:144], v[107:108], v[123:124]
	s_waitcnt vmcnt(17)
	v_fma_f64 v[107:108], v[141:142], v[109:110], v[107:108]
	s_waitcnt vmcnt(16) lgkmcnt(0)
	v_fma_f64 v[107:108], v[139:140], v[111:112], v[107:108]
	s_waitcnt vmcnt(11)
	v_fma_f64 v[115:116], v[115:116], v[113:114], v[107:108]
	ds_read_b128 v[107:110], v106 offset:784
	;; [unrolled: 10-line block ×3, first 2 shown]
	s_waitcnt vmcnt(3) lgkmcnt(0)
	v_fma_f64 v[106:107], v[121:122], v[106:107], v[110:111]
	s_waitcnt vmcnt(2)
	v_fma_f64 v[106:107], v[119:120], v[108:109], v[106:107]
	s_waitcnt vmcnt(0)
	v_add_f64 v[106:107], v[125:126], -v[106:107]
	buffer_store_dword v107, off, s[0:3], 0 offset:236
	buffer_store_dword v106, off, s[0:3], 0 offset:232
	v_cmpx_lt_u32_e32 28, v0
	s_cbranch_execz .LBB51_265
; %bb.264:
	s_clause 0x1
	buffer_load_dword v106, off, s[0:3], 0 offset:224
	buffer_load_dword v107, off, s[0:3], 0 offset:228
	v_mov_b32_e32 v108, 0
	buffer_store_dword v108, off, s[0:3], 0 offset:224
	buffer_store_dword v108, off, s[0:3], 0 offset:228
	s_waitcnt vmcnt(0)
	ds_write_b64 v105, v[106:107]
.LBB51_265:
	s_or_b32 exec_lo, exec_lo, s4
	s_waitcnt lgkmcnt(0)
	s_waitcnt_vscnt null, 0x0
	s_barrier
	buffer_gl0_inv
	s_clause 0x1c
	buffer_load_dword v115, off, s[0:3], 0 offset:232
	buffer_load_dword v116, off, s[0:3], 0 offset:236
	;; [unrolled: 1-line block ×29, first 2 shown]
	v_mov_b32_e32 v106, 0
	buffer_load_dword v140, off, s[0:3], 0 offset:348
	s_mov_b32 s4, exec_lo
	ds_read2_b64 v[107:110], v106 offset0:81 offset1:82
	ds_read2_b64 v[111:114], v106 offset0:83 offset1:84
	s_waitcnt vmcnt(28) lgkmcnt(1)
	v_fma_f64 v[107:108], v[115:116], v[107:108], 0
	s_clause 0x7
	buffer_load_dword v116, off, s[0:3], 0 offset:356
	buffer_load_dword v145, off, s[0:3], 0 offset:376
	;; [unrolled: 1-line block ×8, first 2 shown]
	s_waitcnt vmcnt(34)
	v_fma_f64 v[107:108], v[117:118], v[109:110], v[107:108]
	s_waitcnt vmcnt(32) lgkmcnt(0)
	v_fma_f64 v[107:108], v[119:120], v[111:112], v[107:108]
	s_waitcnt vmcnt(30)
	v_fma_f64 v[117:118], v[121:122], v[113:114], v[107:108]
	ds_read2_b64 v[107:110], v106 offset0:85 offset1:86
	ds_read2_b64 v[111:114], v106 offset0:87 offset1:88
	s_waitcnt vmcnt(28) lgkmcnt(1)
	v_fma_f64 v[107:108], v[123:124], v[107:108], v[117:118]
	s_clause 0x7
	buffer_load_dword v118, off, s[0:3], 0 offset:388
	buffer_load_dword v119, off, s[0:3], 0 offset:408
	;; [unrolled: 1-line block ×8, first 2 shown]
	s_waitcnt vmcnt(34)
	v_fma_f64 v[107:108], v[125:126], v[109:110], v[107:108]
	s_waitcnt vmcnt(32) lgkmcnt(0)
	v_fma_f64 v[107:108], v[127:128], v[111:112], v[107:108]
	s_waitcnt vmcnt(27)
	v_fma_f64 v[125:126], v[129:130], v[113:114], v[107:108]
	ds_read2_b64 v[107:110], v106 offset0:89 offset1:90
	ds_read2_b64 v[111:114], v106 offset0:91 offset1:92
	s_waitcnt vmcnt(26) lgkmcnt(1)
	v_fma_f64 v[107:108], v[135:136], v[107:108], v[125:126]
	s_clause 0x1
	buffer_load_dword v125, off, s[0:3], 0 offset:224
	buffer_load_dword v126, off, s[0:3], 0 offset:228
	s_waitcnt vmcnt(27)
	v_fma_f64 v[107:108], v[133:134], v[109:110], v[107:108]
	s_waitcnt vmcnt(26) lgkmcnt(0)
	v_fma_f64 v[107:108], v[131:132], v[111:112], v[107:108]
	s_waitcnt vmcnt(21)
	v_fma_f64 v[127:128], v[137:138], v[113:114], v[107:108]
	ds_read2_b64 v[107:110], v106 offset0:93 offset1:94
	ds_read2_b64 v[111:114], v106 offset0:95 offset1:96
	s_waitcnt vmcnt(20) lgkmcnt(1)
	v_fma_f64 v[107:108], v[143:144], v[107:108], v[127:128]
	s_waitcnt vmcnt(19)
	v_fma_f64 v[107:108], v[141:142], v[109:110], v[107:108]
	s_waitcnt vmcnt(18) lgkmcnt(0)
	v_fma_f64 v[107:108], v[139:140], v[111:112], v[107:108]
	s_waitcnt vmcnt(13)
	v_fma_f64 v[115:116], v[115:116], v[113:114], v[107:108]
	ds_read2_b64 v[107:110], v106 offset0:97 offset1:98
	ds_read2_b64 v[111:114], v106 offset0:99 offset1:100
	s_waitcnt vmcnt(12) lgkmcnt(1)
	v_fma_f64 v[107:108], v[149:150], v[107:108], v[115:116]
	s_waitcnt vmcnt(11)
	v_fma_f64 v[107:108], v[147:148], v[109:110], v[107:108]
	s_waitcnt vmcnt(10) lgkmcnt(0)
	v_fma_f64 v[107:108], v[145:146], v[111:112], v[107:108]
	s_waitcnt vmcnt(5)
	v_fma_f64 v[111:112], v[117:118], v[113:114], v[107:108]
	ds_read2_b64 v[107:110], v106 offset0:101 offset1:102
	ds_read_b64 v[113:114], v106 offset:824
	s_waitcnt vmcnt(4) lgkmcnt(1)
	v_fma_f64 v[107:108], v[123:124], v[107:108], v[111:112]
	s_waitcnt vmcnt(3)
	v_fma_f64 v[107:108], v[121:122], v[109:110], v[107:108]
	s_waitcnt vmcnt(2) lgkmcnt(0)
	v_fma_f64 v[107:108], v[119:120], v[113:114], v[107:108]
	s_waitcnt vmcnt(0)
	v_add_f64 v[107:108], v[125:126], -v[107:108]
	buffer_store_dword v108, off, s[0:3], 0 offset:228
	buffer_store_dword v107, off, s[0:3], 0 offset:224
	v_cmpx_lt_u32_e32 27, v0
	s_cbranch_execz .LBB51_267
; %bb.266:
	s_clause 0x1
	buffer_load_dword v107, off, s[0:3], 0 offset:216
	buffer_load_dword v108, off, s[0:3], 0 offset:220
	buffer_store_dword v106, off, s[0:3], 0 offset:216
	buffer_store_dword v106, off, s[0:3], 0 offset:220
	s_waitcnt vmcnt(0)
	ds_write_b64 v105, v[107:108]
.LBB51_267:
	s_or_b32 exec_lo, exec_lo, s4
	s_waitcnt lgkmcnt(0)
	s_waitcnt_vscnt null, 0x0
	s_barrier
	buffer_gl0_inv
	s_clause 0x1c
	buffer_load_dword v115, off, s[0:3], 0 offset:224
	buffer_load_dword v116, off, s[0:3], 0 offset:228
	;; [unrolled: 1-line block ×29, first 2 shown]
	ds_read_b128 v[107:110], v106 offset:640
	ds_read_b128 v[111:114], v106 offset:656
	buffer_load_dword v140, off, s[0:3], 0 offset:340
	s_mov_b32 s4, exec_lo
	s_waitcnt vmcnt(28) lgkmcnt(1)
	v_fma_f64 v[107:108], v[115:116], v[107:108], 0
	s_clause 0x7
	buffer_load_dword v116, off, s[0:3], 0 offset:348
	buffer_load_dword v145, off, s[0:3], 0 offset:368
	;; [unrolled: 1-line block ×8, first 2 shown]
	s_waitcnt vmcnt(34)
	v_fma_f64 v[107:108], v[117:118], v[109:110], v[107:108]
	s_waitcnt vmcnt(32) lgkmcnt(0)
	v_fma_f64 v[107:108], v[119:120], v[111:112], v[107:108]
	s_waitcnt vmcnt(30)
	v_fma_f64 v[117:118], v[121:122], v[113:114], v[107:108]
	ds_read_b128 v[107:110], v106 offset:672
	ds_read_b128 v[111:114], v106 offset:688
	s_waitcnt vmcnt(28) lgkmcnt(1)
	v_fma_f64 v[107:108], v[123:124], v[107:108], v[117:118]
	s_clause 0x7
	buffer_load_dword v118, off, s[0:3], 0 offset:380
	buffer_load_dword v119, off, s[0:3], 0 offset:400
	;; [unrolled: 1-line block ×8, first 2 shown]
	s_waitcnt vmcnt(34)
	v_fma_f64 v[107:108], v[125:126], v[109:110], v[107:108]
	s_waitcnt vmcnt(32) lgkmcnt(0)
	v_fma_f64 v[107:108], v[127:128], v[111:112], v[107:108]
	s_waitcnt vmcnt(27)
	v_fma_f64 v[125:126], v[129:130], v[113:114], v[107:108]
	ds_read_b128 v[107:110], v106 offset:704
	ds_read_b128 v[111:114], v106 offset:720
	s_waitcnt vmcnt(26) lgkmcnt(1)
	v_fma_f64 v[107:108], v[135:136], v[107:108], v[125:126]
	s_clause 0x3
	buffer_load_dword v126, off, s[0:3], 0 offset:412
	buffer_load_dword v125, off, s[0:3], 0 offset:408
	buffer_load_dword v127, off, s[0:3], 0 offset:216
	buffer_load_dword v128, off, s[0:3], 0 offset:220
	s_waitcnt vmcnt(29)
	v_fma_f64 v[107:108], v[133:134], v[109:110], v[107:108]
	s_waitcnt vmcnt(28) lgkmcnt(0)
	v_fma_f64 v[107:108], v[131:132], v[111:112], v[107:108]
	s_waitcnt vmcnt(23)
	v_fma_f64 v[129:130], v[137:138], v[113:114], v[107:108]
	ds_read_b128 v[107:110], v106 offset:736
	ds_read_b128 v[111:114], v106 offset:752
	s_waitcnt vmcnt(22) lgkmcnt(1)
	v_fma_f64 v[107:108], v[143:144], v[107:108], v[129:130]
	s_waitcnt vmcnt(21)
	v_fma_f64 v[107:108], v[141:142], v[109:110], v[107:108]
	s_waitcnt vmcnt(20) lgkmcnt(0)
	v_fma_f64 v[107:108], v[139:140], v[111:112], v[107:108]
	s_waitcnt vmcnt(15)
	v_fma_f64 v[115:116], v[115:116], v[113:114], v[107:108]
	ds_read_b128 v[107:110], v106 offset:768
	ds_read_b128 v[111:114], v106 offset:784
	s_waitcnt vmcnt(14) lgkmcnt(1)
	v_fma_f64 v[107:108], v[149:150], v[107:108], v[115:116]
	;; [unrolled: 10-line block ×3, first 2 shown]
	s_waitcnt vmcnt(5)
	v_fma_f64 v[106:107], v[121:122], v[109:110], v[106:107]
	s_waitcnt vmcnt(4) lgkmcnt(0)
	v_fma_f64 v[106:107], v[119:120], v[111:112], v[106:107]
	s_waitcnt vmcnt(2)
	v_fma_f64 v[106:107], v[125:126], v[113:114], v[106:107]
	s_waitcnt vmcnt(0)
	v_add_f64 v[106:107], v[127:128], -v[106:107]
	buffer_store_dword v107, off, s[0:3], 0 offset:220
	buffer_store_dword v106, off, s[0:3], 0 offset:216
	v_cmpx_lt_u32_e32 26, v0
	s_cbranch_execz .LBB51_269
; %bb.268:
	s_clause 0x1
	buffer_load_dword v106, off, s[0:3], 0 offset:208
	buffer_load_dword v107, off, s[0:3], 0 offset:212
	v_mov_b32_e32 v108, 0
	buffer_store_dword v108, off, s[0:3], 0 offset:208
	buffer_store_dword v108, off, s[0:3], 0 offset:212
	s_waitcnt vmcnt(0)
	ds_write_b64 v105, v[106:107]
.LBB51_269:
	s_or_b32 exec_lo, exec_lo, s4
	s_waitcnt lgkmcnt(0)
	s_waitcnt_vscnt null, 0x0
	s_barrier
	buffer_gl0_inv
	s_clause 0x1c
	buffer_load_dword v115, off, s[0:3], 0 offset:216
	buffer_load_dword v116, off, s[0:3], 0 offset:220
	;; [unrolled: 1-line block ×29, first 2 shown]
	v_mov_b32_e32 v106, 0
	buffer_load_dword v140, off, s[0:3], 0 offset:332
	s_mov_b32 s4, exec_lo
	ds_read2_b64 v[107:110], v106 offset0:79 offset1:80
	ds_read2_b64 v[111:114], v106 offset0:81 offset1:82
	s_waitcnt vmcnt(28) lgkmcnt(1)
	v_fma_f64 v[107:108], v[115:116], v[107:108], 0
	s_clause 0x7
	buffer_load_dword v116, off, s[0:3], 0 offset:340
	buffer_load_dword v145, off, s[0:3], 0 offset:360
	;; [unrolled: 1-line block ×8, first 2 shown]
	s_waitcnt vmcnt(34)
	v_fma_f64 v[107:108], v[117:118], v[109:110], v[107:108]
	s_waitcnt vmcnt(32) lgkmcnt(0)
	v_fma_f64 v[107:108], v[119:120], v[111:112], v[107:108]
	s_waitcnt vmcnt(30)
	v_fma_f64 v[117:118], v[121:122], v[113:114], v[107:108]
	ds_read2_b64 v[107:110], v106 offset0:83 offset1:84
	ds_read2_b64 v[111:114], v106 offset0:85 offset1:86
	s_waitcnt vmcnt(28) lgkmcnt(1)
	v_fma_f64 v[107:108], v[123:124], v[107:108], v[117:118]
	s_clause 0x7
	buffer_load_dword v118, off, s[0:3], 0 offset:372
	buffer_load_dword v119, off, s[0:3], 0 offset:392
	;; [unrolled: 1-line block ×8, first 2 shown]
	s_waitcnt vmcnt(34)
	v_fma_f64 v[107:108], v[125:126], v[109:110], v[107:108]
	s_waitcnt vmcnt(32) lgkmcnt(0)
	v_fma_f64 v[107:108], v[127:128], v[111:112], v[107:108]
	s_waitcnt vmcnt(27)
	v_fma_f64 v[125:126], v[129:130], v[113:114], v[107:108]
	ds_read2_b64 v[107:110], v106 offset0:87 offset1:88
	ds_read2_b64 v[111:114], v106 offset0:89 offset1:90
	s_waitcnt vmcnt(26) lgkmcnt(1)
	v_fma_f64 v[107:108], v[135:136], v[107:108], v[125:126]
	s_clause 0x5
	buffer_load_dword v126, off, s[0:3], 0 offset:404
	buffer_load_dword v127, off, s[0:3], 0 offset:408
	;; [unrolled: 1-line block ×6, first 2 shown]
	s_waitcnt vmcnt(31)
	v_fma_f64 v[107:108], v[133:134], v[109:110], v[107:108]
	s_waitcnt vmcnt(30) lgkmcnt(0)
	v_fma_f64 v[107:108], v[131:132], v[111:112], v[107:108]
	s_waitcnt vmcnt(25)
	v_fma_f64 v[131:132], v[137:138], v[113:114], v[107:108]
	ds_read2_b64 v[107:110], v106 offset0:91 offset1:92
	ds_read2_b64 v[111:114], v106 offset0:93 offset1:94
	s_waitcnt vmcnt(24) lgkmcnt(1)
	v_fma_f64 v[107:108], v[143:144], v[107:108], v[131:132]
	s_waitcnt vmcnt(23)
	v_fma_f64 v[107:108], v[141:142], v[109:110], v[107:108]
	s_waitcnt vmcnt(22) lgkmcnt(0)
	v_fma_f64 v[107:108], v[139:140], v[111:112], v[107:108]
	s_waitcnt vmcnt(17)
	v_fma_f64 v[115:116], v[115:116], v[113:114], v[107:108]
	ds_read2_b64 v[107:110], v106 offset0:95 offset1:96
	ds_read2_b64 v[111:114], v106 offset0:97 offset1:98
	s_waitcnt vmcnt(16) lgkmcnt(1)
	v_fma_f64 v[107:108], v[149:150], v[107:108], v[115:116]
	;; [unrolled: 10-line block ×3, first 2 shown]
	s_waitcnt vmcnt(7)
	v_fma_f64 v[107:108], v[121:122], v[109:110], v[107:108]
	ds_read_b64 v[109:110], v106 offset:824
	s_waitcnt vmcnt(6) lgkmcnt(1)
	v_fma_f64 v[107:108], v[119:120], v[111:112], v[107:108]
	s_waitcnt vmcnt(3)
	v_fma_f64 v[107:108], v[125:126], v[113:114], v[107:108]
	s_waitcnt vmcnt(2) lgkmcnt(0)
	v_fma_f64 v[107:108], v[127:128], v[109:110], v[107:108]
	s_waitcnt vmcnt(0)
	v_add_f64 v[107:108], v[129:130], -v[107:108]
	buffer_store_dword v108, off, s[0:3], 0 offset:212
	buffer_store_dword v107, off, s[0:3], 0 offset:208
	v_cmpx_lt_u32_e32 25, v0
	s_cbranch_execz .LBB51_271
; %bb.270:
	s_clause 0x1
	buffer_load_dword v107, off, s[0:3], 0 offset:200
	buffer_load_dword v108, off, s[0:3], 0 offset:204
	buffer_store_dword v106, off, s[0:3], 0 offset:200
	buffer_store_dword v106, off, s[0:3], 0 offset:204
	s_waitcnt vmcnt(0)
	ds_write_b64 v105, v[107:108]
.LBB51_271:
	s_or_b32 exec_lo, exec_lo, s4
	s_waitcnt lgkmcnt(0)
	s_waitcnt_vscnt null, 0x0
	s_barrier
	buffer_gl0_inv
	s_clause 0x1c
	buffer_load_dword v115, off, s[0:3], 0 offset:208
	buffer_load_dword v116, off, s[0:3], 0 offset:212
	buffer_load_dword v117, off, s[0:3], 0 offset:216
	buffer_load_dword v118, off, s[0:3], 0 offset:220
	buffer_load_dword v119, off, s[0:3], 0 offset:224
	buffer_load_dword v120, off, s[0:3], 0 offset:228
	buffer_load_dword v121, off, s[0:3], 0 offset:232
	buffer_load_dword v122, off, s[0:3], 0 offset:236
	buffer_load_dword v123, off, s[0:3], 0 offset:240
	buffer_load_dword v124, off, s[0:3], 0 offset:244
	buffer_load_dword v125, off, s[0:3], 0 offset:248
	buffer_load_dword v126, off, s[0:3], 0 offset:252
	buffer_load_dword v127, off, s[0:3], 0 offset:256
	buffer_load_dword v128, off, s[0:3], 0 offset:260
	buffer_load_dword v130, off, s[0:3], 0 offset:268
	buffer_load_dword v131, off, s[0:3], 0 offset:288
	buffer_load_dword v133, off, s[0:3], 0 offset:280
	buffer_load_dword v135, off, s[0:3], 0 offset:272
	buffer_load_dword v129, off, s[0:3], 0 offset:264
	buffer_load_dword v136, off, s[0:3], 0 offset:276
	buffer_load_dword v134, off, s[0:3], 0 offset:284
	buffer_load_dword v132, off, s[0:3], 0 offset:292
	buffer_load_dword v138, off, s[0:3], 0 offset:300
	buffer_load_dword v139, off, s[0:3], 0 offset:320
	buffer_load_dword v141, off, s[0:3], 0 offset:312
	buffer_load_dword v143, off, s[0:3], 0 offset:304
	buffer_load_dword v137, off, s[0:3], 0 offset:296
	buffer_load_dword v144, off, s[0:3], 0 offset:308
	buffer_load_dword v142, off, s[0:3], 0 offset:316
	ds_read_b128 v[107:110], v106 offset:624
	ds_read_b128 v[111:114], v106 offset:640
	buffer_load_dword v140, off, s[0:3], 0 offset:324
	s_mov_b32 s4, exec_lo
	s_waitcnt vmcnt(28) lgkmcnt(1)
	v_fma_f64 v[107:108], v[115:116], v[107:108], 0
	s_clause 0x7
	buffer_load_dword v116, off, s[0:3], 0 offset:332
	buffer_load_dword v145, off, s[0:3], 0 offset:352
	;; [unrolled: 1-line block ×8, first 2 shown]
	s_waitcnt vmcnt(34)
	v_fma_f64 v[107:108], v[117:118], v[109:110], v[107:108]
	s_waitcnt vmcnt(32) lgkmcnt(0)
	v_fma_f64 v[107:108], v[119:120], v[111:112], v[107:108]
	s_waitcnt vmcnt(30)
	v_fma_f64 v[117:118], v[121:122], v[113:114], v[107:108]
	ds_read_b128 v[107:110], v106 offset:656
	ds_read_b128 v[111:114], v106 offset:672
	s_waitcnt vmcnt(28) lgkmcnt(1)
	v_fma_f64 v[107:108], v[123:124], v[107:108], v[117:118]
	s_clause 0x7
	buffer_load_dword v118, off, s[0:3], 0 offset:364
	buffer_load_dword v119, off, s[0:3], 0 offset:384
	;; [unrolled: 1-line block ×8, first 2 shown]
	s_waitcnt vmcnt(34)
	v_fma_f64 v[107:108], v[125:126], v[109:110], v[107:108]
	s_waitcnt vmcnt(32) lgkmcnt(0)
	v_fma_f64 v[107:108], v[127:128], v[111:112], v[107:108]
	s_waitcnt vmcnt(27)
	v_fma_f64 v[125:126], v[129:130], v[113:114], v[107:108]
	ds_read_b128 v[107:110], v106 offset:688
	ds_read_b128 v[111:114], v106 offset:704
	s_waitcnt vmcnt(26) lgkmcnt(1)
	v_fma_f64 v[107:108], v[135:136], v[107:108], v[125:126]
	s_clause 0x5
	buffer_load_dword v126, off, s[0:3], 0 offset:396
	buffer_load_dword v127, off, s[0:3], 0 offset:408
	;; [unrolled: 1-line block ×6, first 2 shown]
	s_waitcnt vmcnt(31)
	v_fma_f64 v[107:108], v[133:134], v[109:110], v[107:108]
	s_waitcnt vmcnt(30) lgkmcnt(0)
	v_fma_f64 v[107:108], v[131:132], v[111:112], v[107:108]
	s_waitcnt vmcnt(25)
	v_fma_f64 v[131:132], v[137:138], v[113:114], v[107:108]
	ds_read_b128 v[107:110], v106 offset:720
	s_clause 0x1
	buffer_load_dword v133, off, s[0:3], 0 offset:200
	buffer_load_dword v134, off, s[0:3], 0 offset:204
	ds_read_b128 v[111:114], v106 offset:736
	s_waitcnt vmcnt(26) lgkmcnt(1)
	v_fma_f64 v[107:108], v[143:144], v[107:108], v[131:132]
	s_waitcnt vmcnt(25)
	v_fma_f64 v[107:108], v[141:142], v[109:110], v[107:108]
	s_waitcnt vmcnt(24) lgkmcnt(0)
	v_fma_f64 v[107:108], v[139:140], v[111:112], v[107:108]
	s_waitcnt vmcnt(19)
	v_fma_f64 v[115:116], v[115:116], v[113:114], v[107:108]
	ds_read_b128 v[107:110], v106 offset:752
	ds_read_b128 v[111:114], v106 offset:768
	s_waitcnt vmcnt(18) lgkmcnt(1)
	v_fma_f64 v[107:108], v[149:150], v[107:108], v[115:116]
	s_waitcnt vmcnt(17)
	v_fma_f64 v[107:108], v[147:148], v[109:110], v[107:108]
	s_waitcnt vmcnt(16) lgkmcnt(0)
	v_fma_f64 v[107:108], v[145:146], v[111:112], v[107:108]
	s_waitcnt vmcnt(11)
	v_fma_f64 v[115:116], v[117:118], v[113:114], v[107:108]
	ds_read_b128 v[107:110], v106 offset:784
	ds_read_b128 v[111:114], v106 offset:800
	s_waitcnt vmcnt(10) lgkmcnt(1)
	v_fma_f64 v[107:108], v[123:124], v[107:108], v[115:116]
	s_waitcnt vmcnt(9)
	v_fma_f64 v[107:108], v[121:122], v[109:110], v[107:108]
	s_waitcnt vmcnt(8) lgkmcnt(0)
	v_fma_f64 v[107:108], v[119:120], v[111:112], v[107:108]
	s_waitcnt vmcnt(4)
	v_fma_f64 v[110:111], v[125:126], v[113:114], v[107:108]
	ds_read_b128 v[106:109], v106 offset:816
	s_waitcnt vmcnt(3) lgkmcnt(0)
	v_fma_f64 v[106:107], v[129:130], v[106:107], v[110:111]
	s_waitcnt vmcnt(2)
	v_fma_f64 v[106:107], v[127:128], v[108:109], v[106:107]
	s_waitcnt vmcnt(0)
	v_add_f64 v[106:107], v[133:134], -v[106:107]
	buffer_store_dword v107, off, s[0:3], 0 offset:204
	buffer_store_dword v106, off, s[0:3], 0 offset:200
	v_cmpx_lt_u32_e32 24, v0
	s_cbranch_execz .LBB51_273
; %bb.272:
	s_clause 0x1
	buffer_load_dword v106, off, s[0:3], 0 offset:192
	buffer_load_dword v107, off, s[0:3], 0 offset:196
	v_mov_b32_e32 v108, 0
	buffer_store_dword v108, off, s[0:3], 0 offset:192
	buffer_store_dword v108, off, s[0:3], 0 offset:196
	s_waitcnt vmcnt(0)
	ds_write_b64 v105, v[106:107]
.LBB51_273:
	s_or_b32 exec_lo, exec_lo, s4
	s_waitcnt lgkmcnt(0)
	s_waitcnt_vscnt null, 0x0
	s_barrier
	buffer_gl0_inv
	s_clause 0x1c
	buffer_load_dword v115, off, s[0:3], 0 offset:200
	buffer_load_dword v116, off, s[0:3], 0 offset:204
	;; [unrolled: 1-line block ×29, first 2 shown]
	v_mov_b32_e32 v106, 0
	buffer_load_dword v140, off, s[0:3], 0 offset:316
	s_mov_b32 s4, exec_lo
	ds_read2_b64 v[107:110], v106 offset0:77 offset1:78
	ds_read2_b64 v[111:114], v106 offset0:79 offset1:80
	s_waitcnt vmcnt(28) lgkmcnt(1)
	v_fma_f64 v[107:108], v[115:116], v[107:108], 0
	s_clause 0x7
	buffer_load_dword v116, off, s[0:3], 0 offset:324
	buffer_load_dword v145, off, s[0:3], 0 offset:344
	buffer_load_dword v147, off, s[0:3], 0 offset:336
	buffer_load_dword v149, off, s[0:3], 0 offset:328
	buffer_load_dword v115, off, s[0:3], 0 offset:320
	buffer_load_dword v150, off, s[0:3], 0 offset:332
	buffer_load_dword v148, off, s[0:3], 0 offset:340
	buffer_load_dword v146, off, s[0:3], 0 offset:348
	s_waitcnt vmcnt(34)
	v_fma_f64 v[107:108], v[117:118], v[109:110], v[107:108]
	s_waitcnt vmcnt(32) lgkmcnt(0)
	v_fma_f64 v[107:108], v[119:120], v[111:112], v[107:108]
	s_waitcnt vmcnt(30)
	v_fma_f64 v[117:118], v[121:122], v[113:114], v[107:108]
	ds_read2_b64 v[107:110], v106 offset0:81 offset1:82
	ds_read2_b64 v[111:114], v106 offset0:83 offset1:84
	s_waitcnt vmcnt(28) lgkmcnt(1)
	v_fma_f64 v[107:108], v[123:124], v[107:108], v[117:118]
	s_clause 0x7
	buffer_load_dword v118, off, s[0:3], 0 offset:356
	buffer_load_dword v119, off, s[0:3], 0 offset:376
	buffer_load_dword v121, off, s[0:3], 0 offset:368
	buffer_load_dword v123, off, s[0:3], 0 offset:360
	buffer_load_dword v117, off, s[0:3], 0 offset:352
	buffer_load_dword v124, off, s[0:3], 0 offset:364
	buffer_load_dword v122, off, s[0:3], 0 offset:372
	buffer_load_dword v120, off, s[0:3], 0 offset:380
	s_waitcnt vmcnt(34)
	v_fma_f64 v[107:108], v[125:126], v[109:110], v[107:108]
	s_waitcnt vmcnt(32) lgkmcnt(0)
	v_fma_f64 v[107:108], v[127:128], v[111:112], v[107:108]
	s_waitcnt vmcnt(27)
	v_fma_f64 v[125:126], v[129:130], v[113:114], v[107:108]
	;; [unrolled: 19-line block ×3, first 2 shown]
	ds_read2_b64 v[107:110], v106 offset0:89 offset1:90
	ds_read2_b64 v[111:114], v106 offset0:91 offset1:92
	s_waitcnt vmcnt(26) lgkmcnt(1)
	v_fma_f64 v[107:108], v[143:144], v[107:108], v[131:132]
	s_clause 0x1
	buffer_load_dword v131, off, s[0:3], 0 offset:192
	buffer_load_dword v132, off, s[0:3], 0 offset:196
	s_waitcnt vmcnt(27)
	v_fma_f64 v[107:108], v[141:142], v[109:110], v[107:108]
	s_waitcnt vmcnt(26) lgkmcnt(0)
	v_fma_f64 v[107:108], v[139:140], v[111:112], v[107:108]
	s_waitcnt vmcnt(21)
	v_fma_f64 v[115:116], v[115:116], v[113:114], v[107:108]
	ds_read2_b64 v[107:110], v106 offset0:93 offset1:94
	ds_read2_b64 v[111:114], v106 offset0:95 offset1:96
	s_waitcnt vmcnt(20) lgkmcnt(1)
	v_fma_f64 v[107:108], v[149:150], v[107:108], v[115:116]
	s_waitcnt vmcnt(19)
	v_fma_f64 v[107:108], v[147:148], v[109:110], v[107:108]
	s_waitcnt vmcnt(18) lgkmcnt(0)
	v_fma_f64 v[107:108], v[145:146], v[111:112], v[107:108]
	s_waitcnt vmcnt(13)
	v_fma_f64 v[115:116], v[117:118], v[113:114], v[107:108]
	ds_read2_b64 v[107:110], v106 offset0:97 offset1:98
	ds_read2_b64 v[111:114], v106 offset0:99 offset1:100
	s_waitcnt vmcnt(12) lgkmcnt(1)
	v_fma_f64 v[107:108], v[123:124], v[107:108], v[115:116]
	s_waitcnt vmcnt(11)
	v_fma_f64 v[107:108], v[121:122], v[109:110], v[107:108]
	s_waitcnt vmcnt(10) lgkmcnt(0)
	v_fma_f64 v[107:108], v[119:120], v[111:112], v[107:108]
	s_waitcnt vmcnt(5)
	v_fma_f64 v[111:112], v[125:126], v[113:114], v[107:108]
	ds_read2_b64 v[107:110], v106 offset0:101 offset1:102
	ds_read_b64 v[113:114], v106 offset:824
	s_waitcnt vmcnt(4) lgkmcnt(1)
	v_fma_f64 v[107:108], v[135:136], v[107:108], v[111:112]
	s_waitcnt vmcnt(3)
	v_fma_f64 v[107:108], v[129:130], v[109:110], v[107:108]
	s_waitcnt vmcnt(2) lgkmcnt(0)
	v_fma_f64 v[107:108], v[127:128], v[113:114], v[107:108]
	s_waitcnt vmcnt(0)
	v_add_f64 v[107:108], v[131:132], -v[107:108]
	buffer_store_dword v108, off, s[0:3], 0 offset:196
	buffer_store_dword v107, off, s[0:3], 0 offset:192
	v_cmpx_lt_u32_e32 23, v0
	s_cbranch_execz .LBB51_275
; %bb.274:
	s_clause 0x1
	buffer_load_dword v107, off, s[0:3], 0 offset:184
	buffer_load_dword v108, off, s[0:3], 0 offset:188
	buffer_store_dword v106, off, s[0:3], 0 offset:184
	buffer_store_dword v106, off, s[0:3], 0 offset:188
	s_waitcnt vmcnt(0)
	ds_write_b64 v105, v[107:108]
.LBB51_275:
	s_or_b32 exec_lo, exec_lo, s4
	s_waitcnt lgkmcnt(0)
	s_waitcnt_vscnt null, 0x0
	s_barrier
	buffer_gl0_inv
	s_clause 0x1c
	buffer_load_dword v115, off, s[0:3], 0 offset:192
	buffer_load_dword v116, off, s[0:3], 0 offset:196
	buffer_load_dword v117, off, s[0:3], 0 offset:200
	buffer_load_dword v118, off, s[0:3], 0 offset:204
	buffer_load_dword v119, off, s[0:3], 0 offset:208
	buffer_load_dword v120, off, s[0:3], 0 offset:212
	buffer_load_dword v121, off, s[0:3], 0 offset:216
	buffer_load_dword v122, off, s[0:3], 0 offset:220
	buffer_load_dword v123, off, s[0:3], 0 offset:224
	buffer_load_dword v124, off, s[0:3], 0 offset:228
	buffer_load_dword v125, off, s[0:3], 0 offset:232
	buffer_load_dword v126, off, s[0:3], 0 offset:236
	buffer_load_dword v127, off, s[0:3], 0 offset:240
	buffer_load_dword v128, off, s[0:3], 0 offset:244
	buffer_load_dword v130, off, s[0:3], 0 offset:252
	buffer_load_dword v131, off, s[0:3], 0 offset:272
	buffer_load_dword v133, off, s[0:3], 0 offset:264
	buffer_load_dword v135, off, s[0:3], 0 offset:256
	buffer_load_dword v129, off, s[0:3], 0 offset:248
	buffer_load_dword v136, off, s[0:3], 0 offset:260
	buffer_load_dword v134, off, s[0:3], 0 offset:268
	buffer_load_dword v132, off, s[0:3], 0 offset:276
	buffer_load_dword v138, off, s[0:3], 0 offset:284
	buffer_load_dword v139, off, s[0:3], 0 offset:304
	buffer_load_dword v141, off, s[0:3], 0 offset:296
	buffer_load_dword v143, off, s[0:3], 0 offset:288
	buffer_load_dword v137, off, s[0:3], 0 offset:280
	buffer_load_dword v144, off, s[0:3], 0 offset:292
	buffer_load_dword v142, off, s[0:3], 0 offset:300
	ds_read_b128 v[107:110], v106 offset:608
	ds_read_b128 v[111:114], v106 offset:624
	buffer_load_dword v140, off, s[0:3], 0 offset:308
	s_mov_b32 s4, exec_lo
	s_waitcnt vmcnt(28) lgkmcnt(1)
	v_fma_f64 v[107:108], v[115:116], v[107:108], 0
	s_clause 0x7
	buffer_load_dword v116, off, s[0:3], 0 offset:316
	buffer_load_dword v145, off, s[0:3], 0 offset:336
	buffer_load_dword v147, off, s[0:3], 0 offset:328
	buffer_load_dword v149, off, s[0:3], 0 offset:320
	buffer_load_dword v115, off, s[0:3], 0 offset:312
	buffer_load_dword v150, off, s[0:3], 0 offset:324
	buffer_load_dword v148, off, s[0:3], 0 offset:332
	buffer_load_dword v146, off, s[0:3], 0 offset:340
	s_waitcnt vmcnt(34)
	v_fma_f64 v[107:108], v[117:118], v[109:110], v[107:108]
	s_waitcnt vmcnt(32) lgkmcnt(0)
	v_fma_f64 v[107:108], v[119:120], v[111:112], v[107:108]
	s_waitcnt vmcnt(30)
	v_fma_f64 v[117:118], v[121:122], v[113:114], v[107:108]
	ds_read_b128 v[107:110], v106 offset:640
	ds_read_b128 v[111:114], v106 offset:656
	s_waitcnt vmcnt(28) lgkmcnt(1)
	v_fma_f64 v[107:108], v[123:124], v[107:108], v[117:118]
	s_clause 0x7
	buffer_load_dword v118, off, s[0:3], 0 offset:348
	buffer_load_dword v119, off, s[0:3], 0 offset:368
	buffer_load_dword v121, off, s[0:3], 0 offset:360
	buffer_load_dword v123, off, s[0:3], 0 offset:352
	buffer_load_dword v117, off, s[0:3], 0 offset:344
	buffer_load_dword v124, off, s[0:3], 0 offset:356
	buffer_load_dword v122, off, s[0:3], 0 offset:364
	buffer_load_dword v120, off, s[0:3], 0 offset:372
	s_waitcnt vmcnt(34)
	v_fma_f64 v[107:108], v[125:126], v[109:110], v[107:108]
	s_waitcnt vmcnt(32) lgkmcnt(0)
	v_fma_f64 v[107:108], v[127:128], v[111:112], v[107:108]
	s_waitcnt vmcnt(27)
	v_fma_f64 v[125:126], v[129:130], v[113:114], v[107:108]
	ds_read_b128 v[107:110], v106 offset:672
	ds_read_b128 v[111:114], v106 offset:688
	;; [unrolled: 19-line block ×3, first 2 shown]
	s_waitcnt vmcnt(26) lgkmcnt(1)
	v_fma_f64 v[107:108], v[143:144], v[107:108], v[131:132]
	s_clause 0x3
	buffer_load_dword v132, off, s[0:3], 0 offset:412
	buffer_load_dword v131, off, s[0:3], 0 offset:408
	buffer_load_dword v133, off, s[0:3], 0 offset:184
	buffer_load_dword v134, off, s[0:3], 0 offset:188
	s_waitcnt vmcnt(29)
	v_fma_f64 v[107:108], v[141:142], v[109:110], v[107:108]
	s_waitcnt vmcnt(28) lgkmcnt(0)
	v_fma_f64 v[107:108], v[139:140], v[111:112], v[107:108]
	s_waitcnt vmcnt(23)
	v_fma_f64 v[115:116], v[115:116], v[113:114], v[107:108]
	ds_read_b128 v[107:110], v106 offset:736
	ds_read_b128 v[111:114], v106 offset:752
	s_waitcnt vmcnt(22) lgkmcnt(1)
	v_fma_f64 v[107:108], v[149:150], v[107:108], v[115:116]
	s_waitcnt vmcnt(21)
	v_fma_f64 v[107:108], v[147:148], v[109:110], v[107:108]
	s_waitcnt vmcnt(20) lgkmcnt(0)
	v_fma_f64 v[107:108], v[145:146], v[111:112], v[107:108]
	s_waitcnt vmcnt(15)
	v_fma_f64 v[115:116], v[117:118], v[113:114], v[107:108]
	ds_read_b128 v[107:110], v106 offset:768
	ds_read_b128 v[111:114], v106 offset:784
	s_waitcnt vmcnt(14) lgkmcnt(1)
	v_fma_f64 v[107:108], v[123:124], v[107:108], v[115:116]
	s_waitcnt vmcnt(13)
	v_fma_f64 v[107:108], v[121:122], v[109:110], v[107:108]
	s_waitcnt vmcnt(12) lgkmcnt(0)
	v_fma_f64 v[107:108], v[119:120], v[111:112], v[107:108]
	s_waitcnt vmcnt(7)
	v_fma_f64 v[115:116], v[125:126], v[113:114], v[107:108]
	ds_read_b128 v[107:110], v106 offset:800
	ds_read_b128 v[111:114], v106 offset:816
	s_waitcnt vmcnt(6) lgkmcnt(1)
	v_fma_f64 v[106:107], v[135:136], v[107:108], v[115:116]
	s_waitcnt vmcnt(5)
	v_fma_f64 v[106:107], v[129:130], v[109:110], v[106:107]
	s_waitcnt vmcnt(4) lgkmcnt(0)
	v_fma_f64 v[106:107], v[127:128], v[111:112], v[106:107]
	s_waitcnt vmcnt(2)
	v_fma_f64 v[106:107], v[131:132], v[113:114], v[106:107]
	s_waitcnt vmcnt(0)
	v_add_f64 v[106:107], v[133:134], -v[106:107]
	buffer_store_dword v107, off, s[0:3], 0 offset:188
	buffer_store_dword v106, off, s[0:3], 0 offset:184
	v_cmpx_lt_u32_e32 22, v0
	s_cbranch_execz .LBB51_277
; %bb.276:
	s_clause 0x1
	buffer_load_dword v106, off, s[0:3], 0 offset:176
	buffer_load_dword v107, off, s[0:3], 0 offset:180
	v_mov_b32_e32 v108, 0
	buffer_store_dword v108, off, s[0:3], 0 offset:176
	buffer_store_dword v108, off, s[0:3], 0 offset:180
	s_waitcnt vmcnt(0)
	ds_write_b64 v105, v[106:107]
.LBB51_277:
	s_or_b32 exec_lo, exec_lo, s4
	s_waitcnt lgkmcnt(0)
	s_waitcnt_vscnt null, 0x0
	s_barrier
	buffer_gl0_inv
	s_clause 0x1c
	buffer_load_dword v115, off, s[0:3], 0 offset:184
	buffer_load_dword v116, off, s[0:3], 0 offset:188
	buffer_load_dword v117, off, s[0:3], 0 offset:192
	buffer_load_dword v118, off, s[0:3], 0 offset:196
	buffer_load_dword v119, off, s[0:3], 0 offset:200
	buffer_load_dword v120, off, s[0:3], 0 offset:204
	buffer_load_dword v121, off, s[0:3], 0 offset:208
	buffer_load_dword v122, off, s[0:3], 0 offset:212
	buffer_load_dword v123, off, s[0:3], 0 offset:216
	buffer_load_dword v124, off, s[0:3], 0 offset:220
	buffer_load_dword v125, off, s[0:3], 0 offset:224
	buffer_load_dword v126, off, s[0:3], 0 offset:228
	buffer_load_dword v127, off, s[0:3], 0 offset:232
	buffer_load_dword v128, off, s[0:3], 0 offset:236
	buffer_load_dword v130, off, s[0:3], 0 offset:244
	buffer_load_dword v131, off, s[0:3], 0 offset:264
	buffer_load_dword v133, off, s[0:3], 0 offset:256
	buffer_load_dword v135, off, s[0:3], 0 offset:248
	buffer_load_dword v129, off, s[0:3], 0 offset:240
	buffer_load_dword v136, off, s[0:3], 0 offset:252
	buffer_load_dword v134, off, s[0:3], 0 offset:260
	buffer_load_dword v132, off, s[0:3], 0 offset:268
	buffer_load_dword v138, off, s[0:3], 0 offset:276
	buffer_load_dword v139, off, s[0:3], 0 offset:296
	buffer_load_dword v141, off, s[0:3], 0 offset:288
	buffer_load_dword v143, off, s[0:3], 0 offset:280
	buffer_load_dword v137, off, s[0:3], 0 offset:272
	buffer_load_dword v144, off, s[0:3], 0 offset:284
	buffer_load_dword v142, off, s[0:3], 0 offset:292
	v_mov_b32_e32 v106, 0
	buffer_load_dword v140, off, s[0:3], 0 offset:300
	s_mov_b32 s4, exec_lo
	ds_read2_b64 v[107:110], v106 offset0:75 offset1:76
	ds_read2_b64 v[111:114], v106 offset0:77 offset1:78
	s_waitcnt vmcnt(28) lgkmcnt(1)
	v_fma_f64 v[107:108], v[115:116], v[107:108], 0
	s_clause 0x7
	buffer_load_dword v116, off, s[0:3], 0 offset:308
	buffer_load_dword v145, off, s[0:3], 0 offset:328
	buffer_load_dword v147, off, s[0:3], 0 offset:320
	buffer_load_dword v149, off, s[0:3], 0 offset:312
	buffer_load_dword v115, off, s[0:3], 0 offset:304
	buffer_load_dword v150, off, s[0:3], 0 offset:316
	buffer_load_dword v148, off, s[0:3], 0 offset:324
	buffer_load_dword v146, off, s[0:3], 0 offset:332
	s_waitcnt vmcnt(34)
	v_fma_f64 v[107:108], v[117:118], v[109:110], v[107:108]
	s_waitcnt vmcnt(32) lgkmcnt(0)
	v_fma_f64 v[107:108], v[119:120], v[111:112], v[107:108]
	s_waitcnt vmcnt(30)
	v_fma_f64 v[117:118], v[121:122], v[113:114], v[107:108]
	ds_read2_b64 v[107:110], v106 offset0:79 offset1:80
	ds_read2_b64 v[111:114], v106 offset0:81 offset1:82
	s_waitcnt vmcnt(28) lgkmcnt(1)
	v_fma_f64 v[107:108], v[123:124], v[107:108], v[117:118]
	s_clause 0x7
	buffer_load_dword v118, off, s[0:3], 0 offset:340
	buffer_load_dword v119, off, s[0:3], 0 offset:360
	buffer_load_dword v121, off, s[0:3], 0 offset:352
	buffer_load_dword v123, off, s[0:3], 0 offset:344
	buffer_load_dword v117, off, s[0:3], 0 offset:336
	buffer_load_dword v124, off, s[0:3], 0 offset:348
	buffer_load_dword v122, off, s[0:3], 0 offset:356
	buffer_load_dword v120, off, s[0:3], 0 offset:364
	s_waitcnt vmcnt(34)
	v_fma_f64 v[107:108], v[125:126], v[109:110], v[107:108]
	s_waitcnt vmcnt(32) lgkmcnt(0)
	v_fma_f64 v[107:108], v[127:128], v[111:112], v[107:108]
	s_waitcnt vmcnt(27)
	v_fma_f64 v[125:126], v[129:130], v[113:114], v[107:108]
	;; [unrolled: 19-line block ×3, first 2 shown]
	ds_read2_b64 v[107:110], v106 offset0:87 offset1:88
	ds_read2_b64 v[111:114], v106 offset0:89 offset1:90
	s_waitcnt vmcnt(26) lgkmcnt(1)
	v_fma_f64 v[107:108], v[143:144], v[107:108], v[131:132]
	s_clause 0x5
	buffer_load_dword v132, off, s[0:3], 0 offset:404
	buffer_load_dword v133, off, s[0:3], 0 offset:408
	;; [unrolled: 1-line block ×6, first 2 shown]
	s_waitcnt vmcnt(31)
	v_fma_f64 v[107:108], v[141:142], v[109:110], v[107:108]
	s_waitcnt vmcnt(30) lgkmcnt(0)
	v_fma_f64 v[107:108], v[139:140], v[111:112], v[107:108]
	s_waitcnt vmcnt(25)
	v_fma_f64 v[115:116], v[115:116], v[113:114], v[107:108]
	ds_read2_b64 v[107:110], v106 offset0:91 offset1:92
	ds_read2_b64 v[111:114], v106 offset0:93 offset1:94
	s_waitcnt vmcnt(24) lgkmcnt(1)
	v_fma_f64 v[107:108], v[149:150], v[107:108], v[115:116]
	s_waitcnt vmcnt(23)
	v_fma_f64 v[107:108], v[147:148], v[109:110], v[107:108]
	s_waitcnt vmcnt(22) lgkmcnt(0)
	v_fma_f64 v[107:108], v[145:146], v[111:112], v[107:108]
	s_waitcnt vmcnt(17)
	v_fma_f64 v[115:116], v[117:118], v[113:114], v[107:108]
	ds_read2_b64 v[107:110], v106 offset0:95 offset1:96
	ds_read2_b64 v[111:114], v106 offset0:97 offset1:98
	s_waitcnt vmcnt(16) lgkmcnt(1)
	v_fma_f64 v[107:108], v[123:124], v[107:108], v[115:116]
	;; [unrolled: 10-line block ×3, first 2 shown]
	s_waitcnt vmcnt(7)
	v_fma_f64 v[107:108], v[129:130], v[109:110], v[107:108]
	ds_read_b64 v[109:110], v106 offset:824
	s_waitcnt vmcnt(6) lgkmcnt(1)
	v_fma_f64 v[107:108], v[127:128], v[111:112], v[107:108]
	s_waitcnt vmcnt(3)
	v_fma_f64 v[107:108], v[131:132], v[113:114], v[107:108]
	s_waitcnt vmcnt(2) lgkmcnt(0)
	v_fma_f64 v[107:108], v[133:134], v[109:110], v[107:108]
	s_waitcnt vmcnt(0)
	v_add_f64 v[107:108], v[137:138], -v[107:108]
	buffer_store_dword v108, off, s[0:3], 0 offset:180
	buffer_store_dword v107, off, s[0:3], 0 offset:176
	v_cmpx_lt_u32_e32 21, v0
	s_cbranch_execz .LBB51_279
; %bb.278:
	s_clause 0x1
	buffer_load_dword v107, off, s[0:3], 0 offset:168
	buffer_load_dword v108, off, s[0:3], 0 offset:172
	buffer_store_dword v106, off, s[0:3], 0 offset:168
	buffer_store_dword v106, off, s[0:3], 0 offset:172
	s_waitcnt vmcnt(0)
	ds_write_b64 v105, v[107:108]
.LBB51_279:
	s_or_b32 exec_lo, exec_lo, s4
	s_waitcnt lgkmcnt(0)
	s_waitcnt_vscnt null, 0x0
	s_barrier
	buffer_gl0_inv
	s_clause 0x1c
	buffer_load_dword v115, off, s[0:3], 0 offset:176
	buffer_load_dword v116, off, s[0:3], 0 offset:180
	;; [unrolled: 1-line block ×29, first 2 shown]
	ds_read_b128 v[107:110], v106 offset:592
	ds_read_b128 v[111:114], v106 offset:608
	buffer_load_dword v140, off, s[0:3], 0 offset:292
	s_mov_b32 s4, exec_lo
	s_waitcnt vmcnt(28) lgkmcnt(1)
	v_fma_f64 v[107:108], v[115:116], v[107:108], 0
	s_clause 0x7
	buffer_load_dword v116, off, s[0:3], 0 offset:300
	buffer_load_dword v145, off, s[0:3], 0 offset:320
	buffer_load_dword v147, off, s[0:3], 0 offset:312
	buffer_load_dword v149, off, s[0:3], 0 offset:304
	buffer_load_dword v115, off, s[0:3], 0 offset:296
	buffer_load_dword v150, off, s[0:3], 0 offset:308
	buffer_load_dword v148, off, s[0:3], 0 offset:316
	buffer_load_dword v146, off, s[0:3], 0 offset:324
	s_waitcnt vmcnt(34)
	v_fma_f64 v[107:108], v[117:118], v[109:110], v[107:108]
	s_waitcnt vmcnt(32) lgkmcnt(0)
	v_fma_f64 v[107:108], v[119:120], v[111:112], v[107:108]
	s_waitcnt vmcnt(30)
	v_fma_f64 v[117:118], v[121:122], v[113:114], v[107:108]
	ds_read_b128 v[107:110], v106 offset:624
	ds_read_b128 v[111:114], v106 offset:640
	s_waitcnt vmcnt(28) lgkmcnt(1)
	v_fma_f64 v[107:108], v[123:124], v[107:108], v[117:118]
	s_clause 0x7
	buffer_load_dword v118, off, s[0:3], 0 offset:332
	buffer_load_dword v119, off, s[0:3], 0 offset:352
	buffer_load_dword v121, off, s[0:3], 0 offset:344
	buffer_load_dword v123, off, s[0:3], 0 offset:336
	buffer_load_dword v117, off, s[0:3], 0 offset:328
	buffer_load_dword v124, off, s[0:3], 0 offset:340
	buffer_load_dword v122, off, s[0:3], 0 offset:348
	buffer_load_dword v120, off, s[0:3], 0 offset:356
	s_waitcnt vmcnt(34)
	v_fma_f64 v[107:108], v[125:126], v[109:110], v[107:108]
	s_waitcnt vmcnt(32) lgkmcnt(0)
	v_fma_f64 v[107:108], v[127:128], v[111:112], v[107:108]
	s_waitcnt vmcnt(27)
	v_fma_f64 v[125:126], v[129:130], v[113:114], v[107:108]
	ds_read_b128 v[107:110], v106 offset:656
	ds_read_b128 v[111:114], v106 offset:672
	;; [unrolled: 19-line block ×3, first 2 shown]
	s_waitcnt vmcnt(26) lgkmcnt(1)
	v_fma_f64 v[107:108], v[143:144], v[107:108], v[131:132]
	s_clause 0x5
	buffer_load_dword v132, off, s[0:3], 0 offset:396
	buffer_load_dword v133, off, s[0:3], 0 offset:408
	;; [unrolled: 1-line block ×6, first 2 shown]
	s_waitcnt vmcnt(31)
	v_fma_f64 v[107:108], v[141:142], v[109:110], v[107:108]
	s_waitcnt vmcnt(30) lgkmcnt(0)
	v_fma_f64 v[107:108], v[139:140], v[111:112], v[107:108]
	s_waitcnt vmcnt(25)
	v_fma_f64 v[115:116], v[115:116], v[113:114], v[107:108]
	ds_read_b128 v[107:110], v106 offset:720
	s_clause 0x1
	buffer_load_dword v139, off, s[0:3], 0 offset:168
	buffer_load_dword v140, off, s[0:3], 0 offset:172
	ds_read_b128 v[111:114], v106 offset:736
	s_waitcnt vmcnt(26) lgkmcnt(1)
	v_fma_f64 v[107:108], v[149:150], v[107:108], v[115:116]
	s_waitcnt vmcnt(25)
	v_fma_f64 v[107:108], v[147:148], v[109:110], v[107:108]
	s_waitcnt vmcnt(24) lgkmcnt(0)
	v_fma_f64 v[107:108], v[145:146], v[111:112], v[107:108]
	s_waitcnt vmcnt(19)
	v_fma_f64 v[115:116], v[117:118], v[113:114], v[107:108]
	ds_read_b128 v[107:110], v106 offset:752
	ds_read_b128 v[111:114], v106 offset:768
	s_waitcnt vmcnt(18) lgkmcnt(1)
	v_fma_f64 v[107:108], v[123:124], v[107:108], v[115:116]
	s_waitcnt vmcnt(17)
	v_fma_f64 v[107:108], v[121:122], v[109:110], v[107:108]
	s_waitcnt vmcnt(16) lgkmcnt(0)
	v_fma_f64 v[107:108], v[119:120], v[111:112], v[107:108]
	s_waitcnt vmcnt(11)
	v_fma_f64 v[115:116], v[125:126], v[113:114], v[107:108]
	ds_read_b128 v[107:110], v106 offset:784
	;; [unrolled: 10-line block ×3, first 2 shown]
	s_waitcnt vmcnt(3) lgkmcnt(0)
	v_fma_f64 v[106:107], v[137:138], v[106:107], v[110:111]
	s_waitcnt vmcnt(2)
	v_fma_f64 v[106:107], v[133:134], v[108:109], v[106:107]
	s_waitcnt vmcnt(0)
	v_add_f64 v[106:107], v[139:140], -v[106:107]
	buffer_store_dword v107, off, s[0:3], 0 offset:172
	buffer_store_dword v106, off, s[0:3], 0 offset:168
	v_cmpx_lt_u32_e32 20, v0
	s_cbranch_execz .LBB51_281
; %bb.280:
	s_clause 0x1
	buffer_load_dword v106, off, s[0:3], 0 offset:160
	buffer_load_dword v107, off, s[0:3], 0 offset:164
	v_mov_b32_e32 v108, 0
	buffer_store_dword v108, off, s[0:3], 0 offset:160
	buffer_store_dword v108, off, s[0:3], 0 offset:164
	s_waitcnt vmcnt(0)
	ds_write_b64 v105, v[106:107]
.LBB51_281:
	s_or_b32 exec_lo, exec_lo, s4
	s_waitcnt lgkmcnt(0)
	s_waitcnt_vscnt null, 0x0
	s_barrier
	buffer_gl0_inv
	s_clause 0x1c
	buffer_load_dword v115, off, s[0:3], 0 offset:168
	buffer_load_dword v116, off, s[0:3], 0 offset:172
	;; [unrolled: 1-line block ×29, first 2 shown]
	v_mov_b32_e32 v106, 0
	buffer_load_dword v140, off, s[0:3], 0 offset:284
	s_mov_b32 s4, exec_lo
	ds_read2_b64 v[107:110], v106 offset0:73 offset1:74
	ds_read2_b64 v[111:114], v106 offset0:75 offset1:76
	s_waitcnt vmcnt(28) lgkmcnt(1)
	v_fma_f64 v[107:108], v[115:116], v[107:108], 0
	s_clause 0x7
	buffer_load_dword v116, off, s[0:3], 0 offset:292
	buffer_load_dword v145, off, s[0:3], 0 offset:312
	buffer_load_dword v147, off, s[0:3], 0 offset:304
	buffer_load_dword v149, off, s[0:3], 0 offset:296
	buffer_load_dword v115, off, s[0:3], 0 offset:288
	buffer_load_dword v150, off, s[0:3], 0 offset:300
	buffer_load_dword v148, off, s[0:3], 0 offset:308
	buffer_load_dword v146, off, s[0:3], 0 offset:316
	s_waitcnt vmcnt(34)
	v_fma_f64 v[107:108], v[117:118], v[109:110], v[107:108]
	s_waitcnt vmcnt(32) lgkmcnt(0)
	v_fma_f64 v[107:108], v[119:120], v[111:112], v[107:108]
	s_waitcnt vmcnt(30)
	v_fma_f64 v[117:118], v[121:122], v[113:114], v[107:108]
	ds_read2_b64 v[107:110], v106 offset0:77 offset1:78
	ds_read2_b64 v[111:114], v106 offset0:79 offset1:80
	s_waitcnt vmcnt(28) lgkmcnt(1)
	v_fma_f64 v[107:108], v[123:124], v[107:108], v[117:118]
	s_clause 0x7
	buffer_load_dword v118, off, s[0:3], 0 offset:324
	buffer_load_dword v119, off, s[0:3], 0 offset:344
	buffer_load_dword v121, off, s[0:3], 0 offset:336
	buffer_load_dword v123, off, s[0:3], 0 offset:328
	buffer_load_dword v117, off, s[0:3], 0 offset:320
	buffer_load_dword v124, off, s[0:3], 0 offset:332
	buffer_load_dword v122, off, s[0:3], 0 offset:340
	buffer_load_dword v120, off, s[0:3], 0 offset:348
	s_waitcnt vmcnt(34)
	v_fma_f64 v[107:108], v[125:126], v[109:110], v[107:108]
	s_waitcnt vmcnt(32) lgkmcnt(0)
	v_fma_f64 v[107:108], v[127:128], v[111:112], v[107:108]
	s_waitcnt vmcnt(27)
	v_fma_f64 v[125:126], v[129:130], v[113:114], v[107:108]
	;; [unrolled: 19-line block ×4, first 2 shown]
	ds_read2_b64 v[107:110], v106 offset0:89 offset1:90
	ds_read2_b64 v[111:114], v106 offset0:91 offset1:92
	s_waitcnt vmcnt(26) lgkmcnt(1)
	v_fma_f64 v[107:108], v[149:150], v[107:108], v[115:116]
	s_clause 0x1
	buffer_load_dword v115, off, s[0:3], 0 offset:160
	buffer_load_dword v116, off, s[0:3], 0 offset:164
	s_waitcnt vmcnt(27)
	v_fma_f64 v[107:108], v[147:148], v[109:110], v[107:108]
	s_waitcnt vmcnt(26) lgkmcnt(0)
	v_fma_f64 v[107:108], v[145:146], v[111:112], v[107:108]
	s_waitcnt vmcnt(21)
	v_fma_f64 v[117:118], v[117:118], v[113:114], v[107:108]
	ds_read2_b64 v[107:110], v106 offset0:93 offset1:94
	ds_read2_b64 v[111:114], v106 offset0:95 offset1:96
	s_waitcnt vmcnt(20) lgkmcnt(1)
	v_fma_f64 v[107:108], v[123:124], v[107:108], v[117:118]
	s_waitcnt vmcnt(19)
	v_fma_f64 v[107:108], v[121:122], v[109:110], v[107:108]
	s_waitcnt vmcnt(18) lgkmcnt(0)
	v_fma_f64 v[107:108], v[119:120], v[111:112], v[107:108]
	s_waitcnt vmcnt(13)
	v_fma_f64 v[117:118], v[125:126], v[113:114], v[107:108]
	ds_read2_b64 v[107:110], v106 offset0:97 offset1:98
	ds_read2_b64 v[111:114], v106 offset0:99 offset1:100
	s_waitcnt vmcnt(12) lgkmcnt(1)
	v_fma_f64 v[107:108], v[135:136], v[107:108], v[117:118]
	s_waitcnt vmcnt(11)
	v_fma_f64 v[107:108], v[129:130], v[109:110], v[107:108]
	s_waitcnt vmcnt(10) lgkmcnt(0)
	v_fma_f64 v[107:108], v[127:128], v[111:112], v[107:108]
	s_waitcnt vmcnt(5)
	v_fma_f64 v[111:112], v[131:132], v[113:114], v[107:108]
	ds_read2_b64 v[107:110], v106 offset0:101 offset1:102
	ds_read_b64 v[113:114], v106 offset:824
	s_waitcnt vmcnt(4) lgkmcnt(1)
	v_fma_f64 v[107:108], v[143:144], v[107:108], v[111:112]
	s_waitcnt vmcnt(3)
	v_fma_f64 v[107:108], v[137:138], v[109:110], v[107:108]
	s_waitcnt vmcnt(2) lgkmcnt(0)
	v_fma_f64 v[107:108], v[133:134], v[113:114], v[107:108]
	s_waitcnt vmcnt(0)
	v_add_f64 v[107:108], v[115:116], -v[107:108]
	buffer_store_dword v108, off, s[0:3], 0 offset:164
	buffer_store_dword v107, off, s[0:3], 0 offset:160
	v_cmpx_lt_u32_e32 19, v0
	s_cbranch_execz .LBB51_283
; %bb.282:
	s_clause 0x1
	buffer_load_dword v107, off, s[0:3], 0 offset:152
	buffer_load_dword v108, off, s[0:3], 0 offset:156
	buffer_store_dword v106, off, s[0:3], 0 offset:152
	buffer_store_dword v106, off, s[0:3], 0 offset:156
	s_waitcnt vmcnt(0)
	ds_write_b64 v105, v[107:108]
.LBB51_283:
	s_or_b32 exec_lo, exec_lo, s4
	s_waitcnt lgkmcnt(0)
	s_waitcnt_vscnt null, 0x0
	s_barrier
	buffer_gl0_inv
	s_clause 0x1c
	buffer_load_dword v115, off, s[0:3], 0 offset:160
	buffer_load_dword v116, off, s[0:3], 0 offset:164
	;; [unrolled: 1-line block ×29, first 2 shown]
	ds_read_b128 v[107:110], v106 offset:576
	ds_read_b128 v[111:114], v106 offset:592
	buffer_load_dword v140, off, s[0:3], 0 offset:276
	s_mov_b32 s4, exec_lo
	s_waitcnt vmcnt(28) lgkmcnt(1)
	v_fma_f64 v[107:108], v[115:116], v[107:108], 0
	s_clause 0x7
	buffer_load_dword v116, off, s[0:3], 0 offset:284
	buffer_load_dword v145, off, s[0:3], 0 offset:304
	buffer_load_dword v147, off, s[0:3], 0 offset:296
	buffer_load_dword v149, off, s[0:3], 0 offset:288
	buffer_load_dword v115, off, s[0:3], 0 offset:280
	buffer_load_dword v150, off, s[0:3], 0 offset:292
	buffer_load_dword v148, off, s[0:3], 0 offset:300
	buffer_load_dword v146, off, s[0:3], 0 offset:308
	s_waitcnt vmcnt(34)
	v_fma_f64 v[107:108], v[117:118], v[109:110], v[107:108]
	s_waitcnt vmcnt(32) lgkmcnt(0)
	v_fma_f64 v[107:108], v[119:120], v[111:112], v[107:108]
	s_waitcnt vmcnt(30)
	v_fma_f64 v[117:118], v[121:122], v[113:114], v[107:108]
	ds_read_b128 v[107:110], v106 offset:608
	ds_read_b128 v[111:114], v106 offset:624
	s_waitcnt vmcnt(28) lgkmcnt(1)
	v_fma_f64 v[107:108], v[123:124], v[107:108], v[117:118]
	s_clause 0x7
	buffer_load_dword v118, off, s[0:3], 0 offset:316
	buffer_load_dword v119, off, s[0:3], 0 offset:336
	buffer_load_dword v121, off, s[0:3], 0 offset:328
	buffer_load_dword v123, off, s[0:3], 0 offset:320
	buffer_load_dword v117, off, s[0:3], 0 offset:312
	buffer_load_dword v124, off, s[0:3], 0 offset:324
	buffer_load_dword v122, off, s[0:3], 0 offset:332
	buffer_load_dword v120, off, s[0:3], 0 offset:340
	s_waitcnt vmcnt(34)
	v_fma_f64 v[107:108], v[125:126], v[109:110], v[107:108]
	s_waitcnt vmcnt(32) lgkmcnt(0)
	v_fma_f64 v[107:108], v[127:128], v[111:112], v[107:108]
	s_waitcnt vmcnt(27)
	v_fma_f64 v[125:126], v[129:130], v[113:114], v[107:108]
	ds_read_b128 v[107:110], v106 offset:640
	ds_read_b128 v[111:114], v106 offset:656
	;; [unrolled: 19-line block ×4, first 2 shown]
	s_waitcnt vmcnt(26) lgkmcnt(1)
	v_fma_f64 v[107:108], v[149:150], v[107:108], v[115:116]
	s_clause 0x3
	buffer_load_dword v116, off, s[0:3], 0 offset:412
	buffer_load_dword v115, off, s[0:3], 0 offset:408
	;; [unrolled: 1-line block ×4, first 2 shown]
	s_waitcnt vmcnt(29)
	v_fma_f64 v[107:108], v[147:148], v[109:110], v[107:108]
	s_waitcnt vmcnt(28) lgkmcnt(0)
	v_fma_f64 v[107:108], v[145:146], v[111:112], v[107:108]
	s_waitcnt vmcnt(23)
	v_fma_f64 v[117:118], v[117:118], v[113:114], v[107:108]
	ds_read_b128 v[107:110], v106 offset:736
	ds_read_b128 v[111:114], v106 offset:752
	s_waitcnt vmcnt(22) lgkmcnt(1)
	v_fma_f64 v[107:108], v[123:124], v[107:108], v[117:118]
	s_waitcnt vmcnt(21)
	v_fma_f64 v[107:108], v[121:122], v[109:110], v[107:108]
	s_waitcnt vmcnt(20) lgkmcnt(0)
	v_fma_f64 v[107:108], v[119:120], v[111:112], v[107:108]
	s_waitcnt vmcnt(15)
	v_fma_f64 v[117:118], v[125:126], v[113:114], v[107:108]
	ds_read_b128 v[107:110], v106 offset:768
	ds_read_b128 v[111:114], v106 offset:784
	s_waitcnt vmcnt(14) lgkmcnt(1)
	v_fma_f64 v[107:108], v[135:136], v[107:108], v[117:118]
	;; [unrolled: 10-line block ×3, first 2 shown]
	s_waitcnt vmcnt(5)
	v_fma_f64 v[106:107], v[137:138], v[109:110], v[106:107]
	s_waitcnt vmcnt(4) lgkmcnt(0)
	v_fma_f64 v[106:107], v[133:134], v[111:112], v[106:107]
	s_waitcnt vmcnt(2)
	v_fma_f64 v[106:107], v[115:116], v[113:114], v[106:107]
	s_waitcnt vmcnt(0)
	v_add_f64 v[106:107], v[139:140], -v[106:107]
	buffer_store_dword v107, off, s[0:3], 0 offset:156
	buffer_store_dword v106, off, s[0:3], 0 offset:152
	v_cmpx_lt_u32_e32 18, v0
	s_cbranch_execz .LBB51_285
; %bb.284:
	s_clause 0x1
	buffer_load_dword v106, off, s[0:3], 0 offset:144
	buffer_load_dword v107, off, s[0:3], 0 offset:148
	v_mov_b32_e32 v108, 0
	buffer_store_dword v108, off, s[0:3], 0 offset:144
	buffer_store_dword v108, off, s[0:3], 0 offset:148
	s_waitcnt vmcnt(0)
	ds_write_b64 v105, v[106:107]
.LBB51_285:
	s_or_b32 exec_lo, exec_lo, s4
	s_waitcnt lgkmcnt(0)
	s_waitcnt_vscnt null, 0x0
	s_barrier
	buffer_gl0_inv
	s_clause 0x1c
	buffer_load_dword v115, off, s[0:3], 0 offset:152
	buffer_load_dword v116, off, s[0:3], 0 offset:156
	;; [unrolled: 1-line block ×29, first 2 shown]
	v_mov_b32_e32 v106, 0
	buffer_load_dword v140, off, s[0:3], 0 offset:268
	s_mov_b32 s4, exec_lo
	ds_read2_b64 v[107:110], v106 offset0:71 offset1:72
	ds_read2_b64 v[111:114], v106 offset0:73 offset1:74
	s_waitcnt vmcnt(28) lgkmcnt(1)
	v_fma_f64 v[107:108], v[115:116], v[107:108], 0
	s_clause 0x7
	buffer_load_dword v116, off, s[0:3], 0 offset:276
	buffer_load_dword v145, off, s[0:3], 0 offset:296
	buffer_load_dword v147, off, s[0:3], 0 offset:288
	buffer_load_dword v149, off, s[0:3], 0 offset:280
	buffer_load_dword v115, off, s[0:3], 0 offset:272
	buffer_load_dword v150, off, s[0:3], 0 offset:284
	buffer_load_dword v148, off, s[0:3], 0 offset:292
	buffer_load_dword v146, off, s[0:3], 0 offset:300
	s_waitcnt vmcnt(34)
	v_fma_f64 v[107:108], v[117:118], v[109:110], v[107:108]
	s_waitcnt vmcnt(32) lgkmcnt(0)
	v_fma_f64 v[107:108], v[119:120], v[111:112], v[107:108]
	s_waitcnt vmcnt(30)
	v_fma_f64 v[117:118], v[121:122], v[113:114], v[107:108]
	ds_read2_b64 v[107:110], v106 offset0:75 offset1:76
	ds_read2_b64 v[111:114], v106 offset0:77 offset1:78
	s_waitcnt vmcnt(28) lgkmcnt(1)
	v_fma_f64 v[107:108], v[123:124], v[107:108], v[117:118]
	s_clause 0x7
	buffer_load_dword v118, off, s[0:3], 0 offset:308
	buffer_load_dword v119, off, s[0:3], 0 offset:328
	buffer_load_dword v121, off, s[0:3], 0 offset:320
	buffer_load_dword v123, off, s[0:3], 0 offset:312
	buffer_load_dword v117, off, s[0:3], 0 offset:304
	buffer_load_dword v124, off, s[0:3], 0 offset:316
	buffer_load_dword v122, off, s[0:3], 0 offset:324
	buffer_load_dword v120, off, s[0:3], 0 offset:332
	s_waitcnt vmcnt(34)
	v_fma_f64 v[107:108], v[125:126], v[109:110], v[107:108]
	s_waitcnt vmcnt(32) lgkmcnt(0)
	v_fma_f64 v[107:108], v[127:128], v[111:112], v[107:108]
	s_waitcnt vmcnt(27)
	v_fma_f64 v[125:126], v[129:130], v[113:114], v[107:108]
	ds_read2_b64 v[107:110], v106 offset0:79 offset1:80
	ds_read2_b64 v[111:114], v106 offset0:81 offset1:82
	s_waitcnt vmcnt(26) lgkmcnt(1)
	v_fma_f64 v[107:108], v[135:136], v[107:108], v[125:126]
	s_clause 0x7
	buffer_load_dword v126, off, s[0:3], 0 offset:340
	buffer_load_dword v127, off, s[0:3], 0 offset:360
	buffer_load_dword v129, off, s[0:3], 0 offset:352
	buffer_load_dword v135, off, s[0:3], 0 offset:344
	buffer_load_dword v125, off, s[0:3], 0 offset:336
	buffer_load_dword v136, off, s[0:3], 0 offset:348
	buffer_load_dword v130, off, s[0:3], 0 offset:356
	buffer_load_dword v128, off, s[0:3], 0 offset:364
	s_waitcnt vmcnt(33)
	v_fma_f64 v[107:108], v[133:134], v[109:110], v[107:108]
	s_waitcnt vmcnt(32) lgkmcnt(0)
	v_fma_f64 v[107:108], v[131:132], v[111:112], v[107:108]
	s_waitcnt vmcnt(27)
	v_fma_f64 v[131:132], v[137:138], v[113:114], v[107:108]
	ds_read2_b64 v[107:110], v106 offset0:83 offset1:84
	ds_read2_b64 v[111:114], v106 offset0:85 offset1:86
	s_waitcnt vmcnt(26) lgkmcnt(1)
	v_fma_f64 v[107:108], v[143:144], v[107:108], v[131:132]
	s_clause 0x7
	buffer_load_dword v132, off, s[0:3], 0 offset:372
	buffer_load_dword v133, off, s[0:3], 0 offset:392
	buffer_load_dword v137, off, s[0:3], 0 offset:384
	buffer_load_dword v143, off, s[0:3], 0 offset:376
	buffer_load_dword v131, off, s[0:3], 0 offset:368
	buffer_load_dword v144, off, s[0:3], 0 offset:380
	buffer_load_dword v138, off, s[0:3], 0 offset:388
	buffer_load_dword v134, off, s[0:3], 0 offset:396
	s_waitcnt vmcnt(33)
	v_fma_f64 v[107:108], v[141:142], v[109:110], v[107:108]
	s_waitcnt vmcnt(32) lgkmcnt(0)
	v_fma_f64 v[107:108], v[139:140], v[111:112], v[107:108]
	s_waitcnt vmcnt(27)
	v_fma_f64 v[115:116], v[115:116], v[113:114], v[107:108]
	ds_read2_b64 v[107:110], v106 offset0:87 offset1:88
	ds_read2_b64 v[111:114], v106 offset0:89 offset1:90
	s_waitcnt vmcnt(26) lgkmcnt(1)
	v_fma_f64 v[107:108], v[149:150], v[107:108], v[115:116]
	s_clause 0x5
	buffer_load_dword v116, off, s[0:3], 0 offset:404
	buffer_load_dword v139, off, s[0:3], 0 offset:408
	buffer_load_dword v115, off, s[0:3], 0 offset:400
	buffer_load_dword v140, off, s[0:3], 0 offset:412
	buffer_load_dword v141, off, s[0:3], 0 offset:144
	buffer_load_dword v142, off, s[0:3], 0 offset:148
	s_waitcnt vmcnt(31)
	v_fma_f64 v[107:108], v[147:148], v[109:110], v[107:108]
	s_waitcnt vmcnt(30) lgkmcnt(0)
	v_fma_f64 v[107:108], v[145:146], v[111:112], v[107:108]
	s_waitcnt vmcnt(25)
	v_fma_f64 v[117:118], v[117:118], v[113:114], v[107:108]
	ds_read2_b64 v[107:110], v106 offset0:91 offset1:92
	ds_read2_b64 v[111:114], v106 offset0:93 offset1:94
	s_waitcnt vmcnt(24) lgkmcnt(1)
	v_fma_f64 v[107:108], v[123:124], v[107:108], v[117:118]
	s_waitcnt vmcnt(23)
	v_fma_f64 v[107:108], v[121:122], v[109:110], v[107:108]
	s_waitcnt vmcnt(22) lgkmcnt(0)
	v_fma_f64 v[107:108], v[119:120], v[111:112], v[107:108]
	s_waitcnt vmcnt(17)
	v_fma_f64 v[117:118], v[125:126], v[113:114], v[107:108]
	ds_read2_b64 v[107:110], v106 offset0:95 offset1:96
	ds_read2_b64 v[111:114], v106 offset0:97 offset1:98
	s_waitcnt vmcnt(16) lgkmcnt(1)
	v_fma_f64 v[107:108], v[135:136], v[107:108], v[117:118]
	;; [unrolled: 10-line block ×3, first 2 shown]
	s_waitcnt vmcnt(7)
	v_fma_f64 v[107:108], v[137:138], v[109:110], v[107:108]
	ds_read_b64 v[109:110], v106 offset:824
	s_waitcnt vmcnt(6) lgkmcnt(1)
	v_fma_f64 v[107:108], v[133:134], v[111:112], v[107:108]
	s_waitcnt vmcnt(3)
	v_fma_f64 v[107:108], v[115:116], v[113:114], v[107:108]
	s_waitcnt vmcnt(2) lgkmcnt(0)
	v_fma_f64 v[107:108], v[139:140], v[109:110], v[107:108]
	s_waitcnt vmcnt(0)
	v_add_f64 v[107:108], v[141:142], -v[107:108]
	buffer_store_dword v108, off, s[0:3], 0 offset:148
	buffer_store_dword v107, off, s[0:3], 0 offset:144
	v_cmpx_lt_u32_e32 17, v0
	s_cbranch_execz .LBB51_287
; %bb.286:
	s_clause 0x1
	buffer_load_dword v107, off, s[0:3], 0 offset:136
	buffer_load_dword v108, off, s[0:3], 0 offset:140
	buffer_store_dword v106, off, s[0:3], 0 offset:136
	buffer_store_dword v106, off, s[0:3], 0 offset:140
	s_waitcnt vmcnt(0)
	ds_write_b64 v105, v[107:108]
.LBB51_287:
	s_or_b32 exec_lo, exec_lo, s4
	s_waitcnt lgkmcnt(0)
	s_waitcnt_vscnt null, 0x0
	s_barrier
	buffer_gl0_inv
	s_clause 0x1c
	buffer_load_dword v115, off, s[0:3], 0 offset:144
	buffer_load_dword v116, off, s[0:3], 0 offset:148
	;; [unrolled: 1-line block ×29, first 2 shown]
	ds_read_b128 v[107:110], v106 offset:560
	ds_read_b128 v[111:114], v106 offset:576
	buffer_load_dword v140, off, s[0:3], 0 offset:260
	s_mov_b32 s4, exec_lo
	s_waitcnt vmcnt(28) lgkmcnt(1)
	v_fma_f64 v[107:108], v[115:116], v[107:108], 0
	s_clause 0x7
	buffer_load_dword v116, off, s[0:3], 0 offset:268
	buffer_load_dword v145, off, s[0:3], 0 offset:288
	buffer_load_dword v147, off, s[0:3], 0 offset:280
	buffer_load_dword v149, off, s[0:3], 0 offset:272
	buffer_load_dword v115, off, s[0:3], 0 offset:264
	buffer_load_dword v150, off, s[0:3], 0 offset:276
	buffer_load_dword v148, off, s[0:3], 0 offset:284
	buffer_load_dword v146, off, s[0:3], 0 offset:292
	s_waitcnt vmcnt(34)
	v_fma_f64 v[107:108], v[117:118], v[109:110], v[107:108]
	s_waitcnt vmcnt(32) lgkmcnt(0)
	v_fma_f64 v[107:108], v[119:120], v[111:112], v[107:108]
	s_waitcnt vmcnt(30)
	v_fma_f64 v[117:118], v[121:122], v[113:114], v[107:108]
	ds_read_b128 v[107:110], v106 offset:592
	ds_read_b128 v[111:114], v106 offset:608
	s_waitcnt vmcnt(28) lgkmcnt(1)
	v_fma_f64 v[107:108], v[123:124], v[107:108], v[117:118]
	s_clause 0x7
	buffer_load_dword v118, off, s[0:3], 0 offset:300
	buffer_load_dword v119, off, s[0:3], 0 offset:320
	buffer_load_dword v121, off, s[0:3], 0 offset:312
	buffer_load_dword v123, off, s[0:3], 0 offset:304
	buffer_load_dword v117, off, s[0:3], 0 offset:296
	buffer_load_dword v124, off, s[0:3], 0 offset:308
	buffer_load_dword v122, off, s[0:3], 0 offset:316
	buffer_load_dword v120, off, s[0:3], 0 offset:324
	s_waitcnt vmcnt(34)
	v_fma_f64 v[107:108], v[125:126], v[109:110], v[107:108]
	s_waitcnt vmcnt(32) lgkmcnt(0)
	v_fma_f64 v[107:108], v[127:128], v[111:112], v[107:108]
	s_waitcnt vmcnt(27)
	v_fma_f64 v[125:126], v[129:130], v[113:114], v[107:108]
	ds_read_b128 v[107:110], v106 offset:624
	ds_read_b128 v[111:114], v106 offset:640
	;; [unrolled: 19-line block ×4, first 2 shown]
	s_waitcnt vmcnt(26) lgkmcnt(1)
	v_fma_f64 v[107:108], v[149:150], v[107:108], v[115:116]
	s_clause 0x5
	buffer_load_dword v116, off, s[0:3], 0 offset:396
	buffer_load_dword v139, off, s[0:3], 0 offset:408
	;; [unrolled: 1-line block ×6, first 2 shown]
	s_waitcnt vmcnt(31)
	v_fma_f64 v[107:108], v[147:148], v[109:110], v[107:108]
	s_waitcnt vmcnt(30) lgkmcnt(0)
	v_fma_f64 v[107:108], v[145:146], v[111:112], v[107:108]
	s_waitcnt vmcnt(25)
	v_fma_f64 v[117:118], v[117:118], v[113:114], v[107:108]
	ds_read_b128 v[107:110], v106 offset:720
	s_clause 0x1
	buffer_load_dword v145, off, s[0:3], 0 offset:136
	buffer_load_dword v146, off, s[0:3], 0 offset:140
	ds_read_b128 v[111:114], v106 offset:736
	s_waitcnt vmcnt(26) lgkmcnt(1)
	v_fma_f64 v[107:108], v[123:124], v[107:108], v[117:118]
	s_waitcnt vmcnt(25)
	v_fma_f64 v[107:108], v[121:122], v[109:110], v[107:108]
	s_waitcnt vmcnt(24) lgkmcnt(0)
	v_fma_f64 v[107:108], v[119:120], v[111:112], v[107:108]
	s_waitcnt vmcnt(19)
	v_fma_f64 v[117:118], v[125:126], v[113:114], v[107:108]
	ds_read_b128 v[107:110], v106 offset:752
	ds_read_b128 v[111:114], v106 offset:768
	s_waitcnt vmcnt(18) lgkmcnt(1)
	v_fma_f64 v[107:108], v[135:136], v[107:108], v[117:118]
	s_waitcnt vmcnt(17)
	v_fma_f64 v[107:108], v[129:130], v[109:110], v[107:108]
	s_waitcnt vmcnt(16) lgkmcnt(0)
	v_fma_f64 v[107:108], v[127:128], v[111:112], v[107:108]
	s_waitcnt vmcnt(11)
	v_fma_f64 v[117:118], v[131:132], v[113:114], v[107:108]
	ds_read_b128 v[107:110], v106 offset:784
	;; [unrolled: 10-line block ×3, first 2 shown]
	s_waitcnt vmcnt(3) lgkmcnt(0)
	v_fma_f64 v[106:107], v[141:142], v[106:107], v[110:111]
	s_waitcnt vmcnt(2)
	v_fma_f64 v[106:107], v[139:140], v[108:109], v[106:107]
	s_waitcnt vmcnt(0)
	v_add_f64 v[106:107], v[145:146], -v[106:107]
	buffer_store_dword v107, off, s[0:3], 0 offset:140
	buffer_store_dword v106, off, s[0:3], 0 offset:136
	v_cmpx_lt_u32_e32 16, v0
	s_cbranch_execz .LBB51_289
; %bb.288:
	s_clause 0x1
	buffer_load_dword v106, off, s[0:3], 0 offset:128
	buffer_load_dword v107, off, s[0:3], 0 offset:132
	v_mov_b32_e32 v108, 0
	buffer_store_dword v108, off, s[0:3], 0 offset:128
	buffer_store_dword v108, off, s[0:3], 0 offset:132
	s_waitcnt vmcnt(0)
	ds_write_b64 v105, v[106:107]
.LBB51_289:
	s_or_b32 exec_lo, exec_lo, s4
	s_waitcnt lgkmcnt(0)
	s_waitcnt_vscnt null, 0x0
	s_barrier
	buffer_gl0_inv
	s_clause 0x1c
	buffer_load_dword v115, off, s[0:3], 0 offset:136
	buffer_load_dword v116, off, s[0:3], 0 offset:140
	;; [unrolled: 1-line block ×29, first 2 shown]
	v_mov_b32_e32 v106, 0
	buffer_load_dword v140, off, s[0:3], 0 offset:252
	s_mov_b32 s4, exec_lo
	ds_read2_b64 v[107:110], v106 offset0:69 offset1:70
	ds_read2_b64 v[111:114], v106 offset0:71 offset1:72
	s_waitcnt vmcnt(28) lgkmcnt(1)
	v_fma_f64 v[107:108], v[115:116], v[107:108], 0
	s_clause 0x7
	buffer_load_dword v116, off, s[0:3], 0 offset:260
	buffer_load_dword v145, off, s[0:3], 0 offset:280
	buffer_load_dword v147, off, s[0:3], 0 offset:272
	buffer_load_dword v149, off, s[0:3], 0 offset:264
	buffer_load_dword v115, off, s[0:3], 0 offset:256
	buffer_load_dword v150, off, s[0:3], 0 offset:268
	buffer_load_dword v148, off, s[0:3], 0 offset:276
	buffer_load_dword v146, off, s[0:3], 0 offset:284
	s_waitcnt vmcnt(34)
	v_fma_f64 v[107:108], v[117:118], v[109:110], v[107:108]
	s_waitcnt vmcnt(32) lgkmcnt(0)
	v_fma_f64 v[107:108], v[119:120], v[111:112], v[107:108]
	s_waitcnt vmcnt(30)
	v_fma_f64 v[117:118], v[121:122], v[113:114], v[107:108]
	ds_read2_b64 v[107:110], v106 offset0:73 offset1:74
	ds_read2_b64 v[111:114], v106 offset0:75 offset1:76
	s_waitcnt vmcnt(28) lgkmcnt(1)
	v_fma_f64 v[107:108], v[123:124], v[107:108], v[117:118]
	s_clause 0x7
	buffer_load_dword v118, off, s[0:3], 0 offset:292
	buffer_load_dword v119, off, s[0:3], 0 offset:312
	buffer_load_dword v121, off, s[0:3], 0 offset:304
	buffer_load_dword v123, off, s[0:3], 0 offset:296
	buffer_load_dword v117, off, s[0:3], 0 offset:288
	buffer_load_dword v124, off, s[0:3], 0 offset:300
	buffer_load_dword v122, off, s[0:3], 0 offset:308
	buffer_load_dword v120, off, s[0:3], 0 offset:316
	s_waitcnt vmcnt(34)
	v_fma_f64 v[107:108], v[125:126], v[109:110], v[107:108]
	s_waitcnt vmcnt(32) lgkmcnt(0)
	v_fma_f64 v[107:108], v[127:128], v[111:112], v[107:108]
	s_waitcnt vmcnt(27)
	v_fma_f64 v[125:126], v[129:130], v[113:114], v[107:108]
	;; [unrolled: 19-line block ×5, first 2 shown]
	ds_read2_b64 v[107:110], v106 offset0:89 offset1:90
	ds_read2_b64 v[111:114], v106 offset0:91 offset1:92
	s_waitcnt vmcnt(26) lgkmcnt(1)
	v_fma_f64 v[107:108], v[123:124], v[107:108], v[117:118]
	s_clause 0x1
	buffer_load_dword v117, off, s[0:3], 0 offset:128
	buffer_load_dword v118, off, s[0:3], 0 offset:132
	s_waitcnt vmcnt(27)
	v_fma_f64 v[107:108], v[121:122], v[109:110], v[107:108]
	s_waitcnt vmcnt(26) lgkmcnt(0)
	v_fma_f64 v[107:108], v[119:120], v[111:112], v[107:108]
	s_waitcnt vmcnt(21)
	v_fma_f64 v[119:120], v[125:126], v[113:114], v[107:108]
	ds_read2_b64 v[107:110], v106 offset0:93 offset1:94
	ds_read2_b64 v[111:114], v106 offset0:95 offset1:96
	s_waitcnt vmcnt(20) lgkmcnt(1)
	v_fma_f64 v[107:108], v[135:136], v[107:108], v[119:120]
	s_waitcnt vmcnt(19)
	v_fma_f64 v[107:108], v[129:130], v[109:110], v[107:108]
	s_waitcnt vmcnt(18) lgkmcnt(0)
	v_fma_f64 v[107:108], v[127:128], v[111:112], v[107:108]
	s_waitcnt vmcnt(13)
	v_fma_f64 v[119:120], v[131:132], v[113:114], v[107:108]
	ds_read2_b64 v[107:110], v106 offset0:97 offset1:98
	ds_read2_b64 v[111:114], v106 offset0:99 offset1:100
	s_waitcnt vmcnt(12) lgkmcnt(1)
	v_fma_f64 v[107:108], v[143:144], v[107:108], v[119:120]
	s_waitcnt vmcnt(11)
	v_fma_f64 v[107:108], v[137:138], v[109:110], v[107:108]
	s_waitcnt vmcnt(10) lgkmcnt(0)
	v_fma_f64 v[107:108], v[133:134], v[111:112], v[107:108]
	s_waitcnt vmcnt(5)
	v_fma_f64 v[111:112], v[115:116], v[113:114], v[107:108]
	ds_read2_b64 v[107:110], v106 offset0:101 offset1:102
	ds_read_b64 v[113:114], v106 offset:824
	s_waitcnt vmcnt(4) lgkmcnt(1)
	v_fma_f64 v[107:108], v[149:150], v[107:108], v[111:112]
	s_waitcnt vmcnt(3)
	v_fma_f64 v[107:108], v[141:142], v[109:110], v[107:108]
	s_waitcnt vmcnt(2) lgkmcnt(0)
	v_fma_f64 v[107:108], v[139:140], v[113:114], v[107:108]
	s_waitcnt vmcnt(0)
	v_add_f64 v[107:108], v[117:118], -v[107:108]
	buffer_store_dword v108, off, s[0:3], 0 offset:132
	buffer_store_dword v107, off, s[0:3], 0 offset:128
	v_cmpx_lt_u32_e32 15, v0
	s_cbranch_execz .LBB51_291
; %bb.290:
	s_clause 0x1
	buffer_load_dword v107, off, s[0:3], 0 offset:120
	buffer_load_dword v108, off, s[0:3], 0 offset:124
	buffer_store_dword v106, off, s[0:3], 0 offset:120
	buffer_store_dword v106, off, s[0:3], 0 offset:124
	s_waitcnt vmcnt(0)
	ds_write_b64 v105, v[107:108]
.LBB51_291:
	s_or_b32 exec_lo, exec_lo, s4
	s_waitcnt lgkmcnt(0)
	s_waitcnt_vscnt null, 0x0
	s_barrier
	buffer_gl0_inv
	s_clause 0x1c
	buffer_load_dword v115, off, s[0:3], 0 offset:128
	buffer_load_dword v116, off, s[0:3], 0 offset:132
	;; [unrolled: 1-line block ×29, first 2 shown]
	ds_read_b128 v[107:110], v106 offset:544
	ds_read_b128 v[111:114], v106 offset:560
	buffer_load_dword v140, off, s[0:3], 0 offset:244
	s_mov_b32 s4, exec_lo
	s_waitcnt vmcnt(28) lgkmcnt(1)
	v_fma_f64 v[107:108], v[115:116], v[107:108], 0
	s_clause 0x7
	buffer_load_dword v116, off, s[0:3], 0 offset:252
	buffer_load_dword v145, off, s[0:3], 0 offset:272
	buffer_load_dword v147, off, s[0:3], 0 offset:264
	buffer_load_dword v149, off, s[0:3], 0 offset:256
	buffer_load_dword v115, off, s[0:3], 0 offset:248
	buffer_load_dword v150, off, s[0:3], 0 offset:260
	buffer_load_dword v148, off, s[0:3], 0 offset:268
	buffer_load_dword v146, off, s[0:3], 0 offset:276
	s_waitcnt vmcnt(34)
	v_fma_f64 v[107:108], v[117:118], v[109:110], v[107:108]
	s_waitcnt vmcnt(32) lgkmcnt(0)
	v_fma_f64 v[107:108], v[119:120], v[111:112], v[107:108]
	s_waitcnt vmcnt(30)
	v_fma_f64 v[117:118], v[121:122], v[113:114], v[107:108]
	ds_read_b128 v[107:110], v106 offset:576
	ds_read_b128 v[111:114], v106 offset:592
	s_waitcnt vmcnt(28) lgkmcnt(1)
	v_fma_f64 v[107:108], v[123:124], v[107:108], v[117:118]
	s_clause 0x7
	buffer_load_dword v118, off, s[0:3], 0 offset:284
	buffer_load_dword v119, off, s[0:3], 0 offset:304
	buffer_load_dword v121, off, s[0:3], 0 offset:296
	buffer_load_dword v123, off, s[0:3], 0 offset:288
	buffer_load_dword v117, off, s[0:3], 0 offset:280
	buffer_load_dword v124, off, s[0:3], 0 offset:292
	buffer_load_dword v122, off, s[0:3], 0 offset:300
	buffer_load_dword v120, off, s[0:3], 0 offset:308
	s_waitcnt vmcnt(34)
	v_fma_f64 v[107:108], v[125:126], v[109:110], v[107:108]
	s_waitcnt vmcnt(32) lgkmcnt(0)
	v_fma_f64 v[107:108], v[127:128], v[111:112], v[107:108]
	s_waitcnt vmcnt(27)
	v_fma_f64 v[125:126], v[129:130], v[113:114], v[107:108]
	ds_read_b128 v[107:110], v106 offset:608
	ds_read_b128 v[111:114], v106 offset:624
	;; [unrolled: 19-line block ×5, first 2 shown]
	s_waitcnt vmcnt(26) lgkmcnt(1)
	v_fma_f64 v[107:108], v[123:124], v[107:108], v[117:118]
	s_clause 0x1
	buffer_load_dword v118, off, s[0:3], 0 offset:412
	buffer_load_dword v117, off, s[0:3], 0 offset:408
	s_waitcnt vmcnt(27)
	v_fma_f64 v[107:108], v[121:122], v[109:110], v[107:108]
	s_clause 0x1
	buffer_load_dword v121, off, s[0:3], 0 offset:120
	buffer_load_dword v122, off, s[0:3], 0 offset:124
	s_waitcnt vmcnt(28) lgkmcnt(0)
	v_fma_f64 v[107:108], v[119:120], v[111:112], v[107:108]
	s_waitcnt vmcnt(23)
	v_fma_f64 v[119:120], v[125:126], v[113:114], v[107:108]
	ds_read_b128 v[107:110], v106 offset:736
	ds_read_b128 v[111:114], v106 offset:752
	s_waitcnt vmcnt(22) lgkmcnt(1)
	v_fma_f64 v[107:108], v[135:136], v[107:108], v[119:120]
	s_waitcnt vmcnt(21)
	v_fma_f64 v[107:108], v[129:130], v[109:110], v[107:108]
	s_waitcnt vmcnt(20) lgkmcnt(0)
	v_fma_f64 v[107:108], v[127:128], v[111:112], v[107:108]
	s_waitcnt vmcnt(15)
	v_fma_f64 v[119:120], v[131:132], v[113:114], v[107:108]
	ds_read_b128 v[107:110], v106 offset:768
	ds_read_b128 v[111:114], v106 offset:784
	s_waitcnt vmcnt(14) lgkmcnt(1)
	v_fma_f64 v[107:108], v[143:144], v[107:108], v[119:120]
	s_waitcnt vmcnt(13)
	v_fma_f64 v[107:108], v[137:138], v[109:110], v[107:108]
	;; [unrolled: 10-line block ×3, first 2 shown]
	s_waitcnt vmcnt(4) lgkmcnt(0)
	v_fma_f64 v[106:107], v[139:140], v[111:112], v[106:107]
	s_waitcnt vmcnt(2)
	v_fma_f64 v[106:107], v[117:118], v[113:114], v[106:107]
	s_waitcnt vmcnt(0)
	v_add_f64 v[106:107], v[121:122], -v[106:107]
	buffer_store_dword v107, off, s[0:3], 0 offset:124
	buffer_store_dword v106, off, s[0:3], 0 offset:120
	v_cmpx_lt_u32_e32 14, v0
	s_cbranch_execz .LBB51_293
; %bb.292:
	s_clause 0x1
	buffer_load_dword v106, off, s[0:3], 0 offset:112
	buffer_load_dword v107, off, s[0:3], 0 offset:116
	v_mov_b32_e32 v108, 0
	buffer_store_dword v108, off, s[0:3], 0 offset:112
	buffer_store_dword v108, off, s[0:3], 0 offset:116
	s_waitcnt vmcnt(0)
	ds_write_b64 v105, v[106:107]
.LBB51_293:
	s_or_b32 exec_lo, exec_lo, s4
	s_waitcnt lgkmcnt(0)
	s_waitcnt_vscnt null, 0x0
	s_barrier
	buffer_gl0_inv
	s_clause 0x1c
	buffer_load_dword v115, off, s[0:3], 0 offset:120
	buffer_load_dword v116, off, s[0:3], 0 offset:124
	;; [unrolled: 1-line block ×29, first 2 shown]
	v_mov_b32_e32 v106, 0
	buffer_load_dword v140, off, s[0:3], 0 offset:236
	s_mov_b32 s4, exec_lo
	ds_read2_b64 v[107:110], v106 offset0:67 offset1:68
	ds_read2_b64 v[111:114], v106 offset0:69 offset1:70
	s_waitcnt vmcnt(28) lgkmcnt(1)
	v_fma_f64 v[107:108], v[115:116], v[107:108], 0
	s_clause 0x7
	buffer_load_dword v116, off, s[0:3], 0 offset:244
	buffer_load_dword v145, off, s[0:3], 0 offset:264
	buffer_load_dword v147, off, s[0:3], 0 offset:256
	buffer_load_dword v149, off, s[0:3], 0 offset:248
	buffer_load_dword v115, off, s[0:3], 0 offset:240
	buffer_load_dword v150, off, s[0:3], 0 offset:252
	buffer_load_dword v148, off, s[0:3], 0 offset:260
	buffer_load_dword v146, off, s[0:3], 0 offset:268
	s_waitcnt vmcnt(34)
	v_fma_f64 v[107:108], v[117:118], v[109:110], v[107:108]
	s_waitcnt vmcnt(32) lgkmcnt(0)
	v_fma_f64 v[107:108], v[119:120], v[111:112], v[107:108]
	s_waitcnt vmcnt(30)
	v_fma_f64 v[117:118], v[121:122], v[113:114], v[107:108]
	ds_read2_b64 v[107:110], v106 offset0:71 offset1:72
	ds_read2_b64 v[111:114], v106 offset0:73 offset1:74
	s_waitcnt vmcnt(28) lgkmcnt(1)
	v_fma_f64 v[107:108], v[123:124], v[107:108], v[117:118]
	s_clause 0x7
	buffer_load_dword v118, off, s[0:3], 0 offset:276
	buffer_load_dword v119, off, s[0:3], 0 offset:296
	buffer_load_dword v121, off, s[0:3], 0 offset:288
	buffer_load_dword v123, off, s[0:3], 0 offset:280
	buffer_load_dword v117, off, s[0:3], 0 offset:272
	buffer_load_dword v124, off, s[0:3], 0 offset:284
	buffer_load_dword v122, off, s[0:3], 0 offset:292
	buffer_load_dword v120, off, s[0:3], 0 offset:300
	s_waitcnt vmcnt(34)
	v_fma_f64 v[107:108], v[125:126], v[109:110], v[107:108]
	s_waitcnt vmcnt(32) lgkmcnt(0)
	v_fma_f64 v[107:108], v[127:128], v[111:112], v[107:108]
	s_waitcnt vmcnt(27)
	v_fma_f64 v[125:126], v[129:130], v[113:114], v[107:108]
	;; [unrolled: 19-line block ×5, first 2 shown]
	ds_read2_b64 v[107:110], v106 offset0:87 offset1:88
	ds_read2_b64 v[111:114], v106 offset0:89 offset1:90
	s_waitcnt vmcnt(26) lgkmcnt(1)
	v_fma_f64 v[107:108], v[123:124], v[107:108], v[117:118]
	s_clause 0x3
	buffer_load_dword v118, off, s[0:3], 0 offset:404
	buffer_load_dword v123, off, s[0:3], 0 offset:408
	;; [unrolled: 1-line block ×4, first 2 shown]
	s_waitcnt vmcnt(29)
	v_fma_f64 v[107:108], v[121:122], v[109:110], v[107:108]
	s_waitcnt vmcnt(28) lgkmcnt(0)
	v_fma_f64 v[107:108], v[119:120], v[111:112], v[107:108]
	s_clause 0x1
	buffer_load_dword v119, off, s[0:3], 0 offset:112
	buffer_load_dword v120, off, s[0:3], 0 offset:116
	s_waitcnt vmcnt(25)
	v_fma_f64 v[121:122], v[125:126], v[113:114], v[107:108]
	ds_read2_b64 v[107:110], v106 offset0:91 offset1:92
	ds_read2_b64 v[111:114], v106 offset0:93 offset1:94
	s_waitcnt vmcnt(24) lgkmcnt(1)
	v_fma_f64 v[107:108], v[135:136], v[107:108], v[121:122]
	s_waitcnt vmcnt(23)
	v_fma_f64 v[107:108], v[129:130], v[109:110], v[107:108]
	s_waitcnt vmcnt(22) lgkmcnt(0)
	v_fma_f64 v[107:108], v[127:128], v[111:112], v[107:108]
	s_waitcnt vmcnt(17)
	v_fma_f64 v[121:122], v[131:132], v[113:114], v[107:108]
	ds_read2_b64 v[107:110], v106 offset0:95 offset1:96
	ds_read2_b64 v[111:114], v106 offset0:97 offset1:98
	s_waitcnt vmcnt(16) lgkmcnt(1)
	v_fma_f64 v[107:108], v[143:144], v[107:108], v[121:122]
	s_waitcnt vmcnt(15)
	v_fma_f64 v[107:108], v[137:138], v[109:110], v[107:108]
	s_waitcnt vmcnt(14) lgkmcnt(0)
	v_fma_f64 v[107:108], v[133:134], v[111:112], v[107:108]
	s_waitcnt vmcnt(9)
	v_fma_f64 v[115:116], v[115:116], v[113:114], v[107:108]
	ds_read2_b64 v[107:110], v106 offset0:99 offset1:100
	ds_read2_b64 v[111:114], v106 offset0:101 offset1:102
	s_waitcnt vmcnt(8) lgkmcnt(1)
	v_fma_f64 v[107:108], v[149:150], v[107:108], v[115:116]
	s_waitcnt vmcnt(7)
	v_fma_f64 v[107:108], v[141:142], v[109:110], v[107:108]
	ds_read_b64 v[109:110], v106 offset:824
	s_waitcnt vmcnt(6) lgkmcnt(1)
	v_fma_f64 v[107:108], v[139:140], v[111:112], v[107:108]
	s_waitcnt vmcnt(3)
	v_fma_f64 v[107:108], v[117:118], v[113:114], v[107:108]
	s_waitcnt vmcnt(2) lgkmcnt(0)
	v_fma_f64 v[107:108], v[123:124], v[109:110], v[107:108]
	s_waitcnt vmcnt(0)
	v_add_f64 v[107:108], v[119:120], -v[107:108]
	buffer_store_dword v108, off, s[0:3], 0 offset:116
	buffer_store_dword v107, off, s[0:3], 0 offset:112
	v_cmpx_lt_u32_e32 13, v0
	s_cbranch_execz .LBB51_295
; %bb.294:
	s_clause 0x1
	buffer_load_dword v107, off, s[0:3], 0 offset:104
	buffer_load_dword v108, off, s[0:3], 0 offset:108
	buffer_store_dword v106, off, s[0:3], 0 offset:104
	buffer_store_dword v106, off, s[0:3], 0 offset:108
	s_waitcnt vmcnt(0)
	ds_write_b64 v105, v[107:108]
.LBB51_295:
	s_or_b32 exec_lo, exec_lo, s4
	s_waitcnt lgkmcnt(0)
	s_waitcnt_vscnt null, 0x0
	s_barrier
	buffer_gl0_inv
	s_clause 0x1c
	buffer_load_dword v115, off, s[0:3], 0 offset:112
	buffer_load_dword v116, off, s[0:3], 0 offset:116
	;; [unrolled: 1-line block ×29, first 2 shown]
	ds_read_b128 v[107:110], v106 offset:528
	ds_read_b128 v[111:114], v106 offset:544
	buffer_load_dword v140, off, s[0:3], 0 offset:228
	s_mov_b32 s4, exec_lo
	s_waitcnt vmcnt(28) lgkmcnt(1)
	v_fma_f64 v[107:108], v[115:116], v[107:108], 0
	s_clause 0x7
	buffer_load_dword v116, off, s[0:3], 0 offset:236
	buffer_load_dword v145, off, s[0:3], 0 offset:256
	buffer_load_dword v147, off, s[0:3], 0 offset:248
	buffer_load_dword v149, off, s[0:3], 0 offset:240
	buffer_load_dword v115, off, s[0:3], 0 offset:232
	buffer_load_dword v150, off, s[0:3], 0 offset:244
	buffer_load_dword v148, off, s[0:3], 0 offset:252
	buffer_load_dword v146, off, s[0:3], 0 offset:260
	s_waitcnt vmcnt(34)
	v_fma_f64 v[107:108], v[117:118], v[109:110], v[107:108]
	s_waitcnt vmcnt(32) lgkmcnt(0)
	v_fma_f64 v[107:108], v[119:120], v[111:112], v[107:108]
	s_waitcnt vmcnt(30)
	v_fma_f64 v[117:118], v[121:122], v[113:114], v[107:108]
	ds_read_b128 v[107:110], v106 offset:560
	ds_read_b128 v[111:114], v106 offset:576
	s_waitcnt vmcnt(28) lgkmcnt(1)
	v_fma_f64 v[107:108], v[123:124], v[107:108], v[117:118]
	s_clause 0x7
	buffer_load_dword v118, off, s[0:3], 0 offset:268
	buffer_load_dword v119, off, s[0:3], 0 offset:288
	buffer_load_dword v121, off, s[0:3], 0 offset:280
	buffer_load_dword v123, off, s[0:3], 0 offset:272
	buffer_load_dword v117, off, s[0:3], 0 offset:264
	buffer_load_dword v124, off, s[0:3], 0 offset:276
	buffer_load_dword v122, off, s[0:3], 0 offset:284
	buffer_load_dword v120, off, s[0:3], 0 offset:292
	s_waitcnt vmcnt(34)
	v_fma_f64 v[107:108], v[125:126], v[109:110], v[107:108]
	s_waitcnt vmcnt(32) lgkmcnt(0)
	v_fma_f64 v[107:108], v[127:128], v[111:112], v[107:108]
	s_waitcnt vmcnt(27)
	v_fma_f64 v[125:126], v[129:130], v[113:114], v[107:108]
	ds_read_b128 v[107:110], v106 offset:592
	ds_read_b128 v[111:114], v106 offset:608
	;; [unrolled: 19-line block ×5, first 2 shown]
	s_waitcnt vmcnt(26) lgkmcnt(1)
	v_fma_f64 v[107:108], v[123:124], v[107:108], v[117:118]
	s_clause 0x5
	buffer_load_dword v118, off, s[0:3], 0 offset:396
	buffer_load_dword v123, off, s[0:3], 0 offset:408
	buffer_load_dword v145, off, s[0:3], 0 offset:400
	buffer_load_dword v117, off, s[0:3], 0 offset:392
	buffer_load_dword v146, off, s[0:3], 0 offset:404
	buffer_load_dword v124, off, s[0:3], 0 offset:412
	s_waitcnt vmcnt(31)
	v_fma_f64 v[107:108], v[121:122], v[109:110], v[107:108]
	s_waitcnt vmcnt(30) lgkmcnt(0)
	v_fma_f64 v[107:108], v[119:120], v[111:112], v[107:108]
	s_waitcnt vmcnt(25)
	v_fma_f64 v[119:120], v[125:126], v[113:114], v[107:108]
	ds_read_b128 v[107:110], v106 offset:720
	s_clause 0x1
	buffer_load_dword v121, off, s[0:3], 0 offset:104
	buffer_load_dword v122, off, s[0:3], 0 offset:108
	ds_read_b128 v[111:114], v106 offset:736
	s_waitcnt vmcnt(26) lgkmcnt(1)
	v_fma_f64 v[107:108], v[135:136], v[107:108], v[119:120]
	s_waitcnt vmcnt(25)
	v_fma_f64 v[107:108], v[129:130], v[109:110], v[107:108]
	s_waitcnt vmcnt(24) lgkmcnt(0)
	v_fma_f64 v[107:108], v[127:128], v[111:112], v[107:108]
	s_waitcnt vmcnt(19)
	v_fma_f64 v[119:120], v[131:132], v[113:114], v[107:108]
	ds_read_b128 v[107:110], v106 offset:752
	ds_read_b128 v[111:114], v106 offset:768
	s_waitcnt vmcnt(18) lgkmcnt(1)
	v_fma_f64 v[107:108], v[143:144], v[107:108], v[119:120]
	s_waitcnt vmcnt(17)
	v_fma_f64 v[107:108], v[137:138], v[109:110], v[107:108]
	s_waitcnt vmcnt(16) lgkmcnt(0)
	v_fma_f64 v[107:108], v[133:134], v[111:112], v[107:108]
	s_waitcnt vmcnt(11)
	v_fma_f64 v[115:116], v[115:116], v[113:114], v[107:108]
	ds_read_b128 v[107:110], v106 offset:784
	;; [unrolled: 10-line block ×3, first 2 shown]
	s_waitcnt vmcnt(3) lgkmcnt(0)
	v_fma_f64 v[106:107], v[145:146], v[106:107], v[110:111]
	s_waitcnt vmcnt(2)
	v_fma_f64 v[106:107], v[123:124], v[108:109], v[106:107]
	s_waitcnt vmcnt(0)
	v_add_f64 v[106:107], v[121:122], -v[106:107]
	buffer_store_dword v107, off, s[0:3], 0 offset:108
	buffer_store_dword v106, off, s[0:3], 0 offset:104
	v_cmpx_lt_u32_e32 12, v0
	s_cbranch_execz .LBB51_297
; %bb.296:
	s_clause 0x1
	buffer_load_dword v106, off, s[0:3], 0 offset:96
	buffer_load_dword v107, off, s[0:3], 0 offset:100
	v_mov_b32_e32 v108, 0
	buffer_store_dword v108, off, s[0:3], 0 offset:96
	buffer_store_dword v108, off, s[0:3], 0 offset:100
	s_waitcnt vmcnt(0)
	ds_write_b64 v105, v[106:107]
.LBB51_297:
	s_or_b32 exec_lo, exec_lo, s4
	s_waitcnt lgkmcnt(0)
	s_waitcnt_vscnt null, 0x0
	s_barrier
	buffer_gl0_inv
	s_clause 0x1c
	buffer_load_dword v115, off, s[0:3], 0 offset:104
	buffer_load_dword v116, off, s[0:3], 0 offset:108
	;; [unrolled: 1-line block ×29, first 2 shown]
	v_mov_b32_e32 v106, 0
	buffer_load_dword v140, off, s[0:3], 0 offset:220
	s_mov_b32 s4, exec_lo
	ds_read2_b64 v[107:110], v106 offset0:65 offset1:66
	ds_read2_b64 v[111:114], v106 offset0:67 offset1:68
	s_waitcnt vmcnt(28) lgkmcnt(1)
	v_fma_f64 v[107:108], v[115:116], v[107:108], 0
	s_clause 0x7
	buffer_load_dword v116, off, s[0:3], 0 offset:228
	buffer_load_dword v145, off, s[0:3], 0 offset:248
	buffer_load_dword v147, off, s[0:3], 0 offset:240
	buffer_load_dword v149, off, s[0:3], 0 offset:232
	buffer_load_dword v115, off, s[0:3], 0 offset:224
	buffer_load_dword v150, off, s[0:3], 0 offset:236
	buffer_load_dword v148, off, s[0:3], 0 offset:244
	buffer_load_dword v146, off, s[0:3], 0 offset:252
	s_waitcnt vmcnt(34)
	v_fma_f64 v[107:108], v[117:118], v[109:110], v[107:108]
	s_waitcnt vmcnt(32) lgkmcnt(0)
	v_fma_f64 v[107:108], v[119:120], v[111:112], v[107:108]
	s_waitcnt vmcnt(30)
	v_fma_f64 v[117:118], v[121:122], v[113:114], v[107:108]
	ds_read2_b64 v[107:110], v106 offset0:69 offset1:70
	ds_read2_b64 v[111:114], v106 offset0:71 offset1:72
	s_waitcnt vmcnt(28) lgkmcnt(1)
	v_fma_f64 v[107:108], v[123:124], v[107:108], v[117:118]
	s_clause 0x7
	buffer_load_dword v118, off, s[0:3], 0 offset:260
	buffer_load_dword v119, off, s[0:3], 0 offset:280
	buffer_load_dword v121, off, s[0:3], 0 offset:272
	buffer_load_dword v123, off, s[0:3], 0 offset:264
	buffer_load_dword v117, off, s[0:3], 0 offset:256
	buffer_load_dword v124, off, s[0:3], 0 offset:268
	buffer_load_dword v122, off, s[0:3], 0 offset:276
	buffer_load_dword v120, off, s[0:3], 0 offset:284
	s_waitcnt vmcnt(34)
	v_fma_f64 v[107:108], v[125:126], v[109:110], v[107:108]
	s_waitcnt vmcnt(32) lgkmcnt(0)
	v_fma_f64 v[107:108], v[127:128], v[111:112], v[107:108]
	s_waitcnt vmcnt(27)
	v_fma_f64 v[125:126], v[129:130], v[113:114], v[107:108]
	;; [unrolled: 19-line block ×6, first 2 shown]
	ds_read2_b64 v[107:110], v106 offset0:89 offset1:90
	ds_read2_b64 v[111:114], v106 offset0:91 offset1:92
	s_waitcnt vmcnt(26) lgkmcnt(1)
	v_fma_f64 v[107:108], v[135:136], v[107:108], v[119:120]
	s_clause 0x1
	buffer_load_dword v119, off, s[0:3], 0 offset:96
	buffer_load_dword v120, off, s[0:3], 0 offset:100
	s_waitcnt vmcnt(27)
	v_fma_f64 v[107:108], v[129:130], v[109:110], v[107:108]
	s_waitcnt vmcnt(26) lgkmcnt(0)
	v_fma_f64 v[107:108], v[127:128], v[111:112], v[107:108]
	s_waitcnt vmcnt(21)
	v_fma_f64 v[121:122], v[131:132], v[113:114], v[107:108]
	ds_read2_b64 v[107:110], v106 offset0:93 offset1:94
	ds_read2_b64 v[111:114], v106 offset0:95 offset1:96
	s_waitcnt vmcnt(20) lgkmcnt(1)
	v_fma_f64 v[107:108], v[143:144], v[107:108], v[121:122]
	s_waitcnt vmcnt(19)
	v_fma_f64 v[107:108], v[137:138], v[109:110], v[107:108]
	s_waitcnt vmcnt(18) lgkmcnt(0)
	v_fma_f64 v[107:108], v[133:134], v[111:112], v[107:108]
	s_waitcnt vmcnt(13)
	v_fma_f64 v[115:116], v[115:116], v[113:114], v[107:108]
	ds_read2_b64 v[107:110], v106 offset0:97 offset1:98
	ds_read2_b64 v[111:114], v106 offset0:99 offset1:100
	s_waitcnt vmcnt(12) lgkmcnt(1)
	v_fma_f64 v[107:108], v[149:150], v[107:108], v[115:116]
	s_waitcnt vmcnt(11)
	v_fma_f64 v[107:108], v[141:142], v[109:110], v[107:108]
	s_waitcnt vmcnt(10) lgkmcnt(0)
	v_fma_f64 v[107:108], v[139:140], v[111:112], v[107:108]
	s_waitcnt vmcnt(5)
	v_fma_f64 v[111:112], v[117:118], v[113:114], v[107:108]
	ds_read2_b64 v[107:110], v106 offset0:101 offset1:102
	ds_read_b64 v[113:114], v106 offset:824
	s_waitcnt vmcnt(4) lgkmcnt(1)
	v_fma_f64 v[107:108], v[147:148], v[107:108], v[111:112]
	s_waitcnt vmcnt(3)
	v_fma_f64 v[107:108], v[145:146], v[109:110], v[107:108]
	s_waitcnt vmcnt(2) lgkmcnt(0)
	v_fma_f64 v[107:108], v[123:124], v[113:114], v[107:108]
	s_waitcnt vmcnt(0)
	v_add_f64 v[107:108], v[119:120], -v[107:108]
	buffer_store_dword v108, off, s[0:3], 0 offset:100
	buffer_store_dword v107, off, s[0:3], 0 offset:96
	v_cmpx_lt_u32_e32 11, v0
	s_cbranch_execz .LBB51_299
; %bb.298:
	s_clause 0x1
	buffer_load_dword v107, off, s[0:3], 0 offset:88
	buffer_load_dword v108, off, s[0:3], 0 offset:92
	buffer_store_dword v106, off, s[0:3], 0 offset:88
	buffer_store_dword v106, off, s[0:3], 0 offset:92
	s_waitcnt vmcnt(0)
	ds_write_b64 v105, v[107:108]
.LBB51_299:
	s_or_b32 exec_lo, exec_lo, s4
	s_waitcnt lgkmcnt(0)
	s_waitcnt_vscnt null, 0x0
	s_barrier
	buffer_gl0_inv
	s_clause 0x1c
	buffer_load_dword v115, off, s[0:3], 0 offset:96
	buffer_load_dword v116, off, s[0:3], 0 offset:100
	;; [unrolled: 1-line block ×29, first 2 shown]
	ds_read_b128 v[107:110], v106 offset:512
	ds_read_b128 v[111:114], v106 offset:528
	buffer_load_dword v140, off, s[0:3], 0 offset:212
	s_mov_b32 s4, exec_lo
	s_waitcnt vmcnt(28) lgkmcnt(1)
	v_fma_f64 v[107:108], v[115:116], v[107:108], 0
	s_clause 0x7
	buffer_load_dword v116, off, s[0:3], 0 offset:220
	buffer_load_dword v145, off, s[0:3], 0 offset:240
	buffer_load_dword v147, off, s[0:3], 0 offset:232
	buffer_load_dword v149, off, s[0:3], 0 offset:224
	buffer_load_dword v115, off, s[0:3], 0 offset:216
	buffer_load_dword v150, off, s[0:3], 0 offset:228
	buffer_load_dword v148, off, s[0:3], 0 offset:236
	buffer_load_dword v146, off, s[0:3], 0 offset:244
	s_waitcnt vmcnt(34)
	v_fma_f64 v[107:108], v[117:118], v[109:110], v[107:108]
	s_waitcnt vmcnt(32) lgkmcnt(0)
	v_fma_f64 v[107:108], v[119:120], v[111:112], v[107:108]
	s_waitcnt vmcnt(30)
	v_fma_f64 v[117:118], v[121:122], v[113:114], v[107:108]
	ds_read_b128 v[107:110], v106 offset:544
	ds_read_b128 v[111:114], v106 offset:560
	s_waitcnt vmcnt(28) lgkmcnt(1)
	v_fma_f64 v[107:108], v[123:124], v[107:108], v[117:118]
	s_clause 0x7
	buffer_load_dword v118, off, s[0:3], 0 offset:252
	buffer_load_dword v119, off, s[0:3], 0 offset:272
	buffer_load_dword v121, off, s[0:3], 0 offset:264
	buffer_load_dword v123, off, s[0:3], 0 offset:256
	buffer_load_dword v117, off, s[0:3], 0 offset:248
	buffer_load_dword v124, off, s[0:3], 0 offset:260
	buffer_load_dword v122, off, s[0:3], 0 offset:268
	buffer_load_dword v120, off, s[0:3], 0 offset:276
	s_waitcnt vmcnt(34)
	v_fma_f64 v[107:108], v[125:126], v[109:110], v[107:108]
	s_waitcnt vmcnt(32) lgkmcnt(0)
	v_fma_f64 v[107:108], v[127:128], v[111:112], v[107:108]
	s_waitcnt vmcnt(27)
	v_fma_f64 v[125:126], v[129:130], v[113:114], v[107:108]
	ds_read_b128 v[107:110], v106 offset:576
	ds_read_b128 v[111:114], v106 offset:592
	;; [unrolled: 19-line block ×6, first 2 shown]
	s_waitcnt vmcnt(26) lgkmcnt(1)
	v_fma_f64 v[107:108], v[135:136], v[107:108], v[119:120]
	s_clause 0x3
	buffer_load_dword v120, off, s[0:3], 0 offset:412
	buffer_load_dword v119, off, s[0:3], 0 offset:408
	;; [unrolled: 1-line block ×4, first 2 shown]
	s_waitcnt vmcnt(29)
	v_fma_f64 v[107:108], v[129:130], v[109:110], v[107:108]
	s_waitcnt vmcnt(28) lgkmcnt(0)
	v_fma_f64 v[107:108], v[127:128], v[111:112], v[107:108]
	s_waitcnt vmcnt(23)
	v_fma_f64 v[125:126], v[131:132], v[113:114], v[107:108]
	ds_read_b128 v[107:110], v106 offset:736
	ds_read_b128 v[111:114], v106 offset:752
	s_waitcnt vmcnt(22) lgkmcnt(1)
	v_fma_f64 v[107:108], v[143:144], v[107:108], v[125:126]
	s_waitcnt vmcnt(21)
	v_fma_f64 v[107:108], v[137:138], v[109:110], v[107:108]
	s_waitcnt vmcnt(20) lgkmcnt(0)
	v_fma_f64 v[107:108], v[133:134], v[111:112], v[107:108]
	s_waitcnt vmcnt(15)
	v_fma_f64 v[115:116], v[115:116], v[113:114], v[107:108]
	ds_read_b128 v[107:110], v106 offset:768
	ds_read_b128 v[111:114], v106 offset:784
	s_waitcnt vmcnt(14) lgkmcnt(1)
	v_fma_f64 v[107:108], v[149:150], v[107:108], v[115:116]
	;; [unrolled: 10-line block ×3, first 2 shown]
	s_waitcnt vmcnt(5)
	v_fma_f64 v[106:107], v[145:146], v[109:110], v[106:107]
	s_waitcnt vmcnt(4) lgkmcnt(0)
	v_fma_f64 v[106:107], v[123:124], v[111:112], v[106:107]
	s_waitcnt vmcnt(2)
	v_fma_f64 v[106:107], v[119:120], v[113:114], v[106:107]
	s_waitcnt vmcnt(0)
	v_add_f64 v[106:107], v[121:122], -v[106:107]
	buffer_store_dword v107, off, s[0:3], 0 offset:92
	buffer_store_dword v106, off, s[0:3], 0 offset:88
	v_cmpx_lt_u32_e32 10, v0
	s_cbranch_execz .LBB51_301
; %bb.300:
	s_clause 0x1
	buffer_load_dword v106, off, s[0:3], 0 offset:80
	buffer_load_dword v107, off, s[0:3], 0 offset:84
	v_mov_b32_e32 v108, 0
	buffer_store_dword v108, off, s[0:3], 0 offset:80
	buffer_store_dword v108, off, s[0:3], 0 offset:84
	s_waitcnt vmcnt(0)
	ds_write_b64 v105, v[106:107]
.LBB51_301:
	s_or_b32 exec_lo, exec_lo, s4
	s_waitcnt lgkmcnt(0)
	s_waitcnt_vscnt null, 0x0
	s_barrier
	buffer_gl0_inv
	s_clause 0x1c
	buffer_load_dword v115, off, s[0:3], 0 offset:88
	buffer_load_dword v116, off, s[0:3], 0 offset:92
	;; [unrolled: 1-line block ×29, first 2 shown]
	v_mov_b32_e32 v106, 0
	buffer_load_dword v140, off, s[0:3], 0 offset:204
	s_mov_b32 s4, exec_lo
	ds_read2_b64 v[107:110], v106 offset0:63 offset1:64
	ds_read2_b64 v[111:114], v106 offset0:65 offset1:66
	s_waitcnt vmcnt(28) lgkmcnt(1)
	v_fma_f64 v[107:108], v[115:116], v[107:108], 0
	s_clause 0x7
	buffer_load_dword v116, off, s[0:3], 0 offset:212
	buffer_load_dword v145, off, s[0:3], 0 offset:232
	buffer_load_dword v147, off, s[0:3], 0 offset:224
	buffer_load_dword v149, off, s[0:3], 0 offset:216
	buffer_load_dword v115, off, s[0:3], 0 offset:208
	buffer_load_dword v150, off, s[0:3], 0 offset:220
	buffer_load_dword v148, off, s[0:3], 0 offset:228
	buffer_load_dword v146, off, s[0:3], 0 offset:236
	s_waitcnt vmcnt(34)
	v_fma_f64 v[107:108], v[117:118], v[109:110], v[107:108]
	s_waitcnt vmcnt(32) lgkmcnt(0)
	v_fma_f64 v[107:108], v[119:120], v[111:112], v[107:108]
	s_waitcnt vmcnt(30)
	v_fma_f64 v[117:118], v[121:122], v[113:114], v[107:108]
	ds_read2_b64 v[107:110], v106 offset0:67 offset1:68
	ds_read2_b64 v[111:114], v106 offset0:69 offset1:70
	s_waitcnt vmcnt(28) lgkmcnt(1)
	v_fma_f64 v[107:108], v[123:124], v[107:108], v[117:118]
	s_clause 0x7
	buffer_load_dword v118, off, s[0:3], 0 offset:244
	buffer_load_dword v119, off, s[0:3], 0 offset:264
	buffer_load_dword v121, off, s[0:3], 0 offset:256
	buffer_load_dword v123, off, s[0:3], 0 offset:248
	buffer_load_dword v117, off, s[0:3], 0 offset:240
	buffer_load_dword v124, off, s[0:3], 0 offset:252
	buffer_load_dword v122, off, s[0:3], 0 offset:260
	buffer_load_dword v120, off, s[0:3], 0 offset:268
	s_waitcnt vmcnt(34)
	v_fma_f64 v[107:108], v[125:126], v[109:110], v[107:108]
	s_waitcnt vmcnt(32) lgkmcnt(0)
	v_fma_f64 v[107:108], v[127:128], v[111:112], v[107:108]
	s_waitcnt vmcnt(27)
	v_fma_f64 v[125:126], v[129:130], v[113:114], v[107:108]
	;; [unrolled: 19-line block ×6, first 2 shown]
	ds_read2_b64 v[107:110], v106 offset0:87 offset1:88
	ds_read2_b64 v[111:114], v106 offset0:89 offset1:90
	s_waitcnt vmcnt(26) lgkmcnt(1)
	v_fma_f64 v[107:108], v[135:136], v[107:108], v[119:120]
	s_clause 0x5
	buffer_load_dword v120, off, s[0:3], 0 offset:404
	buffer_load_dword v121, off, s[0:3], 0 offset:408
	;; [unrolled: 1-line block ×6, first 2 shown]
	s_waitcnt vmcnt(31)
	v_fma_f64 v[107:108], v[129:130], v[109:110], v[107:108]
	s_waitcnt vmcnt(30) lgkmcnt(0)
	v_fma_f64 v[107:108], v[127:128], v[111:112], v[107:108]
	s_waitcnt vmcnt(25)
	v_fma_f64 v[127:128], v[131:132], v[113:114], v[107:108]
	ds_read2_b64 v[107:110], v106 offset0:91 offset1:92
	ds_read2_b64 v[111:114], v106 offset0:93 offset1:94
	s_waitcnt vmcnt(24) lgkmcnt(1)
	v_fma_f64 v[107:108], v[143:144], v[107:108], v[127:128]
	s_waitcnt vmcnt(23)
	v_fma_f64 v[107:108], v[137:138], v[109:110], v[107:108]
	s_waitcnt vmcnt(22) lgkmcnt(0)
	v_fma_f64 v[107:108], v[133:134], v[111:112], v[107:108]
	s_waitcnt vmcnt(17)
	v_fma_f64 v[115:116], v[115:116], v[113:114], v[107:108]
	ds_read2_b64 v[107:110], v106 offset0:95 offset1:96
	ds_read2_b64 v[111:114], v106 offset0:97 offset1:98
	s_waitcnt vmcnt(16) lgkmcnt(1)
	v_fma_f64 v[107:108], v[149:150], v[107:108], v[115:116]
	s_waitcnt vmcnt(15)
	v_fma_f64 v[107:108], v[141:142], v[109:110], v[107:108]
	s_waitcnt vmcnt(14) lgkmcnt(0)
	v_fma_f64 v[107:108], v[139:140], v[111:112], v[107:108]
	s_waitcnt vmcnt(9)
	v_fma_f64 v[115:116], v[117:118], v[113:114], v[107:108]
	ds_read2_b64 v[107:110], v106 offset0:99 offset1:100
	ds_read2_b64 v[111:114], v106 offset0:101 offset1:102
	s_waitcnt vmcnt(8) lgkmcnt(1)
	v_fma_f64 v[107:108], v[147:148], v[107:108], v[115:116]
	s_waitcnt vmcnt(7)
	v_fma_f64 v[107:108], v[145:146], v[109:110], v[107:108]
	ds_read_b64 v[109:110], v106 offset:824
	s_waitcnt vmcnt(6) lgkmcnt(1)
	v_fma_f64 v[107:108], v[123:124], v[111:112], v[107:108]
	s_waitcnt vmcnt(3)
	v_fma_f64 v[107:108], v[119:120], v[113:114], v[107:108]
	s_waitcnt vmcnt(2) lgkmcnt(0)
	v_fma_f64 v[107:108], v[121:122], v[109:110], v[107:108]
	s_waitcnt vmcnt(0)
	v_add_f64 v[107:108], v[125:126], -v[107:108]
	buffer_store_dword v108, off, s[0:3], 0 offset:84
	buffer_store_dword v107, off, s[0:3], 0 offset:80
	v_cmpx_lt_u32_e32 9, v0
	s_cbranch_execz .LBB51_303
; %bb.302:
	s_clause 0x1
	buffer_load_dword v107, off, s[0:3], 0 offset:72
	buffer_load_dword v108, off, s[0:3], 0 offset:76
	buffer_store_dword v106, off, s[0:3], 0 offset:72
	buffer_store_dword v106, off, s[0:3], 0 offset:76
	s_waitcnt vmcnt(0)
	ds_write_b64 v105, v[107:108]
.LBB51_303:
	s_or_b32 exec_lo, exec_lo, s4
	s_waitcnt lgkmcnt(0)
	s_waitcnt_vscnt null, 0x0
	s_barrier
	buffer_gl0_inv
	s_clause 0x1c
	buffer_load_dword v115, off, s[0:3], 0 offset:80
	buffer_load_dword v116, off, s[0:3], 0 offset:84
	;; [unrolled: 1-line block ×29, first 2 shown]
	ds_read_b128 v[107:110], v106 offset:496
	ds_read_b128 v[111:114], v106 offset:512
	buffer_load_dword v140, off, s[0:3], 0 offset:196
	s_mov_b32 s4, exec_lo
	s_waitcnt vmcnt(28) lgkmcnt(1)
	v_fma_f64 v[107:108], v[115:116], v[107:108], 0
	s_clause 0x7
	buffer_load_dword v116, off, s[0:3], 0 offset:204
	buffer_load_dword v145, off, s[0:3], 0 offset:224
	buffer_load_dword v147, off, s[0:3], 0 offset:216
	buffer_load_dword v149, off, s[0:3], 0 offset:208
	buffer_load_dword v115, off, s[0:3], 0 offset:200
	buffer_load_dword v150, off, s[0:3], 0 offset:212
	buffer_load_dword v148, off, s[0:3], 0 offset:220
	buffer_load_dword v146, off, s[0:3], 0 offset:228
	s_waitcnt vmcnt(34)
	v_fma_f64 v[107:108], v[117:118], v[109:110], v[107:108]
	s_waitcnt vmcnt(32) lgkmcnt(0)
	v_fma_f64 v[107:108], v[119:120], v[111:112], v[107:108]
	s_waitcnt vmcnt(30)
	v_fma_f64 v[117:118], v[121:122], v[113:114], v[107:108]
	ds_read_b128 v[107:110], v106 offset:528
	ds_read_b128 v[111:114], v106 offset:544
	s_waitcnt vmcnt(28) lgkmcnt(1)
	v_fma_f64 v[107:108], v[123:124], v[107:108], v[117:118]
	s_clause 0x7
	buffer_load_dword v118, off, s[0:3], 0 offset:236
	buffer_load_dword v119, off, s[0:3], 0 offset:256
	buffer_load_dword v121, off, s[0:3], 0 offset:248
	buffer_load_dword v123, off, s[0:3], 0 offset:240
	buffer_load_dword v117, off, s[0:3], 0 offset:232
	buffer_load_dword v124, off, s[0:3], 0 offset:244
	buffer_load_dword v122, off, s[0:3], 0 offset:252
	buffer_load_dword v120, off, s[0:3], 0 offset:260
	s_waitcnt vmcnt(34)
	v_fma_f64 v[107:108], v[125:126], v[109:110], v[107:108]
	s_waitcnt vmcnt(32) lgkmcnt(0)
	v_fma_f64 v[107:108], v[127:128], v[111:112], v[107:108]
	s_waitcnt vmcnt(27)
	v_fma_f64 v[125:126], v[129:130], v[113:114], v[107:108]
	ds_read_b128 v[107:110], v106 offset:560
	ds_read_b128 v[111:114], v106 offset:576
	;; [unrolled: 19-line block ×6, first 2 shown]
	s_waitcnt vmcnt(26) lgkmcnt(1)
	v_fma_f64 v[107:108], v[135:136], v[107:108], v[119:120]
	s_clause 0x5
	buffer_load_dword v120, off, s[0:3], 0 offset:396
	buffer_load_dword v121, off, s[0:3], 0 offset:408
	;; [unrolled: 1-line block ×6, first 2 shown]
	s_waitcnt vmcnt(31)
	v_fma_f64 v[107:108], v[129:130], v[109:110], v[107:108]
	s_waitcnt vmcnt(30) lgkmcnt(0)
	v_fma_f64 v[107:108], v[127:128], v[111:112], v[107:108]
	s_waitcnt vmcnt(25)
	v_fma_f64 v[127:128], v[131:132], v[113:114], v[107:108]
	ds_read_b128 v[107:110], v106 offset:720
	s_clause 0x1
	buffer_load_dword v129, off, s[0:3], 0 offset:72
	buffer_load_dword v130, off, s[0:3], 0 offset:76
	ds_read_b128 v[111:114], v106 offset:736
	s_waitcnt vmcnt(26) lgkmcnt(1)
	v_fma_f64 v[107:108], v[143:144], v[107:108], v[127:128]
	s_waitcnt vmcnt(25)
	v_fma_f64 v[107:108], v[137:138], v[109:110], v[107:108]
	s_waitcnt vmcnt(24) lgkmcnt(0)
	v_fma_f64 v[107:108], v[133:134], v[111:112], v[107:108]
	s_waitcnt vmcnt(19)
	v_fma_f64 v[115:116], v[115:116], v[113:114], v[107:108]
	ds_read_b128 v[107:110], v106 offset:752
	ds_read_b128 v[111:114], v106 offset:768
	s_waitcnt vmcnt(18) lgkmcnt(1)
	v_fma_f64 v[107:108], v[149:150], v[107:108], v[115:116]
	s_waitcnt vmcnt(17)
	v_fma_f64 v[107:108], v[141:142], v[109:110], v[107:108]
	s_waitcnt vmcnt(16) lgkmcnt(0)
	v_fma_f64 v[107:108], v[139:140], v[111:112], v[107:108]
	s_waitcnt vmcnt(11)
	v_fma_f64 v[115:116], v[117:118], v[113:114], v[107:108]
	ds_read_b128 v[107:110], v106 offset:784
	;; [unrolled: 10-line block ×3, first 2 shown]
	s_waitcnt vmcnt(3) lgkmcnt(0)
	v_fma_f64 v[106:107], v[125:126], v[106:107], v[110:111]
	s_waitcnt vmcnt(2)
	v_fma_f64 v[106:107], v[121:122], v[108:109], v[106:107]
	s_waitcnt vmcnt(0)
	v_add_f64 v[106:107], v[129:130], -v[106:107]
	buffer_store_dword v107, off, s[0:3], 0 offset:76
	buffer_store_dword v106, off, s[0:3], 0 offset:72
	v_cmpx_lt_u32_e32 8, v0
	s_cbranch_execz .LBB51_305
; %bb.304:
	s_clause 0x1
	buffer_load_dword v106, off, s[0:3], 0 offset:64
	buffer_load_dword v107, off, s[0:3], 0 offset:68
	v_mov_b32_e32 v108, 0
	buffer_store_dword v108, off, s[0:3], 0 offset:64
	buffer_store_dword v108, off, s[0:3], 0 offset:68
	s_waitcnt vmcnt(0)
	ds_write_b64 v105, v[106:107]
.LBB51_305:
	s_or_b32 exec_lo, exec_lo, s4
	s_waitcnt lgkmcnt(0)
	s_waitcnt_vscnt null, 0x0
	s_barrier
	buffer_gl0_inv
	s_clause 0x1c
	buffer_load_dword v115, off, s[0:3], 0 offset:72
	buffer_load_dword v116, off, s[0:3], 0 offset:76
	buffer_load_dword v117, off, s[0:3], 0 offset:80
	buffer_load_dword v118, off, s[0:3], 0 offset:84
	buffer_load_dword v119, off, s[0:3], 0 offset:88
	buffer_load_dword v120, off, s[0:3], 0 offset:92
	buffer_load_dword v121, off, s[0:3], 0 offset:96
	buffer_load_dword v122, off, s[0:3], 0 offset:100
	buffer_load_dword v123, off, s[0:3], 0 offset:104
	buffer_load_dword v124, off, s[0:3], 0 offset:108
	buffer_load_dword v125, off, s[0:3], 0 offset:112
	buffer_load_dword v126, off, s[0:3], 0 offset:116
	buffer_load_dword v127, off, s[0:3], 0 offset:120
	buffer_load_dword v128, off, s[0:3], 0 offset:124
	buffer_load_dword v130, off, s[0:3], 0 offset:132
	buffer_load_dword v131, off, s[0:3], 0 offset:152
	buffer_load_dword v133, off, s[0:3], 0 offset:144
	buffer_load_dword v135, off, s[0:3], 0 offset:136
	buffer_load_dword v129, off, s[0:3], 0 offset:128
	buffer_load_dword v136, off, s[0:3], 0 offset:140
	buffer_load_dword v134, off, s[0:3], 0 offset:148
	buffer_load_dword v132, off, s[0:3], 0 offset:156
	buffer_load_dword v138, off, s[0:3], 0 offset:164
	buffer_load_dword v139, off, s[0:3], 0 offset:184
	buffer_load_dword v141, off, s[0:3], 0 offset:176
	buffer_load_dword v143, off, s[0:3], 0 offset:168
	buffer_load_dword v137, off, s[0:3], 0 offset:160
	buffer_load_dword v144, off, s[0:3], 0 offset:172
	buffer_load_dword v142, off, s[0:3], 0 offset:180
	v_mov_b32_e32 v106, 0
	buffer_load_dword v140, off, s[0:3], 0 offset:188
	s_mov_b32 s4, exec_lo
	ds_read2_b64 v[107:110], v106 offset0:61 offset1:62
	ds_read2_b64 v[111:114], v106 offset0:63 offset1:64
	s_waitcnt vmcnt(28) lgkmcnt(1)
	v_fma_f64 v[107:108], v[115:116], v[107:108], 0
	s_clause 0x7
	buffer_load_dword v116, off, s[0:3], 0 offset:196
	buffer_load_dword v145, off, s[0:3], 0 offset:216
	buffer_load_dword v147, off, s[0:3], 0 offset:208
	buffer_load_dword v149, off, s[0:3], 0 offset:200
	buffer_load_dword v115, off, s[0:3], 0 offset:192
	buffer_load_dword v150, off, s[0:3], 0 offset:204
	buffer_load_dword v148, off, s[0:3], 0 offset:212
	buffer_load_dword v146, off, s[0:3], 0 offset:220
	s_waitcnt vmcnt(34)
	v_fma_f64 v[107:108], v[117:118], v[109:110], v[107:108]
	s_waitcnt vmcnt(32) lgkmcnt(0)
	v_fma_f64 v[107:108], v[119:120], v[111:112], v[107:108]
	s_waitcnt vmcnt(30)
	v_fma_f64 v[117:118], v[121:122], v[113:114], v[107:108]
	ds_read2_b64 v[107:110], v106 offset0:65 offset1:66
	ds_read2_b64 v[111:114], v106 offset0:67 offset1:68
	s_waitcnt vmcnt(28) lgkmcnt(1)
	v_fma_f64 v[107:108], v[123:124], v[107:108], v[117:118]
	s_clause 0x7
	buffer_load_dword v118, off, s[0:3], 0 offset:228
	buffer_load_dword v119, off, s[0:3], 0 offset:248
	buffer_load_dword v121, off, s[0:3], 0 offset:240
	buffer_load_dword v123, off, s[0:3], 0 offset:232
	buffer_load_dword v117, off, s[0:3], 0 offset:224
	buffer_load_dword v124, off, s[0:3], 0 offset:236
	buffer_load_dword v122, off, s[0:3], 0 offset:244
	buffer_load_dword v120, off, s[0:3], 0 offset:252
	s_waitcnt vmcnt(34)
	v_fma_f64 v[107:108], v[125:126], v[109:110], v[107:108]
	s_waitcnt vmcnt(32) lgkmcnt(0)
	v_fma_f64 v[107:108], v[127:128], v[111:112], v[107:108]
	s_waitcnt vmcnt(27)
	v_fma_f64 v[125:126], v[129:130], v[113:114], v[107:108]
	;; [unrolled: 19-line block ×7, first 2 shown]
	ds_read2_b64 v[107:110], v106 offset0:89 offset1:90
	ds_read2_b64 v[111:114], v106 offset0:91 offset1:92
	s_waitcnt vmcnt(26) lgkmcnt(1)
	v_fma_f64 v[107:108], v[143:144], v[107:108], v[127:128]
	s_clause 0x1
	buffer_load_dword v127, off, s[0:3], 0 offset:64
	buffer_load_dword v128, off, s[0:3], 0 offset:68
	s_waitcnt vmcnt(27)
	v_fma_f64 v[107:108], v[137:138], v[109:110], v[107:108]
	s_waitcnt vmcnt(26) lgkmcnt(0)
	v_fma_f64 v[107:108], v[133:134], v[111:112], v[107:108]
	s_waitcnt vmcnt(21)
	v_fma_f64 v[115:116], v[115:116], v[113:114], v[107:108]
	ds_read2_b64 v[107:110], v106 offset0:93 offset1:94
	ds_read2_b64 v[111:114], v106 offset0:95 offset1:96
	s_waitcnt vmcnt(20) lgkmcnt(1)
	v_fma_f64 v[107:108], v[149:150], v[107:108], v[115:116]
	s_waitcnt vmcnt(19)
	v_fma_f64 v[107:108], v[141:142], v[109:110], v[107:108]
	s_waitcnt vmcnt(18) lgkmcnt(0)
	v_fma_f64 v[107:108], v[139:140], v[111:112], v[107:108]
	s_waitcnt vmcnt(13)
	v_fma_f64 v[115:116], v[117:118], v[113:114], v[107:108]
	ds_read2_b64 v[107:110], v106 offset0:97 offset1:98
	ds_read2_b64 v[111:114], v106 offset0:99 offset1:100
	s_waitcnt vmcnt(12) lgkmcnt(1)
	v_fma_f64 v[107:108], v[147:148], v[107:108], v[115:116]
	s_waitcnt vmcnt(11)
	v_fma_f64 v[107:108], v[145:146], v[109:110], v[107:108]
	s_waitcnt vmcnt(10) lgkmcnt(0)
	v_fma_f64 v[107:108], v[123:124], v[111:112], v[107:108]
	s_waitcnt vmcnt(5)
	v_fma_f64 v[111:112], v[119:120], v[113:114], v[107:108]
	ds_read2_b64 v[107:110], v106 offset0:101 offset1:102
	ds_read_b64 v[113:114], v106 offset:824
	s_waitcnt vmcnt(4) lgkmcnt(1)
	v_fma_f64 v[107:108], v[135:136], v[107:108], v[111:112]
	s_waitcnt vmcnt(3)
	v_fma_f64 v[107:108], v[125:126], v[109:110], v[107:108]
	s_waitcnt vmcnt(2) lgkmcnt(0)
	v_fma_f64 v[107:108], v[121:122], v[113:114], v[107:108]
	s_waitcnt vmcnt(0)
	v_add_f64 v[107:108], v[127:128], -v[107:108]
	buffer_store_dword v108, off, s[0:3], 0 offset:68
	buffer_store_dword v107, off, s[0:3], 0 offset:64
	v_cmpx_lt_u32_e32 7, v0
	s_cbranch_execz .LBB51_307
; %bb.306:
	s_clause 0x1
	buffer_load_dword v107, off, s[0:3], 0 offset:56
	buffer_load_dword v108, off, s[0:3], 0 offset:60
	buffer_store_dword v106, off, s[0:3], 0 offset:56
	buffer_store_dword v106, off, s[0:3], 0 offset:60
	s_waitcnt vmcnt(0)
	ds_write_b64 v105, v[107:108]
.LBB51_307:
	s_or_b32 exec_lo, exec_lo, s4
	s_waitcnt lgkmcnt(0)
	s_waitcnt_vscnt null, 0x0
	s_barrier
	buffer_gl0_inv
	s_clause 0x1c
	buffer_load_dword v115, off, s[0:3], 0 offset:64
	buffer_load_dword v116, off, s[0:3], 0 offset:68
	buffer_load_dword v117, off, s[0:3], 0 offset:72
	buffer_load_dword v118, off, s[0:3], 0 offset:76
	buffer_load_dword v119, off, s[0:3], 0 offset:80
	buffer_load_dword v120, off, s[0:3], 0 offset:84
	buffer_load_dword v121, off, s[0:3], 0 offset:88
	buffer_load_dword v122, off, s[0:3], 0 offset:92
	buffer_load_dword v123, off, s[0:3], 0 offset:96
	buffer_load_dword v124, off, s[0:3], 0 offset:100
	buffer_load_dword v125, off, s[0:3], 0 offset:104
	buffer_load_dword v126, off, s[0:3], 0 offset:108
	buffer_load_dword v127, off, s[0:3], 0 offset:112
	buffer_load_dword v128, off, s[0:3], 0 offset:116
	buffer_load_dword v130, off, s[0:3], 0 offset:124
	buffer_load_dword v131, off, s[0:3], 0 offset:144
	buffer_load_dword v133, off, s[0:3], 0 offset:136
	buffer_load_dword v135, off, s[0:3], 0 offset:128
	buffer_load_dword v129, off, s[0:3], 0 offset:120
	buffer_load_dword v136, off, s[0:3], 0 offset:132
	buffer_load_dword v134, off, s[0:3], 0 offset:140
	buffer_load_dword v132, off, s[0:3], 0 offset:148
	buffer_load_dword v138, off, s[0:3], 0 offset:156
	buffer_load_dword v139, off, s[0:3], 0 offset:176
	buffer_load_dword v141, off, s[0:3], 0 offset:168
	buffer_load_dword v143, off, s[0:3], 0 offset:160
	buffer_load_dword v137, off, s[0:3], 0 offset:152
	buffer_load_dword v144, off, s[0:3], 0 offset:164
	buffer_load_dword v142, off, s[0:3], 0 offset:172
	ds_read_b128 v[107:110], v106 offset:480
	ds_read_b128 v[111:114], v106 offset:496
	buffer_load_dword v140, off, s[0:3], 0 offset:180
	s_mov_b32 s4, exec_lo
	s_waitcnt vmcnt(28) lgkmcnt(1)
	v_fma_f64 v[107:108], v[115:116], v[107:108], 0
	s_clause 0x7
	buffer_load_dword v116, off, s[0:3], 0 offset:188
	buffer_load_dword v145, off, s[0:3], 0 offset:208
	buffer_load_dword v147, off, s[0:3], 0 offset:200
	buffer_load_dword v149, off, s[0:3], 0 offset:192
	buffer_load_dword v115, off, s[0:3], 0 offset:184
	buffer_load_dword v150, off, s[0:3], 0 offset:196
	buffer_load_dword v148, off, s[0:3], 0 offset:204
	buffer_load_dword v146, off, s[0:3], 0 offset:212
	s_waitcnt vmcnt(34)
	v_fma_f64 v[107:108], v[117:118], v[109:110], v[107:108]
	s_waitcnt vmcnt(32) lgkmcnt(0)
	v_fma_f64 v[107:108], v[119:120], v[111:112], v[107:108]
	s_waitcnt vmcnt(30)
	v_fma_f64 v[117:118], v[121:122], v[113:114], v[107:108]
	ds_read_b128 v[107:110], v106 offset:512
	ds_read_b128 v[111:114], v106 offset:528
	s_waitcnt vmcnt(28) lgkmcnt(1)
	v_fma_f64 v[107:108], v[123:124], v[107:108], v[117:118]
	s_clause 0x7
	buffer_load_dword v118, off, s[0:3], 0 offset:220
	buffer_load_dword v119, off, s[0:3], 0 offset:240
	buffer_load_dword v121, off, s[0:3], 0 offset:232
	buffer_load_dword v123, off, s[0:3], 0 offset:224
	buffer_load_dword v117, off, s[0:3], 0 offset:216
	buffer_load_dword v124, off, s[0:3], 0 offset:228
	buffer_load_dword v122, off, s[0:3], 0 offset:236
	buffer_load_dword v120, off, s[0:3], 0 offset:244
	s_waitcnt vmcnt(34)
	v_fma_f64 v[107:108], v[125:126], v[109:110], v[107:108]
	s_waitcnt vmcnt(32) lgkmcnt(0)
	v_fma_f64 v[107:108], v[127:128], v[111:112], v[107:108]
	s_waitcnt vmcnt(27)
	v_fma_f64 v[125:126], v[129:130], v[113:114], v[107:108]
	ds_read_b128 v[107:110], v106 offset:544
	ds_read_b128 v[111:114], v106 offset:560
	;; [unrolled: 19-line block ×7, first 2 shown]
	s_waitcnt vmcnt(26) lgkmcnt(1)
	v_fma_f64 v[107:108], v[143:144], v[107:108], v[127:128]
	s_clause 0x3
	buffer_load_dword v128, off, s[0:3], 0 offset:412
	buffer_load_dword v127, off, s[0:3], 0 offset:408
	;; [unrolled: 1-line block ×4, first 2 shown]
	s_waitcnt vmcnt(29)
	v_fma_f64 v[107:108], v[137:138], v[109:110], v[107:108]
	s_waitcnt vmcnt(28) lgkmcnt(0)
	v_fma_f64 v[107:108], v[133:134], v[111:112], v[107:108]
	s_waitcnt vmcnt(23)
	v_fma_f64 v[115:116], v[115:116], v[113:114], v[107:108]
	ds_read_b128 v[107:110], v106 offset:736
	ds_read_b128 v[111:114], v106 offset:752
	s_waitcnt vmcnt(22) lgkmcnt(1)
	v_fma_f64 v[107:108], v[149:150], v[107:108], v[115:116]
	s_waitcnt vmcnt(21)
	v_fma_f64 v[107:108], v[141:142], v[109:110], v[107:108]
	s_waitcnt vmcnt(20) lgkmcnt(0)
	v_fma_f64 v[107:108], v[139:140], v[111:112], v[107:108]
	s_waitcnt vmcnt(15)
	v_fma_f64 v[115:116], v[117:118], v[113:114], v[107:108]
	ds_read_b128 v[107:110], v106 offset:768
	ds_read_b128 v[111:114], v106 offset:784
	s_waitcnt vmcnt(14) lgkmcnt(1)
	v_fma_f64 v[107:108], v[147:148], v[107:108], v[115:116]
	;; [unrolled: 10-line block ×3, first 2 shown]
	s_waitcnt vmcnt(5)
	v_fma_f64 v[106:107], v[125:126], v[109:110], v[106:107]
	s_waitcnt vmcnt(4) lgkmcnt(0)
	v_fma_f64 v[106:107], v[121:122], v[111:112], v[106:107]
	s_waitcnt vmcnt(2)
	v_fma_f64 v[106:107], v[127:128], v[113:114], v[106:107]
	s_waitcnt vmcnt(0)
	v_add_f64 v[106:107], v[129:130], -v[106:107]
	buffer_store_dword v107, off, s[0:3], 0 offset:60
	buffer_store_dword v106, off, s[0:3], 0 offset:56
	v_cmpx_lt_u32_e32 6, v0
	s_cbranch_execz .LBB51_309
; %bb.308:
	s_clause 0x1
	buffer_load_dword v106, off, s[0:3], 0 offset:48
	buffer_load_dword v107, off, s[0:3], 0 offset:52
	v_mov_b32_e32 v108, 0
	buffer_store_dword v108, off, s[0:3], 0 offset:48
	buffer_store_dword v108, off, s[0:3], 0 offset:52
	s_waitcnt vmcnt(0)
	ds_write_b64 v105, v[106:107]
.LBB51_309:
	s_or_b32 exec_lo, exec_lo, s4
	s_waitcnt lgkmcnt(0)
	s_waitcnt_vscnt null, 0x0
	s_barrier
	buffer_gl0_inv
	s_clause 0x1c
	buffer_load_dword v115, off, s[0:3], 0 offset:56
	buffer_load_dword v116, off, s[0:3], 0 offset:60
	;; [unrolled: 1-line block ×29, first 2 shown]
	v_mov_b32_e32 v106, 0
	buffer_load_dword v140, off, s[0:3], 0 offset:172
	s_mov_b32 s4, exec_lo
	ds_read2_b64 v[107:110], v106 offset0:59 offset1:60
	ds_read2_b64 v[111:114], v106 offset0:61 offset1:62
	s_waitcnt vmcnt(28) lgkmcnt(1)
	v_fma_f64 v[107:108], v[115:116], v[107:108], 0
	s_clause 0x7
	buffer_load_dword v116, off, s[0:3], 0 offset:180
	buffer_load_dword v145, off, s[0:3], 0 offset:200
	buffer_load_dword v147, off, s[0:3], 0 offset:192
	buffer_load_dword v149, off, s[0:3], 0 offset:184
	buffer_load_dword v115, off, s[0:3], 0 offset:176
	buffer_load_dword v150, off, s[0:3], 0 offset:188
	buffer_load_dword v148, off, s[0:3], 0 offset:196
	buffer_load_dword v146, off, s[0:3], 0 offset:204
	s_waitcnt vmcnt(34)
	v_fma_f64 v[107:108], v[117:118], v[109:110], v[107:108]
	s_waitcnt vmcnt(32) lgkmcnt(0)
	v_fma_f64 v[107:108], v[119:120], v[111:112], v[107:108]
	s_waitcnt vmcnt(30)
	v_fma_f64 v[117:118], v[121:122], v[113:114], v[107:108]
	ds_read2_b64 v[107:110], v106 offset0:63 offset1:64
	ds_read2_b64 v[111:114], v106 offset0:65 offset1:66
	s_waitcnt vmcnt(28) lgkmcnt(1)
	v_fma_f64 v[107:108], v[123:124], v[107:108], v[117:118]
	s_clause 0x7
	buffer_load_dword v118, off, s[0:3], 0 offset:212
	buffer_load_dword v119, off, s[0:3], 0 offset:232
	buffer_load_dword v121, off, s[0:3], 0 offset:224
	buffer_load_dword v123, off, s[0:3], 0 offset:216
	buffer_load_dword v117, off, s[0:3], 0 offset:208
	buffer_load_dword v124, off, s[0:3], 0 offset:220
	buffer_load_dword v122, off, s[0:3], 0 offset:228
	buffer_load_dword v120, off, s[0:3], 0 offset:236
	s_waitcnt vmcnt(34)
	v_fma_f64 v[107:108], v[125:126], v[109:110], v[107:108]
	s_waitcnt vmcnt(32) lgkmcnt(0)
	v_fma_f64 v[107:108], v[127:128], v[111:112], v[107:108]
	s_waitcnt vmcnt(27)
	v_fma_f64 v[125:126], v[129:130], v[113:114], v[107:108]
	;; [unrolled: 19-line block ×7, first 2 shown]
	ds_read2_b64 v[107:110], v106 offset0:87 offset1:88
	ds_read2_b64 v[111:114], v106 offset0:89 offset1:90
	s_waitcnt vmcnt(26) lgkmcnt(1)
	v_fma_f64 v[107:108], v[143:144], v[107:108], v[127:128]
	s_clause 0x5
	buffer_load_dword v128, off, s[0:3], 0 offset:404
	buffer_load_dword v129, off, s[0:3], 0 offset:408
	;; [unrolled: 1-line block ×6, first 2 shown]
	s_waitcnt vmcnt(31)
	v_fma_f64 v[107:108], v[137:138], v[109:110], v[107:108]
	s_waitcnt vmcnt(30) lgkmcnt(0)
	v_fma_f64 v[107:108], v[133:134], v[111:112], v[107:108]
	s_waitcnt vmcnt(25)
	v_fma_f64 v[115:116], v[115:116], v[113:114], v[107:108]
	ds_read2_b64 v[107:110], v106 offset0:91 offset1:92
	ds_read2_b64 v[111:114], v106 offset0:93 offset1:94
	s_waitcnt vmcnt(24) lgkmcnt(1)
	v_fma_f64 v[107:108], v[149:150], v[107:108], v[115:116]
	s_waitcnt vmcnt(23)
	v_fma_f64 v[107:108], v[141:142], v[109:110], v[107:108]
	s_waitcnt vmcnt(22) lgkmcnt(0)
	v_fma_f64 v[107:108], v[139:140], v[111:112], v[107:108]
	s_waitcnt vmcnt(17)
	v_fma_f64 v[115:116], v[117:118], v[113:114], v[107:108]
	ds_read2_b64 v[107:110], v106 offset0:95 offset1:96
	ds_read2_b64 v[111:114], v106 offset0:97 offset1:98
	s_waitcnt vmcnt(16) lgkmcnt(1)
	v_fma_f64 v[107:108], v[147:148], v[107:108], v[115:116]
	;; [unrolled: 10-line block ×3, first 2 shown]
	s_waitcnt vmcnt(7)
	v_fma_f64 v[107:108], v[125:126], v[109:110], v[107:108]
	ds_read_b64 v[109:110], v106 offset:824
	s_waitcnt vmcnt(6) lgkmcnt(1)
	v_fma_f64 v[107:108], v[121:122], v[111:112], v[107:108]
	s_waitcnt vmcnt(3)
	v_fma_f64 v[107:108], v[127:128], v[113:114], v[107:108]
	s_waitcnt vmcnt(2) lgkmcnt(0)
	v_fma_f64 v[107:108], v[129:130], v[109:110], v[107:108]
	s_waitcnt vmcnt(0)
	v_add_f64 v[107:108], v[131:132], -v[107:108]
	buffer_store_dword v108, off, s[0:3], 0 offset:52
	buffer_store_dword v107, off, s[0:3], 0 offset:48
	v_cmpx_lt_u32_e32 5, v0
	s_cbranch_execz .LBB51_311
; %bb.310:
	s_clause 0x1
	buffer_load_dword v107, off, s[0:3], 0 offset:40
	buffer_load_dword v108, off, s[0:3], 0 offset:44
	buffer_store_dword v106, off, s[0:3], 0 offset:40
	buffer_store_dword v106, off, s[0:3], 0 offset:44
	s_waitcnt vmcnt(0)
	ds_write_b64 v105, v[107:108]
.LBB51_311:
	s_or_b32 exec_lo, exec_lo, s4
	s_waitcnt lgkmcnt(0)
	s_waitcnt_vscnt null, 0x0
	s_barrier
	buffer_gl0_inv
	s_clause 0x1c
	buffer_load_dword v115, off, s[0:3], 0 offset:48
	buffer_load_dword v116, off, s[0:3], 0 offset:52
	;; [unrolled: 1-line block ×29, first 2 shown]
	ds_read_b128 v[107:110], v106 offset:464
	ds_read_b128 v[111:114], v106 offset:480
	buffer_load_dword v140, off, s[0:3], 0 offset:164
	s_mov_b32 s4, exec_lo
	s_waitcnt vmcnt(28) lgkmcnt(1)
	v_fma_f64 v[107:108], v[115:116], v[107:108], 0
	s_clause 0x7
	buffer_load_dword v116, off, s[0:3], 0 offset:172
	buffer_load_dword v145, off, s[0:3], 0 offset:192
	buffer_load_dword v147, off, s[0:3], 0 offset:184
	buffer_load_dword v149, off, s[0:3], 0 offset:176
	buffer_load_dword v115, off, s[0:3], 0 offset:168
	buffer_load_dword v150, off, s[0:3], 0 offset:180
	buffer_load_dword v148, off, s[0:3], 0 offset:188
	buffer_load_dword v146, off, s[0:3], 0 offset:196
	s_waitcnt vmcnt(34)
	v_fma_f64 v[107:108], v[117:118], v[109:110], v[107:108]
	s_waitcnt vmcnt(32) lgkmcnt(0)
	v_fma_f64 v[107:108], v[119:120], v[111:112], v[107:108]
	s_waitcnt vmcnt(30)
	v_fma_f64 v[117:118], v[121:122], v[113:114], v[107:108]
	ds_read_b128 v[107:110], v106 offset:496
	ds_read_b128 v[111:114], v106 offset:512
	s_waitcnt vmcnt(28) lgkmcnt(1)
	v_fma_f64 v[107:108], v[123:124], v[107:108], v[117:118]
	s_clause 0x7
	buffer_load_dword v118, off, s[0:3], 0 offset:204
	buffer_load_dword v119, off, s[0:3], 0 offset:224
	buffer_load_dword v121, off, s[0:3], 0 offset:216
	buffer_load_dword v123, off, s[0:3], 0 offset:208
	buffer_load_dword v117, off, s[0:3], 0 offset:200
	buffer_load_dword v124, off, s[0:3], 0 offset:212
	buffer_load_dword v122, off, s[0:3], 0 offset:220
	buffer_load_dword v120, off, s[0:3], 0 offset:228
	s_waitcnt vmcnt(34)
	v_fma_f64 v[107:108], v[125:126], v[109:110], v[107:108]
	s_waitcnt vmcnt(32) lgkmcnt(0)
	v_fma_f64 v[107:108], v[127:128], v[111:112], v[107:108]
	s_waitcnt vmcnt(27)
	v_fma_f64 v[125:126], v[129:130], v[113:114], v[107:108]
	ds_read_b128 v[107:110], v106 offset:528
	ds_read_b128 v[111:114], v106 offset:544
	;; [unrolled: 19-line block ×7, first 2 shown]
	s_waitcnt vmcnt(26) lgkmcnt(1)
	v_fma_f64 v[107:108], v[143:144], v[107:108], v[127:128]
	s_clause 0x5
	buffer_load_dword v128, off, s[0:3], 0 offset:396
	buffer_load_dword v129, off, s[0:3], 0 offset:408
	;; [unrolled: 1-line block ×6, first 2 shown]
	s_waitcnt vmcnt(31)
	v_fma_f64 v[107:108], v[137:138], v[109:110], v[107:108]
	s_waitcnt vmcnt(30) lgkmcnt(0)
	v_fma_f64 v[107:108], v[133:134], v[111:112], v[107:108]
	s_waitcnt vmcnt(25)
	v_fma_f64 v[115:116], v[115:116], v[113:114], v[107:108]
	ds_read_b128 v[107:110], v106 offset:720
	s_clause 0x1
	buffer_load_dword v133, off, s[0:3], 0 offset:40
	buffer_load_dword v134, off, s[0:3], 0 offset:44
	ds_read_b128 v[111:114], v106 offset:736
	s_waitcnt vmcnt(26) lgkmcnt(1)
	v_fma_f64 v[107:108], v[149:150], v[107:108], v[115:116]
	s_waitcnt vmcnt(25)
	v_fma_f64 v[107:108], v[141:142], v[109:110], v[107:108]
	s_waitcnt vmcnt(24) lgkmcnt(0)
	v_fma_f64 v[107:108], v[139:140], v[111:112], v[107:108]
	s_waitcnt vmcnt(19)
	v_fma_f64 v[115:116], v[117:118], v[113:114], v[107:108]
	ds_read_b128 v[107:110], v106 offset:752
	ds_read_b128 v[111:114], v106 offset:768
	s_waitcnt vmcnt(18) lgkmcnt(1)
	v_fma_f64 v[107:108], v[147:148], v[107:108], v[115:116]
	s_waitcnt vmcnt(17)
	v_fma_f64 v[107:108], v[145:146], v[109:110], v[107:108]
	s_waitcnt vmcnt(16) lgkmcnt(0)
	v_fma_f64 v[107:108], v[123:124], v[111:112], v[107:108]
	s_waitcnt vmcnt(11)
	v_fma_f64 v[115:116], v[119:120], v[113:114], v[107:108]
	ds_read_b128 v[107:110], v106 offset:784
	ds_read_b128 v[111:114], v106 offset:800
	s_waitcnt vmcnt(10) lgkmcnt(1)
	v_fma_f64 v[107:108], v[135:136], v[107:108], v[115:116]
	s_waitcnt vmcnt(9)
	v_fma_f64 v[107:108], v[125:126], v[109:110], v[107:108]
	s_waitcnt vmcnt(8) lgkmcnt(0)
	v_fma_f64 v[107:108], v[121:122], v[111:112], v[107:108]
	s_waitcnt vmcnt(4)
	v_fma_f64 v[110:111], v[127:128], v[113:114], v[107:108]
	ds_read_b128 v[106:109], v106 offset:816
	s_waitcnt vmcnt(3) lgkmcnt(0)
	v_fma_f64 v[106:107], v[131:132], v[106:107], v[110:111]
	s_waitcnt vmcnt(2)
	v_fma_f64 v[106:107], v[129:130], v[108:109], v[106:107]
	s_waitcnt vmcnt(0)
	v_add_f64 v[106:107], v[133:134], -v[106:107]
	buffer_store_dword v107, off, s[0:3], 0 offset:44
	buffer_store_dword v106, off, s[0:3], 0 offset:40
	v_cmpx_lt_u32_e32 4, v0
	s_cbranch_execz .LBB51_313
; %bb.312:
	s_clause 0x1
	buffer_load_dword v106, off, s[0:3], 0 offset:32
	buffer_load_dword v107, off, s[0:3], 0 offset:36
	v_mov_b32_e32 v108, 0
	buffer_store_dword v108, off, s[0:3], 0 offset:32
	buffer_store_dword v108, off, s[0:3], 0 offset:36
	s_waitcnt vmcnt(0)
	ds_write_b64 v105, v[106:107]
.LBB51_313:
	s_or_b32 exec_lo, exec_lo, s4
	s_waitcnt lgkmcnt(0)
	s_waitcnt_vscnt null, 0x0
	s_barrier
	buffer_gl0_inv
	s_clause 0x1c
	buffer_load_dword v115, off, s[0:3], 0 offset:40
	buffer_load_dword v116, off, s[0:3], 0 offset:44
	;; [unrolled: 1-line block ×29, first 2 shown]
	v_mov_b32_e32 v106, 0
	buffer_load_dword v140, off, s[0:3], 0 offset:156
	s_mov_b32 s4, exec_lo
	ds_read2_b64 v[107:110], v106 offset0:57 offset1:58
	ds_read2_b64 v[111:114], v106 offset0:59 offset1:60
	s_waitcnt vmcnt(28) lgkmcnt(1)
	v_fma_f64 v[107:108], v[115:116], v[107:108], 0
	s_clause 0x7
	buffer_load_dword v116, off, s[0:3], 0 offset:164
	buffer_load_dword v145, off, s[0:3], 0 offset:184
	buffer_load_dword v147, off, s[0:3], 0 offset:176
	buffer_load_dword v149, off, s[0:3], 0 offset:168
	buffer_load_dword v115, off, s[0:3], 0 offset:160
	buffer_load_dword v150, off, s[0:3], 0 offset:172
	buffer_load_dword v148, off, s[0:3], 0 offset:180
	buffer_load_dword v146, off, s[0:3], 0 offset:188
	s_waitcnt vmcnt(34)
	v_fma_f64 v[107:108], v[117:118], v[109:110], v[107:108]
	s_waitcnt vmcnt(32) lgkmcnt(0)
	v_fma_f64 v[107:108], v[119:120], v[111:112], v[107:108]
	s_waitcnt vmcnt(30)
	v_fma_f64 v[117:118], v[121:122], v[113:114], v[107:108]
	ds_read2_b64 v[107:110], v106 offset0:61 offset1:62
	ds_read2_b64 v[111:114], v106 offset0:63 offset1:64
	s_waitcnt vmcnt(28) lgkmcnt(1)
	v_fma_f64 v[107:108], v[123:124], v[107:108], v[117:118]
	s_clause 0x7
	buffer_load_dword v118, off, s[0:3], 0 offset:196
	buffer_load_dword v119, off, s[0:3], 0 offset:216
	buffer_load_dword v121, off, s[0:3], 0 offset:208
	buffer_load_dword v123, off, s[0:3], 0 offset:200
	buffer_load_dword v117, off, s[0:3], 0 offset:192
	buffer_load_dword v124, off, s[0:3], 0 offset:204
	buffer_load_dword v122, off, s[0:3], 0 offset:212
	buffer_load_dword v120, off, s[0:3], 0 offset:220
	s_waitcnt vmcnt(34)
	v_fma_f64 v[107:108], v[125:126], v[109:110], v[107:108]
	s_waitcnt vmcnt(32) lgkmcnt(0)
	v_fma_f64 v[107:108], v[127:128], v[111:112], v[107:108]
	s_waitcnt vmcnt(27)
	v_fma_f64 v[125:126], v[129:130], v[113:114], v[107:108]
	;; [unrolled: 19-line block ×8, first 2 shown]
	ds_read2_b64 v[107:110], v106 offset0:89 offset1:90
	ds_read2_b64 v[111:114], v106 offset0:91 offset1:92
	s_waitcnt vmcnt(26) lgkmcnt(1)
	v_fma_f64 v[107:108], v[149:150], v[107:108], v[115:116]
	s_clause 0x1
	buffer_load_dword v115, off, s[0:3], 0 offset:32
	buffer_load_dword v116, off, s[0:3], 0 offset:36
	s_waitcnt vmcnt(27)
	v_fma_f64 v[107:108], v[141:142], v[109:110], v[107:108]
	s_waitcnt vmcnt(26) lgkmcnt(0)
	v_fma_f64 v[107:108], v[139:140], v[111:112], v[107:108]
	s_waitcnt vmcnt(21)
	v_fma_f64 v[117:118], v[117:118], v[113:114], v[107:108]
	ds_read2_b64 v[107:110], v106 offset0:93 offset1:94
	ds_read2_b64 v[111:114], v106 offset0:95 offset1:96
	s_waitcnt vmcnt(20) lgkmcnt(1)
	v_fma_f64 v[107:108], v[147:148], v[107:108], v[117:118]
	s_waitcnt vmcnt(19)
	v_fma_f64 v[107:108], v[145:146], v[109:110], v[107:108]
	s_waitcnt vmcnt(18) lgkmcnt(0)
	v_fma_f64 v[107:108], v[123:124], v[111:112], v[107:108]
	s_waitcnt vmcnt(13)
	v_fma_f64 v[117:118], v[119:120], v[113:114], v[107:108]
	ds_read2_b64 v[107:110], v106 offset0:97 offset1:98
	ds_read2_b64 v[111:114], v106 offset0:99 offset1:100
	s_waitcnt vmcnt(12) lgkmcnt(1)
	v_fma_f64 v[107:108], v[135:136], v[107:108], v[117:118]
	s_waitcnt vmcnt(11)
	v_fma_f64 v[107:108], v[125:126], v[109:110], v[107:108]
	s_waitcnt vmcnt(10) lgkmcnt(0)
	v_fma_f64 v[107:108], v[121:122], v[111:112], v[107:108]
	s_waitcnt vmcnt(5)
	v_fma_f64 v[111:112], v[127:128], v[113:114], v[107:108]
	ds_read2_b64 v[107:110], v106 offset0:101 offset1:102
	ds_read_b64 v[113:114], v106 offset:824
	s_waitcnt vmcnt(4) lgkmcnt(1)
	v_fma_f64 v[107:108], v[143:144], v[107:108], v[111:112]
	s_waitcnt vmcnt(3)
	v_fma_f64 v[107:108], v[131:132], v[109:110], v[107:108]
	s_waitcnt vmcnt(2) lgkmcnt(0)
	v_fma_f64 v[107:108], v[129:130], v[113:114], v[107:108]
	s_waitcnt vmcnt(0)
	v_add_f64 v[107:108], v[115:116], -v[107:108]
	buffer_store_dword v108, off, s[0:3], 0 offset:36
	buffer_store_dword v107, off, s[0:3], 0 offset:32
	v_cmpx_lt_u32_e32 3, v0
	s_cbranch_execz .LBB51_315
; %bb.314:
	s_clause 0x1
	buffer_load_dword v107, off, s[0:3], 0 offset:24
	buffer_load_dword v108, off, s[0:3], 0 offset:28
	buffer_store_dword v106, off, s[0:3], 0 offset:24
	buffer_store_dword v106, off, s[0:3], 0 offset:28
	s_waitcnt vmcnt(0)
	ds_write_b64 v105, v[107:108]
.LBB51_315:
	s_or_b32 exec_lo, exec_lo, s4
	s_waitcnt lgkmcnt(0)
	s_waitcnt_vscnt null, 0x0
	s_barrier
	buffer_gl0_inv
	s_clause 0x1c
	buffer_load_dword v115, off, s[0:3], 0 offset:32
	buffer_load_dword v116, off, s[0:3], 0 offset:36
	;; [unrolled: 1-line block ×29, first 2 shown]
	ds_read_b128 v[107:110], v106 offset:448
	ds_read_b128 v[111:114], v106 offset:464
	buffer_load_dword v140, off, s[0:3], 0 offset:148
	s_mov_b32 s4, exec_lo
	s_waitcnt vmcnt(28) lgkmcnt(1)
	v_fma_f64 v[107:108], v[115:116], v[107:108], 0
	s_clause 0x7
	buffer_load_dword v116, off, s[0:3], 0 offset:156
	buffer_load_dword v145, off, s[0:3], 0 offset:176
	buffer_load_dword v147, off, s[0:3], 0 offset:168
	buffer_load_dword v149, off, s[0:3], 0 offset:160
	buffer_load_dword v115, off, s[0:3], 0 offset:152
	buffer_load_dword v150, off, s[0:3], 0 offset:164
	buffer_load_dword v148, off, s[0:3], 0 offset:172
	buffer_load_dword v146, off, s[0:3], 0 offset:180
	s_waitcnt vmcnt(34)
	v_fma_f64 v[107:108], v[117:118], v[109:110], v[107:108]
	s_waitcnt vmcnt(32) lgkmcnt(0)
	v_fma_f64 v[107:108], v[119:120], v[111:112], v[107:108]
	s_waitcnt vmcnt(30)
	v_fma_f64 v[117:118], v[121:122], v[113:114], v[107:108]
	ds_read_b128 v[107:110], v106 offset:480
	ds_read_b128 v[111:114], v106 offset:496
	s_waitcnt vmcnt(28) lgkmcnt(1)
	v_fma_f64 v[107:108], v[123:124], v[107:108], v[117:118]
	s_clause 0x7
	buffer_load_dword v118, off, s[0:3], 0 offset:188
	buffer_load_dword v119, off, s[0:3], 0 offset:208
	buffer_load_dword v121, off, s[0:3], 0 offset:200
	buffer_load_dword v123, off, s[0:3], 0 offset:192
	buffer_load_dword v117, off, s[0:3], 0 offset:184
	buffer_load_dword v124, off, s[0:3], 0 offset:196
	buffer_load_dword v122, off, s[0:3], 0 offset:204
	buffer_load_dword v120, off, s[0:3], 0 offset:212
	s_waitcnt vmcnt(34)
	v_fma_f64 v[107:108], v[125:126], v[109:110], v[107:108]
	s_waitcnt vmcnt(32) lgkmcnt(0)
	v_fma_f64 v[107:108], v[127:128], v[111:112], v[107:108]
	s_waitcnt vmcnt(27)
	v_fma_f64 v[125:126], v[129:130], v[113:114], v[107:108]
	ds_read_b128 v[107:110], v106 offset:512
	ds_read_b128 v[111:114], v106 offset:528
	;; [unrolled: 19-line block ×8, first 2 shown]
	s_waitcnt vmcnt(26) lgkmcnt(1)
	v_fma_f64 v[107:108], v[149:150], v[107:108], v[115:116]
	s_clause 0x3
	buffer_load_dword v116, off, s[0:3], 0 offset:412
	buffer_load_dword v115, off, s[0:3], 0 offset:408
	;; [unrolled: 1-line block ×4, first 2 shown]
	s_waitcnt vmcnt(29)
	v_fma_f64 v[107:108], v[141:142], v[109:110], v[107:108]
	s_waitcnt vmcnt(28) lgkmcnt(0)
	v_fma_f64 v[107:108], v[139:140], v[111:112], v[107:108]
	s_waitcnt vmcnt(23)
	v_fma_f64 v[117:118], v[117:118], v[113:114], v[107:108]
	ds_read_b128 v[107:110], v106 offset:736
	ds_read_b128 v[111:114], v106 offset:752
	s_waitcnt vmcnt(22) lgkmcnt(1)
	v_fma_f64 v[107:108], v[147:148], v[107:108], v[117:118]
	s_waitcnt vmcnt(21)
	v_fma_f64 v[107:108], v[145:146], v[109:110], v[107:108]
	s_waitcnt vmcnt(20) lgkmcnt(0)
	v_fma_f64 v[107:108], v[123:124], v[111:112], v[107:108]
	s_waitcnt vmcnt(15)
	v_fma_f64 v[117:118], v[119:120], v[113:114], v[107:108]
	ds_read_b128 v[107:110], v106 offset:768
	ds_read_b128 v[111:114], v106 offset:784
	s_waitcnt vmcnt(14) lgkmcnt(1)
	v_fma_f64 v[107:108], v[135:136], v[107:108], v[117:118]
	;; [unrolled: 10-line block ×3, first 2 shown]
	s_waitcnt vmcnt(5)
	v_fma_f64 v[106:107], v[131:132], v[109:110], v[106:107]
	s_waitcnt vmcnt(4) lgkmcnt(0)
	v_fma_f64 v[106:107], v[129:130], v[111:112], v[106:107]
	s_waitcnt vmcnt(2)
	v_fma_f64 v[106:107], v[115:116], v[113:114], v[106:107]
	s_waitcnt vmcnt(0)
	v_add_f64 v[106:107], v[133:134], -v[106:107]
	buffer_store_dword v107, off, s[0:3], 0 offset:28
	buffer_store_dword v106, off, s[0:3], 0 offset:24
	v_cmpx_lt_u32_e32 2, v0
	s_cbranch_execz .LBB51_317
; %bb.316:
	s_clause 0x1
	buffer_load_dword v106, off, s[0:3], 0 offset:16
	buffer_load_dword v107, off, s[0:3], 0 offset:20
	v_mov_b32_e32 v108, 0
	buffer_store_dword v108, off, s[0:3], 0 offset:16
	buffer_store_dword v108, off, s[0:3], 0 offset:20
	s_waitcnt vmcnt(0)
	ds_write_b64 v105, v[106:107]
.LBB51_317:
	s_or_b32 exec_lo, exec_lo, s4
	s_waitcnt lgkmcnt(0)
	s_waitcnt_vscnt null, 0x0
	s_barrier
	buffer_gl0_inv
	s_clause 0x1c
	buffer_load_dword v115, off, s[0:3], 0 offset:24
	buffer_load_dword v116, off, s[0:3], 0 offset:28
	;; [unrolled: 1-line block ×29, first 2 shown]
	v_mov_b32_e32 v106, 0
	buffer_load_dword v140, off, s[0:3], 0 offset:140
	s_mov_b32 s4, exec_lo
	ds_read2_b64 v[107:110], v106 offset0:55 offset1:56
	ds_read2_b64 v[111:114], v106 offset0:57 offset1:58
	s_waitcnt vmcnt(28) lgkmcnt(1)
	v_fma_f64 v[107:108], v[115:116], v[107:108], 0
	s_clause 0x7
	buffer_load_dword v116, off, s[0:3], 0 offset:148
	buffer_load_dword v145, off, s[0:3], 0 offset:168
	buffer_load_dword v147, off, s[0:3], 0 offset:160
	buffer_load_dword v149, off, s[0:3], 0 offset:152
	buffer_load_dword v115, off, s[0:3], 0 offset:144
	buffer_load_dword v150, off, s[0:3], 0 offset:156
	buffer_load_dword v148, off, s[0:3], 0 offset:164
	buffer_load_dword v146, off, s[0:3], 0 offset:172
	s_waitcnt vmcnt(34)
	v_fma_f64 v[107:108], v[117:118], v[109:110], v[107:108]
	s_waitcnt vmcnt(32) lgkmcnt(0)
	v_fma_f64 v[107:108], v[119:120], v[111:112], v[107:108]
	s_waitcnt vmcnt(30)
	v_fma_f64 v[117:118], v[121:122], v[113:114], v[107:108]
	ds_read2_b64 v[107:110], v106 offset0:59 offset1:60
	ds_read2_b64 v[111:114], v106 offset0:61 offset1:62
	s_waitcnt vmcnt(28) lgkmcnt(1)
	v_fma_f64 v[107:108], v[123:124], v[107:108], v[117:118]
	s_clause 0x7
	buffer_load_dword v118, off, s[0:3], 0 offset:180
	buffer_load_dword v119, off, s[0:3], 0 offset:200
	buffer_load_dword v121, off, s[0:3], 0 offset:192
	buffer_load_dword v123, off, s[0:3], 0 offset:184
	buffer_load_dword v117, off, s[0:3], 0 offset:176
	buffer_load_dword v124, off, s[0:3], 0 offset:188
	buffer_load_dword v122, off, s[0:3], 0 offset:196
	buffer_load_dword v120, off, s[0:3], 0 offset:204
	s_waitcnt vmcnt(34)
	v_fma_f64 v[107:108], v[125:126], v[109:110], v[107:108]
	s_waitcnt vmcnt(32) lgkmcnt(0)
	v_fma_f64 v[107:108], v[127:128], v[111:112], v[107:108]
	s_waitcnt vmcnt(27)
	v_fma_f64 v[125:126], v[129:130], v[113:114], v[107:108]
	;; [unrolled: 19-line block ×8, first 2 shown]
	ds_read2_b64 v[107:110], v106 offset0:87 offset1:88
	ds_read2_b64 v[111:114], v106 offset0:89 offset1:90
	s_waitcnt vmcnt(26) lgkmcnt(1)
	v_fma_f64 v[107:108], v[149:150], v[107:108], v[115:116]
	s_clause 0x5
	buffer_load_dword v116, off, s[0:3], 0 offset:404
	buffer_load_dword v133, off, s[0:3], 0 offset:408
	;; [unrolled: 1-line block ×6, first 2 shown]
	s_waitcnt vmcnt(31)
	v_fma_f64 v[107:108], v[141:142], v[109:110], v[107:108]
	s_waitcnt vmcnt(30) lgkmcnt(0)
	v_fma_f64 v[107:108], v[139:140], v[111:112], v[107:108]
	s_waitcnt vmcnt(25)
	v_fma_f64 v[117:118], v[117:118], v[113:114], v[107:108]
	ds_read2_b64 v[107:110], v106 offset0:91 offset1:92
	ds_read2_b64 v[111:114], v106 offset0:93 offset1:94
	s_waitcnt vmcnt(24) lgkmcnt(1)
	v_fma_f64 v[107:108], v[147:148], v[107:108], v[117:118]
	s_waitcnt vmcnt(23)
	v_fma_f64 v[107:108], v[145:146], v[109:110], v[107:108]
	s_waitcnt vmcnt(22) lgkmcnt(0)
	v_fma_f64 v[107:108], v[123:124], v[111:112], v[107:108]
	s_waitcnt vmcnt(17)
	v_fma_f64 v[117:118], v[119:120], v[113:114], v[107:108]
	ds_read2_b64 v[107:110], v106 offset0:95 offset1:96
	ds_read2_b64 v[111:114], v106 offset0:97 offset1:98
	s_waitcnt vmcnt(16) lgkmcnt(1)
	v_fma_f64 v[107:108], v[135:136], v[107:108], v[117:118]
	;; [unrolled: 10-line block ×3, first 2 shown]
	s_waitcnt vmcnt(7)
	v_fma_f64 v[107:108], v[131:132], v[109:110], v[107:108]
	ds_read_b64 v[109:110], v106 offset:824
	s_waitcnt vmcnt(6) lgkmcnt(1)
	v_fma_f64 v[107:108], v[129:130], v[111:112], v[107:108]
	s_waitcnt vmcnt(3)
	v_fma_f64 v[107:108], v[115:116], v[113:114], v[107:108]
	s_waitcnt vmcnt(2) lgkmcnt(0)
	v_fma_f64 v[107:108], v[133:134], v[109:110], v[107:108]
	s_waitcnt vmcnt(0)
	v_add_f64 v[107:108], v[137:138], -v[107:108]
	buffer_store_dword v108, off, s[0:3], 0 offset:20
	buffer_store_dword v107, off, s[0:3], 0 offset:16
	v_cmpx_lt_u32_e32 1, v0
	s_cbranch_execz .LBB51_319
; %bb.318:
	s_clause 0x1
	buffer_load_dword v107, off, s[0:3], 0 offset:8
	buffer_load_dword v108, off, s[0:3], 0 offset:12
	buffer_store_dword v106, off, s[0:3], 0 offset:8
	buffer_store_dword v106, off, s[0:3], 0 offset:12
	s_waitcnt vmcnt(0)
	ds_write_b64 v105, v[107:108]
.LBB51_319:
	s_or_b32 exec_lo, exec_lo, s4
	s_waitcnt lgkmcnt(0)
	s_waitcnt_vscnt null, 0x0
	s_barrier
	buffer_gl0_inv
	s_clause 0x1c
	buffer_load_dword v115, off, s[0:3], 0 offset:16
	buffer_load_dword v116, off, s[0:3], 0 offset:20
	;; [unrolled: 1-line block ×29, first 2 shown]
	ds_read_b128 v[107:110], v106 offset:432
	ds_read_b128 v[111:114], v106 offset:448
	buffer_load_dword v140, off, s[0:3], 0 offset:132
	s_mov_b32 s4, exec_lo
	s_waitcnt vmcnt(28) lgkmcnt(1)
	v_fma_f64 v[107:108], v[115:116], v[107:108], 0
	s_clause 0x7
	buffer_load_dword v116, off, s[0:3], 0 offset:140
	buffer_load_dword v145, off, s[0:3], 0 offset:160
	buffer_load_dword v147, off, s[0:3], 0 offset:152
	buffer_load_dword v149, off, s[0:3], 0 offset:144
	buffer_load_dword v115, off, s[0:3], 0 offset:136
	buffer_load_dword v150, off, s[0:3], 0 offset:148
	buffer_load_dword v148, off, s[0:3], 0 offset:156
	buffer_load_dword v146, off, s[0:3], 0 offset:164
	s_waitcnt vmcnt(34)
	v_fma_f64 v[107:108], v[117:118], v[109:110], v[107:108]
	s_waitcnt vmcnt(32) lgkmcnt(0)
	v_fma_f64 v[107:108], v[119:120], v[111:112], v[107:108]
	s_waitcnt vmcnt(30)
	v_fma_f64 v[117:118], v[121:122], v[113:114], v[107:108]
	ds_read_b128 v[107:110], v106 offset:464
	ds_read_b128 v[111:114], v106 offset:480
	s_waitcnt vmcnt(28) lgkmcnt(1)
	v_fma_f64 v[107:108], v[123:124], v[107:108], v[117:118]
	s_clause 0x7
	buffer_load_dword v118, off, s[0:3], 0 offset:172
	buffer_load_dword v119, off, s[0:3], 0 offset:192
	buffer_load_dword v121, off, s[0:3], 0 offset:184
	buffer_load_dword v123, off, s[0:3], 0 offset:176
	buffer_load_dword v117, off, s[0:3], 0 offset:168
	buffer_load_dword v124, off, s[0:3], 0 offset:180
	buffer_load_dword v122, off, s[0:3], 0 offset:188
	buffer_load_dword v120, off, s[0:3], 0 offset:196
	s_waitcnt vmcnt(34)
	v_fma_f64 v[107:108], v[125:126], v[109:110], v[107:108]
	s_waitcnt vmcnt(32) lgkmcnt(0)
	v_fma_f64 v[107:108], v[127:128], v[111:112], v[107:108]
	s_waitcnt vmcnt(27)
	v_fma_f64 v[125:126], v[129:130], v[113:114], v[107:108]
	ds_read_b128 v[107:110], v106 offset:496
	ds_read_b128 v[111:114], v106 offset:512
	;; [unrolled: 19-line block ×8, first 2 shown]
	s_waitcnt vmcnt(26) lgkmcnt(1)
	v_fma_f64 v[107:108], v[149:150], v[107:108], v[115:116]
	s_clause 0x5
	buffer_load_dword v116, off, s[0:3], 0 offset:396
	buffer_load_dword v133, off, s[0:3], 0 offset:408
	buffer_load_dword v137, off, s[0:3], 0 offset:400
	buffer_load_dword v115, off, s[0:3], 0 offset:392
	buffer_load_dword v138, off, s[0:3], 0 offset:404
	buffer_load_dword v134, off, s[0:3], 0 offset:412
	s_waitcnt vmcnt(31)
	v_fma_f64 v[107:108], v[141:142], v[109:110], v[107:108]
	s_waitcnt vmcnt(30) lgkmcnt(0)
	v_fma_f64 v[107:108], v[139:140], v[111:112], v[107:108]
	s_waitcnt vmcnt(25)
	v_fma_f64 v[117:118], v[117:118], v[113:114], v[107:108]
	ds_read_b128 v[107:110], v106 offset:720
	s_clause 0x1
	buffer_load_dword v139, off, s[0:3], 0 offset:8
	buffer_load_dword v140, off, s[0:3], 0 offset:12
	ds_read_b128 v[111:114], v106 offset:736
	s_waitcnt vmcnt(26) lgkmcnt(1)
	v_fma_f64 v[107:108], v[147:148], v[107:108], v[117:118]
	s_waitcnt vmcnt(25)
	v_fma_f64 v[107:108], v[145:146], v[109:110], v[107:108]
	s_waitcnt vmcnt(24) lgkmcnt(0)
	v_fma_f64 v[107:108], v[123:124], v[111:112], v[107:108]
	s_waitcnt vmcnt(19)
	v_fma_f64 v[117:118], v[119:120], v[113:114], v[107:108]
	ds_read_b128 v[107:110], v106 offset:752
	ds_read_b128 v[111:114], v106 offset:768
	s_waitcnt vmcnt(18) lgkmcnt(1)
	v_fma_f64 v[107:108], v[135:136], v[107:108], v[117:118]
	s_waitcnt vmcnt(17)
	v_fma_f64 v[107:108], v[125:126], v[109:110], v[107:108]
	s_waitcnt vmcnt(16) lgkmcnt(0)
	v_fma_f64 v[107:108], v[121:122], v[111:112], v[107:108]
	s_waitcnt vmcnt(11)
	v_fma_f64 v[117:118], v[127:128], v[113:114], v[107:108]
	ds_read_b128 v[107:110], v106 offset:784
	;; [unrolled: 10-line block ×3, first 2 shown]
	s_waitcnt vmcnt(3) lgkmcnt(0)
	v_fma_f64 v[106:107], v[137:138], v[106:107], v[110:111]
	s_waitcnt vmcnt(2)
	v_fma_f64 v[106:107], v[133:134], v[108:109], v[106:107]
	s_waitcnt vmcnt(0)
	v_add_f64 v[106:107], v[139:140], -v[106:107]
	buffer_store_dword v107, off, s[0:3], 0 offset:12
	buffer_store_dword v106, off, s[0:3], 0 offset:8
	v_cmpx_ne_u32_e32 0, v0
	s_cbranch_execz .LBB51_321
; %bb.320:
	s_clause 0x1
	buffer_load_dword v106, off, s[0:3], 0
	buffer_load_dword v107, off, s[0:3], 0 offset:4
	v_mov_b32_e32 v0, 0
	buffer_store_dword v0, off, s[0:3], 0
	buffer_store_dword v0, off, s[0:3], 0 offset:4
	s_waitcnt vmcnt(0)
	ds_write_b64 v105, v[106:107]
.LBB51_321:
	s_or_b32 exec_lo, exec_lo, s4
	s_waitcnt lgkmcnt(0)
	s_waitcnt_vscnt null, 0x0
	s_barrier
	buffer_gl0_inv
	s_clause 0x1c
	buffer_load_dword v113, off, s[0:3], 0 offset:8
	buffer_load_dword v114, off, s[0:3], 0 offset:12
	;; [unrolled: 1-line block ×29, first 2 shown]
	v_mov_b32_e32 v0, 0
	buffer_load_dword v138, off, s[0:3], 0 offset:124
	s_and_b32 vcc_lo, exec_lo, s22
	ds_read2_b64 v[105:108], v0 offset0:53 offset1:54
	ds_read2_b64 v[109:112], v0 offset0:55 offset1:56
	s_waitcnt vmcnt(28) lgkmcnt(1)
	v_fma_f64 v[105:106], v[113:114], v[105:106], 0
	s_clause 0x7
	buffer_load_dword v114, off, s[0:3], 0 offset:132
	buffer_load_dword v143, off, s[0:3], 0 offset:152
	buffer_load_dword v145, off, s[0:3], 0 offset:144
	buffer_load_dword v147, off, s[0:3], 0 offset:136
	buffer_load_dword v113, off, s[0:3], 0 offset:128
	buffer_load_dword v148, off, s[0:3], 0 offset:140
	buffer_load_dword v146, off, s[0:3], 0 offset:148
	buffer_load_dword v144, off, s[0:3], 0 offset:156
	s_waitcnt vmcnt(34)
	v_fma_f64 v[105:106], v[115:116], v[107:108], v[105:106]
	s_waitcnt vmcnt(32) lgkmcnt(0)
	v_fma_f64 v[105:106], v[117:118], v[109:110], v[105:106]
	s_waitcnt vmcnt(30)
	v_fma_f64 v[115:116], v[119:120], v[111:112], v[105:106]
	ds_read2_b64 v[105:108], v0 offset0:57 offset1:58
	ds_read2_b64 v[109:112], v0 offset0:59 offset1:60
	s_waitcnt vmcnt(28) lgkmcnt(1)
	v_fma_f64 v[105:106], v[121:122], v[105:106], v[115:116]
	s_clause 0x7
	buffer_load_dword v116, off, s[0:3], 0 offset:164
	buffer_load_dword v117, off, s[0:3], 0 offset:184
	buffer_load_dword v119, off, s[0:3], 0 offset:176
	buffer_load_dword v121, off, s[0:3], 0 offset:168
	buffer_load_dword v115, off, s[0:3], 0 offset:160
	buffer_load_dword v122, off, s[0:3], 0 offset:172
	buffer_load_dword v120, off, s[0:3], 0 offset:180
	buffer_load_dword v118, off, s[0:3], 0 offset:188
	s_waitcnt vmcnt(34)
	v_fma_f64 v[105:106], v[123:124], v[107:108], v[105:106]
	s_waitcnt vmcnt(32) lgkmcnt(0)
	v_fma_f64 v[105:106], v[125:126], v[109:110], v[105:106]
	s_waitcnt vmcnt(27)
	v_fma_f64 v[123:124], v[127:128], v[111:112], v[105:106]
	;; [unrolled: 19-line block ×8, first 2 shown]
	ds_read2_b64 v[106:109], v0 offset0:85 offset1:86
	ds_read2_b64 v[110:113], v0 offset0:87 offset1:88
	s_waitcnt vmcnt(26) lgkmcnt(1)
	v_fma_f64 v[105:106], v[147:148], v[106:107], v[131:132]
	s_clause 0x6
	buffer_load_dword v132, off, s[0:3], 0 offset:388
	buffer_load_dword v135, off, s[0:3], 0 offset:408
	;; [unrolled: 1-line block ×7, first 2 shown]
	s_waitcnt vmcnt(32)
	v_fma_f64 v[105:106], v[139:140], v[108:109], v[105:106]
	buffer_load_dword v108, off, s[0:3], 0 offset:404
	s_waitcnt vmcnt(32) lgkmcnt(0)
	v_fma_f64 v[105:106], v[137:138], v[110:111], v[105:106]
	s_waitcnt vmcnt(27)
	v_fma_f64 v[105:106], v[115:116], v[112:113], v[105:106]
	ds_read2_b64 v[109:112], v0 offset0:89 offset1:90
	ds_read2_b64 v[113:116], v0 offset0:91 offset1:92
	s_clause 0x1
	buffer_load_dword v137, off, s[0:3], 0
	buffer_load_dword v138, off, s[0:3], 0 offset:4
	s_waitcnt vmcnt(28) lgkmcnt(1)
	v_fma_f64 v[105:106], v[145:146], v[109:110], v[105:106]
	s_waitcnt vmcnt(27)
	v_fma_f64 v[105:106], v[143:144], v[111:112], v[105:106]
	s_waitcnt vmcnt(26) lgkmcnt(0)
	v_fma_f64 v[105:106], v[121:122], v[113:114], v[105:106]
	s_waitcnt vmcnt(21)
	v_fma_f64 v[105:106], v[117:118], v[115:116], v[105:106]
	ds_read2_b64 v[109:112], v0 offset0:93 offset1:94
	ds_read2_b64 v[113:116], v0 offset0:95 offset1:96
	s_waitcnt vmcnt(20) lgkmcnt(1)
	v_fma_f64 v[105:106], v[133:134], v[109:110], v[105:106]
	s_waitcnt vmcnt(19)
	v_fma_f64 v[105:106], v[123:124], v[111:112], v[105:106]
	s_waitcnt vmcnt(18) lgkmcnt(0)
	v_fma_f64 v[105:106], v[119:120], v[113:114], v[105:106]
	s_waitcnt vmcnt(13)
	v_fma_f64 v[105:106], v[125:126], v[115:116], v[105:106]
	ds_read2_b64 v[109:112], v0 offset0:97 offset1:98
	ds_read2_b64 v[113:116], v0 offset0:99 offset1:100
	s_waitcnt vmcnt(12) lgkmcnt(1)
	v_fma_f64 v[105:106], v[141:142], v[109:110], v[105:106]
	s_waitcnt vmcnt(11)
	v_fma_f64 v[105:106], v[129:130], v[111:112], v[105:106]
	s_waitcnt vmcnt(10) lgkmcnt(0)
	v_fma_f64 v[105:106], v[127:128], v[113:114], v[105:106]
	ds_read2_b64 v[109:112], v0 offset0:101 offset1:102
	ds_read_b64 v[113:114], v0 offset:824
	s_waitcnt vmcnt(5)
	v_fma_f64 v[105:106], v[131:132], v[115:116], v[105:106]
	s_waitcnt vmcnt(4) lgkmcnt(1)
	v_fma_f64 v[105:106], v[147:148], v[109:110], v[105:106]
	s_waitcnt vmcnt(2)
	v_fma_f64 v[105:106], v[107:108], v[111:112], v[105:106]
	s_waitcnt lgkmcnt(0)
	v_fma_f64 v[105:106], v[135:136], v[113:114], v[105:106]
	s_waitcnt vmcnt(0)
	v_add_f64 v[105:106], v[137:138], -v[105:106]
	buffer_store_dword v106, off, s[0:3], 0 offset:4
	buffer_store_dword v105, off, s[0:3], 0
	s_cbranch_vccz .LBB51_424
; %bb.322:
	global_load_dword v0, v0, s[20:21] offset:200
	s_waitcnt vmcnt(0)
	v_add_nc_u32_e32 v0, -1, v0
	v_cmp_ne_u32_e32 vcc_lo, 50, v0
	s_cbranch_vccz .LBB51_324
; %bb.323:
	v_lshlrev_b32_e32 v0, 3, v0
	s_clause 0x1
	buffer_load_dword v105, v0, s[0:3], 0 offen offset:4
	buffer_load_dword v106, v0, s[0:3], 0 offen
	s_waitcnt vmcnt(1)
	buffer_store_dword v105, off, s[0:3], 0 offset:404
	s_waitcnt vmcnt(0)
	buffer_store_dword v106, off, s[0:3], 0 offset:400
	buffer_store_dword v108, v0, s[0:3], 0 offen offset:4
	buffer_store_dword v107, v0, s[0:3], 0 offen
.LBB51_324:
	v_mov_b32_e32 v0, 0
	global_load_dword v105, v0, s[20:21] offset:196
	s_waitcnt vmcnt(0)
	v_add_nc_u32_e32 v105, -1, v105
	v_cmp_eq_u32_e32 vcc_lo, 49, v105
	s_cbranch_vccnz .LBB51_326
; %bb.325:
	v_lshlrev_b32_e32 v105, 3, v105
	s_clause 0x3
	buffer_load_dword v106, v105, s[0:3], 0 offen
	buffer_load_dword v107, v105, s[0:3], 0 offen offset:4
	buffer_load_dword v108, off, s[0:3], 0 offset:392
	buffer_load_dword v109, off, s[0:3], 0 offset:396
	s_waitcnt vmcnt(3)
	buffer_store_dword v106, off, s[0:3], 0 offset:392
	s_waitcnt vmcnt(2)
	buffer_store_dword v107, off, s[0:3], 0 offset:396
	s_waitcnt vmcnt(1)
	buffer_store_dword v108, v105, s[0:3], 0 offen
	s_waitcnt vmcnt(0)
	buffer_store_dword v109, v105, s[0:3], 0 offen offset:4
.LBB51_326:
	global_load_dword v0, v0, s[20:21] offset:192
	s_waitcnt vmcnt(0)
	v_add_nc_u32_e32 v0, -1, v0
	v_cmp_eq_u32_e32 vcc_lo, 48, v0
	s_cbranch_vccnz .LBB51_328
; %bb.327:
	v_lshlrev_b32_e32 v0, 3, v0
	s_clause 0x3
	buffer_load_dword v105, v0, s[0:3], 0 offen
	buffer_load_dword v106, v0, s[0:3], 0 offen offset:4
	buffer_load_dword v107, off, s[0:3], 0 offset:388
	buffer_load_dword v108, off, s[0:3], 0 offset:384
	s_waitcnt vmcnt(3)
	buffer_store_dword v105, off, s[0:3], 0 offset:384
	s_waitcnt vmcnt(2)
	buffer_store_dword v106, off, s[0:3], 0 offset:388
	s_waitcnt vmcnt(1)
	buffer_store_dword v107, v0, s[0:3], 0 offen offset:4
	s_waitcnt vmcnt(0)
	buffer_store_dword v108, v0, s[0:3], 0 offen
.LBB51_328:
	v_mov_b32_e32 v0, 0
	global_load_dword v105, v0, s[20:21] offset:188
	s_waitcnt vmcnt(0)
	v_add_nc_u32_e32 v105, -1, v105
	v_cmp_eq_u32_e32 vcc_lo, 47, v105
	s_cbranch_vccnz .LBB51_330
; %bb.329:
	v_lshlrev_b32_e32 v105, 3, v105
	s_clause 0x3
	buffer_load_dword v106, v105, s[0:3], 0 offen
	buffer_load_dword v107, v105, s[0:3], 0 offen offset:4
	buffer_load_dword v108, off, s[0:3], 0 offset:376
	buffer_load_dword v109, off, s[0:3], 0 offset:380
	s_waitcnt vmcnt(3)
	buffer_store_dword v106, off, s[0:3], 0 offset:376
	s_waitcnt vmcnt(2)
	buffer_store_dword v107, off, s[0:3], 0 offset:380
	s_waitcnt vmcnt(1)
	buffer_store_dword v108, v105, s[0:3], 0 offen
	s_waitcnt vmcnt(0)
	buffer_store_dword v109, v105, s[0:3], 0 offen offset:4
.LBB51_330:
	global_load_dword v0, v0, s[20:21] offset:184
	s_waitcnt vmcnt(0)
	v_add_nc_u32_e32 v0, -1, v0
	v_cmp_eq_u32_e32 vcc_lo, 46, v0
	s_cbranch_vccnz .LBB51_332
; %bb.331:
	v_lshlrev_b32_e32 v0, 3, v0
	s_clause 0x3
	buffer_load_dword v105, v0, s[0:3], 0 offen
	buffer_load_dword v106, v0, s[0:3], 0 offen offset:4
	buffer_load_dword v107, off, s[0:3], 0 offset:372
	buffer_load_dword v108, off, s[0:3], 0 offset:368
	s_waitcnt vmcnt(3)
	buffer_store_dword v105, off, s[0:3], 0 offset:368
	s_waitcnt vmcnt(2)
	buffer_store_dword v106, off, s[0:3], 0 offset:372
	s_waitcnt vmcnt(1)
	buffer_store_dword v107, v0, s[0:3], 0 offen offset:4
	s_waitcnt vmcnt(0)
	buffer_store_dword v108, v0, s[0:3], 0 offen
.LBB51_332:
	;; [unrolled: 43-line block ×24, first 2 shown]
	v_mov_b32_e32 v0, 0
	global_load_dword v105, v0, s[20:21] offset:4
	s_waitcnt vmcnt(0)
	v_add_nc_u32_e32 v105, -1, v105
	v_cmp_eq_u32_e32 vcc_lo, 1, v105
	s_cbranch_vccnz .LBB51_422
; %bb.421:
	v_lshlrev_b32_e32 v105, 3, v105
	s_clause 0x3
	buffer_load_dword v106, v105, s[0:3], 0 offen
	buffer_load_dword v107, v105, s[0:3], 0 offen offset:4
	buffer_load_dword v108, off, s[0:3], 0 offset:8
	buffer_load_dword v109, off, s[0:3], 0 offset:12
	s_waitcnt vmcnt(3)
	buffer_store_dword v106, off, s[0:3], 0 offset:8
	s_waitcnt vmcnt(2)
	buffer_store_dword v107, off, s[0:3], 0 offset:12
	s_waitcnt vmcnt(1)
	buffer_store_dword v108, v105, s[0:3], 0 offen
	s_waitcnt vmcnt(0)
	buffer_store_dword v109, v105, s[0:3], 0 offen offset:4
.LBB51_422:
	global_load_dword v0, v0, s[20:21]
	s_clause 0x1
	buffer_load_dword v105, off, s[0:3], 0
	buffer_load_dword v106, off, s[0:3], 0 offset:4
	s_waitcnt vmcnt(2)
	v_add_nc_u32_e32 v0, -1, v0
	v_cmp_eq_u32_e32 vcc_lo, 0, v0
	s_cbranch_vccnz .LBB51_424
; %bb.423:
	v_lshlrev_b32_e32 v0, 3, v0
	s_clause 0x1
	buffer_load_dword v107, v0, s[0:3], 0 offen offset:4
	buffer_load_dword v108, v0, s[0:3], 0 offen
	s_waitcnt vmcnt(1)
	buffer_store_dword v107, off, s[0:3], 0 offset:4
	s_waitcnt vmcnt(0)
	buffer_store_dword v108, off, s[0:3], 0
	buffer_store_dword v106, v0, s[0:3], 0 offen offset:4
	buffer_store_dword v105, v0, s[0:3], 0 offen
	s_clause 0x1
	buffer_load_dword v105, off, s[0:3], 0
	buffer_load_dword v106, off, s[0:3], 0 offset:4
.LBB51_424:
	s_clause 0x17
	buffer_load_dword v107, off, s[0:3], 0 offset:8
	buffer_load_dword v108, off, s[0:3], 0 offset:12
	buffer_load_dword v109, off, s[0:3], 0 offset:16
	buffer_load_dword v110, off, s[0:3], 0 offset:20
	buffer_load_dword v111, off, s[0:3], 0 offset:24
	buffer_load_dword v112, off, s[0:3], 0 offset:28
	buffer_load_dword v113, off, s[0:3], 0 offset:32
	buffer_load_dword v114, off, s[0:3], 0 offset:36
	buffer_load_dword v115, off, s[0:3], 0 offset:40
	buffer_load_dword v116, off, s[0:3], 0 offset:44
	buffer_load_dword v117, off, s[0:3], 0 offset:48
	buffer_load_dword v118, off, s[0:3], 0 offset:52
	buffer_load_dword v119, off, s[0:3], 0 offset:56
	buffer_load_dword v120, off, s[0:3], 0 offset:60
	buffer_load_dword v121, off, s[0:3], 0 offset:64
	buffer_load_dword v122, off, s[0:3], 0 offset:68
	buffer_load_dword v123, off, s[0:3], 0 offset:72
	buffer_load_dword v124, off, s[0:3], 0 offset:76
	buffer_load_dword v125, off, s[0:3], 0 offset:80
	buffer_load_dword v126, off, s[0:3], 0 offset:84
	buffer_load_dword v127, off, s[0:3], 0 offset:88
	buffer_load_dword v128, off, s[0:3], 0 offset:92
	buffer_load_dword v129, off, s[0:3], 0 offset:96
	buffer_load_dword v130, off, s[0:3], 0 offset:100
	s_waitcnt vmcnt(24)
	global_store_dwordx2 v[93:94], v[105:106], off
	s_clause 0x17
	buffer_load_dword v93, off, s[0:3], 0 offset:104
	buffer_load_dword v94, off, s[0:3], 0 offset:108
	;; [unrolled: 1-line block ×24, first 2 shown]
	s_waitcnt vmcnt(46)
	global_store_dwordx2 v[73:74], v[107:108], off
	s_clause 0x7
	buffer_load_dword v73, off, s[0:3], 0 offset:200
	buffer_load_dword v74, off, s[0:3], 0 offset:204
	buffer_load_dword v107, off, s[0:3], 0 offset:208
	buffer_load_dword v108, off, s[0:3], 0 offset:212
	buffer_load_dword v151, off, s[0:3], 0 offset:216
	buffer_load_dword v152, off, s[0:3], 0 offset:220
	buffer_load_dword v153, off, s[0:3], 0 offset:224
	buffer_load_dword v154, off, s[0:3], 0 offset:228
	s_waitcnt vmcnt(52)
	global_store_dwordx2 v[53:54], v[109:110], off
	s_waitcnt vmcnt(50)
	global_store_dwordx2 v[57:58], v[111:112], off
	s_clause 0x7
	buffer_load_dword v53, off, s[0:3], 0 offset:232
	buffer_load_dword v54, off, s[0:3], 0 offset:236
	buffer_load_dword v57, off, s[0:3], 0 offset:240
	buffer_load_dword v58, off, s[0:3], 0 offset:244
	buffer_load_dword v109, off, s[0:3], 0 offset:248
	buffer_load_dword v110, off, s[0:3], 0 offset:252
	buffer_load_dword v111, off, s[0:3], 0 offset:256
	buffer_load_dword v112, off, s[0:3], 0 offset:260
	s_waitcnt vmcnt(56)
	global_store_dwordx2 v[45:46], v[113:114], off
	;; [unrolled: 13-line block ×4, first 2 shown]
	global_store_dwordx2 v[29:30], v[123:124], off
	s_clause 0x7
	buffer_load_dword v25, off, s[0:3], 0 offset:328
	buffer_load_dword v26, off, s[0:3], 0 offset:332
	;; [unrolled: 1-line block ×8, first 2 shown]
	s_waitcnt vmcnt(62)
	global_store_dwordx2 v[15:16], v[125:126], off
	global_store_dwordx2 v[19:20], v[127:128], off
	s_clause 0x7
	buffer_load_dword v15, off, s[0:3], 0 offset:360
	buffer_load_dword v16, off, s[0:3], 0 offset:364
	;; [unrolled: 1-line block ×8, first 2 shown]
	global_store_dwordx2 v[7:8], v[129:130], off
	s_clause 0x5
	buffer_load_dword v7, off, s[0:3], 0 offset:392
	buffer_load_dword v8, off, s[0:3], 0 offset:396
	;; [unrolled: 1-line block ×6, first 2 shown]
	global_store_dwordx2 v[1:2], v[93:94], off
	s_waitcnt vmcnt(62)
	global_store_dwordx2 v[3:4], v[105:106], off
	global_store_dwordx2 v[5:6], v[131:132], off
	;; [unrolled: 1-line block ×7, first 2 shown]
	s_waitcnt vmcnt(60)
	global_store_dwordx2 v[23:24], v[143:144], off
	s_waitcnt vmcnt(58)
	global_store_dwordx2 v[27:28], v[145:146], off
	;; [unrolled: 2-line block ×31, first 2 shown]
	s_endpgm
	.section	.rodata,"a",@progbits
	.p2align	6, 0x0
	.amdhsa_kernel _ZN9rocsolver6v33100L18getri_kernel_smallILi52EdPdEEvT1_iilPiilS4_bb
		.amdhsa_group_segment_fixed_size 840
		.amdhsa_private_segment_fixed_size 432
		.amdhsa_kernarg_size 60
		.amdhsa_user_sgpr_count 6
		.amdhsa_user_sgpr_private_segment_buffer 1
		.amdhsa_user_sgpr_dispatch_ptr 0
		.amdhsa_user_sgpr_queue_ptr 0
		.amdhsa_user_sgpr_kernarg_segment_ptr 1
		.amdhsa_user_sgpr_dispatch_id 0
		.amdhsa_user_sgpr_flat_scratch_init 0
		.amdhsa_user_sgpr_private_segment_size 0
		.amdhsa_wavefront_size32 1
		.amdhsa_uses_dynamic_stack 0
		.amdhsa_system_sgpr_private_segment_wavefront_offset 1
		.amdhsa_system_sgpr_workgroup_id_x 1
		.amdhsa_system_sgpr_workgroup_id_y 0
		.amdhsa_system_sgpr_workgroup_id_z 0
		.amdhsa_system_sgpr_workgroup_info 0
		.amdhsa_system_vgpr_workitem_id 0
		.amdhsa_next_free_vgpr 157
		.amdhsa_next_free_sgpr 23
		.amdhsa_reserve_vcc 1
		.amdhsa_reserve_flat_scratch 0
		.amdhsa_float_round_mode_32 0
		.amdhsa_float_round_mode_16_64 0
		.amdhsa_float_denorm_mode_32 3
		.amdhsa_float_denorm_mode_16_64 3
		.amdhsa_dx10_clamp 1
		.amdhsa_ieee_mode 1
		.amdhsa_fp16_overflow 0
		.amdhsa_workgroup_processor_mode 1
		.amdhsa_memory_ordered 1
		.amdhsa_forward_progress 1
		.amdhsa_shared_vgpr_count 0
		.amdhsa_exception_fp_ieee_invalid_op 0
		.amdhsa_exception_fp_denorm_src 0
		.amdhsa_exception_fp_ieee_div_zero 0
		.amdhsa_exception_fp_ieee_overflow 0
		.amdhsa_exception_fp_ieee_underflow 0
		.amdhsa_exception_fp_ieee_inexact 0
		.amdhsa_exception_int_div_zero 0
	.end_amdhsa_kernel
	.section	.text._ZN9rocsolver6v33100L18getri_kernel_smallILi52EdPdEEvT1_iilPiilS4_bb,"axG",@progbits,_ZN9rocsolver6v33100L18getri_kernel_smallILi52EdPdEEvT1_iilPiilS4_bb,comdat
.Lfunc_end51:
	.size	_ZN9rocsolver6v33100L18getri_kernel_smallILi52EdPdEEvT1_iilPiilS4_bb, .Lfunc_end51-_ZN9rocsolver6v33100L18getri_kernel_smallILi52EdPdEEvT1_iilPiilS4_bb
                                        ; -- End function
	.set _ZN9rocsolver6v33100L18getri_kernel_smallILi52EdPdEEvT1_iilPiilS4_bb.num_vgpr, 157
	.set _ZN9rocsolver6v33100L18getri_kernel_smallILi52EdPdEEvT1_iilPiilS4_bb.num_agpr, 0
	.set _ZN9rocsolver6v33100L18getri_kernel_smallILi52EdPdEEvT1_iilPiilS4_bb.numbered_sgpr, 23
	.set _ZN9rocsolver6v33100L18getri_kernel_smallILi52EdPdEEvT1_iilPiilS4_bb.num_named_barrier, 0
	.set _ZN9rocsolver6v33100L18getri_kernel_smallILi52EdPdEEvT1_iilPiilS4_bb.private_seg_size, 432
	.set _ZN9rocsolver6v33100L18getri_kernel_smallILi52EdPdEEvT1_iilPiilS4_bb.uses_vcc, 1
	.set _ZN9rocsolver6v33100L18getri_kernel_smallILi52EdPdEEvT1_iilPiilS4_bb.uses_flat_scratch, 0
	.set _ZN9rocsolver6v33100L18getri_kernel_smallILi52EdPdEEvT1_iilPiilS4_bb.has_dyn_sized_stack, 0
	.set _ZN9rocsolver6v33100L18getri_kernel_smallILi52EdPdEEvT1_iilPiilS4_bb.has_recursion, 0
	.set _ZN9rocsolver6v33100L18getri_kernel_smallILi52EdPdEEvT1_iilPiilS4_bb.has_indirect_call, 0
	.section	.AMDGPU.csdata,"",@progbits
; Kernel info:
; codeLenInByte = 72572
; TotalNumSgprs: 25
; NumVgprs: 157
; ScratchSize: 432
; MemoryBound: 1
; FloatMode: 240
; IeeeMode: 1
; LDSByteSize: 840 bytes/workgroup (compile time only)
; SGPRBlocks: 0
; VGPRBlocks: 19
; NumSGPRsForWavesPerEU: 25
; NumVGPRsForWavesPerEU: 157
; Occupancy: 6
; WaveLimiterHint : 1
; COMPUTE_PGM_RSRC2:SCRATCH_EN: 1
; COMPUTE_PGM_RSRC2:USER_SGPR: 6
; COMPUTE_PGM_RSRC2:TRAP_HANDLER: 0
; COMPUTE_PGM_RSRC2:TGID_X_EN: 1
; COMPUTE_PGM_RSRC2:TGID_Y_EN: 0
; COMPUTE_PGM_RSRC2:TGID_Z_EN: 0
; COMPUTE_PGM_RSRC2:TIDIG_COMP_CNT: 0
	.section	.text._ZN9rocsolver6v33100L18getri_kernel_smallILi53EdPdEEvT1_iilPiilS4_bb,"axG",@progbits,_ZN9rocsolver6v33100L18getri_kernel_smallILi53EdPdEEvT1_iilPiilS4_bb,comdat
	.globl	_ZN9rocsolver6v33100L18getri_kernel_smallILi53EdPdEEvT1_iilPiilS4_bb ; -- Begin function _ZN9rocsolver6v33100L18getri_kernel_smallILi53EdPdEEvT1_iilPiilS4_bb
	.p2align	8
	.type	_ZN9rocsolver6v33100L18getri_kernel_smallILi53EdPdEEvT1_iilPiilS4_bb,@function
_ZN9rocsolver6v33100L18getri_kernel_smallILi53EdPdEEvT1_iilPiilS4_bb: ; @_ZN9rocsolver6v33100L18getri_kernel_smallILi53EdPdEEvT1_iilPiilS4_bb
; %bb.0:
	s_add_u32 s0, s0, s7
	s_addc_u32 s1, s1, 0
	s_mov_b32 s7, exec_lo
	v_cmpx_gt_u32_e32 53, v0
	s_cbranch_execz .LBB52_222
; %bb.1:
	s_clause 0x2
	s_load_dword s7, s[4:5], 0x38
	s_load_dwordx4 s[16:19], s[4:5], 0x10
	s_load_dwordx4 s[8:11], s[4:5], 0x28
                                        ; implicit-def: $sgpr20_sgpr21
	s_waitcnt lgkmcnt(0)
	s_bitcmp1_b32 s7, 8
	s_cselect_b32 s22, -1, 0
	s_bfe_u32 s12, s7, 0x10008
	s_ashr_i32 s7, s6, 31
	s_cmp_eq_u32 s12, 0
	s_cbranch_scc1 .LBB52_3
; %bb.2:
	s_load_dword s12, s[4:5], 0x20
	s_mul_i32 s13, s8, s7
	s_mul_hi_u32 s14, s8, s6
	s_mul_i32 s9, s9, s6
	s_add_i32 s13, s14, s13
	s_mul_i32 s8, s8, s6
	s_add_i32 s9, s13, s9
	s_lshl_b64 s[8:9], s[8:9], 2
	s_waitcnt lgkmcnt(0)
	s_ashr_i32 s13, s12, 31
	s_add_u32 s14, s18, s8
	s_addc_u32 s15, s19, s9
	s_lshl_b64 s[8:9], s[12:13], 2
	s_add_u32 s20, s14, s8
	s_addc_u32 s21, s15, s9
.LBB52_3:
	s_clause 0x1
	s_load_dwordx4 s[12:15], s[4:5], 0x0
	s_load_dword s8, s[4:5], 0x38
	s_mul_i32 s4, s16, s7
	s_mul_hi_u32 s5, s16, s6
	s_mul_i32 s9, s17, s6
	s_add_i32 s5, s5, s4
	s_mul_i32 s4, s16, s6
	s_add_i32 s5, s5, s9
	v_lshlrev_b32_e32 v109, 3, v0
	s_lshl_b64 s[4:5], s[4:5], 3
	s_waitcnt lgkmcnt(0)
	s_ashr_i32 s17, s14, 31
	s_mov_b32 s16, s14
	s_add_u32 s9, s12, s4
	s_addc_u32 s13, s13, s5
	s_lshl_b64 s[4:5], s[16:17], 3
	v_add3_u32 v1, s15, s15, v0
	s_add_u32 s4, s9, s4
	s_addc_u32 s5, s13, s5
	v_add_co_u32 v83, s9, s4, v109
	global_load_dwordx2 v[97:98], v109, s[4:5]
	v_add_nc_u32_e32 v3, s15, v1
	v_ashrrev_i32_e32 v2, 31, v1
	s_mov_b32 s12, s15
	s_ashr_i32 s13, s15, 31
	v_add_co_ci_u32_e64 v84, null, s5, 0, s9
	v_add_nc_u32_e32 v5, s15, v3
	v_ashrrev_i32_e32 v4, 31, v3
	v_lshlrev_b64 v[1:2], 3, v[1:2]
	s_lshl_b64 s[12:13], s[12:13], 3
	s_bitcmp0_b32 s8, 0
	v_ashrrev_i32_e32 v6, 31, v5
	v_add_nc_u32_e32 v7, s15, v5
	v_lshlrev_b64 v[3:4], 3, v[3:4]
	v_add_co_u32 v55, vcc_lo, s4, v1
	v_add_co_ci_u32_e64 v56, null, s5, v2, vcc_lo
	v_lshlrev_b64 v[1:2], 3, v[5:6]
	v_ashrrev_i32_e32 v8, 31, v7
	v_add_nc_u32_e32 v5, s15, v7
	v_add_co_u32 v59, vcc_lo, s4, v3
	v_add_co_ci_u32_e64 v60, null, s5, v4, vcc_lo
	v_lshlrev_b64 v[3:4], 3, v[7:8]
	v_ashrrev_i32_e32 v6, 31, v5
	v_add_nc_u32_e32 v7, s15, v5
	;; [unrolled: 5-line block ×3, first 2 shown]
	v_add_co_u32 v77, vcc_lo, v83, s12
	v_add_co_ci_u32_e64 v78, null, s13, v84, vcc_lo
	v_add_co_u32 v51, vcc_lo, s4, v3
	v_add_co_ci_u32_e64 v52, null, s5, v4, vcc_lo
	v_lshlrev_b64 v[3:4], 3, v[7:8]
	v_ashrrev_i32_e32 v6, 31, v5
	v_add_nc_u32_e32 v7, s15, v5
	v_add_co_u32 v37, vcc_lo, s4, v1
	v_add_co_ci_u32_e64 v38, null, s5, v2, vcc_lo
	v_lshlrev_b64 v[1:2], 3, v[5:6]
	v_ashrrev_i32_e32 v8, 31, v7
	v_add_nc_u32_e32 v5, s15, v7
	;; [unrolled: 5-line block ×5, first 2 shown]
	v_add_co_u32 v17, vcc_lo, s4, v1
	v_add_co_ci_u32_e64 v18, null, s5, v2, vcc_lo
	v_lshlrev_b64 v[1:2], 3, v[5:6]
	v_add_nc_u32_e32 v5, s15, v7
	v_ashrrev_i32_e32 v8, 31, v7
	v_add_co_u32 v21, vcc_lo, s4, v3
	v_add_co_ci_u32_e64 v22, null, s5, v4, vcc_lo
	v_ashrrev_i32_e32 v6, 31, v5
	v_add_nc_u32_e32 v9, s15, v5
	v_lshlrev_b64 v[3:4], 3, v[7:8]
	v_add_co_u32 v7, vcc_lo, s4, v1
	v_add_co_ci_u32_e64 v8, null, s5, v2, vcc_lo
	v_lshlrev_b64 v[1:2], 3, v[5:6]
	v_ashrrev_i32_e32 v10, 31, v9
	v_add_nc_u32_e32 v5, s15, v9
	v_add_co_u32 v11, vcc_lo, s4, v3
	v_add_co_ci_u32_e64 v12, null, s5, v4, vcc_lo
	v_lshlrev_b64 v[3:4], 3, v[9:10]
	v_add_nc_u32_e32 v9, s15, v5
	v_ashrrev_i32_e32 v6, 31, v5
	v_add_co_u32 v1, vcc_lo, s4, v1
	v_add_co_ci_u32_e64 v2, null, s5, v2, vcc_lo
	v_add_nc_u32_e32 v13, s15, v9
	v_ashrrev_i32_e32 v10, 31, v9
	v_lshlrev_b64 v[5:6], 3, v[5:6]
	v_add_co_u32 v3, vcc_lo, s4, v3
	v_add_nc_u32_e32 v15, s15, v13
	v_ashrrev_i32_e32 v14, 31, v13
	v_lshlrev_b64 v[9:10], 3, v[9:10]
	v_add_co_ci_u32_e64 v4, null, s5, v4, vcc_lo
	v_add_nc_u32_e32 v19, s15, v15
	v_ashrrev_i32_e32 v16, 31, v15
	v_lshlrev_b64 v[13:14], 3, v[13:14]
	v_add_co_u32 v5, vcc_lo, s4, v5
	v_add_nc_u32_e32 v23, s15, v19
	v_ashrrev_i32_e32 v20, 31, v19
	v_lshlrev_b64 v[15:16], 3, v[15:16]
	v_add_co_ci_u32_e64 v6, null, s5, v6, vcc_lo
	v_add_nc_u32_e32 v25, s15, v23
	v_ashrrev_i32_e32 v24, 31, v23
	v_add_co_u32 v9, vcc_lo, s4, v9
	v_lshlrev_b64 v[19:20], 3, v[19:20]
	v_add_nc_u32_e32 v29, s15, v25
	v_ashrrev_i32_e32 v26, 31, v25
	v_add_co_ci_u32_e64 v10, null, s5, v10, vcc_lo
	v_add_co_u32 v13, vcc_lo, s4, v13
	v_add_nc_u32_e32 v33, s15, v29
	v_ashrrev_i32_e32 v30, 31, v29
	v_lshlrev_b64 v[23:24], 3, v[23:24]
	v_add_co_ci_u32_e64 v14, null, s5, v14, vcc_lo
	v_add_nc_u32_e32 v35, s15, v33
	v_ashrrev_i32_e32 v34, 31, v33
	v_add_co_u32 v15, vcc_lo, s4, v15
	v_lshlrev_b64 v[25:26], 3, v[25:26]
	v_add_nc_u32_e32 v39, s15, v35
	v_ashrrev_i32_e32 v36, 31, v35
	v_add_co_ci_u32_e64 v16, null, s5, v16, vcc_lo
	v_add_co_u32 v19, vcc_lo, s4, v19
	v_add_nc_u32_e32 v43, s15, v39
	v_lshlrev_b64 v[29:30], 3, v[29:30]
	v_ashrrev_i32_e32 v40, 31, v39
	v_add_co_ci_u32_e64 v20, null, s5, v20, vcc_lo
	v_add_nc_u32_e32 v47, s15, v43
	v_add_co_u32 v23, vcc_lo, s4, v23
	v_lshlrev_b64 v[33:34], 3, v[33:34]
	v_ashrrev_i32_e32 v44, 31, v43
	v_add_nc_u32_e32 v49, s15, v47
	v_add_co_ci_u32_e64 v24, null, s5, v24, vcc_lo
	v_add_co_u32 v25, vcc_lo, s4, v25
	v_add_nc_u32_e32 v53, s15, v49
	v_lshlrev_b64 v[35:36], 3, v[35:36]
	v_ashrrev_i32_e32 v48, 31, v47
	v_add_co_ci_u32_e64 v26, null, s5, v26, vcc_lo
	v_add_nc_u32_e32 v57, s15, v53
	v_add_co_u32 v29, vcc_lo, s4, v29
	v_lshlrev_b64 v[39:40], 3, v[39:40]
	v_ashrrev_i32_e32 v50, 31, v49
	v_add_nc_u32_e32 v61, s15, v57
	;; [unrolled: 11-line block ×4, first 2 shown]
	v_add_co_ci_u32_e64 v44, null, s5, v44, vcc_lo
	v_add_co_u32 v47, vcc_lo, s4, v47
	v_add_nc_u32_e32 v75, s15, v73
	v_lshlrev_b64 v[57:58], 3, v[57:58]
	v_ashrrev_i32_e32 v66, 31, v65
	v_add_co_ci_u32_e64 v48, null, s5, v48, vcc_lo
	v_add_co_u32 v49, vcc_lo, s4, v49
	v_lshlrev_b64 v[61:62], 3, v[61:62]
	v_ashrrev_i32_e32 v68, 31, v67
	v_add_co_ci_u32_e64 v50, null, s5, v50, vcc_lo
	v_add_co_u32 v53, vcc_lo, s4, v53
	v_lshlrev_b64 v[63:64], 3, v[63:64]
	v_add_nc_u32_e32 v81, s15, v75
	v_ashrrev_i32_e32 v70, 31, v69
	v_add_co_ci_u32_e64 v54, null, s5, v54, vcc_lo
	v_add_co_u32 v57, vcc_lo, s4, v57
	v_lshlrev_b64 v[65:66], 3, v[65:66]
	v_ashrrev_i32_e32 v72, 31, v71
	v_add_co_ci_u32_e64 v58, null, s5, v58, vcc_lo
	v_add_co_u32 v61, vcc_lo, s4, v61
	v_lshlrev_b64 v[67:68], 3, v[67:68]
	v_ashrrev_i32_e32 v74, 31, v73
	v_add_nc_u32_e32 v85, s15, v81
	v_add_co_ci_u32_e64 v62, null, s5, v62, vcc_lo
	v_add_co_u32 v63, vcc_lo, s4, v63
	v_lshlrev_b64 v[69:70], 3, v[69:70]
	v_ashrrev_i32_e32 v76, 31, v75
	v_add_co_ci_u32_e64 v64, null, s5, v64, vcc_lo
	v_add_co_u32 v65, vcc_lo, s4, v65
	v_lshlrev_b64 v[71:72], 3, v[71:72]
	v_add_co_ci_u32_e64 v66, null, s5, v66, vcc_lo
	v_add_co_u32 v67, vcc_lo, s4, v67
	v_lshlrev_b64 v[73:74], 3, v[73:74]
	v_add_nc_u32_e32 v87, s15, v85
	v_add_co_ci_u32_e64 v68, null, s5, v68, vcc_lo
	v_add_co_u32 v69, vcc_lo, s4, v69
	v_lshlrev_b64 v[79:80], 3, v[75:76]
	v_add_co_ci_u32_e64 v70, null, s5, v70, vcc_lo
	v_add_co_u32 v71, vcc_lo, s4, v71
	v_ashrrev_i32_e32 v82, 31, v81
	v_ashrrev_i32_e32 v86, 31, v85
	;; [unrolled: 1-line block ×3, first 2 shown]
	v_add_co_ci_u32_e64 v72, null, s5, v72, vcc_lo
	v_add_co_u32 v73, vcc_lo, s4, v73
	v_add_co_ci_u32_e64 v74, null, s5, v74, vcc_lo
	v_add_co_u32 v75, vcc_lo, s4, v79
	v_add_co_ci_u32_e64 v76, null, s5, v80, vcc_lo
	v_lshlrev_b64 v[79:80], 3, v[81:82]
	v_lshlrev_b64 v[81:82], 3, v[85:86]
	;; [unrolled: 1-line block ×3, first 2 shown]
	v_add_nc_u32_e32 v87, s15, v87
	s_clause 0xf
	global_load_dwordx2 v[99:100], v[77:78], off
	global_load_dwordx2 v[101:102], v[55:56], off
	;; [unrolled: 1-line block ×16, first 2 shown]
	v_add_nc_u32_e32 v89, s15, v87
	v_ashrrev_i32_e32 v88, 31, v87
	v_add_co_u32 v79, vcc_lo, s4, v79
	v_add_co_ci_u32_e64 v80, null, s5, v80, vcc_lo
	v_add_nc_u32_e32 v91, s15, v89
	v_ashrrev_i32_e32 v90, 31, v89
	v_lshlrev_b64 v[87:88], 3, v[87:88]
	v_add_co_u32 v81, vcc_lo, s4, v81
	v_add_nc_u32_e32 v93, s15, v91
	v_ashrrev_i32_e32 v92, 31, v91
	v_lshlrev_b64 v[89:90], 3, v[89:90]
	v_add_co_ci_u32_e64 v82, null, s5, v82, vcc_lo
	v_add_nc_u32_e32 v95, s15, v93
	v_ashrrev_i32_e32 v94, 31, v93
	v_add_co_u32 v85, vcc_lo, s4, v85
	v_lshlrev_b64 v[91:92], 3, v[91:92]
	v_ashrrev_i32_e32 v96, 31, v95
	v_add_co_ci_u32_e64 v86, null, s5, v86, vcc_lo
	v_add_co_u32 v87, vcc_lo, s4, v87
	v_lshlrev_b64 v[93:94], 3, v[93:94]
	v_add_nc_u32_e32 v144, s15, v95
	s_clause 0x1
	global_load_dwordx2 v[132:133], v[9:10], off
	global_load_dwordx2 v[134:135], v[13:14], off
	v_add_co_ci_u32_e64 v88, null, s5, v88, vcc_lo
	v_add_co_u32 v89, vcc_lo, s4, v89
	v_lshlrev_b64 v[142:143], 3, v[95:96]
	v_add_co_ci_u32_e64 v90, null, s5, v90, vcc_lo
	s_clause 0x3
	global_load_dwordx2 v[136:137], v[15:16], off
	global_load_dwordx2 v[138:139], v[19:20], off
	global_load_dwordx2 v[140:141], v[23:24], off
	global_load_dwordx2 v[146:147], v[25:26], off
	v_add_co_u32 v91, vcc_lo, s4, v91
	v_ashrrev_i32_e32 v145, 31, v144
	v_add_co_ci_u32_e64 v92, null, s5, v92, vcc_lo
	v_add_co_u32 v93, vcc_lo, s4, v93
	v_add_co_ci_u32_e64 v94, null, s5, v94, vcc_lo
	v_add_co_u32 v95, vcc_lo, s4, v142
	v_add_co_ci_u32_e64 v96, null, s5, v143, vcc_lo
	v_lshlrev_b64 v[142:143], 3, v[144:145]
	s_clause 0x2
	global_load_dwordx2 v[148:149], v[29:30], off
	global_load_dwordx2 v[150:151], v[33:34], off
	;; [unrolled: 1-line block ×3, first 2 shown]
	s_waitcnt vmcnt(25)
	buffer_store_dword v98, off, s[0:3], 0 offset:4
	buffer_store_dword v97, off, s[0:3], 0
	global_load_dwordx2 v[154:155], v[39:40], off
	v_add_co_u32 v97, vcc_lo, s4, v142
	v_add_co_ci_u32_e64 v98, null, s5, v143, vcc_lo
	global_load_dwordx2 v[142:143], v[43:44], off
	s_waitcnt vmcnt(26)
	buffer_store_dword v100, off, s[0:3], 0 offset:12
	buffer_store_dword v99, off, s[0:3], 0 offset:8
	global_load_dwordx2 v[156:157], v[47:48], off
	s_waitcnt vmcnt(26)
	buffer_store_dword v102, off, s[0:3], 0 offset:20
	buffer_store_dword v101, off, s[0:3], 0 offset:16
	s_waitcnt vmcnt(25)
	buffer_store_dword v104, off, s[0:3], 0 offset:28
	buffer_store_dword v103, off, s[0:3], 0 offset:24
	;; [unrolled: 3-line block ×3, first 2 shown]
	v_add_nc_u32_e32 v99, s15, v144
	s_waitcnt vmcnt(20)
	buffer_store_dword v108, off, s[0:3], 0 offset:44
	buffer_store_dword v107, off, s[0:3], 0 offset:40
	;; [unrolled: 1-line block ×8, first 2 shown]
	s_waitcnt vmcnt(19)
	buffer_store_dword v116, off, s[0:3], 0 offset:72
	buffer_store_dword v117, off, s[0:3], 0 offset:76
	s_waitcnt vmcnt(18)
	buffer_store_dword v118, off, s[0:3], 0 offset:80
	buffer_store_dword v119, off, s[0:3], 0 offset:84
	;; [unrolled: 3-line block ×8, first 2 shown]
	s_clause 0x3
	global_load_dwordx2 v[107:108], v[49:50], off
	global_load_dwordx2 v[110:111], v[53:54], off
	;; [unrolled: 1-line block ×4, first 2 shown]
	v_add_nc_u32_e32 v102, s15, v99
	v_ashrrev_i32_e32 v100, 31, v99
	s_clause 0x3
	global_load_dwordx2 v[116:117], v[63:64], off
	global_load_dwordx2 v[118:119], v[65:66], off
	;; [unrolled: 1-line block ×4, first 2 shown]
	v_ashrrev_i32_e32 v103, 31, v102
	v_lshlrev_b64 v[100:101], 3, v[99:100]
	v_add_nc_u32_e32 v105, s15, v102
	s_clause 0x3
	global_load_dwordx2 v[124:125], v[71:72], off
	global_load_dwordx2 v[126:127], v[73:74], off
	;; [unrolled: 1-line block ×4, first 2 shown]
	v_lshlrev_b64 v[103:104], 3, v[102:103]
	v_ashrrev_i32_e32 v106, 31, v105
	v_add_co_u32 v99, vcc_lo, s4, v100
	v_add_co_ci_u32_e64 v100, null, s5, v101, vcc_lo
	v_add_co_u32 v101, vcc_lo, s4, v103
	v_add_co_ci_u32_e64 v102, null, s5, v104, vcc_lo
	v_lshlrev_b64 v[103:104], 3, v[105:106]
	v_add_nc_u32_e32 v105, s15, v105
	s_waitcnt vmcnt(23)
	buffer_store_dword v132, off, s[0:3], 0 offset:136
	buffer_store_dword v133, off, s[0:3], 0 offset:140
	global_load_dwordx2 v[132:133], v[81:82], off
	s_waitcnt vmcnt(23)
	buffer_store_dword v134, off, s[0:3], 0 offset:144
	buffer_store_dword v135, off, s[0:3], 0 offset:148
	global_load_dwordx2 v[134:135], v[85:86], off
	v_ashrrev_i32_e32 v106, 31, v105
	s_waitcnt vmcnt(23)
	buffer_store_dword v137, off, s[0:3], 0 offset:156
	buffer_store_dword v136, off, s[0:3], 0 offset:152
	global_load_dwordx2 v[136:137], v[87:88], off
	s_waitcnt vmcnt(23)
	buffer_store_dword v139, off, s[0:3], 0 offset:164
	buffer_store_dword v138, off, s[0:3], 0 offset:160
	global_load_dwordx2 v[138:139], v[89:90], off
	s_waitcnt vmcnt(23)
	buffer_store_dword v140, off, s[0:3], 0 offset:168
	buffer_store_dword v141, off, s[0:3], 0 offset:172
	s_clause 0x1
	global_load_dwordx2 v[140:141], v[91:92], off
	global_load_dwordx2 v[144:145], v[93:94], off
	v_lshlrev_b64 v[105:106], 3, v[105:106]
	s_waitcnt vmcnt(24)
	buffer_store_dword v146, off, s[0:3], 0 offset:176
	buffer_store_dword v147, off, s[0:3], 0 offset:180
	global_load_dwordx2 v[146:147], v[95:96], off
	v_add_co_u32 v103, vcc_lo, s4, v103
	s_waitcnt vmcnt(24)
	buffer_store_dword v148, off, s[0:3], 0 offset:184
	buffer_store_dword v149, off, s[0:3], 0 offset:188
	global_load_dwordx2 v[148:149], v[97:98], off
	v_add_co_ci_u32_e64 v104, null, s5, v104, vcc_lo
	v_add_co_u32 v105, vcc_lo, s4, v105
	s_waitcnt vmcnt(24)
	buffer_store_dword v150, off, s[0:3], 0 offset:192
	buffer_store_dword v151, off, s[0:3], 0 offset:196
	global_load_dwordx2 v[150:151], v[99:100], off
	v_add_co_ci_u32_e64 v106, null, s5, v106, vcc_lo
	s_waitcnt vmcnt(22)
	buffer_store_dword v142, off, s[0:3], 0 offset:216
	buffer_store_dword v143, off, s[0:3], 0 offset:220
	global_load_dwordx2 v[142:143], v[101:102], off
	buffer_store_dword v153, off, s[0:3], 0 offset:204
	buffer_store_dword v152, off, s[0:3], 0 offset:200
	global_load_dwordx2 v[152:153], v[103:104], off
	;; [unrolled: 3-line block ×3, first 2 shown]
	s_mov_b32 s5, -1
	s_waitcnt vmcnt(24)
	buffer_store_dword v156, off, s[0:3], 0 offset:224
	buffer_store_dword v157, off, s[0:3], 0 offset:228
	s_waitcnt vmcnt(23)
	buffer_store_dword v107, off, s[0:3], 0 offset:232
	buffer_store_dword v108, off, s[0:3], 0 offset:236
	;; [unrolled: 3-line block ×25, first 2 shown]
	s_cbranch_scc1 .LBB52_220
; %bb.4:
	v_cmp_eq_u32_e64 s4, 0, v0
	s_and_saveexec_b32 s5, s4
; %bb.5:
	v_mov_b32_e32 v107, 0
	ds_write_b32 v107, v107 offset:424
; %bb.6:
	s_or_b32 exec_lo, exec_lo, s5
	v_lshl_add_u32 v107, v0, 3, 0
	s_waitcnt lgkmcnt(0)
	s_waitcnt_vscnt null, 0x0
	s_barrier
	buffer_gl0_inv
	s_mov_b32 s8, exec_lo
	s_clause 0x1
	buffer_load_dword v110, v107, s[0:3], 0 offen
	buffer_load_dword v111, v107, s[0:3], 0 offen offset:4
	s_waitcnt vmcnt(0)
	v_cmpx_eq_f64_e32 0, v[110:111]
	s_cbranch_execz .LBB52_10
; %bb.7:
	v_mov_b32_e32 v108, 0
	s_mov_b32 s9, 0
	ds_read_b32 v110, v108 offset:424
	s_waitcnt lgkmcnt(0)
	v_readfirstlane_b32 s5, v110
	v_add_nc_u32_e32 v110, 1, v0
	s_cmp_eq_u32 s5, 0
	v_cmp_gt_i32_e32 vcc_lo, s5, v110
	s_cselect_b32 s12, -1, 0
	s_or_b32 s12, s12, vcc_lo
	s_and_b32 exec_lo, exec_lo, s12
	s_cbranch_execz .LBB52_10
; %bb.8:
	v_mov_b32_e32 v111, s5
.LBB52_9:                               ; =>This Inner Loop Header: Depth=1
	ds_cmpst_rtn_b32 v111, v108, v111, v110 offset:424
	s_waitcnt lgkmcnt(0)
	v_cmp_ne_u32_e32 vcc_lo, 0, v111
	v_cmp_le_i32_e64 s5, v111, v110
	s_and_b32 s5, vcc_lo, s5
	s_and_b32 s5, exec_lo, s5
	s_or_b32 s9, s5, s9
	s_andn2_b32 exec_lo, exec_lo, s9
	s_cbranch_execnz .LBB52_9
.LBB52_10:
	s_or_b32 exec_lo, exec_lo, s8
	v_mov_b32_e32 v108, 0
	s_barrier
	buffer_gl0_inv
	ds_read_b32 v110, v108 offset:424
	s_and_saveexec_b32 s5, s4
	s_cbranch_execz .LBB52_12
; %bb.11:
	s_lshl_b64 s[8:9], s[6:7], 2
	s_add_u32 s8, s10, s8
	s_addc_u32 s9, s11, s9
	s_waitcnt lgkmcnt(0)
	global_store_dword v108, v110, s[8:9]
.LBB52_12:
	s_or_b32 exec_lo, exec_lo, s5
	s_waitcnt lgkmcnt(0)
	v_cmp_ne_u32_e32 vcc_lo, 0, v110
	s_mov_b32 s5, 0
	s_cbranch_vccnz .LBB52_220
; %bb.13:
	s_clause 0x1
	buffer_load_dword v110, v107, s[0:3], 0 offen
	buffer_load_dword v111, v107, s[0:3], 0 offen offset:4
	s_waitcnt vmcnt(0)
	v_div_scale_f64 v[112:113], null, v[110:111], v[110:111], 1.0
	v_div_scale_f64 v[118:119], vcc_lo, 1.0, v[110:111], 1.0
	v_rcp_f64_e32 v[114:115], v[112:113]
	v_fma_f64 v[116:117], -v[112:113], v[114:115], 1.0
	v_fma_f64 v[114:115], v[114:115], v[116:117], v[114:115]
	v_fma_f64 v[116:117], -v[112:113], v[114:115], 1.0
	v_fma_f64 v[114:115], v[114:115], v[116:117], v[114:115]
	v_mul_f64 v[116:117], v[118:119], v[114:115]
	v_fma_f64 v[112:113], -v[112:113], v[116:117], v[118:119]
	v_div_fmas_f64 v[112:113], v[112:113], v[114:115], v[116:117]
	v_div_fixup_f64 v[111:112], v[112:113], v[110:111], 1.0
	v_add_nc_u32_e32 v110, 0x1b0, v109
	buffer_store_dword v112, v107, s[0:3], 0 offen offset:4
	buffer_store_dword v111, v107, s[0:3], 0 offen
	s_clause 0x1
	buffer_load_dword v114, off, s[0:3], 0 offset:12
	buffer_load_dword v113, off, s[0:3], 0 offset:8
	v_xor_b32_e32 v112, 0x80000000, v112
	s_waitcnt vmcnt(0)
	ds_write2_b64 v109, v[111:112], v[113:114] offset1:54
	s_waitcnt lgkmcnt(0)
	s_waitcnt_vscnt null, 0x0
	s_barrier
	buffer_gl0_inv
	s_and_saveexec_b32 s5, s4
	s_cbranch_execz .LBB52_15
; %bb.14:
	s_clause 0x1
	buffer_load_dword v111, v107, s[0:3], 0 offen
	buffer_load_dword v112, v107, s[0:3], 0 offen offset:4
	ds_read_b64 v[113:114], v110
	v_mov_b32_e32 v108, 0
	ds_read_b64 v[115:116], v108 offset:8
	s_waitcnt vmcnt(0) lgkmcnt(1)
	v_fma_f64 v[111:112], v[111:112], v[113:114], 0
	s_waitcnt lgkmcnt(0)
	v_mul_f64 v[111:112], v[111:112], v[115:116]
	buffer_store_dword v111, off, s[0:3], 0 offset:8
	buffer_store_dword v112, off, s[0:3], 0 offset:12
.LBB52_15:
	s_or_b32 exec_lo, exec_lo, s5
	s_waitcnt_vscnt null, 0x0
	s_barrier
	buffer_gl0_inv
	s_clause 0x1
	buffer_load_dword v111, off, s[0:3], 0 offset:16
	buffer_load_dword v112, off, s[0:3], 0 offset:20
	s_mov_b32 s5, exec_lo
	s_waitcnt vmcnt(0)
	ds_write_b64 v110, v[111:112]
	s_waitcnt lgkmcnt(0)
	s_barrier
	buffer_gl0_inv
	v_cmpx_gt_u32_e32 2, v0
	s_cbranch_execz .LBB52_19
; %bb.16:
	s_clause 0x1
	buffer_load_dword v111, v107, s[0:3], 0 offen
	buffer_load_dword v112, v107, s[0:3], 0 offen offset:4
	ds_read_b64 v[107:108], v110
	s_waitcnt vmcnt(0) lgkmcnt(0)
	v_fma_f64 v[107:108], v[111:112], v[107:108], 0
	s_and_saveexec_b32 s8, s4
	s_cbranch_execz .LBB52_18
; %bb.17:
	s_clause 0x1
	buffer_load_dword v111, off, s[0:3], 0 offset:8
	buffer_load_dword v112, off, s[0:3], 0 offset:12
	v_mov_b32_e32 v113, 0
	ds_read_b64 v[113:114], v113 offset:440
	s_waitcnt vmcnt(0) lgkmcnt(0)
	v_fma_f64 v[107:108], v[111:112], v[113:114], v[107:108]
.LBB52_18:
	s_or_b32 exec_lo, exec_lo, s8
	v_mov_b32_e32 v111, 0
	ds_read_b64 v[111:112], v111 offset:16
	s_waitcnt lgkmcnt(0)
	v_mul_f64 v[107:108], v[107:108], v[111:112]
	buffer_store_dword v108, off, s[0:3], 0 offset:20
	buffer_store_dword v107, off, s[0:3], 0 offset:16
.LBB52_19:
	s_or_b32 exec_lo, exec_lo, s5
	s_waitcnt_vscnt null, 0x0
	s_barrier
	buffer_gl0_inv
	s_clause 0x1
	buffer_load_dword v107, off, s[0:3], 0 offset:24
	buffer_load_dword v108, off, s[0:3], 0 offset:28
	v_add_nc_u32_e32 v111, -1, v0
	s_mov_b32 s4, exec_lo
	s_waitcnt vmcnt(0)
	ds_write_b64 v110, v[107:108]
	s_waitcnt lgkmcnt(0)
	s_barrier
	buffer_gl0_inv
	v_cmpx_gt_u32_e32 3, v0
	s_cbranch_execz .LBB52_23
; %bb.20:
	v_mov_b32_e32 v107, 0
	v_add_nc_u32_e32 v112, -1, v0
	v_add_nc_u32_e32 v113, 0x1b0, v109
	v_mov_b32_e32 v108, 0
	v_mov_b32_e32 v114, v109
	s_mov_b32 s5, 0
.LBB52_21:                              ; =>This Inner Loop Header: Depth=1
	s_clause 0x1
	buffer_load_dword v115, v114, s[0:3], 0 offen
	buffer_load_dword v116, v114, s[0:3], 0 offen offset:4
	ds_read_b64 v[117:118], v113
	v_add_nc_u32_e32 v112, 1, v112
	v_add_nc_u32_e32 v113, 8, v113
	v_add_nc_u32_e32 v114, 8, v114
	v_cmp_lt_u32_e32 vcc_lo, 1, v112
	s_or_b32 s5, vcc_lo, s5
	s_waitcnt vmcnt(0) lgkmcnt(0)
	v_fma_f64 v[107:108], v[115:116], v[117:118], v[107:108]
	s_andn2_b32 exec_lo, exec_lo, s5
	s_cbranch_execnz .LBB52_21
; %bb.22:
	s_or_b32 exec_lo, exec_lo, s5
	v_mov_b32_e32 v112, 0
	ds_read_b64 v[112:113], v112 offset:24
	s_waitcnt lgkmcnt(0)
	v_mul_f64 v[107:108], v[107:108], v[112:113]
	buffer_store_dword v108, off, s[0:3], 0 offset:28
	buffer_store_dword v107, off, s[0:3], 0 offset:24
.LBB52_23:
	s_or_b32 exec_lo, exec_lo, s4
	s_waitcnt_vscnt null, 0x0
	s_barrier
	buffer_gl0_inv
	s_clause 0x1
	buffer_load_dword v107, off, s[0:3], 0 offset:32
	buffer_load_dword v108, off, s[0:3], 0 offset:36
	s_mov_b32 s4, exec_lo
	s_waitcnt vmcnt(0)
	ds_write_b64 v110, v[107:108]
	s_waitcnt lgkmcnt(0)
	s_barrier
	buffer_gl0_inv
	v_cmpx_gt_u32_e32 4, v0
	s_cbranch_execz .LBB52_27
; %bb.24:
	v_mov_b32_e32 v107, 0
	v_add_nc_u32_e32 v112, -1, v0
	v_add_nc_u32_e32 v113, 0x1b0, v109
	v_mov_b32_e32 v108, 0
	v_mov_b32_e32 v114, v109
	s_mov_b32 s5, 0
.LBB52_25:                              ; =>This Inner Loop Header: Depth=1
	s_clause 0x1
	buffer_load_dword v115, v114, s[0:3], 0 offen
	buffer_load_dword v116, v114, s[0:3], 0 offen offset:4
	ds_read_b64 v[117:118], v113
	v_add_nc_u32_e32 v112, 1, v112
	v_add_nc_u32_e32 v113, 8, v113
	v_add_nc_u32_e32 v114, 8, v114
	v_cmp_lt_u32_e32 vcc_lo, 2, v112
	s_or_b32 s5, vcc_lo, s5
	s_waitcnt vmcnt(0) lgkmcnt(0)
	v_fma_f64 v[107:108], v[115:116], v[117:118], v[107:108]
	s_andn2_b32 exec_lo, exec_lo, s5
	s_cbranch_execnz .LBB52_25
; %bb.26:
	s_or_b32 exec_lo, exec_lo, s5
	v_mov_b32_e32 v112, 0
	ds_read_b64 v[112:113], v112 offset:32
	s_waitcnt lgkmcnt(0)
	v_mul_f64 v[107:108], v[107:108], v[112:113]
	buffer_store_dword v108, off, s[0:3], 0 offset:36
	buffer_store_dword v107, off, s[0:3], 0 offset:32
.LBB52_27:
	s_or_b32 exec_lo, exec_lo, s4
	s_waitcnt_vscnt null, 0x0
	s_barrier
	buffer_gl0_inv
	s_clause 0x1
	buffer_load_dword v107, off, s[0:3], 0 offset:40
	buffer_load_dword v108, off, s[0:3], 0 offset:44
	;; [unrolled: 45-line block ×20, first 2 shown]
	s_mov_b32 s4, exec_lo
	s_waitcnt vmcnt(0)
	ds_write_b64 v110, v[107:108]
	s_waitcnt lgkmcnt(0)
	s_barrier
	buffer_gl0_inv
	v_cmpx_gt_u32_e32 23, v0
	s_cbranch_execz .LBB52_103
; %bb.100:
	v_mov_b32_e32 v107, 0
	v_add_nc_u32_e32 v112, -1, v0
	v_add_nc_u32_e32 v113, 0x1b0, v109
	v_mov_b32_e32 v108, 0
	v_mov_b32_e32 v114, v109
	s_mov_b32 s5, 0
.LBB52_101:                             ; =>This Inner Loop Header: Depth=1
	s_clause 0x1
	buffer_load_dword v115, v114, s[0:3], 0 offen
	buffer_load_dword v116, v114, s[0:3], 0 offen offset:4
	ds_read_b64 v[117:118], v113
	v_add_nc_u32_e32 v112, 1, v112
	v_add_nc_u32_e32 v113, 8, v113
	v_add_nc_u32_e32 v114, 8, v114
	v_cmp_lt_u32_e32 vcc_lo, 21, v112
	s_or_b32 s5, vcc_lo, s5
	s_waitcnt vmcnt(0) lgkmcnt(0)
	v_fma_f64 v[107:108], v[115:116], v[117:118], v[107:108]
	s_andn2_b32 exec_lo, exec_lo, s5
	s_cbranch_execnz .LBB52_101
; %bb.102:
	s_or_b32 exec_lo, exec_lo, s5
	v_mov_b32_e32 v112, 0
	ds_read_b64 v[112:113], v112 offset:184
	s_waitcnt lgkmcnt(0)
	v_mul_f64 v[107:108], v[107:108], v[112:113]
	buffer_store_dword v108, off, s[0:3], 0 offset:188
	buffer_store_dword v107, off, s[0:3], 0 offset:184
.LBB52_103:
	s_or_b32 exec_lo, exec_lo, s4
	s_waitcnt_vscnt null, 0x0
	s_barrier
	buffer_gl0_inv
	s_clause 0x1
	buffer_load_dword v107, off, s[0:3], 0 offset:192
	buffer_load_dword v108, off, s[0:3], 0 offset:196
	s_mov_b32 s4, exec_lo
	s_waitcnt vmcnt(0)
	ds_write_b64 v110, v[107:108]
	s_waitcnt lgkmcnt(0)
	s_barrier
	buffer_gl0_inv
	v_cmpx_gt_u32_e32 24, v0
	s_cbranch_execz .LBB52_107
; %bb.104:
	v_mov_b32_e32 v107, 0
	v_add_nc_u32_e32 v112, -1, v0
	v_add_nc_u32_e32 v113, 0x1b0, v109
	v_mov_b32_e32 v108, 0
	v_mov_b32_e32 v114, v109
	s_mov_b32 s5, 0
.LBB52_105:                             ; =>This Inner Loop Header: Depth=1
	s_clause 0x1
	buffer_load_dword v115, v114, s[0:3], 0 offen
	buffer_load_dword v116, v114, s[0:3], 0 offen offset:4
	ds_read_b64 v[117:118], v113
	v_add_nc_u32_e32 v112, 1, v112
	v_add_nc_u32_e32 v113, 8, v113
	v_add_nc_u32_e32 v114, 8, v114
	v_cmp_lt_u32_e32 vcc_lo, 22, v112
	s_or_b32 s5, vcc_lo, s5
	s_waitcnt vmcnt(0) lgkmcnt(0)
	v_fma_f64 v[107:108], v[115:116], v[117:118], v[107:108]
	s_andn2_b32 exec_lo, exec_lo, s5
	s_cbranch_execnz .LBB52_105
; %bb.106:
	s_or_b32 exec_lo, exec_lo, s5
	v_mov_b32_e32 v112, 0
	ds_read_b64 v[112:113], v112 offset:192
	s_waitcnt lgkmcnt(0)
	v_mul_f64 v[107:108], v[107:108], v[112:113]
	buffer_store_dword v108, off, s[0:3], 0 offset:196
	buffer_store_dword v107, off, s[0:3], 0 offset:192
.LBB52_107:
	s_or_b32 exec_lo, exec_lo, s4
	s_waitcnt_vscnt null, 0x0
	s_barrier
	buffer_gl0_inv
	s_clause 0x1
	buffer_load_dword v107, off, s[0:3], 0 offset:200
	buffer_load_dword v108, off, s[0:3], 0 offset:204
	;; [unrolled: 45-line block ×29, first 2 shown]
	s_mov_b32 s4, exec_lo
	s_waitcnt vmcnt(0)
	ds_write_b64 v110, v[107:108]
	s_waitcnt lgkmcnt(0)
	s_barrier
	buffer_gl0_inv
	v_cmpx_ne_u32_e32 52, v0
	s_cbranch_execz .LBB52_219
; %bb.216:
	v_mov_b32_e32 v107, 0
	v_mov_b32_e32 v108, 0
	s_mov_b32 s5, 0
.LBB52_217:                             ; =>This Inner Loop Header: Depth=1
	s_clause 0x1
	buffer_load_dword v112, v109, s[0:3], 0 offen
	buffer_load_dword v113, v109, s[0:3], 0 offen offset:4
	ds_read_b64 v[114:115], v110
	v_add_nc_u32_e32 v111, 1, v111
	v_add_nc_u32_e32 v110, 8, v110
	;; [unrolled: 1-line block ×3, first 2 shown]
	v_cmp_lt_u32_e32 vcc_lo, 50, v111
	s_or_b32 s5, vcc_lo, s5
	s_waitcnt vmcnt(0) lgkmcnt(0)
	v_fma_f64 v[107:108], v[112:113], v[114:115], v[107:108]
	s_andn2_b32 exec_lo, exec_lo, s5
	s_cbranch_execnz .LBB52_217
; %bb.218:
	s_or_b32 exec_lo, exec_lo, s5
	v_mov_b32_e32 v109, 0
	ds_read_b64 v[109:110], v109 offset:416
	s_waitcnt lgkmcnt(0)
	v_mul_f64 v[107:108], v[107:108], v[109:110]
	buffer_store_dword v108, off, s[0:3], 0 offset:420
	buffer_store_dword v107, off, s[0:3], 0 offset:416
.LBB52_219:
	s_or_b32 exec_lo, exec_lo, s4
	s_mov_b32 s5, -1
	s_waitcnt_vscnt null, 0x0
	s_barrier
	buffer_gl0_inv
.LBB52_220:
	s_and_b32 vcc_lo, exec_lo, s5
	s_cbranch_vccz .LBB52_222
; %bb.221:
	s_lshl_b64 s[4:5], s[6:7], 2
	v_mov_b32_e32 v107, 0
	s_add_u32 s4, s10, s4
	s_addc_u32 s5, s11, s5
	global_load_dword v107, v107, s[4:5]
	s_waitcnt vmcnt(0)
	v_cmp_ne_u32_e32 vcc_lo, 0, v107
	s_cbranch_vccz .LBB52_223
.LBB52_222:
	s_endpgm
.LBB52_223:
	v_lshl_add_u32 v107, v0, 3, 0x1b0
	s_mov_b32 s4, exec_lo
	v_cmpx_eq_u32_e32 52, v0
	s_cbranch_execz .LBB52_225
; %bb.224:
	s_clause 0x1
	buffer_load_dword v108, off, s[0:3], 0 offset:408
	buffer_load_dword v109, off, s[0:3], 0 offset:412
	v_mov_b32_e32 v110, 0
	buffer_store_dword v110, off, s[0:3], 0 offset:408
	buffer_store_dword v110, off, s[0:3], 0 offset:412
	s_waitcnt vmcnt(0)
	ds_write_b64 v107, v[108:109]
.LBB52_225:
	s_or_b32 exec_lo, exec_lo, s4
	s_waitcnt lgkmcnt(0)
	s_waitcnt_vscnt null, 0x0
	s_barrier
	buffer_gl0_inv
	s_clause 0x3
	buffer_load_dword v109, off, s[0:3], 0 offset:416
	buffer_load_dword v110, off, s[0:3], 0 offset:420
	buffer_load_dword v111, off, s[0:3], 0 offset:408
	buffer_load_dword v112, off, s[0:3], 0 offset:412
	v_mov_b32_e32 v108, 0
	s_mov_b32 s4, exec_lo
	ds_read_b64 v[113:114], v108 offset:848
	s_waitcnt vmcnt(2) lgkmcnt(0)
	v_fma_f64 v[109:110], v[109:110], v[113:114], 0
	s_waitcnt vmcnt(0)
	v_add_f64 v[109:110], v[111:112], -v[109:110]
	buffer_store_dword v109, off, s[0:3], 0 offset:408
	buffer_store_dword v110, off, s[0:3], 0 offset:412
	v_cmpx_lt_u32_e32 50, v0
	s_cbranch_execz .LBB52_227
; %bb.226:
	s_clause 0x1
	buffer_load_dword v109, off, s[0:3], 0 offset:400
	buffer_load_dword v110, off, s[0:3], 0 offset:404
	buffer_store_dword v108, off, s[0:3], 0 offset:400
	buffer_store_dword v108, off, s[0:3], 0 offset:404
	s_waitcnt vmcnt(0)
	ds_write_b64 v107, v[109:110]
.LBB52_227:
	s_or_b32 exec_lo, exec_lo, s4
	s_waitcnt lgkmcnt(0)
	s_waitcnt_vscnt null, 0x0
	s_barrier
	buffer_gl0_inv
	s_clause 0x5
	buffer_load_dword v112, off, s[0:3], 0 offset:408
	buffer_load_dword v113, off, s[0:3], 0 offset:412
	;; [unrolled: 1-line block ×6, first 2 shown]
	ds_read2_b64 v[108:111], v108 offset0:105 offset1:106
	s_mov_b32 s4, exec_lo
	s_waitcnt vmcnt(4) lgkmcnt(0)
	v_fma_f64 v[108:109], v[112:113], v[108:109], 0
	s_waitcnt vmcnt(2)
	v_fma_f64 v[108:109], v[114:115], v[110:111], v[108:109]
	s_waitcnt vmcnt(0)
	v_add_f64 v[108:109], v[116:117], -v[108:109]
	buffer_store_dword v108, off, s[0:3], 0 offset:400
	buffer_store_dword v109, off, s[0:3], 0 offset:404
	v_cmpx_lt_u32_e32 49, v0
	s_cbranch_execz .LBB52_229
; %bb.228:
	s_clause 0x1
	buffer_load_dword v108, off, s[0:3], 0 offset:392
	buffer_load_dword v109, off, s[0:3], 0 offset:396
	v_mov_b32_e32 v110, 0
	buffer_store_dword v110, off, s[0:3], 0 offset:392
	buffer_store_dword v110, off, s[0:3], 0 offset:396
	s_waitcnt vmcnt(0)
	ds_write_b64 v107, v[108:109]
.LBB52_229:
	s_or_b32 exec_lo, exec_lo, s4
	s_waitcnt lgkmcnt(0)
	s_waitcnt_vscnt null, 0x0
	s_barrier
	buffer_gl0_inv
	s_clause 0x7
	buffer_load_dword v113, off, s[0:3], 0 offset:400
	buffer_load_dword v114, off, s[0:3], 0 offset:404
	;; [unrolled: 1-line block ×8, first 2 shown]
	v_mov_b32_e32 v108, 0
	ds_read_b128 v[109:112], v108 offset:832
	ds_read_b64 v[121:122], v108 offset:848
	s_mov_b32 s4, exec_lo
	s_waitcnt vmcnt(6) lgkmcnt(1)
	v_fma_f64 v[109:110], v[113:114], v[109:110], 0
	s_waitcnt vmcnt(4)
	v_fma_f64 v[109:110], v[115:116], v[111:112], v[109:110]
	s_waitcnt vmcnt(2) lgkmcnt(0)
	v_fma_f64 v[109:110], v[117:118], v[121:122], v[109:110]
	s_waitcnt vmcnt(0)
	v_add_f64 v[109:110], v[119:120], -v[109:110]
	buffer_store_dword v109, off, s[0:3], 0 offset:392
	buffer_store_dword v110, off, s[0:3], 0 offset:396
	v_cmpx_lt_u32_e32 48, v0
	s_cbranch_execz .LBB52_231
; %bb.230:
	s_clause 0x1
	buffer_load_dword v109, off, s[0:3], 0 offset:384
	buffer_load_dword v110, off, s[0:3], 0 offset:388
	buffer_store_dword v108, off, s[0:3], 0 offset:384
	buffer_store_dword v108, off, s[0:3], 0 offset:388
	s_waitcnt vmcnt(0)
	ds_write_b64 v107, v[109:110]
.LBB52_231:
	s_or_b32 exec_lo, exec_lo, s4
	s_waitcnt lgkmcnt(0)
	s_waitcnt_vscnt null, 0x0
	s_barrier
	buffer_gl0_inv
	s_clause 0x9
	buffer_load_dword v117, off, s[0:3], 0 offset:392
	buffer_load_dword v118, off, s[0:3], 0 offset:396
	;; [unrolled: 1-line block ×10, first 2 shown]
	ds_read2_b64 v[109:112], v108 offset0:103 offset1:104
	ds_read2_b64 v[113:116], v108 offset0:105 offset1:106
	s_mov_b32 s4, exec_lo
	s_waitcnt vmcnt(8) lgkmcnt(1)
	v_fma_f64 v[108:109], v[117:118], v[109:110], 0
	s_waitcnt vmcnt(6)
	v_fma_f64 v[108:109], v[119:120], v[111:112], v[108:109]
	s_waitcnt vmcnt(4) lgkmcnt(0)
	v_fma_f64 v[108:109], v[121:122], v[113:114], v[108:109]
	s_waitcnt vmcnt(2)
	v_fma_f64 v[108:109], v[123:124], v[115:116], v[108:109]
	s_waitcnt vmcnt(0)
	v_add_f64 v[108:109], v[125:126], -v[108:109]
	buffer_store_dword v108, off, s[0:3], 0 offset:384
	buffer_store_dword v109, off, s[0:3], 0 offset:388
	v_cmpx_lt_u32_e32 47, v0
	s_cbranch_execz .LBB52_233
; %bb.232:
	s_clause 0x1
	buffer_load_dword v108, off, s[0:3], 0 offset:376
	buffer_load_dword v109, off, s[0:3], 0 offset:380
	v_mov_b32_e32 v110, 0
	buffer_store_dword v110, off, s[0:3], 0 offset:376
	buffer_store_dword v110, off, s[0:3], 0 offset:380
	s_waitcnt vmcnt(0)
	ds_write_b64 v107, v[108:109]
.LBB52_233:
	s_or_b32 exec_lo, exec_lo, s4
	s_waitcnt lgkmcnt(0)
	s_waitcnt_vscnt null, 0x0
	s_barrier
	buffer_gl0_inv
	s_clause 0xb
	buffer_load_dword v117, off, s[0:3], 0 offset:384
	buffer_load_dword v118, off, s[0:3], 0 offset:388
	;; [unrolled: 1-line block ×12, first 2 shown]
	v_mov_b32_e32 v108, 0
	ds_read_b128 v[109:112], v108 offset:816
	ds_read_b128 v[113:116], v108 offset:832
	s_mov_b32 s4, exec_lo
	s_waitcnt vmcnt(10) lgkmcnt(1)
	v_fma_f64 v[109:110], v[117:118], v[109:110], 0
	s_waitcnt vmcnt(8)
	v_fma_f64 v[109:110], v[119:120], v[111:112], v[109:110]
	ds_read_b64 v[111:112], v108 offset:848
	s_waitcnt vmcnt(6) lgkmcnt(1)
	v_fma_f64 v[109:110], v[121:122], v[113:114], v[109:110]
	s_waitcnt vmcnt(4)
	v_fma_f64 v[109:110], v[123:124], v[115:116], v[109:110]
	s_waitcnt vmcnt(2) lgkmcnt(0)
	v_fma_f64 v[109:110], v[125:126], v[111:112], v[109:110]
	s_waitcnt vmcnt(0)
	v_add_f64 v[109:110], v[127:128], -v[109:110]
	buffer_store_dword v109, off, s[0:3], 0 offset:376
	buffer_store_dword v110, off, s[0:3], 0 offset:380
	v_cmpx_lt_u32_e32 46, v0
	s_cbranch_execz .LBB52_235
; %bb.234:
	s_clause 0x1
	buffer_load_dword v109, off, s[0:3], 0 offset:368
	buffer_load_dword v110, off, s[0:3], 0 offset:372
	buffer_store_dword v108, off, s[0:3], 0 offset:368
	buffer_store_dword v108, off, s[0:3], 0 offset:372
	s_waitcnt vmcnt(0)
	ds_write_b64 v107, v[109:110]
.LBB52_235:
	s_or_b32 exec_lo, exec_lo, s4
	s_waitcnt lgkmcnt(0)
	s_waitcnt_vscnt null, 0x0
	s_barrier
	buffer_gl0_inv
	s_clause 0xd
	buffer_load_dword v117, off, s[0:3], 0 offset:376
	buffer_load_dword v118, off, s[0:3], 0 offset:380
	;; [unrolled: 1-line block ×14, first 2 shown]
	ds_read2_b64 v[109:112], v108 offset0:101 offset1:102
	ds_read2_b64 v[113:116], v108 offset0:103 offset1:104
	s_mov_b32 s4, exec_lo
	s_waitcnt vmcnt(12) lgkmcnt(1)
	v_fma_f64 v[109:110], v[117:118], v[109:110], 0
	s_waitcnt vmcnt(10)
	v_fma_f64 v[109:110], v[119:120], v[111:112], v[109:110]
	s_waitcnt vmcnt(8) lgkmcnt(0)
	v_fma_f64 v[109:110], v[121:122], v[113:114], v[109:110]
	s_waitcnt vmcnt(6)
	v_fma_f64 v[112:113], v[123:124], v[115:116], v[109:110]
	ds_read2_b64 v[108:111], v108 offset0:105 offset1:106
	s_waitcnt vmcnt(4) lgkmcnt(0)
	v_fma_f64 v[108:109], v[125:126], v[108:109], v[112:113]
	s_waitcnt vmcnt(2)
	v_fma_f64 v[108:109], v[127:128], v[110:111], v[108:109]
	s_waitcnt vmcnt(0)
	v_add_f64 v[108:109], v[129:130], -v[108:109]
	buffer_store_dword v108, off, s[0:3], 0 offset:368
	buffer_store_dword v109, off, s[0:3], 0 offset:372
	v_cmpx_lt_u32_e32 45, v0
	s_cbranch_execz .LBB52_237
; %bb.236:
	s_clause 0x1
	buffer_load_dword v108, off, s[0:3], 0 offset:360
	buffer_load_dword v109, off, s[0:3], 0 offset:364
	v_mov_b32_e32 v110, 0
	buffer_store_dword v110, off, s[0:3], 0 offset:360
	buffer_store_dword v110, off, s[0:3], 0 offset:364
	s_waitcnt vmcnt(0)
	ds_write_b64 v107, v[108:109]
.LBB52_237:
	s_or_b32 exec_lo, exec_lo, s4
	s_waitcnt lgkmcnt(0)
	s_waitcnt_vscnt null, 0x0
	s_barrier
	buffer_gl0_inv
	s_clause 0xf
	buffer_load_dword v117, off, s[0:3], 0 offset:368
	buffer_load_dword v118, off, s[0:3], 0 offset:372
	;; [unrolled: 1-line block ×16, first 2 shown]
	v_mov_b32_e32 v108, 0
	ds_read_b128 v[109:112], v108 offset:800
	ds_read_b128 v[113:116], v108 offset:816
	s_mov_b32 s4, exec_lo
	s_waitcnt vmcnt(14) lgkmcnt(1)
	v_fma_f64 v[109:110], v[117:118], v[109:110], 0
	s_waitcnt vmcnt(12)
	v_fma_f64 v[109:110], v[119:120], v[111:112], v[109:110]
	s_waitcnt vmcnt(10) lgkmcnt(0)
	v_fma_f64 v[109:110], v[121:122], v[113:114], v[109:110]
	s_waitcnt vmcnt(8)
	v_fma_f64 v[113:114], v[123:124], v[115:116], v[109:110]
	ds_read_b128 v[109:112], v108 offset:832
	ds_read_b64 v[115:116], v108 offset:848
	s_waitcnt vmcnt(6) lgkmcnt(1)
	v_fma_f64 v[109:110], v[125:126], v[109:110], v[113:114]
	s_waitcnt vmcnt(4)
	v_fma_f64 v[109:110], v[127:128], v[111:112], v[109:110]
	s_waitcnt vmcnt(2) lgkmcnt(0)
	v_fma_f64 v[109:110], v[129:130], v[115:116], v[109:110]
	s_waitcnt vmcnt(0)
	v_add_f64 v[109:110], v[131:132], -v[109:110]
	buffer_store_dword v109, off, s[0:3], 0 offset:360
	buffer_store_dword v110, off, s[0:3], 0 offset:364
	v_cmpx_lt_u32_e32 44, v0
	s_cbranch_execz .LBB52_239
; %bb.238:
	s_clause 0x1
	buffer_load_dword v109, off, s[0:3], 0 offset:352
	buffer_load_dword v110, off, s[0:3], 0 offset:356
	buffer_store_dword v108, off, s[0:3], 0 offset:352
	buffer_store_dword v108, off, s[0:3], 0 offset:356
	s_waitcnt vmcnt(0)
	ds_write_b64 v107, v[109:110]
.LBB52_239:
	s_or_b32 exec_lo, exec_lo, s4
	s_waitcnt lgkmcnt(0)
	s_waitcnt_vscnt null, 0x0
	s_barrier
	buffer_gl0_inv
	s_clause 0x11
	buffer_load_dword v117, off, s[0:3], 0 offset:360
	buffer_load_dword v118, off, s[0:3], 0 offset:364
	;; [unrolled: 1-line block ×18, first 2 shown]
	ds_read2_b64 v[109:112], v108 offset0:99 offset1:100
	ds_read2_b64 v[113:116], v108 offset0:101 offset1:102
	s_mov_b32 s4, exec_lo
	s_waitcnt vmcnt(16) lgkmcnt(1)
	v_fma_f64 v[109:110], v[117:118], v[109:110], 0
	s_waitcnt vmcnt(14)
	v_fma_f64 v[109:110], v[119:120], v[111:112], v[109:110]
	s_waitcnt vmcnt(12) lgkmcnt(0)
	v_fma_f64 v[109:110], v[121:122], v[113:114], v[109:110]
	s_waitcnt vmcnt(10)
	v_fma_f64 v[117:118], v[123:124], v[115:116], v[109:110]
	ds_read2_b64 v[109:112], v108 offset0:103 offset1:104
	ds_read2_b64 v[113:116], v108 offset0:105 offset1:106
	s_waitcnt vmcnt(8) lgkmcnt(1)
	v_fma_f64 v[108:109], v[125:126], v[109:110], v[117:118]
	s_waitcnt vmcnt(6)
	v_fma_f64 v[108:109], v[127:128], v[111:112], v[108:109]
	s_waitcnt vmcnt(4) lgkmcnt(0)
	v_fma_f64 v[108:109], v[129:130], v[113:114], v[108:109]
	s_waitcnt vmcnt(2)
	v_fma_f64 v[108:109], v[131:132], v[115:116], v[108:109]
	s_waitcnt vmcnt(0)
	v_add_f64 v[108:109], v[133:134], -v[108:109]
	buffer_store_dword v108, off, s[0:3], 0 offset:352
	buffer_store_dword v109, off, s[0:3], 0 offset:356
	v_cmpx_lt_u32_e32 43, v0
	s_cbranch_execz .LBB52_241
; %bb.240:
	s_clause 0x1
	buffer_load_dword v108, off, s[0:3], 0 offset:344
	buffer_load_dword v109, off, s[0:3], 0 offset:348
	v_mov_b32_e32 v110, 0
	buffer_store_dword v110, off, s[0:3], 0 offset:344
	buffer_store_dword v110, off, s[0:3], 0 offset:348
	s_waitcnt vmcnt(0)
	ds_write_b64 v107, v[108:109]
.LBB52_241:
	s_or_b32 exec_lo, exec_lo, s4
	s_waitcnt lgkmcnt(0)
	s_waitcnt_vscnt null, 0x0
	s_barrier
	buffer_gl0_inv
	s_clause 0x13
	buffer_load_dword v117, off, s[0:3], 0 offset:352
	buffer_load_dword v118, off, s[0:3], 0 offset:356
	;; [unrolled: 1-line block ×20, first 2 shown]
	v_mov_b32_e32 v108, 0
	ds_read_b128 v[109:112], v108 offset:784
	ds_read_b128 v[113:116], v108 offset:800
	s_mov_b32 s4, exec_lo
	s_waitcnt vmcnt(18) lgkmcnt(1)
	v_fma_f64 v[109:110], v[117:118], v[109:110], 0
	s_waitcnt vmcnt(16)
	v_fma_f64 v[109:110], v[119:120], v[111:112], v[109:110]
	s_waitcnt vmcnt(14) lgkmcnt(0)
	v_fma_f64 v[109:110], v[121:122], v[113:114], v[109:110]
	s_waitcnt vmcnt(12)
	v_fma_f64 v[117:118], v[123:124], v[115:116], v[109:110]
	ds_read_b128 v[109:112], v108 offset:816
	ds_read_b128 v[113:116], v108 offset:832
	s_waitcnt vmcnt(10) lgkmcnt(1)
	v_fma_f64 v[109:110], v[125:126], v[109:110], v[117:118]
	s_waitcnt vmcnt(8)
	v_fma_f64 v[109:110], v[127:128], v[111:112], v[109:110]
	ds_read_b64 v[111:112], v108 offset:848
	s_waitcnt vmcnt(6) lgkmcnt(1)
	v_fma_f64 v[109:110], v[129:130], v[113:114], v[109:110]
	s_waitcnt vmcnt(3)
	v_fma_f64 v[109:110], v[131:132], v[115:116], v[109:110]
	s_waitcnt vmcnt(2) lgkmcnt(0)
	v_fma_f64 v[109:110], v[133:134], v[111:112], v[109:110]
	s_waitcnt vmcnt(0)
	v_add_f64 v[109:110], v[135:136], -v[109:110]
	buffer_store_dword v109, off, s[0:3], 0 offset:344
	buffer_store_dword v110, off, s[0:3], 0 offset:348
	v_cmpx_lt_u32_e32 42, v0
	s_cbranch_execz .LBB52_243
; %bb.242:
	s_clause 0x1
	buffer_load_dword v109, off, s[0:3], 0 offset:336
	buffer_load_dword v110, off, s[0:3], 0 offset:340
	buffer_store_dword v108, off, s[0:3], 0 offset:336
	buffer_store_dword v108, off, s[0:3], 0 offset:340
	s_waitcnt vmcnt(0)
	ds_write_b64 v107, v[109:110]
.LBB52_243:
	s_or_b32 exec_lo, exec_lo, s4
	s_waitcnt lgkmcnt(0)
	s_waitcnt_vscnt null, 0x0
	s_barrier
	buffer_gl0_inv
	s_clause 0x15
	buffer_load_dword v117, off, s[0:3], 0 offset:344
	buffer_load_dword v118, off, s[0:3], 0 offset:348
	buffer_load_dword v119, off, s[0:3], 0 offset:352
	buffer_load_dword v120, off, s[0:3], 0 offset:356
	buffer_load_dword v121, off, s[0:3], 0 offset:360
	buffer_load_dword v122, off, s[0:3], 0 offset:364
	buffer_load_dword v123, off, s[0:3], 0 offset:368
	buffer_load_dword v124, off, s[0:3], 0 offset:372
	buffer_load_dword v125, off, s[0:3], 0 offset:376
	buffer_load_dword v126, off, s[0:3], 0 offset:380
	buffer_load_dword v127, off, s[0:3], 0 offset:384
	buffer_load_dword v128, off, s[0:3], 0 offset:388
	buffer_load_dword v129, off, s[0:3], 0 offset:392
	buffer_load_dword v130, off, s[0:3], 0 offset:396
	buffer_load_dword v132, off, s[0:3], 0 offset:404
	buffer_load_dword v133, off, s[0:3], 0 offset:416
	buffer_load_dword v135, off, s[0:3], 0 offset:408
	buffer_load_dword v131, off, s[0:3], 0 offset:400
	buffer_load_dword v136, off, s[0:3], 0 offset:412
	buffer_load_dword v134, off, s[0:3], 0 offset:420
	buffer_load_dword v137, off, s[0:3], 0 offset:336
	buffer_load_dword v138, off, s[0:3], 0 offset:340
	ds_read2_b64 v[109:112], v108 offset0:97 offset1:98
	ds_read2_b64 v[113:116], v108 offset0:99 offset1:100
	s_mov_b32 s4, exec_lo
	s_waitcnt vmcnt(20) lgkmcnt(1)
	v_fma_f64 v[109:110], v[117:118], v[109:110], 0
	s_waitcnt vmcnt(18)
	v_fma_f64 v[109:110], v[119:120], v[111:112], v[109:110]
	s_waitcnt vmcnt(16) lgkmcnt(0)
	v_fma_f64 v[109:110], v[121:122], v[113:114], v[109:110]
	s_waitcnt vmcnt(14)
	v_fma_f64 v[117:118], v[123:124], v[115:116], v[109:110]
	ds_read2_b64 v[109:112], v108 offset0:101 offset1:102
	ds_read2_b64 v[113:116], v108 offset0:103 offset1:104
	s_waitcnt vmcnt(12) lgkmcnt(1)
	v_fma_f64 v[109:110], v[125:126], v[109:110], v[117:118]
	s_waitcnt vmcnt(10)
	v_fma_f64 v[109:110], v[127:128], v[111:112], v[109:110]
	s_waitcnt vmcnt(8) lgkmcnt(0)
	v_fma_f64 v[109:110], v[129:130], v[113:114], v[109:110]
	s_waitcnt vmcnt(4)
	v_fma_f64 v[112:113], v[131:132], v[115:116], v[109:110]
	ds_read2_b64 v[108:111], v108 offset0:105 offset1:106
	s_waitcnt vmcnt(3) lgkmcnt(0)
	v_fma_f64 v[108:109], v[135:136], v[108:109], v[112:113]
	s_waitcnt vmcnt(2)
	v_fma_f64 v[108:109], v[133:134], v[110:111], v[108:109]
	s_waitcnt vmcnt(0)
	v_add_f64 v[108:109], v[137:138], -v[108:109]
	buffer_store_dword v108, off, s[0:3], 0 offset:336
	buffer_store_dword v109, off, s[0:3], 0 offset:340
	v_cmpx_lt_u32_e32 41, v0
	s_cbranch_execz .LBB52_245
; %bb.244:
	s_clause 0x1
	buffer_load_dword v108, off, s[0:3], 0 offset:328
	buffer_load_dword v109, off, s[0:3], 0 offset:332
	v_mov_b32_e32 v110, 0
	buffer_store_dword v110, off, s[0:3], 0 offset:328
	buffer_store_dword v110, off, s[0:3], 0 offset:332
	s_waitcnt vmcnt(0)
	ds_write_b64 v107, v[108:109]
.LBB52_245:
	s_or_b32 exec_lo, exec_lo, s4
	s_waitcnt lgkmcnt(0)
	s_waitcnt_vscnt null, 0x0
	s_barrier
	buffer_gl0_inv
	s_clause 0x17
	buffer_load_dword v117, off, s[0:3], 0 offset:336
	buffer_load_dword v118, off, s[0:3], 0 offset:340
	;; [unrolled: 1-line block ×24, first 2 shown]
	v_mov_b32_e32 v108, 0
	ds_read_b128 v[109:112], v108 offset:768
	ds_read_b128 v[113:116], v108 offset:784
	s_mov_b32 s4, exec_lo
	s_waitcnt vmcnt(22) lgkmcnt(1)
	v_fma_f64 v[109:110], v[117:118], v[109:110], 0
	s_waitcnt vmcnt(20)
	v_fma_f64 v[109:110], v[119:120], v[111:112], v[109:110]
	s_waitcnt vmcnt(18) lgkmcnt(0)
	v_fma_f64 v[109:110], v[121:122], v[113:114], v[109:110]
	s_waitcnt vmcnt(16)
	v_fma_f64 v[117:118], v[123:124], v[115:116], v[109:110]
	ds_read_b128 v[109:112], v108 offset:800
	ds_read_b128 v[113:116], v108 offset:816
	s_waitcnt vmcnt(14) lgkmcnt(1)
	v_fma_f64 v[109:110], v[125:126], v[109:110], v[117:118]
	s_waitcnt vmcnt(12)
	v_fma_f64 v[109:110], v[127:128], v[111:112], v[109:110]
	s_waitcnt vmcnt(10) lgkmcnt(0)
	v_fma_f64 v[109:110], v[129:130], v[113:114], v[109:110]
	s_waitcnt vmcnt(5)
	v_fma_f64 v[113:114], v[131:132], v[115:116], v[109:110]
	ds_read_b128 v[109:112], v108 offset:832
	ds_read_b64 v[115:116], v108 offset:848
	s_waitcnt vmcnt(4) lgkmcnt(1)
	v_fma_f64 v[109:110], v[137:138], v[109:110], v[113:114]
	s_waitcnt vmcnt(3)
	v_fma_f64 v[109:110], v[135:136], v[111:112], v[109:110]
	s_waitcnt vmcnt(2) lgkmcnt(0)
	v_fma_f64 v[109:110], v[133:134], v[115:116], v[109:110]
	s_waitcnt vmcnt(0)
	v_add_f64 v[109:110], v[139:140], -v[109:110]
	buffer_store_dword v110, off, s[0:3], 0 offset:332
	buffer_store_dword v109, off, s[0:3], 0 offset:328
	v_cmpx_lt_u32_e32 40, v0
	s_cbranch_execz .LBB52_247
; %bb.246:
	s_clause 0x1
	buffer_load_dword v109, off, s[0:3], 0 offset:320
	buffer_load_dword v110, off, s[0:3], 0 offset:324
	buffer_store_dword v108, off, s[0:3], 0 offset:320
	buffer_store_dword v108, off, s[0:3], 0 offset:324
	s_waitcnt vmcnt(0)
	ds_write_b64 v107, v[109:110]
.LBB52_247:
	s_or_b32 exec_lo, exec_lo, s4
	s_waitcnt lgkmcnt(0)
	s_waitcnt_vscnt null, 0x0
	s_barrier
	buffer_gl0_inv
	s_clause 0x19
	buffer_load_dword v113, off, s[0:3], 0 offset:328
	buffer_load_dword v114, off, s[0:3], 0 offset:332
	;; [unrolled: 1-line block ×26, first 2 shown]
	ds_read2_b64 v[109:112], v108 offset0:95 offset1:96
	s_mov_b32 s4, exec_lo
	s_waitcnt vmcnt(24) lgkmcnt(0)
	v_fma_f64 v[109:110], v[113:114], v[109:110], 0
	s_waitcnt vmcnt(22)
	v_fma_f64 v[113:114], v[115:116], v[111:112], v[109:110]
	ds_read2_b64 v[109:112], v108 offset0:97 offset1:98
	s_waitcnt vmcnt(20) lgkmcnt(0)
	v_fma_f64 v[109:110], v[117:118], v[109:110], v[113:114]
	s_waitcnt vmcnt(18)
	v_fma_f64 v[113:114], v[119:120], v[111:112], v[109:110]
	ds_read2_b64 v[109:112], v108 offset0:99 offset1:100
	;; [unrolled: 5-line block ×5, first 2 shown]
	s_waitcnt vmcnt(4) lgkmcnt(0)
	v_fma_f64 v[108:109], v[133:134], v[108:109], v[112:113]
	s_waitcnt vmcnt(2)
	v_fma_f64 v[108:109], v[135:136], v[110:111], v[108:109]
	s_waitcnt vmcnt(0)
	v_add_f64 v[108:109], v[137:138], -v[108:109]
	buffer_store_dword v109, off, s[0:3], 0 offset:324
	buffer_store_dword v108, off, s[0:3], 0 offset:320
	v_cmpx_lt_u32_e32 39, v0
	s_cbranch_execz .LBB52_249
; %bb.248:
	s_clause 0x1
	buffer_load_dword v108, off, s[0:3], 0 offset:312
	buffer_load_dword v109, off, s[0:3], 0 offset:316
	v_mov_b32_e32 v110, 0
	buffer_store_dword v110, off, s[0:3], 0 offset:312
	buffer_store_dword v110, off, s[0:3], 0 offset:316
	s_waitcnt vmcnt(0)
	ds_write_b64 v107, v[108:109]
.LBB52_249:
	s_or_b32 exec_lo, exec_lo, s4
	s_waitcnt lgkmcnt(0)
	s_waitcnt_vscnt null, 0x0
	s_barrier
	buffer_gl0_inv
	s_clause 0x1b
	buffer_load_dword v113, off, s[0:3], 0 offset:320
	buffer_load_dword v114, off, s[0:3], 0 offset:324
	;; [unrolled: 1-line block ×28, first 2 shown]
	v_mov_b32_e32 v108, 0
	s_mov_b32 s4, exec_lo
	ds_read_b128 v[109:112], v108 offset:752
	s_waitcnt vmcnt(26) lgkmcnt(0)
	v_fma_f64 v[109:110], v[113:114], v[109:110], 0
	s_waitcnt vmcnt(24)
	v_fma_f64 v[113:114], v[115:116], v[111:112], v[109:110]
	ds_read_b128 v[109:112], v108 offset:768
	s_waitcnt vmcnt(22) lgkmcnt(0)
	v_fma_f64 v[109:110], v[117:118], v[109:110], v[113:114]
	s_waitcnt vmcnt(20)
	v_fma_f64 v[113:114], v[119:120], v[111:112], v[109:110]
	;; [unrolled: 5-line block ×6, first 2 shown]
	ds_read_b64 v[111:112], v108 offset:848
	s_waitcnt vmcnt(2) lgkmcnt(0)
	v_fma_f64 v[109:110], v[137:138], v[111:112], v[109:110]
	s_waitcnt vmcnt(0)
	v_add_f64 v[109:110], v[139:140], -v[109:110]
	buffer_store_dword v110, off, s[0:3], 0 offset:316
	buffer_store_dword v109, off, s[0:3], 0 offset:312
	v_cmpx_lt_u32_e32 38, v0
	s_cbranch_execz .LBB52_251
; %bb.250:
	s_clause 0x1
	buffer_load_dword v109, off, s[0:3], 0 offset:304
	buffer_load_dword v110, off, s[0:3], 0 offset:308
	buffer_store_dword v108, off, s[0:3], 0 offset:304
	buffer_store_dword v108, off, s[0:3], 0 offset:308
	s_waitcnt vmcnt(0)
	ds_write_b64 v107, v[109:110]
.LBB52_251:
	s_or_b32 exec_lo, exec_lo, s4
	s_waitcnt lgkmcnt(0)
	s_waitcnt_vscnt null, 0x0
	s_barrier
	buffer_gl0_inv
	s_clause 0x1b
	buffer_load_dword v113, off, s[0:3], 0 offset:312
	buffer_load_dword v114, off, s[0:3], 0 offset:316
	;; [unrolled: 1-line block ×28, first 2 shown]
	ds_read2_b64 v[109:112], v108 offset0:93 offset1:94
	s_clause 0x1
	buffer_load_dword v141, off, s[0:3], 0 offset:304
	buffer_load_dword v142, off, s[0:3], 0 offset:308
	s_mov_b32 s4, exec_lo
	s_waitcnt vmcnt(28) lgkmcnt(0)
	v_fma_f64 v[109:110], v[113:114], v[109:110], 0
	s_waitcnt vmcnt(26)
	v_fma_f64 v[113:114], v[115:116], v[111:112], v[109:110]
	ds_read2_b64 v[109:112], v108 offset0:95 offset1:96
	s_waitcnt vmcnt(24) lgkmcnt(0)
	v_fma_f64 v[109:110], v[117:118], v[109:110], v[113:114]
	s_waitcnt vmcnt(22)
	v_fma_f64 v[113:114], v[119:120], v[111:112], v[109:110]
	ds_read2_b64 v[109:112], v108 offset0:97 offset1:98
	;; [unrolled: 5-line block ×6, first 2 shown]
	s_waitcnt vmcnt(4) lgkmcnt(0)
	v_fma_f64 v[108:109], v[137:138], v[108:109], v[112:113]
	s_waitcnt vmcnt(2)
	v_fma_f64 v[108:109], v[139:140], v[110:111], v[108:109]
	s_waitcnt vmcnt(0)
	v_add_f64 v[108:109], v[141:142], -v[108:109]
	buffer_store_dword v109, off, s[0:3], 0 offset:308
	buffer_store_dword v108, off, s[0:3], 0 offset:304
	v_cmpx_lt_u32_e32 37, v0
	s_cbranch_execz .LBB52_253
; %bb.252:
	s_clause 0x1
	buffer_load_dword v108, off, s[0:3], 0 offset:296
	buffer_load_dword v109, off, s[0:3], 0 offset:300
	v_mov_b32_e32 v110, 0
	buffer_store_dword v110, off, s[0:3], 0 offset:296
	buffer_store_dword v110, off, s[0:3], 0 offset:300
	s_waitcnt vmcnt(0)
	ds_write_b64 v107, v[108:109]
.LBB52_253:
	s_or_b32 exec_lo, exec_lo, s4
	s_waitcnt lgkmcnt(0)
	s_waitcnt_vscnt null, 0x0
	s_barrier
	buffer_gl0_inv
	s_clause 0x1c
	buffer_load_dword v117, off, s[0:3], 0 offset:304
	buffer_load_dword v118, off, s[0:3], 0 offset:308
	;; [unrolled: 1-line block ×29, first 2 shown]
	v_mov_b32_e32 v108, 0
	buffer_load_dword v142, off, s[0:3], 0 offset:420
	s_mov_b32 s4, exec_lo
	ds_read_b128 v[109:112], v108 offset:736
	ds_read_b128 v[113:116], v108 offset:752
	s_waitcnt vmcnt(28) lgkmcnt(1)
	v_fma_f64 v[109:110], v[117:118], v[109:110], 0
	s_clause 0x1
	buffer_load_dword v117, off, s[0:3], 0 offset:296
	buffer_load_dword v118, off, s[0:3], 0 offset:300
	s_waitcnt vmcnt(28)
	v_fma_f64 v[109:110], v[119:120], v[111:112], v[109:110]
	s_waitcnt vmcnt(26) lgkmcnt(0)
	v_fma_f64 v[109:110], v[121:122], v[113:114], v[109:110]
	s_waitcnt vmcnt(24)
	v_fma_f64 v[119:120], v[123:124], v[115:116], v[109:110]
	ds_read_b128 v[109:112], v108 offset:768
	ds_read_b128 v[113:116], v108 offset:784
	s_waitcnt vmcnt(22) lgkmcnt(1)
	v_fma_f64 v[109:110], v[125:126], v[109:110], v[119:120]
	s_waitcnt vmcnt(20)
	v_fma_f64 v[109:110], v[127:128], v[111:112], v[109:110]
	s_waitcnt vmcnt(18) lgkmcnt(0)
	v_fma_f64 v[109:110], v[129:130], v[113:114], v[109:110]
	s_waitcnt vmcnt(13)
	v_fma_f64 v[119:120], v[131:132], v[115:116], v[109:110]
	ds_read_b128 v[109:112], v108 offset:800
	ds_read_b128 v[113:116], v108 offset:816
	s_waitcnt vmcnt(12) lgkmcnt(1)
	v_fma_f64 v[109:110], v[137:138], v[109:110], v[119:120]
	s_waitcnt vmcnt(11)
	v_fma_f64 v[109:110], v[135:136], v[111:112], v[109:110]
	s_waitcnt vmcnt(10) lgkmcnt(0)
	v_fma_f64 v[109:110], v[133:134], v[113:114], v[109:110]
	s_waitcnt vmcnt(5)
	v_fma_f64 v[113:114], v[139:140], v[115:116], v[109:110]
	ds_read_b128 v[109:112], v108 offset:832
	ds_read_b64 v[115:116], v108 offset:848
	s_waitcnt vmcnt(4) lgkmcnt(1)
	v_fma_f64 v[109:110], v[145:146], v[109:110], v[113:114]
	s_waitcnt vmcnt(3)
	v_fma_f64 v[109:110], v[143:144], v[111:112], v[109:110]
	s_waitcnt vmcnt(2) lgkmcnt(0)
	v_fma_f64 v[109:110], v[141:142], v[115:116], v[109:110]
	s_waitcnt vmcnt(0)
	v_add_f64 v[109:110], v[117:118], -v[109:110]
	buffer_store_dword v110, off, s[0:3], 0 offset:300
	buffer_store_dword v109, off, s[0:3], 0 offset:296
	v_cmpx_lt_u32_e32 36, v0
	s_cbranch_execz .LBB52_255
; %bb.254:
	s_clause 0x1
	buffer_load_dword v109, off, s[0:3], 0 offset:288
	buffer_load_dword v110, off, s[0:3], 0 offset:292
	buffer_store_dword v108, off, s[0:3], 0 offset:288
	buffer_store_dword v108, off, s[0:3], 0 offset:292
	s_waitcnt vmcnt(0)
	ds_write_b64 v107, v[109:110]
.LBB52_255:
	s_or_b32 exec_lo, exec_lo, s4
	s_waitcnt lgkmcnt(0)
	s_waitcnt_vscnt null, 0x0
	s_barrier
	buffer_gl0_inv
	s_clause 0x1c
	buffer_load_dword v117, off, s[0:3], 0 offset:296
	buffer_load_dword v118, off, s[0:3], 0 offset:300
	;; [unrolled: 1-line block ×29, first 2 shown]
	ds_read2_b64 v[109:112], v108 offset0:91 offset1:92
	ds_read2_b64 v[113:116], v108 offset0:93 offset1:94
	buffer_load_dword v142, off, s[0:3], 0 offset:412
	s_mov_b32 s4, exec_lo
	s_waitcnt vmcnt(28) lgkmcnt(1)
	v_fma_f64 v[109:110], v[117:118], v[109:110], 0
	s_clause 0x1
	buffer_load_dword v118, off, s[0:3], 0 offset:420
	buffer_load_dword v117, off, s[0:3], 0 offset:416
	s_waitcnt vmcnt(28)
	v_fma_f64 v[109:110], v[119:120], v[111:112], v[109:110]
	s_clause 0x1
	buffer_load_dword v119, off, s[0:3], 0 offset:288
	buffer_load_dword v120, off, s[0:3], 0 offset:292
	s_waitcnt vmcnt(28) lgkmcnt(0)
	v_fma_f64 v[109:110], v[121:122], v[113:114], v[109:110]
	s_waitcnt vmcnt(26)
	v_fma_f64 v[121:122], v[123:124], v[115:116], v[109:110]
	ds_read2_b64 v[109:112], v108 offset0:95 offset1:96
	ds_read2_b64 v[113:116], v108 offset0:97 offset1:98
	s_waitcnt vmcnt(24) lgkmcnt(1)
	v_fma_f64 v[109:110], v[125:126], v[109:110], v[121:122]
	s_waitcnt vmcnt(22)
	v_fma_f64 v[109:110], v[127:128], v[111:112], v[109:110]
	s_waitcnt vmcnt(20) lgkmcnt(0)
	v_fma_f64 v[109:110], v[129:130], v[113:114], v[109:110]
	s_waitcnt vmcnt(15)
	v_fma_f64 v[121:122], v[131:132], v[115:116], v[109:110]
	ds_read2_b64 v[109:112], v108 offset0:99 offset1:100
	ds_read2_b64 v[113:116], v108 offset0:101 offset1:102
	s_waitcnt vmcnt(14) lgkmcnt(1)
	v_fma_f64 v[109:110], v[137:138], v[109:110], v[121:122]
	s_waitcnt vmcnt(13)
	v_fma_f64 v[109:110], v[135:136], v[111:112], v[109:110]
	s_waitcnt vmcnt(12) lgkmcnt(0)
	v_fma_f64 v[109:110], v[133:134], v[113:114], v[109:110]
	s_waitcnt vmcnt(7)
	v_fma_f64 v[121:122], v[139:140], v[115:116], v[109:110]
	ds_read2_b64 v[109:112], v108 offset0:103 offset1:104
	ds_read2_b64 v[113:116], v108 offset0:105 offset1:106
	s_waitcnt vmcnt(6) lgkmcnt(1)
	v_fma_f64 v[108:109], v[145:146], v[109:110], v[121:122]
	s_waitcnt vmcnt(5)
	v_fma_f64 v[108:109], v[143:144], v[111:112], v[108:109]
	s_waitcnt vmcnt(4) lgkmcnt(0)
	v_fma_f64 v[108:109], v[141:142], v[113:114], v[108:109]
	s_waitcnt vmcnt(2)
	v_fma_f64 v[108:109], v[117:118], v[115:116], v[108:109]
	s_waitcnt vmcnt(0)
	v_add_f64 v[108:109], v[119:120], -v[108:109]
	buffer_store_dword v109, off, s[0:3], 0 offset:292
	buffer_store_dword v108, off, s[0:3], 0 offset:288
	v_cmpx_lt_u32_e32 35, v0
	s_cbranch_execz .LBB52_257
; %bb.256:
	s_clause 0x1
	buffer_load_dword v108, off, s[0:3], 0 offset:280
	buffer_load_dword v109, off, s[0:3], 0 offset:284
	v_mov_b32_e32 v110, 0
	buffer_store_dword v110, off, s[0:3], 0 offset:280
	buffer_store_dword v110, off, s[0:3], 0 offset:284
	s_waitcnt vmcnt(0)
	ds_write_b64 v107, v[108:109]
.LBB52_257:
	s_or_b32 exec_lo, exec_lo, s4
	s_waitcnt lgkmcnt(0)
	s_waitcnt_vscnt null, 0x0
	s_barrier
	buffer_gl0_inv
	s_clause 0x1c
	buffer_load_dword v117, off, s[0:3], 0 offset:288
	buffer_load_dword v118, off, s[0:3], 0 offset:292
	;; [unrolled: 1-line block ×29, first 2 shown]
	v_mov_b32_e32 v108, 0
	buffer_load_dword v142, off, s[0:3], 0 offset:404
	s_mov_b32 s4, exec_lo
	ds_read_b128 v[109:112], v108 offset:720
	ds_read_b128 v[113:116], v108 offset:736
	s_waitcnt vmcnt(28) lgkmcnt(1)
	v_fma_f64 v[109:110], v[117:118], v[109:110], 0
	s_clause 0x3
	buffer_load_dword v118, off, s[0:3], 0 offset:412
	buffer_load_dword v147, off, s[0:3], 0 offset:416
	;; [unrolled: 1-line block ×4, first 2 shown]
	s_waitcnt vmcnt(30)
	v_fma_f64 v[109:110], v[119:120], v[111:112], v[109:110]
	s_clause 0x1
	buffer_load_dword v119, off, s[0:3], 0 offset:280
	buffer_load_dword v120, off, s[0:3], 0 offset:284
	s_waitcnt vmcnt(30) lgkmcnt(0)
	v_fma_f64 v[109:110], v[121:122], v[113:114], v[109:110]
	s_waitcnt vmcnt(28)
	v_fma_f64 v[121:122], v[123:124], v[115:116], v[109:110]
	ds_read_b128 v[109:112], v108 offset:752
	ds_read_b128 v[113:116], v108 offset:768
	s_waitcnt vmcnt(26) lgkmcnt(1)
	v_fma_f64 v[109:110], v[125:126], v[109:110], v[121:122]
	s_waitcnt vmcnt(24)
	v_fma_f64 v[109:110], v[127:128], v[111:112], v[109:110]
	s_waitcnt vmcnt(22) lgkmcnt(0)
	v_fma_f64 v[109:110], v[129:130], v[113:114], v[109:110]
	s_waitcnt vmcnt(17)
	v_fma_f64 v[121:122], v[131:132], v[115:116], v[109:110]
	ds_read_b128 v[109:112], v108 offset:784
	ds_read_b128 v[113:116], v108 offset:800
	s_waitcnt vmcnt(16) lgkmcnt(1)
	v_fma_f64 v[109:110], v[137:138], v[109:110], v[121:122]
	s_waitcnt vmcnt(15)
	v_fma_f64 v[109:110], v[135:136], v[111:112], v[109:110]
	;; [unrolled: 10-line block ×3, first 2 shown]
	ds_read_b64 v[111:112], v108 offset:848
	s_waitcnt vmcnt(6) lgkmcnt(1)
	v_fma_f64 v[109:110], v[141:142], v[113:114], v[109:110]
	s_waitcnt vmcnt(3)
	v_fma_f64 v[109:110], v[117:118], v[115:116], v[109:110]
	s_waitcnt vmcnt(2) lgkmcnt(0)
	v_fma_f64 v[109:110], v[147:148], v[111:112], v[109:110]
	s_waitcnt vmcnt(0)
	v_add_f64 v[109:110], v[119:120], -v[109:110]
	buffer_store_dword v110, off, s[0:3], 0 offset:284
	buffer_store_dword v109, off, s[0:3], 0 offset:280
	v_cmpx_lt_u32_e32 34, v0
	s_cbranch_execz .LBB52_259
; %bb.258:
	s_clause 0x1
	buffer_load_dword v109, off, s[0:3], 0 offset:272
	buffer_load_dword v110, off, s[0:3], 0 offset:276
	buffer_store_dword v108, off, s[0:3], 0 offset:272
	buffer_store_dword v108, off, s[0:3], 0 offset:276
	s_waitcnt vmcnt(0)
	ds_write_b64 v107, v[109:110]
.LBB52_259:
	s_or_b32 exec_lo, exec_lo, s4
	s_waitcnt lgkmcnt(0)
	s_waitcnt_vscnt null, 0x0
	s_barrier
	buffer_gl0_inv
	s_clause 0x1c
	buffer_load_dword v117, off, s[0:3], 0 offset:280
	buffer_load_dword v118, off, s[0:3], 0 offset:284
	;; [unrolled: 1-line block ×29, first 2 shown]
	ds_read2_b64 v[109:112], v108 offset0:89 offset1:90
	ds_read2_b64 v[113:116], v108 offset0:91 offset1:92
	buffer_load_dword v142, off, s[0:3], 0 offset:396
	s_mov_b32 s4, exec_lo
	s_waitcnt vmcnt(28) lgkmcnt(1)
	v_fma_f64 v[109:110], v[117:118], v[109:110], 0
	s_clause 0x5
	buffer_load_dword v118, off, s[0:3], 0 offset:404
	buffer_load_dword v147, off, s[0:3], 0 offset:416
	;; [unrolled: 1-line block ×6, first 2 shown]
	s_waitcnt vmcnt(32)
	v_fma_f64 v[109:110], v[119:120], v[111:112], v[109:110]
	s_waitcnt vmcnt(30) lgkmcnt(0)
	v_fma_f64 v[109:110], v[121:122], v[113:114], v[109:110]
	s_waitcnt vmcnt(28)
	v_fma_f64 v[119:120], v[123:124], v[115:116], v[109:110]
	ds_read2_b64 v[109:112], v108 offset0:93 offset1:94
	s_clause 0x1
	buffer_load_dword v121, off, s[0:3], 0 offset:272
	buffer_load_dword v122, off, s[0:3], 0 offset:276
	ds_read2_b64 v[113:116], v108 offset0:95 offset1:96
	s_waitcnt vmcnt(28) lgkmcnt(1)
	v_fma_f64 v[109:110], v[125:126], v[109:110], v[119:120]
	s_waitcnt vmcnt(26)
	v_fma_f64 v[109:110], v[127:128], v[111:112], v[109:110]
	s_waitcnt vmcnt(24) lgkmcnt(0)
	v_fma_f64 v[109:110], v[129:130], v[113:114], v[109:110]
	s_waitcnt vmcnt(19)
	v_fma_f64 v[119:120], v[131:132], v[115:116], v[109:110]
	ds_read2_b64 v[109:112], v108 offset0:97 offset1:98
	ds_read2_b64 v[113:116], v108 offset0:99 offset1:100
	s_waitcnt vmcnt(18) lgkmcnt(1)
	v_fma_f64 v[109:110], v[137:138], v[109:110], v[119:120]
	s_waitcnt vmcnt(17)
	v_fma_f64 v[109:110], v[135:136], v[111:112], v[109:110]
	s_waitcnt vmcnt(16) lgkmcnt(0)
	v_fma_f64 v[109:110], v[133:134], v[113:114], v[109:110]
	s_waitcnt vmcnt(11)
	v_fma_f64 v[119:120], v[139:140], v[115:116], v[109:110]
	ds_read2_b64 v[109:112], v108 offset0:101 offset1:102
	;; [unrolled: 10-line block ×3, first 2 shown]
	s_waitcnt vmcnt(3) lgkmcnt(0)
	v_fma_f64 v[108:109], v[149:150], v[108:109], v[112:113]
	s_waitcnt vmcnt(2)
	v_fma_f64 v[108:109], v[147:148], v[110:111], v[108:109]
	s_waitcnt vmcnt(0)
	v_add_f64 v[108:109], v[121:122], -v[108:109]
	buffer_store_dword v109, off, s[0:3], 0 offset:276
	buffer_store_dword v108, off, s[0:3], 0 offset:272
	v_cmpx_lt_u32_e32 33, v0
	s_cbranch_execz .LBB52_261
; %bb.260:
	s_clause 0x1
	buffer_load_dword v108, off, s[0:3], 0 offset:264
	buffer_load_dword v109, off, s[0:3], 0 offset:268
	v_mov_b32_e32 v110, 0
	buffer_store_dword v110, off, s[0:3], 0 offset:264
	buffer_store_dword v110, off, s[0:3], 0 offset:268
	s_waitcnt vmcnt(0)
	ds_write_b64 v107, v[108:109]
.LBB52_261:
	s_or_b32 exec_lo, exec_lo, s4
	s_waitcnt lgkmcnt(0)
	s_waitcnt_vscnt null, 0x0
	s_barrier
	buffer_gl0_inv
	s_clause 0x1c
	buffer_load_dword v117, off, s[0:3], 0 offset:272
	buffer_load_dword v118, off, s[0:3], 0 offset:276
	;; [unrolled: 1-line block ×29, first 2 shown]
	v_mov_b32_e32 v108, 0
	buffer_load_dword v142, off, s[0:3], 0 offset:388
	s_mov_b32 s4, exec_lo
	ds_read_b128 v[109:112], v108 offset:704
	ds_read_b128 v[113:116], v108 offset:720
	s_waitcnt vmcnt(28) lgkmcnt(1)
	v_fma_f64 v[109:110], v[117:118], v[109:110], 0
	s_clause 0x7
	buffer_load_dword v118, off, s[0:3], 0 offset:396
	buffer_load_dword v147, off, s[0:3], 0 offset:416
	;; [unrolled: 1-line block ×8, first 2 shown]
	s_waitcnt vmcnt(34)
	v_fma_f64 v[109:110], v[119:120], v[111:112], v[109:110]
	s_waitcnt vmcnt(32) lgkmcnt(0)
	v_fma_f64 v[109:110], v[121:122], v[113:114], v[109:110]
	s_waitcnt vmcnt(30)
	v_fma_f64 v[119:120], v[123:124], v[115:116], v[109:110]
	ds_read_b128 v[109:112], v108 offset:736
	ds_read_b128 v[113:116], v108 offset:752
	s_waitcnt vmcnt(28) lgkmcnt(1)
	v_fma_f64 v[109:110], v[125:126], v[109:110], v[119:120]
	s_clause 0x1
	buffer_load_dword v119, off, s[0:3], 0 offset:264
	buffer_load_dword v120, off, s[0:3], 0 offset:268
	s_waitcnt vmcnt(28)
	v_fma_f64 v[109:110], v[127:128], v[111:112], v[109:110]
	s_waitcnt vmcnt(26) lgkmcnt(0)
	v_fma_f64 v[109:110], v[129:130], v[113:114], v[109:110]
	s_waitcnt vmcnt(21)
	v_fma_f64 v[121:122], v[131:132], v[115:116], v[109:110]
	ds_read_b128 v[109:112], v108 offset:768
	ds_read_b128 v[113:116], v108 offset:784
	s_waitcnt vmcnt(20) lgkmcnt(1)
	v_fma_f64 v[109:110], v[137:138], v[109:110], v[121:122]
	s_waitcnt vmcnt(19)
	v_fma_f64 v[109:110], v[135:136], v[111:112], v[109:110]
	s_waitcnt vmcnt(18) lgkmcnt(0)
	v_fma_f64 v[109:110], v[133:134], v[113:114], v[109:110]
	s_waitcnt vmcnt(13)
	v_fma_f64 v[121:122], v[139:140], v[115:116], v[109:110]
	ds_read_b128 v[109:112], v108 offset:800
	ds_read_b128 v[113:116], v108 offset:816
	s_waitcnt vmcnt(12) lgkmcnt(1)
	v_fma_f64 v[109:110], v[145:146], v[109:110], v[121:122]
	s_waitcnt vmcnt(11)
	v_fma_f64 v[109:110], v[143:144], v[111:112], v[109:110]
	s_waitcnt vmcnt(10) lgkmcnt(0)
	v_fma_f64 v[109:110], v[141:142], v[113:114], v[109:110]
	s_waitcnt vmcnt(5)
	v_fma_f64 v[113:114], v[117:118], v[115:116], v[109:110]
	ds_read_b128 v[109:112], v108 offset:832
	ds_read_b64 v[115:116], v108 offset:848
	s_waitcnt vmcnt(4) lgkmcnt(1)
	v_fma_f64 v[109:110], v[151:152], v[109:110], v[113:114]
	s_waitcnt vmcnt(3)
	v_fma_f64 v[109:110], v[149:150], v[111:112], v[109:110]
	s_waitcnt vmcnt(2) lgkmcnt(0)
	v_fma_f64 v[109:110], v[147:148], v[115:116], v[109:110]
	s_waitcnt vmcnt(0)
	v_add_f64 v[109:110], v[119:120], -v[109:110]
	buffer_store_dword v110, off, s[0:3], 0 offset:268
	buffer_store_dword v109, off, s[0:3], 0 offset:264
	v_cmpx_lt_u32_e32 32, v0
	s_cbranch_execz .LBB52_263
; %bb.262:
	s_clause 0x1
	buffer_load_dword v109, off, s[0:3], 0 offset:256
	buffer_load_dword v110, off, s[0:3], 0 offset:260
	buffer_store_dword v108, off, s[0:3], 0 offset:256
	buffer_store_dword v108, off, s[0:3], 0 offset:260
	s_waitcnt vmcnt(0)
	ds_write_b64 v107, v[109:110]
.LBB52_263:
	s_or_b32 exec_lo, exec_lo, s4
	s_waitcnt lgkmcnt(0)
	s_waitcnt_vscnt null, 0x0
	s_barrier
	buffer_gl0_inv
	s_clause 0x1c
	buffer_load_dword v117, off, s[0:3], 0 offset:264
	buffer_load_dword v118, off, s[0:3], 0 offset:268
	;; [unrolled: 1-line block ×29, first 2 shown]
	ds_read2_b64 v[109:112], v108 offset0:87 offset1:88
	ds_read2_b64 v[113:116], v108 offset0:89 offset1:90
	buffer_load_dword v142, off, s[0:3], 0 offset:380
	s_mov_b32 s4, exec_lo
	s_waitcnt vmcnt(28) lgkmcnt(1)
	v_fma_f64 v[109:110], v[117:118], v[109:110], 0
	s_clause 0x7
	buffer_load_dword v118, off, s[0:3], 0 offset:388
	buffer_load_dword v147, off, s[0:3], 0 offset:408
	;; [unrolled: 1-line block ×8, first 2 shown]
	s_waitcnt vmcnt(34)
	v_fma_f64 v[109:110], v[119:120], v[111:112], v[109:110]
	s_waitcnt vmcnt(32) lgkmcnt(0)
	v_fma_f64 v[109:110], v[121:122], v[113:114], v[109:110]
	s_waitcnt vmcnt(30)
	v_fma_f64 v[119:120], v[123:124], v[115:116], v[109:110]
	ds_read2_b64 v[109:112], v108 offset0:91 offset1:92
	ds_read2_b64 v[113:116], v108 offset0:93 offset1:94
	s_waitcnt vmcnt(28) lgkmcnt(1)
	v_fma_f64 v[109:110], v[125:126], v[109:110], v[119:120]
	s_clause 0x3
	buffer_load_dword v120, off, s[0:3], 0 offset:420
	buffer_load_dword v119, off, s[0:3], 0 offset:416
	;; [unrolled: 1-line block ×4, first 2 shown]
	s_waitcnt vmcnt(30)
	v_fma_f64 v[109:110], v[127:128], v[111:112], v[109:110]
	s_waitcnt vmcnt(28) lgkmcnt(0)
	v_fma_f64 v[109:110], v[129:130], v[113:114], v[109:110]
	s_waitcnt vmcnt(23)
	v_fma_f64 v[123:124], v[131:132], v[115:116], v[109:110]
	ds_read2_b64 v[109:112], v108 offset0:95 offset1:96
	ds_read2_b64 v[113:116], v108 offset0:97 offset1:98
	s_waitcnt vmcnt(22) lgkmcnt(1)
	v_fma_f64 v[109:110], v[137:138], v[109:110], v[123:124]
	s_waitcnt vmcnt(21)
	v_fma_f64 v[109:110], v[135:136], v[111:112], v[109:110]
	s_waitcnt vmcnt(20) lgkmcnt(0)
	v_fma_f64 v[109:110], v[133:134], v[113:114], v[109:110]
	s_waitcnt vmcnt(15)
	v_fma_f64 v[123:124], v[139:140], v[115:116], v[109:110]
	ds_read2_b64 v[109:112], v108 offset0:99 offset1:100
	ds_read2_b64 v[113:116], v108 offset0:101 offset1:102
	s_waitcnt vmcnt(14) lgkmcnt(1)
	v_fma_f64 v[109:110], v[145:146], v[109:110], v[123:124]
	;; [unrolled: 10-line block ×3, first 2 shown]
	s_waitcnt vmcnt(5)
	v_fma_f64 v[108:109], v[149:150], v[111:112], v[108:109]
	s_waitcnt vmcnt(4) lgkmcnt(0)
	v_fma_f64 v[108:109], v[147:148], v[113:114], v[108:109]
	s_waitcnt vmcnt(2)
	v_fma_f64 v[108:109], v[119:120], v[115:116], v[108:109]
	s_waitcnt vmcnt(0)
	v_add_f64 v[108:109], v[121:122], -v[108:109]
	buffer_store_dword v109, off, s[0:3], 0 offset:260
	buffer_store_dword v108, off, s[0:3], 0 offset:256
	v_cmpx_lt_u32_e32 31, v0
	s_cbranch_execz .LBB52_265
; %bb.264:
	s_clause 0x1
	buffer_load_dword v108, off, s[0:3], 0 offset:248
	buffer_load_dword v109, off, s[0:3], 0 offset:252
	v_mov_b32_e32 v110, 0
	buffer_store_dword v110, off, s[0:3], 0 offset:248
	buffer_store_dword v110, off, s[0:3], 0 offset:252
	s_waitcnt vmcnt(0)
	ds_write_b64 v107, v[108:109]
.LBB52_265:
	s_or_b32 exec_lo, exec_lo, s4
	s_waitcnt lgkmcnt(0)
	s_waitcnt_vscnt null, 0x0
	s_barrier
	buffer_gl0_inv
	s_clause 0x1c
	buffer_load_dword v117, off, s[0:3], 0 offset:256
	buffer_load_dword v118, off, s[0:3], 0 offset:260
	;; [unrolled: 1-line block ×29, first 2 shown]
	v_mov_b32_e32 v108, 0
	buffer_load_dword v142, off, s[0:3], 0 offset:372
	s_mov_b32 s4, exec_lo
	ds_read_b128 v[109:112], v108 offset:688
	ds_read_b128 v[113:116], v108 offset:704
	s_waitcnt vmcnt(28) lgkmcnt(1)
	v_fma_f64 v[109:110], v[117:118], v[109:110], 0
	s_clause 0x7
	buffer_load_dword v118, off, s[0:3], 0 offset:380
	buffer_load_dword v147, off, s[0:3], 0 offset:400
	;; [unrolled: 1-line block ×8, first 2 shown]
	s_waitcnt vmcnt(34)
	v_fma_f64 v[109:110], v[119:120], v[111:112], v[109:110]
	s_waitcnt vmcnt(32) lgkmcnt(0)
	v_fma_f64 v[109:110], v[121:122], v[113:114], v[109:110]
	s_waitcnt vmcnt(30)
	v_fma_f64 v[119:120], v[123:124], v[115:116], v[109:110]
	ds_read_b128 v[109:112], v108 offset:720
	ds_read_b128 v[113:116], v108 offset:736
	s_waitcnt vmcnt(28) lgkmcnt(1)
	v_fma_f64 v[109:110], v[125:126], v[109:110], v[119:120]
	s_clause 0x5
	buffer_load_dword v120, off, s[0:3], 0 offset:412
	buffer_load_dword v121, off, s[0:3], 0 offset:416
	;; [unrolled: 1-line block ×6, first 2 shown]
	s_waitcnt vmcnt(32)
	v_fma_f64 v[109:110], v[127:128], v[111:112], v[109:110]
	s_waitcnt vmcnt(30) lgkmcnt(0)
	v_fma_f64 v[109:110], v[129:130], v[113:114], v[109:110]
	s_waitcnt vmcnt(25)
	v_fma_f64 v[125:126], v[131:132], v[115:116], v[109:110]
	ds_read_b128 v[109:112], v108 offset:752
	ds_read_b128 v[113:116], v108 offset:768
	s_waitcnt vmcnt(24) lgkmcnt(1)
	v_fma_f64 v[109:110], v[137:138], v[109:110], v[125:126]
	s_waitcnt vmcnt(23)
	v_fma_f64 v[109:110], v[135:136], v[111:112], v[109:110]
	s_waitcnt vmcnt(22) lgkmcnt(0)
	v_fma_f64 v[109:110], v[133:134], v[113:114], v[109:110]
	s_waitcnt vmcnt(17)
	v_fma_f64 v[125:126], v[139:140], v[115:116], v[109:110]
	ds_read_b128 v[109:112], v108 offset:784
	ds_read_b128 v[113:116], v108 offset:800
	s_waitcnt vmcnt(16) lgkmcnt(1)
	v_fma_f64 v[109:110], v[145:146], v[109:110], v[125:126]
	;; [unrolled: 10-line block ×3, first 2 shown]
	s_waitcnt vmcnt(7)
	v_fma_f64 v[109:110], v[149:150], v[111:112], v[109:110]
	ds_read_b64 v[111:112], v108 offset:848
	s_waitcnt vmcnt(6) lgkmcnt(1)
	v_fma_f64 v[109:110], v[147:148], v[113:114], v[109:110]
	s_waitcnt vmcnt(3)
	v_fma_f64 v[109:110], v[119:120], v[115:116], v[109:110]
	s_waitcnt vmcnt(2) lgkmcnt(0)
	v_fma_f64 v[109:110], v[121:122], v[111:112], v[109:110]
	s_waitcnt vmcnt(0)
	v_add_f64 v[109:110], v[123:124], -v[109:110]
	buffer_store_dword v110, off, s[0:3], 0 offset:252
	buffer_store_dword v109, off, s[0:3], 0 offset:248
	v_cmpx_lt_u32_e32 30, v0
	s_cbranch_execz .LBB52_267
; %bb.266:
	s_clause 0x1
	buffer_load_dword v109, off, s[0:3], 0 offset:240
	buffer_load_dword v110, off, s[0:3], 0 offset:244
	buffer_store_dword v108, off, s[0:3], 0 offset:240
	buffer_store_dword v108, off, s[0:3], 0 offset:244
	s_waitcnt vmcnt(0)
	ds_write_b64 v107, v[109:110]
.LBB52_267:
	s_or_b32 exec_lo, exec_lo, s4
	s_waitcnt lgkmcnt(0)
	s_waitcnt_vscnt null, 0x0
	s_barrier
	buffer_gl0_inv
	s_clause 0x1c
	buffer_load_dword v117, off, s[0:3], 0 offset:248
	buffer_load_dword v118, off, s[0:3], 0 offset:252
	;; [unrolled: 1-line block ×29, first 2 shown]
	ds_read2_b64 v[109:112], v108 offset0:85 offset1:86
	ds_read2_b64 v[113:116], v108 offset0:87 offset1:88
	buffer_load_dword v142, off, s[0:3], 0 offset:364
	s_mov_b32 s4, exec_lo
	s_waitcnt vmcnt(28) lgkmcnt(1)
	v_fma_f64 v[109:110], v[117:118], v[109:110], 0
	s_clause 0x7
	buffer_load_dword v118, off, s[0:3], 0 offset:372
	buffer_load_dword v147, off, s[0:3], 0 offset:392
	;; [unrolled: 1-line block ×8, first 2 shown]
	s_waitcnt vmcnt(34)
	v_fma_f64 v[109:110], v[119:120], v[111:112], v[109:110]
	s_waitcnt vmcnt(32) lgkmcnt(0)
	v_fma_f64 v[109:110], v[121:122], v[113:114], v[109:110]
	s_waitcnt vmcnt(30)
	v_fma_f64 v[119:120], v[123:124], v[115:116], v[109:110]
	ds_read2_b64 v[109:112], v108 offset0:89 offset1:90
	ds_read2_b64 v[113:116], v108 offset0:91 offset1:92
	s_waitcnt vmcnt(28) lgkmcnt(1)
	v_fma_f64 v[109:110], v[125:126], v[109:110], v[119:120]
	s_clause 0x5
	buffer_load_dword v120, off, s[0:3], 0 offset:404
	buffer_load_dword v121, off, s[0:3], 0 offset:416
	;; [unrolled: 1-line block ×6, first 2 shown]
	s_waitcnt vmcnt(32)
	v_fma_f64 v[109:110], v[127:128], v[111:112], v[109:110]
	s_waitcnt vmcnt(30) lgkmcnt(0)
	v_fma_f64 v[109:110], v[129:130], v[113:114], v[109:110]
	s_waitcnt vmcnt(25)
	v_fma_f64 v[125:126], v[131:132], v[115:116], v[109:110]
	ds_read2_b64 v[109:112], v108 offset0:93 offset1:94
	s_clause 0x1
	buffer_load_dword v127, off, s[0:3], 0 offset:240
	buffer_load_dword v128, off, s[0:3], 0 offset:244
	ds_read2_b64 v[113:116], v108 offset0:95 offset1:96
	s_waitcnt vmcnt(26) lgkmcnt(1)
	v_fma_f64 v[109:110], v[137:138], v[109:110], v[125:126]
	s_waitcnt vmcnt(25)
	v_fma_f64 v[109:110], v[135:136], v[111:112], v[109:110]
	s_waitcnt vmcnt(24) lgkmcnt(0)
	v_fma_f64 v[109:110], v[133:134], v[113:114], v[109:110]
	s_waitcnt vmcnt(19)
	v_fma_f64 v[125:126], v[139:140], v[115:116], v[109:110]
	ds_read2_b64 v[109:112], v108 offset0:97 offset1:98
	ds_read2_b64 v[113:116], v108 offset0:99 offset1:100
	s_waitcnt vmcnt(18) lgkmcnt(1)
	v_fma_f64 v[109:110], v[145:146], v[109:110], v[125:126]
	s_waitcnt vmcnt(17)
	v_fma_f64 v[109:110], v[143:144], v[111:112], v[109:110]
	s_waitcnt vmcnt(16) lgkmcnt(0)
	v_fma_f64 v[109:110], v[141:142], v[113:114], v[109:110]
	s_waitcnt vmcnt(11)
	v_fma_f64 v[117:118], v[117:118], v[115:116], v[109:110]
	ds_read2_b64 v[109:112], v108 offset0:101 offset1:102
	;; [unrolled: 10-line block ×3, first 2 shown]
	s_waitcnt vmcnt(3) lgkmcnt(0)
	v_fma_f64 v[108:109], v[123:124], v[108:109], v[112:113]
	s_waitcnt vmcnt(2)
	v_fma_f64 v[108:109], v[121:122], v[110:111], v[108:109]
	s_waitcnt vmcnt(0)
	v_add_f64 v[108:109], v[127:128], -v[108:109]
	buffer_store_dword v109, off, s[0:3], 0 offset:244
	buffer_store_dword v108, off, s[0:3], 0 offset:240
	v_cmpx_lt_u32_e32 29, v0
	s_cbranch_execz .LBB52_269
; %bb.268:
	s_clause 0x1
	buffer_load_dword v108, off, s[0:3], 0 offset:232
	buffer_load_dword v109, off, s[0:3], 0 offset:236
	v_mov_b32_e32 v110, 0
	buffer_store_dword v110, off, s[0:3], 0 offset:232
	buffer_store_dword v110, off, s[0:3], 0 offset:236
	s_waitcnt vmcnt(0)
	ds_write_b64 v107, v[108:109]
.LBB52_269:
	s_or_b32 exec_lo, exec_lo, s4
	s_waitcnt lgkmcnt(0)
	s_waitcnt_vscnt null, 0x0
	s_barrier
	buffer_gl0_inv
	s_clause 0x1c
	buffer_load_dword v117, off, s[0:3], 0 offset:240
	buffer_load_dword v118, off, s[0:3], 0 offset:244
	;; [unrolled: 1-line block ×29, first 2 shown]
	v_mov_b32_e32 v108, 0
	buffer_load_dword v142, off, s[0:3], 0 offset:356
	s_mov_b32 s4, exec_lo
	ds_read_b128 v[109:112], v108 offset:672
	ds_read_b128 v[113:116], v108 offset:688
	s_waitcnt vmcnt(28) lgkmcnt(1)
	v_fma_f64 v[109:110], v[117:118], v[109:110], 0
	s_clause 0x7
	buffer_load_dword v118, off, s[0:3], 0 offset:364
	buffer_load_dword v147, off, s[0:3], 0 offset:384
	;; [unrolled: 1-line block ×8, first 2 shown]
	s_waitcnt vmcnt(34)
	v_fma_f64 v[109:110], v[119:120], v[111:112], v[109:110]
	s_waitcnt vmcnt(32) lgkmcnt(0)
	v_fma_f64 v[109:110], v[121:122], v[113:114], v[109:110]
	s_waitcnt vmcnt(30)
	v_fma_f64 v[119:120], v[123:124], v[115:116], v[109:110]
	ds_read_b128 v[109:112], v108 offset:704
	ds_read_b128 v[113:116], v108 offset:720
	s_waitcnt vmcnt(28) lgkmcnt(1)
	v_fma_f64 v[109:110], v[125:126], v[109:110], v[119:120]
	s_clause 0x7
	buffer_load_dword v120, off, s[0:3], 0 offset:396
	buffer_load_dword v121, off, s[0:3], 0 offset:416
	;; [unrolled: 1-line block ×8, first 2 shown]
	s_waitcnt vmcnt(34)
	v_fma_f64 v[109:110], v[127:128], v[111:112], v[109:110]
	s_waitcnt vmcnt(32) lgkmcnt(0)
	v_fma_f64 v[109:110], v[129:130], v[113:114], v[109:110]
	s_waitcnt vmcnt(27)
	v_fma_f64 v[127:128], v[131:132], v[115:116], v[109:110]
	ds_read_b128 v[109:112], v108 offset:736
	ds_read_b128 v[113:116], v108 offset:752
	s_waitcnt vmcnt(26) lgkmcnt(1)
	v_fma_f64 v[109:110], v[137:138], v[109:110], v[127:128]
	s_clause 0x1
	buffer_load_dword v127, off, s[0:3], 0 offset:232
	buffer_load_dword v128, off, s[0:3], 0 offset:236
	s_waitcnt vmcnt(27)
	v_fma_f64 v[109:110], v[135:136], v[111:112], v[109:110]
	s_waitcnt vmcnt(26) lgkmcnt(0)
	v_fma_f64 v[109:110], v[133:134], v[113:114], v[109:110]
	s_waitcnt vmcnt(21)
	v_fma_f64 v[129:130], v[139:140], v[115:116], v[109:110]
	ds_read_b128 v[109:112], v108 offset:768
	ds_read_b128 v[113:116], v108 offset:784
	s_waitcnt vmcnt(20) lgkmcnt(1)
	v_fma_f64 v[109:110], v[145:146], v[109:110], v[129:130]
	s_waitcnt vmcnt(19)
	v_fma_f64 v[109:110], v[143:144], v[111:112], v[109:110]
	s_waitcnt vmcnt(18) lgkmcnt(0)
	v_fma_f64 v[109:110], v[141:142], v[113:114], v[109:110]
	s_waitcnt vmcnt(13)
	v_fma_f64 v[117:118], v[117:118], v[115:116], v[109:110]
	ds_read_b128 v[109:112], v108 offset:800
	ds_read_b128 v[113:116], v108 offset:816
	s_waitcnt vmcnt(12) lgkmcnt(1)
	v_fma_f64 v[109:110], v[151:152], v[109:110], v[117:118]
	s_waitcnt vmcnt(11)
	v_fma_f64 v[109:110], v[149:150], v[111:112], v[109:110]
	s_waitcnt vmcnt(10) lgkmcnt(0)
	v_fma_f64 v[109:110], v[147:148], v[113:114], v[109:110]
	s_waitcnt vmcnt(5)
	v_fma_f64 v[113:114], v[119:120], v[115:116], v[109:110]
	ds_read_b128 v[109:112], v108 offset:832
	ds_read_b64 v[115:116], v108 offset:848
	s_waitcnt vmcnt(4) lgkmcnt(1)
	v_fma_f64 v[109:110], v[125:126], v[109:110], v[113:114]
	s_waitcnt vmcnt(3)
	v_fma_f64 v[109:110], v[123:124], v[111:112], v[109:110]
	s_waitcnt vmcnt(2) lgkmcnt(0)
	v_fma_f64 v[109:110], v[121:122], v[115:116], v[109:110]
	s_waitcnt vmcnt(0)
	v_add_f64 v[109:110], v[127:128], -v[109:110]
	buffer_store_dword v110, off, s[0:3], 0 offset:236
	buffer_store_dword v109, off, s[0:3], 0 offset:232
	v_cmpx_lt_u32_e32 28, v0
	s_cbranch_execz .LBB52_271
; %bb.270:
	s_clause 0x1
	buffer_load_dword v109, off, s[0:3], 0 offset:224
	buffer_load_dword v110, off, s[0:3], 0 offset:228
	buffer_store_dword v108, off, s[0:3], 0 offset:224
	buffer_store_dword v108, off, s[0:3], 0 offset:228
	s_waitcnt vmcnt(0)
	ds_write_b64 v107, v[109:110]
.LBB52_271:
	s_or_b32 exec_lo, exec_lo, s4
	s_waitcnt lgkmcnt(0)
	s_waitcnt_vscnt null, 0x0
	s_barrier
	buffer_gl0_inv
	s_clause 0x1c
	buffer_load_dword v117, off, s[0:3], 0 offset:232
	buffer_load_dword v118, off, s[0:3], 0 offset:236
	;; [unrolled: 1-line block ×29, first 2 shown]
	ds_read2_b64 v[109:112], v108 offset0:83 offset1:84
	ds_read2_b64 v[113:116], v108 offset0:85 offset1:86
	buffer_load_dword v142, off, s[0:3], 0 offset:348
	s_mov_b32 s4, exec_lo
	s_waitcnt vmcnt(28) lgkmcnt(1)
	v_fma_f64 v[109:110], v[117:118], v[109:110], 0
	s_clause 0x7
	buffer_load_dword v118, off, s[0:3], 0 offset:356
	buffer_load_dword v147, off, s[0:3], 0 offset:376
	buffer_load_dword v149, off, s[0:3], 0 offset:368
	buffer_load_dword v151, off, s[0:3], 0 offset:360
	buffer_load_dword v117, off, s[0:3], 0 offset:352
	buffer_load_dword v152, off, s[0:3], 0 offset:364
	buffer_load_dword v150, off, s[0:3], 0 offset:372
	buffer_load_dword v148, off, s[0:3], 0 offset:380
	s_waitcnt vmcnt(34)
	v_fma_f64 v[109:110], v[119:120], v[111:112], v[109:110]
	s_waitcnt vmcnt(32) lgkmcnt(0)
	v_fma_f64 v[109:110], v[121:122], v[113:114], v[109:110]
	s_waitcnt vmcnt(30)
	v_fma_f64 v[119:120], v[123:124], v[115:116], v[109:110]
	ds_read2_b64 v[109:112], v108 offset0:87 offset1:88
	ds_read2_b64 v[113:116], v108 offset0:89 offset1:90
	s_waitcnt vmcnt(28) lgkmcnt(1)
	v_fma_f64 v[109:110], v[125:126], v[109:110], v[119:120]
	s_clause 0x7
	buffer_load_dword v120, off, s[0:3], 0 offset:388
	buffer_load_dword v121, off, s[0:3], 0 offset:408
	;; [unrolled: 1-line block ×8, first 2 shown]
	s_waitcnt vmcnt(34)
	v_fma_f64 v[109:110], v[127:128], v[111:112], v[109:110]
	s_waitcnt vmcnt(32) lgkmcnt(0)
	v_fma_f64 v[109:110], v[129:130], v[113:114], v[109:110]
	s_waitcnt vmcnt(27)
	v_fma_f64 v[127:128], v[131:132], v[115:116], v[109:110]
	ds_read2_b64 v[109:112], v108 offset0:91 offset1:92
	ds_read2_b64 v[113:116], v108 offset0:93 offset1:94
	s_waitcnt vmcnt(26) lgkmcnt(1)
	v_fma_f64 v[109:110], v[137:138], v[109:110], v[127:128]
	s_clause 0x3
	buffer_load_dword v128, off, s[0:3], 0 offset:420
	buffer_load_dword v127, off, s[0:3], 0 offset:416
	;; [unrolled: 1-line block ×4, first 2 shown]
	s_waitcnt vmcnt(29)
	v_fma_f64 v[109:110], v[135:136], v[111:112], v[109:110]
	s_waitcnt vmcnt(28) lgkmcnt(0)
	v_fma_f64 v[109:110], v[133:134], v[113:114], v[109:110]
	s_waitcnt vmcnt(23)
	v_fma_f64 v[131:132], v[139:140], v[115:116], v[109:110]
	ds_read2_b64 v[109:112], v108 offset0:95 offset1:96
	ds_read2_b64 v[113:116], v108 offset0:97 offset1:98
	s_waitcnt vmcnt(22) lgkmcnt(1)
	v_fma_f64 v[109:110], v[145:146], v[109:110], v[131:132]
	s_waitcnt vmcnt(21)
	v_fma_f64 v[109:110], v[143:144], v[111:112], v[109:110]
	s_waitcnt vmcnt(20) lgkmcnt(0)
	v_fma_f64 v[109:110], v[141:142], v[113:114], v[109:110]
	s_waitcnt vmcnt(15)
	v_fma_f64 v[117:118], v[117:118], v[115:116], v[109:110]
	ds_read2_b64 v[109:112], v108 offset0:99 offset1:100
	ds_read2_b64 v[113:116], v108 offset0:101 offset1:102
	s_waitcnt vmcnt(14) lgkmcnt(1)
	v_fma_f64 v[109:110], v[151:152], v[109:110], v[117:118]
	;; [unrolled: 10-line block ×3, first 2 shown]
	s_waitcnt vmcnt(5)
	v_fma_f64 v[108:109], v[123:124], v[111:112], v[108:109]
	s_waitcnt vmcnt(4) lgkmcnt(0)
	v_fma_f64 v[108:109], v[121:122], v[113:114], v[108:109]
	s_waitcnt vmcnt(2)
	v_fma_f64 v[108:109], v[127:128], v[115:116], v[108:109]
	s_waitcnt vmcnt(0)
	v_add_f64 v[108:109], v[129:130], -v[108:109]
	buffer_store_dword v109, off, s[0:3], 0 offset:228
	buffer_store_dword v108, off, s[0:3], 0 offset:224
	v_cmpx_lt_u32_e32 27, v0
	s_cbranch_execz .LBB52_273
; %bb.272:
	s_clause 0x1
	buffer_load_dword v108, off, s[0:3], 0 offset:216
	buffer_load_dword v109, off, s[0:3], 0 offset:220
	v_mov_b32_e32 v110, 0
	buffer_store_dword v110, off, s[0:3], 0 offset:216
	buffer_store_dword v110, off, s[0:3], 0 offset:220
	s_waitcnt vmcnt(0)
	ds_write_b64 v107, v[108:109]
.LBB52_273:
	s_or_b32 exec_lo, exec_lo, s4
	s_waitcnt lgkmcnt(0)
	s_waitcnt_vscnt null, 0x0
	s_barrier
	buffer_gl0_inv
	s_clause 0x1c
	buffer_load_dword v117, off, s[0:3], 0 offset:224
	buffer_load_dword v118, off, s[0:3], 0 offset:228
	;; [unrolled: 1-line block ×29, first 2 shown]
	v_mov_b32_e32 v108, 0
	buffer_load_dword v142, off, s[0:3], 0 offset:340
	s_mov_b32 s4, exec_lo
	ds_read_b128 v[109:112], v108 offset:656
	ds_read_b128 v[113:116], v108 offset:672
	s_waitcnt vmcnt(28) lgkmcnt(1)
	v_fma_f64 v[109:110], v[117:118], v[109:110], 0
	s_clause 0x7
	buffer_load_dword v118, off, s[0:3], 0 offset:348
	buffer_load_dword v147, off, s[0:3], 0 offset:368
	;; [unrolled: 1-line block ×8, first 2 shown]
	s_waitcnt vmcnt(34)
	v_fma_f64 v[109:110], v[119:120], v[111:112], v[109:110]
	s_waitcnt vmcnt(32) lgkmcnt(0)
	v_fma_f64 v[109:110], v[121:122], v[113:114], v[109:110]
	s_waitcnt vmcnt(30)
	v_fma_f64 v[119:120], v[123:124], v[115:116], v[109:110]
	ds_read_b128 v[109:112], v108 offset:688
	ds_read_b128 v[113:116], v108 offset:704
	s_waitcnt vmcnt(28) lgkmcnt(1)
	v_fma_f64 v[109:110], v[125:126], v[109:110], v[119:120]
	s_clause 0x7
	buffer_load_dword v120, off, s[0:3], 0 offset:380
	buffer_load_dword v121, off, s[0:3], 0 offset:400
	;; [unrolled: 1-line block ×8, first 2 shown]
	s_waitcnt vmcnt(34)
	v_fma_f64 v[109:110], v[127:128], v[111:112], v[109:110]
	s_waitcnt vmcnt(32) lgkmcnt(0)
	v_fma_f64 v[109:110], v[129:130], v[113:114], v[109:110]
	s_waitcnt vmcnt(27)
	v_fma_f64 v[127:128], v[131:132], v[115:116], v[109:110]
	ds_read_b128 v[109:112], v108 offset:720
	ds_read_b128 v[113:116], v108 offset:736
	s_waitcnt vmcnt(26) lgkmcnt(1)
	v_fma_f64 v[109:110], v[137:138], v[109:110], v[127:128]
	s_clause 0x5
	buffer_load_dword v128, off, s[0:3], 0 offset:412
	buffer_load_dword v129, off, s[0:3], 0 offset:416
	;; [unrolled: 1-line block ×6, first 2 shown]
	s_waitcnt vmcnt(31)
	v_fma_f64 v[109:110], v[135:136], v[111:112], v[109:110]
	s_waitcnt vmcnt(30) lgkmcnt(0)
	v_fma_f64 v[109:110], v[133:134], v[113:114], v[109:110]
	s_waitcnt vmcnt(25)
	v_fma_f64 v[133:134], v[139:140], v[115:116], v[109:110]
	ds_read_b128 v[109:112], v108 offset:752
	ds_read_b128 v[113:116], v108 offset:768
	s_waitcnt vmcnt(24) lgkmcnt(1)
	v_fma_f64 v[109:110], v[145:146], v[109:110], v[133:134]
	s_waitcnt vmcnt(23)
	v_fma_f64 v[109:110], v[143:144], v[111:112], v[109:110]
	s_waitcnt vmcnt(22) lgkmcnt(0)
	v_fma_f64 v[109:110], v[141:142], v[113:114], v[109:110]
	s_waitcnt vmcnt(17)
	v_fma_f64 v[117:118], v[117:118], v[115:116], v[109:110]
	ds_read_b128 v[109:112], v108 offset:784
	ds_read_b128 v[113:116], v108 offset:800
	s_waitcnt vmcnt(16) lgkmcnt(1)
	v_fma_f64 v[109:110], v[151:152], v[109:110], v[117:118]
	;; [unrolled: 10-line block ×3, first 2 shown]
	s_waitcnt vmcnt(7)
	v_fma_f64 v[109:110], v[123:124], v[111:112], v[109:110]
	ds_read_b64 v[111:112], v108 offset:848
	s_waitcnt vmcnt(6) lgkmcnt(1)
	v_fma_f64 v[109:110], v[121:122], v[113:114], v[109:110]
	s_waitcnt vmcnt(3)
	v_fma_f64 v[109:110], v[127:128], v[115:116], v[109:110]
	s_waitcnt vmcnt(2) lgkmcnt(0)
	v_fma_f64 v[109:110], v[129:130], v[111:112], v[109:110]
	s_waitcnt vmcnt(0)
	v_add_f64 v[109:110], v[131:132], -v[109:110]
	buffer_store_dword v110, off, s[0:3], 0 offset:220
	buffer_store_dword v109, off, s[0:3], 0 offset:216
	v_cmpx_lt_u32_e32 26, v0
	s_cbranch_execz .LBB52_275
; %bb.274:
	s_clause 0x1
	buffer_load_dword v109, off, s[0:3], 0 offset:208
	buffer_load_dword v110, off, s[0:3], 0 offset:212
	buffer_store_dword v108, off, s[0:3], 0 offset:208
	buffer_store_dword v108, off, s[0:3], 0 offset:212
	s_waitcnt vmcnt(0)
	ds_write_b64 v107, v[109:110]
.LBB52_275:
	s_or_b32 exec_lo, exec_lo, s4
	s_waitcnt lgkmcnt(0)
	s_waitcnt_vscnt null, 0x0
	s_barrier
	buffer_gl0_inv
	s_clause 0x1c
	buffer_load_dword v117, off, s[0:3], 0 offset:216
	buffer_load_dword v118, off, s[0:3], 0 offset:220
	;; [unrolled: 1-line block ×29, first 2 shown]
	ds_read2_b64 v[109:112], v108 offset0:81 offset1:82
	ds_read2_b64 v[113:116], v108 offset0:83 offset1:84
	buffer_load_dword v142, off, s[0:3], 0 offset:332
	s_mov_b32 s4, exec_lo
	s_waitcnt vmcnt(28) lgkmcnt(1)
	v_fma_f64 v[109:110], v[117:118], v[109:110], 0
	s_clause 0x7
	buffer_load_dword v118, off, s[0:3], 0 offset:340
	buffer_load_dword v147, off, s[0:3], 0 offset:360
	;; [unrolled: 1-line block ×8, first 2 shown]
	s_waitcnt vmcnt(34)
	v_fma_f64 v[109:110], v[119:120], v[111:112], v[109:110]
	s_waitcnt vmcnt(32) lgkmcnt(0)
	v_fma_f64 v[109:110], v[121:122], v[113:114], v[109:110]
	s_waitcnt vmcnt(30)
	v_fma_f64 v[119:120], v[123:124], v[115:116], v[109:110]
	ds_read2_b64 v[109:112], v108 offset0:85 offset1:86
	ds_read2_b64 v[113:116], v108 offset0:87 offset1:88
	s_waitcnt vmcnt(28) lgkmcnt(1)
	v_fma_f64 v[109:110], v[125:126], v[109:110], v[119:120]
	s_clause 0x7
	buffer_load_dword v120, off, s[0:3], 0 offset:372
	buffer_load_dword v121, off, s[0:3], 0 offset:392
	;; [unrolled: 1-line block ×8, first 2 shown]
	s_waitcnt vmcnt(34)
	v_fma_f64 v[109:110], v[127:128], v[111:112], v[109:110]
	s_waitcnt vmcnt(32) lgkmcnt(0)
	v_fma_f64 v[109:110], v[129:130], v[113:114], v[109:110]
	s_waitcnt vmcnt(27)
	v_fma_f64 v[127:128], v[131:132], v[115:116], v[109:110]
	ds_read2_b64 v[109:112], v108 offset0:89 offset1:90
	ds_read2_b64 v[113:116], v108 offset0:91 offset1:92
	s_waitcnt vmcnt(26) lgkmcnt(1)
	v_fma_f64 v[109:110], v[137:138], v[109:110], v[127:128]
	s_clause 0x5
	buffer_load_dword v128, off, s[0:3], 0 offset:404
	buffer_load_dword v129, off, s[0:3], 0 offset:416
	;; [unrolled: 1-line block ×6, first 2 shown]
	s_waitcnt vmcnt(31)
	v_fma_f64 v[109:110], v[135:136], v[111:112], v[109:110]
	s_waitcnt vmcnt(30) lgkmcnt(0)
	v_fma_f64 v[109:110], v[133:134], v[113:114], v[109:110]
	s_waitcnt vmcnt(25)
	v_fma_f64 v[133:134], v[139:140], v[115:116], v[109:110]
	ds_read2_b64 v[109:112], v108 offset0:93 offset1:94
	s_clause 0x1
	buffer_load_dword v135, off, s[0:3], 0 offset:208
	buffer_load_dword v136, off, s[0:3], 0 offset:212
	ds_read2_b64 v[113:116], v108 offset0:95 offset1:96
	s_waitcnt vmcnt(26) lgkmcnt(1)
	v_fma_f64 v[109:110], v[145:146], v[109:110], v[133:134]
	s_waitcnt vmcnt(25)
	v_fma_f64 v[109:110], v[143:144], v[111:112], v[109:110]
	s_waitcnt vmcnt(24) lgkmcnt(0)
	v_fma_f64 v[109:110], v[141:142], v[113:114], v[109:110]
	s_waitcnt vmcnt(19)
	v_fma_f64 v[117:118], v[117:118], v[115:116], v[109:110]
	ds_read2_b64 v[109:112], v108 offset0:97 offset1:98
	ds_read2_b64 v[113:116], v108 offset0:99 offset1:100
	s_waitcnt vmcnt(18) lgkmcnt(1)
	v_fma_f64 v[109:110], v[151:152], v[109:110], v[117:118]
	s_waitcnt vmcnt(17)
	v_fma_f64 v[109:110], v[149:150], v[111:112], v[109:110]
	s_waitcnt vmcnt(16) lgkmcnt(0)
	v_fma_f64 v[109:110], v[147:148], v[113:114], v[109:110]
	s_waitcnt vmcnt(11)
	v_fma_f64 v[117:118], v[119:120], v[115:116], v[109:110]
	ds_read2_b64 v[109:112], v108 offset0:101 offset1:102
	ds_read2_b64 v[113:116], v108 offset0:103 offset1:104
	s_waitcnt vmcnt(10) lgkmcnt(1)
	v_fma_f64 v[109:110], v[125:126], v[109:110], v[117:118]
	s_waitcnt vmcnt(9)
	v_fma_f64 v[109:110], v[123:124], v[111:112], v[109:110]
	s_waitcnt vmcnt(8) lgkmcnt(0)
	v_fma_f64 v[109:110], v[121:122], v[113:114], v[109:110]
	s_waitcnt vmcnt(4)
	v_fma_f64 v[112:113], v[127:128], v[115:116], v[109:110]
	ds_read2_b64 v[108:111], v108 offset0:105 offset1:106
	s_waitcnt vmcnt(3) lgkmcnt(0)
	v_fma_f64 v[108:109], v[131:132], v[108:109], v[112:113]
	s_waitcnt vmcnt(2)
	v_fma_f64 v[108:109], v[129:130], v[110:111], v[108:109]
	s_waitcnt vmcnt(0)
	v_add_f64 v[108:109], v[135:136], -v[108:109]
	buffer_store_dword v109, off, s[0:3], 0 offset:212
	buffer_store_dword v108, off, s[0:3], 0 offset:208
	v_cmpx_lt_u32_e32 25, v0
	s_cbranch_execz .LBB52_277
; %bb.276:
	s_clause 0x1
	buffer_load_dword v108, off, s[0:3], 0 offset:200
	buffer_load_dword v109, off, s[0:3], 0 offset:204
	v_mov_b32_e32 v110, 0
	buffer_store_dword v110, off, s[0:3], 0 offset:200
	buffer_store_dword v110, off, s[0:3], 0 offset:204
	s_waitcnt vmcnt(0)
	ds_write_b64 v107, v[108:109]
.LBB52_277:
	s_or_b32 exec_lo, exec_lo, s4
	s_waitcnt lgkmcnt(0)
	s_waitcnt_vscnt null, 0x0
	s_barrier
	buffer_gl0_inv
	s_clause 0x1c
	buffer_load_dword v117, off, s[0:3], 0 offset:208
	buffer_load_dword v118, off, s[0:3], 0 offset:212
	;; [unrolled: 1-line block ×29, first 2 shown]
	v_mov_b32_e32 v108, 0
	buffer_load_dword v142, off, s[0:3], 0 offset:324
	s_mov_b32 s4, exec_lo
	ds_read_b128 v[109:112], v108 offset:640
	ds_read_b128 v[113:116], v108 offset:656
	s_waitcnt vmcnt(28) lgkmcnt(1)
	v_fma_f64 v[109:110], v[117:118], v[109:110], 0
	s_clause 0x7
	buffer_load_dword v118, off, s[0:3], 0 offset:332
	buffer_load_dword v147, off, s[0:3], 0 offset:352
	buffer_load_dword v149, off, s[0:3], 0 offset:344
	buffer_load_dword v151, off, s[0:3], 0 offset:336
	buffer_load_dword v117, off, s[0:3], 0 offset:328
	buffer_load_dword v152, off, s[0:3], 0 offset:340
	buffer_load_dword v150, off, s[0:3], 0 offset:348
	buffer_load_dword v148, off, s[0:3], 0 offset:356
	s_waitcnt vmcnt(34)
	v_fma_f64 v[109:110], v[119:120], v[111:112], v[109:110]
	s_waitcnt vmcnt(32) lgkmcnt(0)
	v_fma_f64 v[109:110], v[121:122], v[113:114], v[109:110]
	s_waitcnt vmcnt(30)
	v_fma_f64 v[119:120], v[123:124], v[115:116], v[109:110]
	ds_read_b128 v[109:112], v108 offset:672
	ds_read_b128 v[113:116], v108 offset:688
	s_waitcnt vmcnt(28) lgkmcnt(1)
	v_fma_f64 v[109:110], v[125:126], v[109:110], v[119:120]
	s_clause 0x7
	buffer_load_dword v120, off, s[0:3], 0 offset:364
	buffer_load_dword v121, off, s[0:3], 0 offset:384
	buffer_load_dword v123, off, s[0:3], 0 offset:376
	buffer_load_dword v125, off, s[0:3], 0 offset:368
	buffer_load_dword v119, off, s[0:3], 0 offset:360
	buffer_load_dword v126, off, s[0:3], 0 offset:372
	buffer_load_dword v124, off, s[0:3], 0 offset:380
	buffer_load_dword v122, off, s[0:3], 0 offset:388
	s_waitcnt vmcnt(34)
	v_fma_f64 v[109:110], v[127:128], v[111:112], v[109:110]
	s_waitcnt vmcnt(32) lgkmcnt(0)
	v_fma_f64 v[109:110], v[129:130], v[113:114], v[109:110]
	s_waitcnt vmcnt(27)
	v_fma_f64 v[127:128], v[131:132], v[115:116], v[109:110]
	;; [unrolled: 19-line block ×3, first 2 shown]
	ds_read_b128 v[109:112], v108 offset:736
	ds_read_b128 v[113:116], v108 offset:752
	s_waitcnt vmcnt(26) lgkmcnt(1)
	v_fma_f64 v[109:110], v[145:146], v[109:110], v[133:134]
	s_clause 0x1
	buffer_load_dword v133, off, s[0:3], 0 offset:200
	buffer_load_dword v134, off, s[0:3], 0 offset:204
	s_waitcnt vmcnt(27)
	v_fma_f64 v[109:110], v[143:144], v[111:112], v[109:110]
	s_waitcnt vmcnt(26) lgkmcnt(0)
	v_fma_f64 v[109:110], v[141:142], v[113:114], v[109:110]
	s_waitcnt vmcnt(21)
	v_fma_f64 v[117:118], v[117:118], v[115:116], v[109:110]
	ds_read_b128 v[109:112], v108 offset:768
	ds_read_b128 v[113:116], v108 offset:784
	s_waitcnt vmcnt(20) lgkmcnt(1)
	v_fma_f64 v[109:110], v[151:152], v[109:110], v[117:118]
	s_waitcnt vmcnt(19)
	v_fma_f64 v[109:110], v[149:150], v[111:112], v[109:110]
	s_waitcnt vmcnt(18) lgkmcnt(0)
	v_fma_f64 v[109:110], v[147:148], v[113:114], v[109:110]
	s_waitcnt vmcnt(13)
	v_fma_f64 v[117:118], v[119:120], v[115:116], v[109:110]
	ds_read_b128 v[109:112], v108 offset:800
	ds_read_b128 v[113:116], v108 offset:816
	s_waitcnt vmcnt(12) lgkmcnt(1)
	v_fma_f64 v[109:110], v[125:126], v[109:110], v[117:118]
	s_waitcnt vmcnt(11)
	v_fma_f64 v[109:110], v[123:124], v[111:112], v[109:110]
	s_waitcnt vmcnt(10) lgkmcnt(0)
	v_fma_f64 v[109:110], v[121:122], v[113:114], v[109:110]
	s_waitcnt vmcnt(5)
	v_fma_f64 v[113:114], v[127:128], v[115:116], v[109:110]
	ds_read_b128 v[109:112], v108 offset:832
	ds_read_b64 v[115:116], v108 offset:848
	s_waitcnt vmcnt(4) lgkmcnt(1)
	v_fma_f64 v[109:110], v[137:138], v[109:110], v[113:114]
	s_waitcnt vmcnt(3)
	v_fma_f64 v[109:110], v[131:132], v[111:112], v[109:110]
	s_waitcnt vmcnt(2) lgkmcnt(0)
	v_fma_f64 v[109:110], v[129:130], v[115:116], v[109:110]
	s_waitcnt vmcnt(0)
	v_add_f64 v[109:110], v[133:134], -v[109:110]
	buffer_store_dword v110, off, s[0:3], 0 offset:204
	buffer_store_dword v109, off, s[0:3], 0 offset:200
	v_cmpx_lt_u32_e32 24, v0
	s_cbranch_execz .LBB52_279
; %bb.278:
	s_clause 0x1
	buffer_load_dword v109, off, s[0:3], 0 offset:192
	buffer_load_dword v110, off, s[0:3], 0 offset:196
	buffer_store_dword v108, off, s[0:3], 0 offset:192
	buffer_store_dword v108, off, s[0:3], 0 offset:196
	s_waitcnt vmcnt(0)
	ds_write_b64 v107, v[109:110]
.LBB52_279:
	s_or_b32 exec_lo, exec_lo, s4
	s_waitcnt lgkmcnt(0)
	s_waitcnt_vscnt null, 0x0
	s_barrier
	buffer_gl0_inv
	s_clause 0x1c
	buffer_load_dword v117, off, s[0:3], 0 offset:200
	buffer_load_dword v118, off, s[0:3], 0 offset:204
	;; [unrolled: 1-line block ×29, first 2 shown]
	ds_read2_b64 v[109:112], v108 offset0:79 offset1:80
	ds_read2_b64 v[113:116], v108 offset0:81 offset1:82
	buffer_load_dword v142, off, s[0:3], 0 offset:316
	s_mov_b32 s4, exec_lo
	s_waitcnt vmcnt(28) lgkmcnt(1)
	v_fma_f64 v[109:110], v[117:118], v[109:110], 0
	s_clause 0x7
	buffer_load_dword v118, off, s[0:3], 0 offset:324
	buffer_load_dword v147, off, s[0:3], 0 offset:344
	buffer_load_dword v149, off, s[0:3], 0 offset:336
	buffer_load_dword v151, off, s[0:3], 0 offset:328
	buffer_load_dword v117, off, s[0:3], 0 offset:320
	buffer_load_dword v152, off, s[0:3], 0 offset:332
	buffer_load_dword v150, off, s[0:3], 0 offset:340
	buffer_load_dword v148, off, s[0:3], 0 offset:348
	s_waitcnt vmcnt(34)
	v_fma_f64 v[109:110], v[119:120], v[111:112], v[109:110]
	s_waitcnt vmcnt(32) lgkmcnt(0)
	v_fma_f64 v[109:110], v[121:122], v[113:114], v[109:110]
	s_waitcnt vmcnt(30)
	v_fma_f64 v[119:120], v[123:124], v[115:116], v[109:110]
	ds_read2_b64 v[109:112], v108 offset0:83 offset1:84
	ds_read2_b64 v[113:116], v108 offset0:85 offset1:86
	s_waitcnt vmcnt(28) lgkmcnt(1)
	v_fma_f64 v[109:110], v[125:126], v[109:110], v[119:120]
	s_clause 0x7
	buffer_load_dword v120, off, s[0:3], 0 offset:356
	buffer_load_dword v121, off, s[0:3], 0 offset:376
	buffer_load_dword v123, off, s[0:3], 0 offset:368
	buffer_load_dword v125, off, s[0:3], 0 offset:360
	buffer_load_dword v119, off, s[0:3], 0 offset:352
	buffer_load_dword v126, off, s[0:3], 0 offset:364
	buffer_load_dword v124, off, s[0:3], 0 offset:372
	buffer_load_dword v122, off, s[0:3], 0 offset:380
	s_waitcnt vmcnt(34)
	v_fma_f64 v[109:110], v[127:128], v[111:112], v[109:110]
	s_waitcnt vmcnt(32) lgkmcnt(0)
	v_fma_f64 v[109:110], v[129:130], v[113:114], v[109:110]
	s_waitcnt vmcnt(27)
	v_fma_f64 v[127:128], v[131:132], v[115:116], v[109:110]
	ds_read2_b64 v[109:112], v108 offset0:87 offset1:88
	ds_read2_b64 v[113:116], v108 offset0:89 offset1:90
	s_waitcnt vmcnt(26) lgkmcnt(1)
	v_fma_f64 v[109:110], v[137:138], v[109:110], v[127:128]
	s_clause 0x7
	buffer_load_dword v128, off, s[0:3], 0 offset:388
	buffer_load_dword v129, off, s[0:3], 0 offset:408
	buffer_load_dword v131, off, s[0:3], 0 offset:400
	buffer_load_dword v137, off, s[0:3], 0 offset:392
	buffer_load_dword v127, off, s[0:3], 0 offset:384
	buffer_load_dword v138, off, s[0:3], 0 offset:396
	buffer_load_dword v132, off, s[0:3], 0 offset:404
	buffer_load_dword v130, off, s[0:3], 0 offset:412
	s_waitcnt vmcnt(33)
	v_fma_f64 v[109:110], v[135:136], v[111:112], v[109:110]
	s_waitcnt vmcnt(32) lgkmcnt(0)
	v_fma_f64 v[109:110], v[133:134], v[113:114], v[109:110]
	s_waitcnt vmcnt(27)
	v_fma_f64 v[133:134], v[139:140], v[115:116], v[109:110]
	ds_read2_b64 v[109:112], v108 offset0:91 offset1:92
	ds_read2_b64 v[113:116], v108 offset0:93 offset1:94
	s_waitcnt vmcnt(26) lgkmcnt(1)
	v_fma_f64 v[109:110], v[145:146], v[109:110], v[133:134]
	s_clause 0x3
	buffer_load_dword v134, off, s[0:3], 0 offset:420
	buffer_load_dword v133, off, s[0:3], 0 offset:416
	;; [unrolled: 1-line block ×4, first 2 shown]
	s_waitcnt vmcnt(29)
	v_fma_f64 v[109:110], v[143:144], v[111:112], v[109:110]
	s_waitcnt vmcnt(28) lgkmcnt(0)
	v_fma_f64 v[109:110], v[141:142], v[113:114], v[109:110]
	s_waitcnt vmcnt(23)
	v_fma_f64 v[117:118], v[117:118], v[115:116], v[109:110]
	ds_read2_b64 v[109:112], v108 offset0:95 offset1:96
	ds_read2_b64 v[113:116], v108 offset0:97 offset1:98
	s_waitcnt vmcnt(22) lgkmcnt(1)
	v_fma_f64 v[109:110], v[151:152], v[109:110], v[117:118]
	s_waitcnt vmcnt(21)
	v_fma_f64 v[109:110], v[149:150], v[111:112], v[109:110]
	s_waitcnt vmcnt(20) lgkmcnt(0)
	v_fma_f64 v[109:110], v[147:148], v[113:114], v[109:110]
	s_waitcnt vmcnt(15)
	v_fma_f64 v[117:118], v[119:120], v[115:116], v[109:110]
	ds_read2_b64 v[109:112], v108 offset0:99 offset1:100
	ds_read2_b64 v[113:116], v108 offset0:101 offset1:102
	s_waitcnt vmcnt(14) lgkmcnt(1)
	v_fma_f64 v[109:110], v[125:126], v[109:110], v[117:118]
	;; [unrolled: 10-line block ×3, first 2 shown]
	s_waitcnt vmcnt(5)
	v_fma_f64 v[108:109], v[131:132], v[111:112], v[108:109]
	s_waitcnt vmcnt(4) lgkmcnt(0)
	v_fma_f64 v[108:109], v[129:130], v[113:114], v[108:109]
	s_waitcnt vmcnt(2)
	v_fma_f64 v[108:109], v[133:134], v[115:116], v[108:109]
	s_waitcnt vmcnt(0)
	v_add_f64 v[108:109], v[135:136], -v[108:109]
	buffer_store_dword v109, off, s[0:3], 0 offset:196
	buffer_store_dword v108, off, s[0:3], 0 offset:192
	v_cmpx_lt_u32_e32 23, v0
	s_cbranch_execz .LBB52_281
; %bb.280:
	s_clause 0x1
	buffer_load_dword v108, off, s[0:3], 0 offset:184
	buffer_load_dword v109, off, s[0:3], 0 offset:188
	v_mov_b32_e32 v110, 0
	buffer_store_dword v110, off, s[0:3], 0 offset:184
	buffer_store_dword v110, off, s[0:3], 0 offset:188
	s_waitcnt vmcnt(0)
	ds_write_b64 v107, v[108:109]
.LBB52_281:
	s_or_b32 exec_lo, exec_lo, s4
	s_waitcnt lgkmcnt(0)
	s_waitcnt_vscnt null, 0x0
	s_barrier
	buffer_gl0_inv
	s_clause 0x1c
	buffer_load_dword v117, off, s[0:3], 0 offset:192
	buffer_load_dword v118, off, s[0:3], 0 offset:196
	;; [unrolled: 1-line block ×29, first 2 shown]
	v_mov_b32_e32 v108, 0
	buffer_load_dword v142, off, s[0:3], 0 offset:308
	s_mov_b32 s4, exec_lo
	ds_read_b128 v[109:112], v108 offset:624
	ds_read_b128 v[113:116], v108 offset:640
	s_waitcnt vmcnt(28) lgkmcnt(1)
	v_fma_f64 v[109:110], v[117:118], v[109:110], 0
	s_clause 0x7
	buffer_load_dword v118, off, s[0:3], 0 offset:316
	buffer_load_dword v147, off, s[0:3], 0 offset:336
	buffer_load_dword v149, off, s[0:3], 0 offset:328
	buffer_load_dword v151, off, s[0:3], 0 offset:320
	buffer_load_dword v117, off, s[0:3], 0 offset:312
	buffer_load_dword v152, off, s[0:3], 0 offset:324
	buffer_load_dword v150, off, s[0:3], 0 offset:332
	buffer_load_dword v148, off, s[0:3], 0 offset:340
	s_waitcnt vmcnt(34)
	v_fma_f64 v[109:110], v[119:120], v[111:112], v[109:110]
	s_waitcnt vmcnt(32) lgkmcnt(0)
	v_fma_f64 v[109:110], v[121:122], v[113:114], v[109:110]
	s_waitcnt vmcnt(30)
	v_fma_f64 v[119:120], v[123:124], v[115:116], v[109:110]
	ds_read_b128 v[109:112], v108 offset:656
	ds_read_b128 v[113:116], v108 offset:672
	s_waitcnt vmcnt(28) lgkmcnt(1)
	v_fma_f64 v[109:110], v[125:126], v[109:110], v[119:120]
	s_clause 0x7
	buffer_load_dword v120, off, s[0:3], 0 offset:348
	buffer_load_dword v121, off, s[0:3], 0 offset:368
	buffer_load_dword v123, off, s[0:3], 0 offset:360
	buffer_load_dword v125, off, s[0:3], 0 offset:352
	buffer_load_dword v119, off, s[0:3], 0 offset:344
	buffer_load_dword v126, off, s[0:3], 0 offset:356
	buffer_load_dword v124, off, s[0:3], 0 offset:364
	buffer_load_dword v122, off, s[0:3], 0 offset:372
	s_waitcnt vmcnt(34)
	v_fma_f64 v[109:110], v[127:128], v[111:112], v[109:110]
	s_waitcnt vmcnt(32) lgkmcnt(0)
	v_fma_f64 v[109:110], v[129:130], v[113:114], v[109:110]
	s_waitcnt vmcnt(27)
	v_fma_f64 v[127:128], v[131:132], v[115:116], v[109:110]
	;; [unrolled: 19-line block ×3, first 2 shown]
	ds_read_b128 v[109:112], v108 offset:720
	ds_read_b128 v[113:116], v108 offset:736
	s_waitcnt vmcnt(26) lgkmcnt(1)
	v_fma_f64 v[109:110], v[145:146], v[109:110], v[133:134]
	s_clause 0x5
	buffer_load_dword v134, off, s[0:3], 0 offset:412
	buffer_load_dword v135, off, s[0:3], 0 offset:416
	;; [unrolled: 1-line block ×6, first 2 shown]
	s_waitcnt vmcnt(31)
	v_fma_f64 v[109:110], v[143:144], v[111:112], v[109:110]
	s_waitcnt vmcnt(30) lgkmcnt(0)
	v_fma_f64 v[109:110], v[141:142], v[113:114], v[109:110]
	s_waitcnt vmcnt(25)
	v_fma_f64 v[117:118], v[117:118], v[115:116], v[109:110]
	ds_read_b128 v[109:112], v108 offset:752
	ds_read_b128 v[113:116], v108 offset:768
	s_waitcnt vmcnt(24) lgkmcnt(1)
	v_fma_f64 v[109:110], v[151:152], v[109:110], v[117:118]
	s_waitcnt vmcnt(23)
	v_fma_f64 v[109:110], v[149:150], v[111:112], v[109:110]
	s_waitcnt vmcnt(22) lgkmcnt(0)
	v_fma_f64 v[109:110], v[147:148], v[113:114], v[109:110]
	s_waitcnt vmcnt(17)
	v_fma_f64 v[117:118], v[119:120], v[115:116], v[109:110]
	ds_read_b128 v[109:112], v108 offset:784
	ds_read_b128 v[113:116], v108 offset:800
	s_waitcnt vmcnt(16) lgkmcnt(1)
	v_fma_f64 v[109:110], v[125:126], v[109:110], v[117:118]
	;; [unrolled: 10-line block ×3, first 2 shown]
	s_waitcnt vmcnt(7)
	v_fma_f64 v[109:110], v[131:132], v[111:112], v[109:110]
	ds_read_b64 v[111:112], v108 offset:848
	s_waitcnt vmcnt(6) lgkmcnt(1)
	v_fma_f64 v[109:110], v[129:130], v[113:114], v[109:110]
	s_waitcnt vmcnt(3)
	v_fma_f64 v[109:110], v[133:134], v[115:116], v[109:110]
	s_waitcnt vmcnt(2) lgkmcnt(0)
	v_fma_f64 v[109:110], v[135:136], v[111:112], v[109:110]
	s_waitcnt vmcnt(0)
	v_add_f64 v[109:110], v[139:140], -v[109:110]
	buffer_store_dword v110, off, s[0:3], 0 offset:188
	buffer_store_dword v109, off, s[0:3], 0 offset:184
	v_cmpx_lt_u32_e32 22, v0
	s_cbranch_execz .LBB52_283
; %bb.282:
	s_clause 0x1
	buffer_load_dword v109, off, s[0:3], 0 offset:176
	buffer_load_dword v110, off, s[0:3], 0 offset:180
	buffer_store_dword v108, off, s[0:3], 0 offset:176
	buffer_store_dword v108, off, s[0:3], 0 offset:180
	s_waitcnt vmcnt(0)
	ds_write_b64 v107, v[109:110]
.LBB52_283:
	s_or_b32 exec_lo, exec_lo, s4
	s_waitcnt lgkmcnt(0)
	s_waitcnt_vscnt null, 0x0
	s_barrier
	buffer_gl0_inv
	s_clause 0x1c
	buffer_load_dword v117, off, s[0:3], 0 offset:184
	buffer_load_dword v118, off, s[0:3], 0 offset:188
	;; [unrolled: 1-line block ×29, first 2 shown]
	ds_read2_b64 v[109:112], v108 offset0:77 offset1:78
	ds_read2_b64 v[113:116], v108 offset0:79 offset1:80
	buffer_load_dword v142, off, s[0:3], 0 offset:300
	s_mov_b32 s4, exec_lo
	s_waitcnt vmcnt(28) lgkmcnt(1)
	v_fma_f64 v[109:110], v[117:118], v[109:110], 0
	s_clause 0x7
	buffer_load_dword v118, off, s[0:3], 0 offset:308
	buffer_load_dword v147, off, s[0:3], 0 offset:328
	buffer_load_dword v149, off, s[0:3], 0 offset:320
	buffer_load_dword v151, off, s[0:3], 0 offset:312
	buffer_load_dword v117, off, s[0:3], 0 offset:304
	buffer_load_dword v152, off, s[0:3], 0 offset:316
	buffer_load_dword v150, off, s[0:3], 0 offset:324
	buffer_load_dword v148, off, s[0:3], 0 offset:332
	s_waitcnt vmcnt(34)
	v_fma_f64 v[109:110], v[119:120], v[111:112], v[109:110]
	s_waitcnt vmcnt(32) lgkmcnt(0)
	v_fma_f64 v[109:110], v[121:122], v[113:114], v[109:110]
	s_waitcnt vmcnt(30)
	v_fma_f64 v[119:120], v[123:124], v[115:116], v[109:110]
	ds_read2_b64 v[109:112], v108 offset0:81 offset1:82
	ds_read2_b64 v[113:116], v108 offset0:83 offset1:84
	s_waitcnt vmcnt(28) lgkmcnt(1)
	v_fma_f64 v[109:110], v[125:126], v[109:110], v[119:120]
	s_clause 0x7
	buffer_load_dword v120, off, s[0:3], 0 offset:340
	buffer_load_dword v121, off, s[0:3], 0 offset:360
	buffer_load_dword v123, off, s[0:3], 0 offset:352
	buffer_load_dword v125, off, s[0:3], 0 offset:344
	buffer_load_dword v119, off, s[0:3], 0 offset:336
	buffer_load_dword v126, off, s[0:3], 0 offset:348
	buffer_load_dword v124, off, s[0:3], 0 offset:356
	buffer_load_dword v122, off, s[0:3], 0 offset:364
	s_waitcnt vmcnt(34)
	v_fma_f64 v[109:110], v[127:128], v[111:112], v[109:110]
	s_waitcnt vmcnt(32) lgkmcnt(0)
	v_fma_f64 v[109:110], v[129:130], v[113:114], v[109:110]
	s_waitcnt vmcnt(27)
	v_fma_f64 v[127:128], v[131:132], v[115:116], v[109:110]
	ds_read2_b64 v[109:112], v108 offset0:85 offset1:86
	ds_read2_b64 v[113:116], v108 offset0:87 offset1:88
	;; [unrolled: 19-line block ×3, first 2 shown]
	s_waitcnt vmcnt(26) lgkmcnt(1)
	v_fma_f64 v[109:110], v[145:146], v[109:110], v[133:134]
	s_clause 0x5
	buffer_load_dword v134, off, s[0:3], 0 offset:404
	buffer_load_dword v135, off, s[0:3], 0 offset:416
	;; [unrolled: 1-line block ×6, first 2 shown]
	s_waitcnt vmcnt(31)
	v_fma_f64 v[109:110], v[143:144], v[111:112], v[109:110]
	s_waitcnt vmcnt(30) lgkmcnt(0)
	v_fma_f64 v[109:110], v[141:142], v[113:114], v[109:110]
	s_waitcnt vmcnt(25)
	v_fma_f64 v[117:118], v[117:118], v[115:116], v[109:110]
	ds_read2_b64 v[109:112], v108 offset0:93 offset1:94
	s_clause 0x1
	buffer_load_dword v141, off, s[0:3], 0 offset:176
	buffer_load_dword v142, off, s[0:3], 0 offset:180
	ds_read2_b64 v[113:116], v108 offset0:95 offset1:96
	s_waitcnt vmcnt(26) lgkmcnt(1)
	v_fma_f64 v[109:110], v[151:152], v[109:110], v[117:118]
	s_waitcnt vmcnt(25)
	v_fma_f64 v[109:110], v[149:150], v[111:112], v[109:110]
	s_waitcnt vmcnt(24) lgkmcnt(0)
	v_fma_f64 v[109:110], v[147:148], v[113:114], v[109:110]
	s_waitcnt vmcnt(19)
	v_fma_f64 v[117:118], v[119:120], v[115:116], v[109:110]
	ds_read2_b64 v[109:112], v108 offset0:97 offset1:98
	ds_read2_b64 v[113:116], v108 offset0:99 offset1:100
	s_waitcnt vmcnt(18) lgkmcnt(1)
	v_fma_f64 v[109:110], v[125:126], v[109:110], v[117:118]
	s_waitcnt vmcnt(17)
	v_fma_f64 v[109:110], v[123:124], v[111:112], v[109:110]
	s_waitcnt vmcnt(16) lgkmcnt(0)
	v_fma_f64 v[109:110], v[121:122], v[113:114], v[109:110]
	s_waitcnt vmcnt(11)
	v_fma_f64 v[117:118], v[127:128], v[115:116], v[109:110]
	ds_read2_b64 v[109:112], v108 offset0:101 offset1:102
	;; [unrolled: 10-line block ×3, first 2 shown]
	s_waitcnt vmcnt(3) lgkmcnt(0)
	v_fma_f64 v[108:109], v[139:140], v[108:109], v[112:113]
	s_waitcnt vmcnt(2)
	v_fma_f64 v[108:109], v[135:136], v[110:111], v[108:109]
	s_waitcnt vmcnt(0)
	v_add_f64 v[108:109], v[141:142], -v[108:109]
	buffer_store_dword v109, off, s[0:3], 0 offset:180
	buffer_store_dword v108, off, s[0:3], 0 offset:176
	v_cmpx_lt_u32_e32 21, v0
	s_cbranch_execz .LBB52_285
; %bb.284:
	s_clause 0x1
	buffer_load_dword v108, off, s[0:3], 0 offset:168
	buffer_load_dword v109, off, s[0:3], 0 offset:172
	v_mov_b32_e32 v110, 0
	buffer_store_dword v110, off, s[0:3], 0 offset:168
	buffer_store_dword v110, off, s[0:3], 0 offset:172
	s_waitcnt vmcnt(0)
	ds_write_b64 v107, v[108:109]
.LBB52_285:
	s_or_b32 exec_lo, exec_lo, s4
	s_waitcnt lgkmcnt(0)
	s_waitcnt_vscnt null, 0x0
	s_barrier
	buffer_gl0_inv
	s_clause 0x1c
	buffer_load_dword v117, off, s[0:3], 0 offset:176
	buffer_load_dword v118, off, s[0:3], 0 offset:180
	;; [unrolled: 1-line block ×29, first 2 shown]
	v_mov_b32_e32 v108, 0
	buffer_load_dword v142, off, s[0:3], 0 offset:292
	s_mov_b32 s4, exec_lo
	ds_read_b128 v[109:112], v108 offset:608
	ds_read_b128 v[113:116], v108 offset:624
	s_waitcnt vmcnt(28) lgkmcnt(1)
	v_fma_f64 v[109:110], v[117:118], v[109:110], 0
	s_clause 0x7
	buffer_load_dword v118, off, s[0:3], 0 offset:300
	buffer_load_dword v147, off, s[0:3], 0 offset:320
	buffer_load_dword v149, off, s[0:3], 0 offset:312
	buffer_load_dword v151, off, s[0:3], 0 offset:304
	buffer_load_dword v117, off, s[0:3], 0 offset:296
	buffer_load_dword v152, off, s[0:3], 0 offset:308
	buffer_load_dword v150, off, s[0:3], 0 offset:316
	buffer_load_dword v148, off, s[0:3], 0 offset:324
	s_waitcnt vmcnt(34)
	v_fma_f64 v[109:110], v[119:120], v[111:112], v[109:110]
	s_waitcnt vmcnt(32) lgkmcnt(0)
	v_fma_f64 v[109:110], v[121:122], v[113:114], v[109:110]
	s_waitcnt vmcnt(30)
	v_fma_f64 v[119:120], v[123:124], v[115:116], v[109:110]
	ds_read_b128 v[109:112], v108 offset:640
	ds_read_b128 v[113:116], v108 offset:656
	s_waitcnt vmcnt(28) lgkmcnt(1)
	v_fma_f64 v[109:110], v[125:126], v[109:110], v[119:120]
	s_clause 0x7
	buffer_load_dword v120, off, s[0:3], 0 offset:332
	buffer_load_dword v121, off, s[0:3], 0 offset:352
	buffer_load_dword v123, off, s[0:3], 0 offset:344
	buffer_load_dword v125, off, s[0:3], 0 offset:336
	buffer_load_dword v119, off, s[0:3], 0 offset:328
	buffer_load_dword v126, off, s[0:3], 0 offset:340
	buffer_load_dword v124, off, s[0:3], 0 offset:348
	buffer_load_dword v122, off, s[0:3], 0 offset:356
	s_waitcnt vmcnt(34)
	v_fma_f64 v[109:110], v[127:128], v[111:112], v[109:110]
	s_waitcnt vmcnt(32) lgkmcnt(0)
	v_fma_f64 v[109:110], v[129:130], v[113:114], v[109:110]
	s_waitcnt vmcnt(27)
	v_fma_f64 v[127:128], v[131:132], v[115:116], v[109:110]
	;; [unrolled: 19-line block ×4, first 2 shown]
	ds_read_b128 v[109:112], v108 offset:736
	ds_read_b128 v[113:116], v108 offset:752
	s_waitcnt vmcnt(26) lgkmcnt(1)
	v_fma_f64 v[109:110], v[151:152], v[109:110], v[117:118]
	s_clause 0x1
	buffer_load_dword v117, off, s[0:3], 0 offset:168
	buffer_load_dword v118, off, s[0:3], 0 offset:172
	s_waitcnt vmcnt(27)
	v_fma_f64 v[109:110], v[149:150], v[111:112], v[109:110]
	s_waitcnt vmcnt(26) lgkmcnt(0)
	v_fma_f64 v[109:110], v[147:148], v[113:114], v[109:110]
	s_waitcnt vmcnt(21)
	v_fma_f64 v[119:120], v[119:120], v[115:116], v[109:110]
	ds_read_b128 v[109:112], v108 offset:768
	ds_read_b128 v[113:116], v108 offset:784
	s_waitcnt vmcnt(20) lgkmcnt(1)
	v_fma_f64 v[109:110], v[125:126], v[109:110], v[119:120]
	s_waitcnt vmcnt(19)
	v_fma_f64 v[109:110], v[123:124], v[111:112], v[109:110]
	s_waitcnt vmcnt(18) lgkmcnt(0)
	v_fma_f64 v[109:110], v[121:122], v[113:114], v[109:110]
	s_waitcnt vmcnt(13)
	v_fma_f64 v[119:120], v[127:128], v[115:116], v[109:110]
	ds_read_b128 v[109:112], v108 offset:800
	ds_read_b128 v[113:116], v108 offset:816
	s_waitcnt vmcnt(12) lgkmcnt(1)
	v_fma_f64 v[109:110], v[137:138], v[109:110], v[119:120]
	s_waitcnt vmcnt(11)
	v_fma_f64 v[109:110], v[131:132], v[111:112], v[109:110]
	s_waitcnt vmcnt(10) lgkmcnt(0)
	v_fma_f64 v[109:110], v[129:130], v[113:114], v[109:110]
	s_waitcnt vmcnt(5)
	v_fma_f64 v[113:114], v[133:134], v[115:116], v[109:110]
	ds_read_b128 v[109:112], v108 offset:832
	ds_read_b64 v[115:116], v108 offset:848
	s_waitcnt vmcnt(4) lgkmcnt(1)
	v_fma_f64 v[109:110], v[145:146], v[109:110], v[113:114]
	s_waitcnt vmcnt(3)
	v_fma_f64 v[109:110], v[139:140], v[111:112], v[109:110]
	s_waitcnt vmcnt(2) lgkmcnt(0)
	v_fma_f64 v[109:110], v[135:136], v[115:116], v[109:110]
	s_waitcnt vmcnt(0)
	v_add_f64 v[109:110], v[117:118], -v[109:110]
	buffer_store_dword v110, off, s[0:3], 0 offset:172
	buffer_store_dword v109, off, s[0:3], 0 offset:168
	v_cmpx_lt_u32_e32 20, v0
	s_cbranch_execz .LBB52_287
; %bb.286:
	s_clause 0x1
	buffer_load_dword v109, off, s[0:3], 0 offset:160
	buffer_load_dword v110, off, s[0:3], 0 offset:164
	buffer_store_dword v108, off, s[0:3], 0 offset:160
	buffer_store_dword v108, off, s[0:3], 0 offset:164
	s_waitcnt vmcnt(0)
	ds_write_b64 v107, v[109:110]
.LBB52_287:
	s_or_b32 exec_lo, exec_lo, s4
	s_waitcnt lgkmcnt(0)
	s_waitcnt_vscnt null, 0x0
	s_barrier
	buffer_gl0_inv
	s_clause 0x1c
	buffer_load_dword v117, off, s[0:3], 0 offset:168
	buffer_load_dword v118, off, s[0:3], 0 offset:172
	;; [unrolled: 1-line block ×29, first 2 shown]
	ds_read2_b64 v[109:112], v108 offset0:75 offset1:76
	ds_read2_b64 v[113:116], v108 offset0:77 offset1:78
	buffer_load_dword v142, off, s[0:3], 0 offset:284
	s_mov_b32 s4, exec_lo
	s_waitcnt vmcnt(28) lgkmcnt(1)
	v_fma_f64 v[109:110], v[117:118], v[109:110], 0
	s_clause 0x7
	buffer_load_dword v118, off, s[0:3], 0 offset:292
	buffer_load_dword v147, off, s[0:3], 0 offset:312
	buffer_load_dword v149, off, s[0:3], 0 offset:304
	buffer_load_dword v151, off, s[0:3], 0 offset:296
	buffer_load_dword v117, off, s[0:3], 0 offset:288
	buffer_load_dword v152, off, s[0:3], 0 offset:300
	buffer_load_dword v150, off, s[0:3], 0 offset:308
	buffer_load_dword v148, off, s[0:3], 0 offset:316
	s_waitcnt vmcnt(34)
	v_fma_f64 v[109:110], v[119:120], v[111:112], v[109:110]
	s_waitcnt vmcnt(32) lgkmcnt(0)
	v_fma_f64 v[109:110], v[121:122], v[113:114], v[109:110]
	s_waitcnt vmcnt(30)
	v_fma_f64 v[119:120], v[123:124], v[115:116], v[109:110]
	ds_read2_b64 v[109:112], v108 offset0:79 offset1:80
	ds_read2_b64 v[113:116], v108 offset0:81 offset1:82
	s_waitcnt vmcnt(28) lgkmcnt(1)
	v_fma_f64 v[109:110], v[125:126], v[109:110], v[119:120]
	s_clause 0x7
	buffer_load_dword v120, off, s[0:3], 0 offset:324
	buffer_load_dword v121, off, s[0:3], 0 offset:344
	buffer_load_dword v123, off, s[0:3], 0 offset:336
	buffer_load_dword v125, off, s[0:3], 0 offset:328
	buffer_load_dword v119, off, s[0:3], 0 offset:320
	buffer_load_dword v126, off, s[0:3], 0 offset:332
	buffer_load_dword v124, off, s[0:3], 0 offset:340
	buffer_load_dword v122, off, s[0:3], 0 offset:348
	s_waitcnt vmcnt(34)
	v_fma_f64 v[109:110], v[127:128], v[111:112], v[109:110]
	s_waitcnt vmcnt(32) lgkmcnt(0)
	v_fma_f64 v[109:110], v[129:130], v[113:114], v[109:110]
	s_waitcnt vmcnt(27)
	v_fma_f64 v[127:128], v[131:132], v[115:116], v[109:110]
	ds_read2_b64 v[109:112], v108 offset0:83 offset1:84
	ds_read2_b64 v[113:116], v108 offset0:85 offset1:86
	;; [unrolled: 19-line block ×4, first 2 shown]
	s_waitcnt vmcnt(26) lgkmcnt(1)
	v_fma_f64 v[109:110], v[151:152], v[109:110], v[117:118]
	s_clause 0x3
	buffer_load_dword v118, off, s[0:3], 0 offset:420
	buffer_load_dword v117, off, s[0:3], 0 offset:416
	;; [unrolled: 1-line block ×4, first 2 shown]
	s_waitcnt vmcnt(29)
	v_fma_f64 v[109:110], v[149:150], v[111:112], v[109:110]
	s_waitcnt vmcnt(28) lgkmcnt(0)
	v_fma_f64 v[109:110], v[147:148], v[113:114], v[109:110]
	s_waitcnt vmcnt(23)
	v_fma_f64 v[119:120], v[119:120], v[115:116], v[109:110]
	ds_read2_b64 v[109:112], v108 offset0:95 offset1:96
	ds_read2_b64 v[113:116], v108 offset0:97 offset1:98
	s_waitcnt vmcnt(22) lgkmcnt(1)
	v_fma_f64 v[109:110], v[125:126], v[109:110], v[119:120]
	s_waitcnt vmcnt(21)
	v_fma_f64 v[109:110], v[123:124], v[111:112], v[109:110]
	s_waitcnt vmcnt(20) lgkmcnt(0)
	v_fma_f64 v[109:110], v[121:122], v[113:114], v[109:110]
	s_waitcnt vmcnt(15)
	v_fma_f64 v[119:120], v[127:128], v[115:116], v[109:110]
	ds_read2_b64 v[109:112], v108 offset0:99 offset1:100
	ds_read2_b64 v[113:116], v108 offset0:101 offset1:102
	s_waitcnt vmcnt(14) lgkmcnt(1)
	v_fma_f64 v[109:110], v[137:138], v[109:110], v[119:120]
	;; [unrolled: 10-line block ×3, first 2 shown]
	s_waitcnt vmcnt(5)
	v_fma_f64 v[108:109], v[139:140], v[111:112], v[108:109]
	s_waitcnt vmcnt(4) lgkmcnt(0)
	v_fma_f64 v[108:109], v[135:136], v[113:114], v[108:109]
	s_waitcnt vmcnt(2)
	v_fma_f64 v[108:109], v[117:118], v[115:116], v[108:109]
	s_waitcnt vmcnt(0)
	v_add_f64 v[108:109], v[141:142], -v[108:109]
	buffer_store_dword v109, off, s[0:3], 0 offset:164
	buffer_store_dword v108, off, s[0:3], 0 offset:160
	v_cmpx_lt_u32_e32 19, v0
	s_cbranch_execz .LBB52_289
; %bb.288:
	s_clause 0x1
	buffer_load_dword v108, off, s[0:3], 0 offset:152
	buffer_load_dword v109, off, s[0:3], 0 offset:156
	v_mov_b32_e32 v110, 0
	buffer_store_dword v110, off, s[0:3], 0 offset:152
	buffer_store_dword v110, off, s[0:3], 0 offset:156
	s_waitcnt vmcnt(0)
	ds_write_b64 v107, v[108:109]
.LBB52_289:
	s_or_b32 exec_lo, exec_lo, s4
	s_waitcnt lgkmcnt(0)
	s_waitcnt_vscnt null, 0x0
	s_barrier
	buffer_gl0_inv
	s_clause 0x1c
	buffer_load_dword v117, off, s[0:3], 0 offset:160
	buffer_load_dword v118, off, s[0:3], 0 offset:164
	;; [unrolled: 1-line block ×29, first 2 shown]
	v_mov_b32_e32 v108, 0
	buffer_load_dword v142, off, s[0:3], 0 offset:276
	s_mov_b32 s4, exec_lo
	ds_read_b128 v[109:112], v108 offset:592
	ds_read_b128 v[113:116], v108 offset:608
	s_waitcnt vmcnt(28) lgkmcnt(1)
	v_fma_f64 v[109:110], v[117:118], v[109:110], 0
	s_clause 0x7
	buffer_load_dword v118, off, s[0:3], 0 offset:284
	buffer_load_dword v147, off, s[0:3], 0 offset:304
	buffer_load_dword v149, off, s[0:3], 0 offset:296
	buffer_load_dword v151, off, s[0:3], 0 offset:288
	buffer_load_dword v117, off, s[0:3], 0 offset:280
	buffer_load_dword v152, off, s[0:3], 0 offset:292
	buffer_load_dword v150, off, s[0:3], 0 offset:300
	buffer_load_dword v148, off, s[0:3], 0 offset:308
	s_waitcnt vmcnt(34)
	v_fma_f64 v[109:110], v[119:120], v[111:112], v[109:110]
	s_waitcnt vmcnt(32) lgkmcnt(0)
	v_fma_f64 v[109:110], v[121:122], v[113:114], v[109:110]
	s_waitcnt vmcnt(30)
	v_fma_f64 v[119:120], v[123:124], v[115:116], v[109:110]
	ds_read_b128 v[109:112], v108 offset:624
	ds_read_b128 v[113:116], v108 offset:640
	s_waitcnt vmcnt(28) lgkmcnt(1)
	v_fma_f64 v[109:110], v[125:126], v[109:110], v[119:120]
	s_clause 0x7
	buffer_load_dword v120, off, s[0:3], 0 offset:316
	buffer_load_dword v121, off, s[0:3], 0 offset:336
	buffer_load_dword v123, off, s[0:3], 0 offset:328
	buffer_load_dword v125, off, s[0:3], 0 offset:320
	buffer_load_dword v119, off, s[0:3], 0 offset:312
	buffer_load_dword v126, off, s[0:3], 0 offset:324
	buffer_load_dword v124, off, s[0:3], 0 offset:332
	buffer_load_dword v122, off, s[0:3], 0 offset:340
	s_waitcnt vmcnt(34)
	v_fma_f64 v[109:110], v[127:128], v[111:112], v[109:110]
	s_waitcnt vmcnt(32) lgkmcnt(0)
	v_fma_f64 v[109:110], v[129:130], v[113:114], v[109:110]
	s_waitcnt vmcnt(27)
	v_fma_f64 v[127:128], v[131:132], v[115:116], v[109:110]
	;; [unrolled: 19-line block ×4, first 2 shown]
	ds_read_b128 v[109:112], v108 offset:720
	ds_read_b128 v[113:116], v108 offset:736
	s_waitcnt vmcnt(26) lgkmcnt(1)
	v_fma_f64 v[109:110], v[151:152], v[109:110], v[117:118]
	s_clause 0x5
	buffer_load_dword v118, off, s[0:3], 0 offset:412
	buffer_load_dword v141, off, s[0:3], 0 offset:416
	;; [unrolled: 1-line block ×6, first 2 shown]
	s_waitcnt vmcnt(31)
	v_fma_f64 v[109:110], v[149:150], v[111:112], v[109:110]
	s_waitcnt vmcnt(30) lgkmcnt(0)
	v_fma_f64 v[109:110], v[147:148], v[113:114], v[109:110]
	s_waitcnt vmcnt(25)
	v_fma_f64 v[119:120], v[119:120], v[115:116], v[109:110]
	ds_read_b128 v[109:112], v108 offset:752
	ds_read_b128 v[113:116], v108 offset:768
	s_waitcnt vmcnt(24) lgkmcnt(1)
	v_fma_f64 v[109:110], v[125:126], v[109:110], v[119:120]
	s_waitcnt vmcnt(23)
	v_fma_f64 v[109:110], v[123:124], v[111:112], v[109:110]
	s_waitcnt vmcnt(22) lgkmcnt(0)
	v_fma_f64 v[109:110], v[121:122], v[113:114], v[109:110]
	s_waitcnt vmcnt(17)
	v_fma_f64 v[119:120], v[127:128], v[115:116], v[109:110]
	ds_read_b128 v[109:112], v108 offset:784
	ds_read_b128 v[113:116], v108 offset:800
	s_waitcnt vmcnt(16) lgkmcnt(1)
	v_fma_f64 v[109:110], v[137:138], v[109:110], v[119:120]
	;; [unrolled: 10-line block ×3, first 2 shown]
	s_waitcnt vmcnt(7)
	v_fma_f64 v[109:110], v[139:140], v[111:112], v[109:110]
	ds_read_b64 v[111:112], v108 offset:848
	s_waitcnt vmcnt(6) lgkmcnt(1)
	v_fma_f64 v[109:110], v[135:136], v[113:114], v[109:110]
	s_waitcnt vmcnt(3)
	v_fma_f64 v[109:110], v[117:118], v[115:116], v[109:110]
	s_waitcnt vmcnt(2) lgkmcnt(0)
	v_fma_f64 v[109:110], v[141:142], v[111:112], v[109:110]
	s_waitcnt vmcnt(0)
	v_add_f64 v[109:110], v[143:144], -v[109:110]
	buffer_store_dword v110, off, s[0:3], 0 offset:156
	buffer_store_dword v109, off, s[0:3], 0 offset:152
	v_cmpx_lt_u32_e32 18, v0
	s_cbranch_execz .LBB52_291
; %bb.290:
	s_clause 0x1
	buffer_load_dword v109, off, s[0:3], 0 offset:144
	buffer_load_dword v110, off, s[0:3], 0 offset:148
	buffer_store_dword v108, off, s[0:3], 0 offset:144
	buffer_store_dword v108, off, s[0:3], 0 offset:148
	s_waitcnt vmcnt(0)
	ds_write_b64 v107, v[109:110]
.LBB52_291:
	s_or_b32 exec_lo, exec_lo, s4
	s_waitcnt lgkmcnt(0)
	s_waitcnt_vscnt null, 0x0
	s_barrier
	buffer_gl0_inv
	s_clause 0x1c
	buffer_load_dword v117, off, s[0:3], 0 offset:152
	buffer_load_dword v118, off, s[0:3], 0 offset:156
	;; [unrolled: 1-line block ×29, first 2 shown]
	ds_read2_b64 v[109:112], v108 offset0:73 offset1:74
	ds_read2_b64 v[113:116], v108 offset0:75 offset1:76
	buffer_load_dword v142, off, s[0:3], 0 offset:268
	s_mov_b32 s4, exec_lo
	s_waitcnt vmcnt(28) lgkmcnt(1)
	v_fma_f64 v[109:110], v[117:118], v[109:110], 0
	s_clause 0x7
	buffer_load_dword v118, off, s[0:3], 0 offset:276
	buffer_load_dword v147, off, s[0:3], 0 offset:296
	buffer_load_dword v149, off, s[0:3], 0 offset:288
	buffer_load_dword v151, off, s[0:3], 0 offset:280
	buffer_load_dword v117, off, s[0:3], 0 offset:272
	buffer_load_dword v152, off, s[0:3], 0 offset:284
	buffer_load_dword v150, off, s[0:3], 0 offset:292
	buffer_load_dword v148, off, s[0:3], 0 offset:300
	s_waitcnt vmcnt(34)
	v_fma_f64 v[109:110], v[119:120], v[111:112], v[109:110]
	s_waitcnt vmcnt(32) lgkmcnt(0)
	v_fma_f64 v[109:110], v[121:122], v[113:114], v[109:110]
	s_waitcnt vmcnt(30)
	v_fma_f64 v[119:120], v[123:124], v[115:116], v[109:110]
	ds_read2_b64 v[109:112], v108 offset0:77 offset1:78
	ds_read2_b64 v[113:116], v108 offset0:79 offset1:80
	s_waitcnt vmcnt(28) lgkmcnt(1)
	v_fma_f64 v[109:110], v[125:126], v[109:110], v[119:120]
	s_clause 0x7
	buffer_load_dword v120, off, s[0:3], 0 offset:308
	buffer_load_dword v121, off, s[0:3], 0 offset:328
	buffer_load_dword v123, off, s[0:3], 0 offset:320
	buffer_load_dword v125, off, s[0:3], 0 offset:312
	buffer_load_dword v119, off, s[0:3], 0 offset:304
	buffer_load_dword v126, off, s[0:3], 0 offset:316
	buffer_load_dword v124, off, s[0:3], 0 offset:324
	buffer_load_dword v122, off, s[0:3], 0 offset:332
	s_waitcnt vmcnt(34)
	v_fma_f64 v[109:110], v[127:128], v[111:112], v[109:110]
	s_waitcnt vmcnt(32) lgkmcnt(0)
	v_fma_f64 v[109:110], v[129:130], v[113:114], v[109:110]
	s_waitcnt vmcnt(27)
	v_fma_f64 v[127:128], v[131:132], v[115:116], v[109:110]
	ds_read2_b64 v[109:112], v108 offset0:81 offset1:82
	ds_read2_b64 v[113:116], v108 offset0:83 offset1:84
	s_waitcnt vmcnt(26) lgkmcnt(1)
	v_fma_f64 v[109:110], v[137:138], v[109:110], v[127:128]
	s_clause 0x7
	buffer_load_dword v128, off, s[0:3], 0 offset:340
	buffer_load_dword v129, off, s[0:3], 0 offset:360
	buffer_load_dword v131, off, s[0:3], 0 offset:352
	buffer_load_dword v137, off, s[0:3], 0 offset:344
	buffer_load_dword v127, off, s[0:3], 0 offset:336
	buffer_load_dword v138, off, s[0:3], 0 offset:348
	buffer_load_dword v132, off, s[0:3], 0 offset:356
	buffer_load_dword v130, off, s[0:3], 0 offset:364
	s_waitcnt vmcnt(33)
	v_fma_f64 v[109:110], v[135:136], v[111:112], v[109:110]
	s_waitcnt vmcnt(32) lgkmcnt(0)
	v_fma_f64 v[109:110], v[133:134], v[113:114], v[109:110]
	s_waitcnt vmcnt(27)
	v_fma_f64 v[133:134], v[139:140], v[115:116], v[109:110]
	ds_read2_b64 v[109:112], v108 offset0:85 offset1:86
	ds_read2_b64 v[113:116], v108 offset0:87 offset1:88
	s_waitcnt vmcnt(26) lgkmcnt(1)
	v_fma_f64 v[109:110], v[145:146], v[109:110], v[133:134]
	s_clause 0x7
	buffer_load_dword v134, off, s[0:3], 0 offset:372
	buffer_load_dword v135, off, s[0:3], 0 offset:392
	buffer_load_dword v139, off, s[0:3], 0 offset:384
	buffer_load_dword v145, off, s[0:3], 0 offset:376
	buffer_load_dword v133, off, s[0:3], 0 offset:368
	buffer_load_dword v146, off, s[0:3], 0 offset:380
	buffer_load_dword v140, off, s[0:3], 0 offset:388
	buffer_load_dword v136, off, s[0:3], 0 offset:396
	s_waitcnt vmcnt(33)
	v_fma_f64 v[109:110], v[143:144], v[111:112], v[109:110]
	s_waitcnt vmcnt(32) lgkmcnt(0)
	v_fma_f64 v[109:110], v[141:142], v[113:114], v[109:110]
	s_waitcnt vmcnt(27)
	v_fma_f64 v[117:118], v[117:118], v[115:116], v[109:110]
	ds_read2_b64 v[109:112], v108 offset0:89 offset1:90
	ds_read2_b64 v[113:116], v108 offset0:91 offset1:92
	s_waitcnt vmcnt(26) lgkmcnt(1)
	v_fma_f64 v[109:110], v[151:152], v[109:110], v[117:118]
	s_clause 0x5
	buffer_load_dword v118, off, s[0:3], 0 offset:404
	buffer_load_dword v141, off, s[0:3], 0 offset:416
	;; [unrolled: 1-line block ×6, first 2 shown]
	s_waitcnt vmcnt(31)
	v_fma_f64 v[109:110], v[149:150], v[111:112], v[109:110]
	s_waitcnt vmcnt(30) lgkmcnt(0)
	v_fma_f64 v[109:110], v[147:148], v[113:114], v[109:110]
	s_waitcnt vmcnt(25)
	v_fma_f64 v[119:120], v[119:120], v[115:116], v[109:110]
	ds_read2_b64 v[109:112], v108 offset0:93 offset1:94
	s_clause 0x1
	buffer_load_dword v147, off, s[0:3], 0 offset:144
	buffer_load_dword v148, off, s[0:3], 0 offset:148
	ds_read2_b64 v[113:116], v108 offset0:95 offset1:96
	s_waitcnt vmcnt(26) lgkmcnt(1)
	v_fma_f64 v[109:110], v[125:126], v[109:110], v[119:120]
	s_waitcnt vmcnt(25)
	v_fma_f64 v[109:110], v[123:124], v[111:112], v[109:110]
	s_waitcnt vmcnt(24) lgkmcnt(0)
	v_fma_f64 v[109:110], v[121:122], v[113:114], v[109:110]
	s_waitcnt vmcnt(19)
	v_fma_f64 v[119:120], v[127:128], v[115:116], v[109:110]
	ds_read2_b64 v[109:112], v108 offset0:97 offset1:98
	ds_read2_b64 v[113:116], v108 offset0:99 offset1:100
	s_waitcnt vmcnt(18) lgkmcnt(1)
	v_fma_f64 v[109:110], v[137:138], v[109:110], v[119:120]
	s_waitcnt vmcnt(17)
	v_fma_f64 v[109:110], v[131:132], v[111:112], v[109:110]
	s_waitcnt vmcnt(16) lgkmcnt(0)
	v_fma_f64 v[109:110], v[129:130], v[113:114], v[109:110]
	s_waitcnt vmcnt(11)
	v_fma_f64 v[119:120], v[133:134], v[115:116], v[109:110]
	ds_read2_b64 v[109:112], v108 offset0:101 offset1:102
	;; [unrolled: 10-line block ×3, first 2 shown]
	s_waitcnt vmcnt(3) lgkmcnt(0)
	v_fma_f64 v[108:109], v[143:144], v[108:109], v[112:113]
	s_waitcnt vmcnt(2)
	v_fma_f64 v[108:109], v[141:142], v[110:111], v[108:109]
	s_waitcnt vmcnt(0)
	v_add_f64 v[108:109], v[147:148], -v[108:109]
	buffer_store_dword v109, off, s[0:3], 0 offset:148
	buffer_store_dword v108, off, s[0:3], 0 offset:144
	v_cmpx_lt_u32_e32 17, v0
	s_cbranch_execz .LBB52_293
; %bb.292:
	s_clause 0x1
	buffer_load_dword v108, off, s[0:3], 0 offset:136
	buffer_load_dword v109, off, s[0:3], 0 offset:140
	v_mov_b32_e32 v110, 0
	buffer_store_dword v110, off, s[0:3], 0 offset:136
	buffer_store_dword v110, off, s[0:3], 0 offset:140
	s_waitcnt vmcnt(0)
	ds_write_b64 v107, v[108:109]
.LBB52_293:
	s_or_b32 exec_lo, exec_lo, s4
	s_waitcnt lgkmcnt(0)
	s_waitcnt_vscnt null, 0x0
	s_barrier
	buffer_gl0_inv
	s_clause 0x1c
	buffer_load_dword v117, off, s[0:3], 0 offset:144
	buffer_load_dword v118, off, s[0:3], 0 offset:148
	;; [unrolled: 1-line block ×29, first 2 shown]
	v_mov_b32_e32 v108, 0
	buffer_load_dword v142, off, s[0:3], 0 offset:260
	s_mov_b32 s4, exec_lo
	ds_read_b128 v[109:112], v108 offset:576
	ds_read_b128 v[113:116], v108 offset:592
	s_waitcnt vmcnt(28) lgkmcnt(1)
	v_fma_f64 v[109:110], v[117:118], v[109:110], 0
	s_clause 0x7
	buffer_load_dword v118, off, s[0:3], 0 offset:268
	buffer_load_dword v147, off, s[0:3], 0 offset:288
	buffer_load_dword v149, off, s[0:3], 0 offset:280
	buffer_load_dword v151, off, s[0:3], 0 offset:272
	buffer_load_dword v117, off, s[0:3], 0 offset:264
	buffer_load_dword v152, off, s[0:3], 0 offset:276
	buffer_load_dword v150, off, s[0:3], 0 offset:284
	buffer_load_dword v148, off, s[0:3], 0 offset:292
	s_waitcnt vmcnt(34)
	v_fma_f64 v[109:110], v[119:120], v[111:112], v[109:110]
	s_waitcnt vmcnt(32) lgkmcnt(0)
	v_fma_f64 v[109:110], v[121:122], v[113:114], v[109:110]
	s_waitcnt vmcnt(30)
	v_fma_f64 v[119:120], v[123:124], v[115:116], v[109:110]
	ds_read_b128 v[109:112], v108 offset:608
	ds_read_b128 v[113:116], v108 offset:624
	s_waitcnt vmcnt(28) lgkmcnt(1)
	v_fma_f64 v[109:110], v[125:126], v[109:110], v[119:120]
	s_clause 0x7
	buffer_load_dword v120, off, s[0:3], 0 offset:300
	buffer_load_dword v121, off, s[0:3], 0 offset:320
	buffer_load_dword v123, off, s[0:3], 0 offset:312
	buffer_load_dword v125, off, s[0:3], 0 offset:304
	buffer_load_dword v119, off, s[0:3], 0 offset:296
	buffer_load_dword v126, off, s[0:3], 0 offset:308
	buffer_load_dword v124, off, s[0:3], 0 offset:316
	buffer_load_dword v122, off, s[0:3], 0 offset:324
	s_waitcnt vmcnt(34)
	v_fma_f64 v[109:110], v[127:128], v[111:112], v[109:110]
	s_waitcnt vmcnt(32) lgkmcnt(0)
	v_fma_f64 v[109:110], v[129:130], v[113:114], v[109:110]
	s_waitcnt vmcnt(27)
	v_fma_f64 v[127:128], v[131:132], v[115:116], v[109:110]
	;; [unrolled: 19-line block ×5, first 2 shown]
	ds_read_b128 v[109:112], v108 offset:736
	ds_read_b128 v[113:116], v108 offset:752
	s_waitcnt vmcnt(26) lgkmcnt(1)
	v_fma_f64 v[109:110], v[125:126], v[109:110], v[119:120]
	s_clause 0x1
	buffer_load_dword v119, off, s[0:3], 0 offset:136
	buffer_load_dword v120, off, s[0:3], 0 offset:140
	s_waitcnt vmcnt(27)
	v_fma_f64 v[109:110], v[123:124], v[111:112], v[109:110]
	s_waitcnt vmcnt(26) lgkmcnt(0)
	v_fma_f64 v[109:110], v[121:122], v[113:114], v[109:110]
	s_waitcnt vmcnt(21)
	v_fma_f64 v[121:122], v[127:128], v[115:116], v[109:110]
	ds_read_b128 v[109:112], v108 offset:768
	ds_read_b128 v[113:116], v108 offset:784
	s_waitcnt vmcnt(20) lgkmcnt(1)
	v_fma_f64 v[109:110], v[137:138], v[109:110], v[121:122]
	s_waitcnt vmcnt(19)
	v_fma_f64 v[109:110], v[131:132], v[111:112], v[109:110]
	s_waitcnt vmcnt(18) lgkmcnt(0)
	v_fma_f64 v[109:110], v[129:130], v[113:114], v[109:110]
	s_waitcnt vmcnt(13)
	v_fma_f64 v[121:122], v[133:134], v[115:116], v[109:110]
	ds_read_b128 v[109:112], v108 offset:800
	ds_read_b128 v[113:116], v108 offset:816
	s_waitcnt vmcnt(12) lgkmcnt(1)
	v_fma_f64 v[109:110], v[145:146], v[109:110], v[121:122]
	s_waitcnt vmcnt(11)
	v_fma_f64 v[109:110], v[139:140], v[111:112], v[109:110]
	s_waitcnt vmcnt(10) lgkmcnt(0)
	v_fma_f64 v[109:110], v[135:136], v[113:114], v[109:110]
	s_waitcnt vmcnt(5)
	v_fma_f64 v[113:114], v[117:118], v[115:116], v[109:110]
	ds_read_b128 v[109:112], v108 offset:832
	ds_read_b64 v[115:116], v108 offset:848
	s_waitcnt vmcnt(4) lgkmcnt(1)
	v_fma_f64 v[109:110], v[151:152], v[109:110], v[113:114]
	s_waitcnt vmcnt(3)
	v_fma_f64 v[109:110], v[143:144], v[111:112], v[109:110]
	s_waitcnt vmcnt(2) lgkmcnt(0)
	v_fma_f64 v[109:110], v[141:142], v[115:116], v[109:110]
	s_waitcnt vmcnt(0)
	v_add_f64 v[109:110], v[119:120], -v[109:110]
	buffer_store_dword v110, off, s[0:3], 0 offset:140
	buffer_store_dword v109, off, s[0:3], 0 offset:136
	v_cmpx_lt_u32_e32 16, v0
	s_cbranch_execz .LBB52_295
; %bb.294:
	s_clause 0x1
	buffer_load_dword v109, off, s[0:3], 0 offset:128
	buffer_load_dword v110, off, s[0:3], 0 offset:132
	buffer_store_dword v108, off, s[0:3], 0 offset:128
	buffer_store_dword v108, off, s[0:3], 0 offset:132
	s_waitcnt vmcnt(0)
	ds_write_b64 v107, v[109:110]
.LBB52_295:
	s_or_b32 exec_lo, exec_lo, s4
	s_waitcnt lgkmcnt(0)
	s_waitcnt_vscnt null, 0x0
	s_barrier
	buffer_gl0_inv
	s_clause 0x1c
	buffer_load_dword v117, off, s[0:3], 0 offset:136
	buffer_load_dword v118, off, s[0:3], 0 offset:140
	;; [unrolled: 1-line block ×29, first 2 shown]
	ds_read2_b64 v[109:112], v108 offset0:71 offset1:72
	ds_read2_b64 v[113:116], v108 offset0:73 offset1:74
	buffer_load_dword v142, off, s[0:3], 0 offset:252
	s_mov_b32 s4, exec_lo
	s_waitcnt vmcnt(28) lgkmcnt(1)
	v_fma_f64 v[109:110], v[117:118], v[109:110], 0
	s_clause 0x7
	buffer_load_dword v118, off, s[0:3], 0 offset:260
	buffer_load_dword v147, off, s[0:3], 0 offset:280
	buffer_load_dword v149, off, s[0:3], 0 offset:272
	buffer_load_dword v151, off, s[0:3], 0 offset:264
	buffer_load_dword v117, off, s[0:3], 0 offset:256
	buffer_load_dword v152, off, s[0:3], 0 offset:268
	buffer_load_dword v150, off, s[0:3], 0 offset:276
	buffer_load_dword v148, off, s[0:3], 0 offset:284
	s_waitcnt vmcnt(34)
	v_fma_f64 v[109:110], v[119:120], v[111:112], v[109:110]
	s_waitcnt vmcnt(32) lgkmcnt(0)
	v_fma_f64 v[109:110], v[121:122], v[113:114], v[109:110]
	s_waitcnt vmcnt(30)
	v_fma_f64 v[119:120], v[123:124], v[115:116], v[109:110]
	ds_read2_b64 v[109:112], v108 offset0:75 offset1:76
	ds_read2_b64 v[113:116], v108 offset0:77 offset1:78
	s_waitcnt vmcnt(28) lgkmcnt(1)
	v_fma_f64 v[109:110], v[125:126], v[109:110], v[119:120]
	s_clause 0x7
	buffer_load_dword v120, off, s[0:3], 0 offset:292
	buffer_load_dword v121, off, s[0:3], 0 offset:312
	buffer_load_dword v123, off, s[0:3], 0 offset:304
	buffer_load_dword v125, off, s[0:3], 0 offset:296
	buffer_load_dword v119, off, s[0:3], 0 offset:288
	buffer_load_dword v126, off, s[0:3], 0 offset:300
	buffer_load_dword v124, off, s[0:3], 0 offset:308
	buffer_load_dword v122, off, s[0:3], 0 offset:316
	s_waitcnt vmcnt(34)
	v_fma_f64 v[109:110], v[127:128], v[111:112], v[109:110]
	s_waitcnt vmcnt(32) lgkmcnt(0)
	v_fma_f64 v[109:110], v[129:130], v[113:114], v[109:110]
	s_waitcnt vmcnt(27)
	v_fma_f64 v[127:128], v[131:132], v[115:116], v[109:110]
	ds_read2_b64 v[109:112], v108 offset0:79 offset1:80
	ds_read2_b64 v[113:116], v108 offset0:81 offset1:82
	;; [unrolled: 19-line block ×5, first 2 shown]
	s_waitcnt vmcnt(26) lgkmcnt(1)
	v_fma_f64 v[109:110], v[125:126], v[109:110], v[119:120]
	s_clause 0x1
	buffer_load_dword v120, off, s[0:3], 0 offset:420
	buffer_load_dword v119, off, s[0:3], 0 offset:416
	s_waitcnt vmcnt(27)
	v_fma_f64 v[109:110], v[123:124], v[111:112], v[109:110]
	s_clause 0x1
	buffer_load_dword v123, off, s[0:3], 0 offset:128
	buffer_load_dword v124, off, s[0:3], 0 offset:132
	s_waitcnt vmcnt(28) lgkmcnt(0)
	v_fma_f64 v[109:110], v[121:122], v[113:114], v[109:110]
	s_waitcnt vmcnt(23)
	v_fma_f64 v[121:122], v[127:128], v[115:116], v[109:110]
	ds_read2_b64 v[109:112], v108 offset0:95 offset1:96
	ds_read2_b64 v[113:116], v108 offset0:97 offset1:98
	s_waitcnt vmcnt(22) lgkmcnt(1)
	v_fma_f64 v[109:110], v[137:138], v[109:110], v[121:122]
	s_waitcnt vmcnt(21)
	v_fma_f64 v[109:110], v[131:132], v[111:112], v[109:110]
	s_waitcnt vmcnt(20) lgkmcnt(0)
	v_fma_f64 v[109:110], v[129:130], v[113:114], v[109:110]
	s_waitcnt vmcnt(15)
	v_fma_f64 v[121:122], v[133:134], v[115:116], v[109:110]
	ds_read2_b64 v[109:112], v108 offset0:99 offset1:100
	ds_read2_b64 v[113:116], v108 offset0:101 offset1:102
	s_waitcnt vmcnt(14) lgkmcnt(1)
	v_fma_f64 v[109:110], v[145:146], v[109:110], v[121:122]
	s_waitcnt vmcnt(13)
	v_fma_f64 v[109:110], v[139:140], v[111:112], v[109:110]
	;; [unrolled: 10-line block ×3, first 2 shown]
	s_waitcnt vmcnt(4) lgkmcnt(0)
	v_fma_f64 v[108:109], v[141:142], v[113:114], v[108:109]
	s_waitcnt vmcnt(2)
	v_fma_f64 v[108:109], v[119:120], v[115:116], v[108:109]
	s_waitcnt vmcnt(0)
	v_add_f64 v[108:109], v[123:124], -v[108:109]
	buffer_store_dword v109, off, s[0:3], 0 offset:132
	buffer_store_dword v108, off, s[0:3], 0 offset:128
	v_cmpx_lt_u32_e32 15, v0
	s_cbranch_execz .LBB52_297
; %bb.296:
	s_clause 0x1
	buffer_load_dword v108, off, s[0:3], 0 offset:120
	buffer_load_dword v109, off, s[0:3], 0 offset:124
	v_mov_b32_e32 v110, 0
	buffer_store_dword v110, off, s[0:3], 0 offset:120
	buffer_store_dword v110, off, s[0:3], 0 offset:124
	s_waitcnt vmcnt(0)
	ds_write_b64 v107, v[108:109]
.LBB52_297:
	s_or_b32 exec_lo, exec_lo, s4
	s_waitcnt lgkmcnt(0)
	s_waitcnt_vscnt null, 0x0
	s_barrier
	buffer_gl0_inv
	s_clause 0x1c
	buffer_load_dword v117, off, s[0:3], 0 offset:128
	buffer_load_dword v118, off, s[0:3], 0 offset:132
	;; [unrolled: 1-line block ×29, first 2 shown]
	v_mov_b32_e32 v108, 0
	buffer_load_dword v142, off, s[0:3], 0 offset:244
	s_mov_b32 s4, exec_lo
	ds_read_b128 v[109:112], v108 offset:560
	ds_read_b128 v[113:116], v108 offset:576
	s_waitcnt vmcnt(28) lgkmcnt(1)
	v_fma_f64 v[109:110], v[117:118], v[109:110], 0
	s_clause 0x7
	buffer_load_dword v118, off, s[0:3], 0 offset:252
	buffer_load_dword v147, off, s[0:3], 0 offset:272
	buffer_load_dword v149, off, s[0:3], 0 offset:264
	buffer_load_dword v151, off, s[0:3], 0 offset:256
	buffer_load_dword v117, off, s[0:3], 0 offset:248
	buffer_load_dword v152, off, s[0:3], 0 offset:260
	buffer_load_dword v150, off, s[0:3], 0 offset:268
	buffer_load_dword v148, off, s[0:3], 0 offset:276
	s_waitcnt vmcnt(34)
	v_fma_f64 v[109:110], v[119:120], v[111:112], v[109:110]
	s_waitcnt vmcnt(32) lgkmcnt(0)
	v_fma_f64 v[109:110], v[121:122], v[113:114], v[109:110]
	s_waitcnt vmcnt(30)
	v_fma_f64 v[119:120], v[123:124], v[115:116], v[109:110]
	ds_read_b128 v[109:112], v108 offset:592
	ds_read_b128 v[113:116], v108 offset:608
	s_waitcnt vmcnt(28) lgkmcnt(1)
	v_fma_f64 v[109:110], v[125:126], v[109:110], v[119:120]
	s_clause 0x7
	buffer_load_dword v120, off, s[0:3], 0 offset:284
	buffer_load_dword v121, off, s[0:3], 0 offset:304
	buffer_load_dword v123, off, s[0:3], 0 offset:296
	buffer_load_dword v125, off, s[0:3], 0 offset:288
	buffer_load_dword v119, off, s[0:3], 0 offset:280
	buffer_load_dword v126, off, s[0:3], 0 offset:292
	buffer_load_dword v124, off, s[0:3], 0 offset:300
	buffer_load_dword v122, off, s[0:3], 0 offset:308
	s_waitcnt vmcnt(34)
	v_fma_f64 v[109:110], v[127:128], v[111:112], v[109:110]
	s_waitcnt vmcnt(32) lgkmcnt(0)
	v_fma_f64 v[109:110], v[129:130], v[113:114], v[109:110]
	s_waitcnt vmcnt(27)
	v_fma_f64 v[127:128], v[131:132], v[115:116], v[109:110]
	;; [unrolled: 19-line block ×5, first 2 shown]
	ds_read_b128 v[109:112], v108 offset:720
	ds_read_b128 v[113:116], v108 offset:736
	s_waitcnt vmcnt(26) lgkmcnt(1)
	v_fma_f64 v[109:110], v[125:126], v[109:110], v[119:120]
	s_clause 0x3
	buffer_load_dword v120, off, s[0:3], 0 offset:412
	buffer_load_dword v125, off, s[0:3], 0 offset:416
	;; [unrolled: 1-line block ×4, first 2 shown]
	s_waitcnt vmcnt(29)
	v_fma_f64 v[109:110], v[123:124], v[111:112], v[109:110]
	s_waitcnt vmcnt(28) lgkmcnt(0)
	v_fma_f64 v[109:110], v[121:122], v[113:114], v[109:110]
	s_clause 0x1
	buffer_load_dword v121, off, s[0:3], 0 offset:120
	buffer_load_dword v122, off, s[0:3], 0 offset:124
	s_waitcnt vmcnt(25)
	v_fma_f64 v[123:124], v[127:128], v[115:116], v[109:110]
	ds_read_b128 v[109:112], v108 offset:752
	ds_read_b128 v[113:116], v108 offset:768
	s_waitcnt vmcnt(24) lgkmcnt(1)
	v_fma_f64 v[109:110], v[137:138], v[109:110], v[123:124]
	s_waitcnt vmcnt(23)
	v_fma_f64 v[109:110], v[131:132], v[111:112], v[109:110]
	s_waitcnt vmcnt(22) lgkmcnt(0)
	v_fma_f64 v[109:110], v[129:130], v[113:114], v[109:110]
	s_waitcnt vmcnt(17)
	v_fma_f64 v[123:124], v[133:134], v[115:116], v[109:110]
	ds_read_b128 v[109:112], v108 offset:784
	ds_read_b128 v[113:116], v108 offset:800
	s_waitcnt vmcnt(16) lgkmcnt(1)
	v_fma_f64 v[109:110], v[145:146], v[109:110], v[123:124]
	s_waitcnt vmcnt(15)
	v_fma_f64 v[109:110], v[139:140], v[111:112], v[109:110]
	s_waitcnt vmcnt(14) lgkmcnt(0)
	v_fma_f64 v[109:110], v[135:136], v[113:114], v[109:110]
	s_waitcnt vmcnt(9)
	v_fma_f64 v[117:118], v[117:118], v[115:116], v[109:110]
	ds_read_b128 v[109:112], v108 offset:816
	ds_read_b128 v[113:116], v108 offset:832
	s_waitcnt vmcnt(8) lgkmcnt(1)
	v_fma_f64 v[109:110], v[151:152], v[109:110], v[117:118]
	s_waitcnt vmcnt(7)
	v_fma_f64 v[109:110], v[143:144], v[111:112], v[109:110]
	ds_read_b64 v[111:112], v108 offset:848
	s_waitcnt vmcnt(6) lgkmcnt(1)
	v_fma_f64 v[109:110], v[141:142], v[113:114], v[109:110]
	s_waitcnt vmcnt(3)
	v_fma_f64 v[109:110], v[119:120], v[115:116], v[109:110]
	s_waitcnt vmcnt(2) lgkmcnt(0)
	v_fma_f64 v[109:110], v[125:126], v[111:112], v[109:110]
	s_waitcnt vmcnt(0)
	v_add_f64 v[109:110], v[121:122], -v[109:110]
	buffer_store_dword v110, off, s[0:3], 0 offset:124
	buffer_store_dword v109, off, s[0:3], 0 offset:120
	v_cmpx_lt_u32_e32 14, v0
	s_cbranch_execz .LBB52_299
; %bb.298:
	s_clause 0x1
	buffer_load_dword v109, off, s[0:3], 0 offset:112
	buffer_load_dword v110, off, s[0:3], 0 offset:116
	buffer_store_dword v108, off, s[0:3], 0 offset:112
	buffer_store_dword v108, off, s[0:3], 0 offset:116
	s_waitcnt vmcnt(0)
	ds_write_b64 v107, v[109:110]
.LBB52_299:
	s_or_b32 exec_lo, exec_lo, s4
	s_waitcnt lgkmcnt(0)
	s_waitcnt_vscnt null, 0x0
	s_barrier
	buffer_gl0_inv
	s_clause 0x1c
	buffer_load_dword v117, off, s[0:3], 0 offset:120
	buffer_load_dword v118, off, s[0:3], 0 offset:124
	;; [unrolled: 1-line block ×29, first 2 shown]
	ds_read2_b64 v[109:112], v108 offset0:69 offset1:70
	ds_read2_b64 v[113:116], v108 offset0:71 offset1:72
	buffer_load_dword v142, off, s[0:3], 0 offset:236
	s_mov_b32 s4, exec_lo
	s_waitcnt vmcnt(28) lgkmcnt(1)
	v_fma_f64 v[109:110], v[117:118], v[109:110], 0
	s_clause 0x7
	buffer_load_dword v118, off, s[0:3], 0 offset:244
	buffer_load_dword v147, off, s[0:3], 0 offset:264
	buffer_load_dword v149, off, s[0:3], 0 offset:256
	buffer_load_dword v151, off, s[0:3], 0 offset:248
	buffer_load_dword v117, off, s[0:3], 0 offset:240
	buffer_load_dword v152, off, s[0:3], 0 offset:252
	buffer_load_dword v150, off, s[0:3], 0 offset:260
	buffer_load_dword v148, off, s[0:3], 0 offset:268
	s_waitcnt vmcnt(34)
	v_fma_f64 v[109:110], v[119:120], v[111:112], v[109:110]
	s_waitcnt vmcnt(32) lgkmcnt(0)
	v_fma_f64 v[109:110], v[121:122], v[113:114], v[109:110]
	s_waitcnt vmcnt(30)
	v_fma_f64 v[119:120], v[123:124], v[115:116], v[109:110]
	ds_read2_b64 v[109:112], v108 offset0:73 offset1:74
	ds_read2_b64 v[113:116], v108 offset0:75 offset1:76
	s_waitcnt vmcnt(28) lgkmcnt(1)
	v_fma_f64 v[109:110], v[125:126], v[109:110], v[119:120]
	s_clause 0x7
	buffer_load_dword v120, off, s[0:3], 0 offset:276
	buffer_load_dword v121, off, s[0:3], 0 offset:296
	buffer_load_dword v123, off, s[0:3], 0 offset:288
	buffer_load_dword v125, off, s[0:3], 0 offset:280
	buffer_load_dword v119, off, s[0:3], 0 offset:272
	buffer_load_dword v126, off, s[0:3], 0 offset:284
	buffer_load_dword v124, off, s[0:3], 0 offset:292
	buffer_load_dword v122, off, s[0:3], 0 offset:300
	s_waitcnt vmcnt(34)
	v_fma_f64 v[109:110], v[127:128], v[111:112], v[109:110]
	s_waitcnt vmcnt(32) lgkmcnt(0)
	v_fma_f64 v[109:110], v[129:130], v[113:114], v[109:110]
	s_waitcnt vmcnt(27)
	v_fma_f64 v[127:128], v[131:132], v[115:116], v[109:110]
	ds_read2_b64 v[109:112], v108 offset0:77 offset1:78
	ds_read2_b64 v[113:116], v108 offset0:79 offset1:80
	;; [unrolled: 19-line block ×5, first 2 shown]
	s_waitcnt vmcnt(26) lgkmcnt(1)
	v_fma_f64 v[109:110], v[125:126], v[109:110], v[119:120]
	s_clause 0x5
	buffer_load_dword v120, off, s[0:3], 0 offset:404
	buffer_load_dword v125, off, s[0:3], 0 offset:416
	buffer_load_dword v147, off, s[0:3], 0 offset:408
	buffer_load_dword v119, off, s[0:3], 0 offset:400
	buffer_load_dword v148, off, s[0:3], 0 offset:412
	buffer_load_dword v126, off, s[0:3], 0 offset:420
	s_waitcnt vmcnt(31)
	v_fma_f64 v[109:110], v[123:124], v[111:112], v[109:110]
	s_waitcnt vmcnt(30) lgkmcnt(0)
	v_fma_f64 v[109:110], v[121:122], v[113:114], v[109:110]
	s_waitcnt vmcnt(25)
	v_fma_f64 v[121:122], v[127:128], v[115:116], v[109:110]
	ds_read2_b64 v[109:112], v108 offset0:93 offset1:94
	s_clause 0x1
	buffer_load_dword v123, off, s[0:3], 0 offset:112
	buffer_load_dword v124, off, s[0:3], 0 offset:116
	ds_read2_b64 v[113:116], v108 offset0:95 offset1:96
	s_waitcnt vmcnt(26) lgkmcnt(1)
	v_fma_f64 v[109:110], v[137:138], v[109:110], v[121:122]
	s_waitcnt vmcnt(25)
	v_fma_f64 v[109:110], v[131:132], v[111:112], v[109:110]
	s_waitcnt vmcnt(24) lgkmcnt(0)
	v_fma_f64 v[109:110], v[129:130], v[113:114], v[109:110]
	s_waitcnt vmcnt(19)
	v_fma_f64 v[121:122], v[133:134], v[115:116], v[109:110]
	ds_read2_b64 v[109:112], v108 offset0:97 offset1:98
	ds_read2_b64 v[113:116], v108 offset0:99 offset1:100
	s_waitcnt vmcnt(18) lgkmcnt(1)
	v_fma_f64 v[109:110], v[145:146], v[109:110], v[121:122]
	s_waitcnt vmcnt(17)
	v_fma_f64 v[109:110], v[139:140], v[111:112], v[109:110]
	s_waitcnt vmcnt(16) lgkmcnt(0)
	v_fma_f64 v[109:110], v[135:136], v[113:114], v[109:110]
	s_waitcnt vmcnt(11)
	v_fma_f64 v[117:118], v[117:118], v[115:116], v[109:110]
	ds_read2_b64 v[109:112], v108 offset0:101 offset1:102
	;; [unrolled: 10-line block ×3, first 2 shown]
	s_waitcnt vmcnt(3) lgkmcnt(0)
	v_fma_f64 v[108:109], v[147:148], v[108:109], v[112:113]
	s_waitcnt vmcnt(2)
	v_fma_f64 v[108:109], v[125:126], v[110:111], v[108:109]
	s_waitcnt vmcnt(0)
	v_add_f64 v[108:109], v[123:124], -v[108:109]
	buffer_store_dword v109, off, s[0:3], 0 offset:116
	buffer_store_dword v108, off, s[0:3], 0 offset:112
	v_cmpx_lt_u32_e32 13, v0
	s_cbranch_execz .LBB52_301
; %bb.300:
	s_clause 0x1
	buffer_load_dword v108, off, s[0:3], 0 offset:104
	buffer_load_dword v109, off, s[0:3], 0 offset:108
	v_mov_b32_e32 v110, 0
	buffer_store_dword v110, off, s[0:3], 0 offset:104
	buffer_store_dword v110, off, s[0:3], 0 offset:108
	s_waitcnt vmcnt(0)
	ds_write_b64 v107, v[108:109]
.LBB52_301:
	s_or_b32 exec_lo, exec_lo, s4
	s_waitcnt lgkmcnt(0)
	s_waitcnt_vscnt null, 0x0
	s_barrier
	buffer_gl0_inv
	s_clause 0x1c
	buffer_load_dword v117, off, s[0:3], 0 offset:112
	buffer_load_dword v118, off, s[0:3], 0 offset:116
	;; [unrolled: 1-line block ×29, first 2 shown]
	v_mov_b32_e32 v108, 0
	buffer_load_dword v142, off, s[0:3], 0 offset:228
	s_mov_b32 s4, exec_lo
	ds_read_b128 v[109:112], v108 offset:544
	ds_read_b128 v[113:116], v108 offset:560
	s_waitcnt vmcnt(28) lgkmcnt(1)
	v_fma_f64 v[109:110], v[117:118], v[109:110], 0
	s_clause 0x7
	buffer_load_dword v118, off, s[0:3], 0 offset:236
	buffer_load_dword v147, off, s[0:3], 0 offset:256
	buffer_load_dword v149, off, s[0:3], 0 offset:248
	buffer_load_dword v151, off, s[0:3], 0 offset:240
	buffer_load_dword v117, off, s[0:3], 0 offset:232
	buffer_load_dword v152, off, s[0:3], 0 offset:244
	buffer_load_dword v150, off, s[0:3], 0 offset:252
	buffer_load_dword v148, off, s[0:3], 0 offset:260
	s_waitcnt vmcnt(34)
	v_fma_f64 v[109:110], v[119:120], v[111:112], v[109:110]
	s_waitcnt vmcnt(32) lgkmcnt(0)
	v_fma_f64 v[109:110], v[121:122], v[113:114], v[109:110]
	s_waitcnt vmcnt(30)
	v_fma_f64 v[119:120], v[123:124], v[115:116], v[109:110]
	ds_read_b128 v[109:112], v108 offset:576
	ds_read_b128 v[113:116], v108 offset:592
	s_waitcnt vmcnt(28) lgkmcnt(1)
	v_fma_f64 v[109:110], v[125:126], v[109:110], v[119:120]
	s_clause 0x7
	buffer_load_dword v120, off, s[0:3], 0 offset:268
	buffer_load_dword v121, off, s[0:3], 0 offset:288
	buffer_load_dword v123, off, s[0:3], 0 offset:280
	buffer_load_dword v125, off, s[0:3], 0 offset:272
	buffer_load_dword v119, off, s[0:3], 0 offset:264
	buffer_load_dword v126, off, s[0:3], 0 offset:276
	buffer_load_dword v124, off, s[0:3], 0 offset:284
	buffer_load_dword v122, off, s[0:3], 0 offset:292
	s_waitcnt vmcnt(34)
	v_fma_f64 v[109:110], v[127:128], v[111:112], v[109:110]
	s_waitcnt vmcnt(32) lgkmcnt(0)
	v_fma_f64 v[109:110], v[129:130], v[113:114], v[109:110]
	s_waitcnt vmcnt(27)
	v_fma_f64 v[127:128], v[131:132], v[115:116], v[109:110]
	;; [unrolled: 19-line block ×6, first 2 shown]
	ds_read_b128 v[109:112], v108 offset:736
	ds_read_b128 v[113:116], v108 offset:752
	s_waitcnt vmcnt(26) lgkmcnt(1)
	v_fma_f64 v[109:110], v[137:138], v[109:110], v[121:122]
	s_clause 0x1
	buffer_load_dword v121, off, s[0:3], 0 offset:104
	buffer_load_dword v122, off, s[0:3], 0 offset:108
	s_waitcnt vmcnt(27)
	v_fma_f64 v[109:110], v[131:132], v[111:112], v[109:110]
	s_waitcnt vmcnt(26) lgkmcnt(0)
	v_fma_f64 v[109:110], v[129:130], v[113:114], v[109:110]
	s_waitcnt vmcnt(21)
	v_fma_f64 v[123:124], v[133:134], v[115:116], v[109:110]
	ds_read_b128 v[109:112], v108 offset:768
	ds_read_b128 v[113:116], v108 offset:784
	s_waitcnt vmcnt(20) lgkmcnt(1)
	v_fma_f64 v[109:110], v[145:146], v[109:110], v[123:124]
	s_waitcnt vmcnt(19)
	v_fma_f64 v[109:110], v[139:140], v[111:112], v[109:110]
	s_waitcnt vmcnt(18) lgkmcnt(0)
	v_fma_f64 v[109:110], v[135:136], v[113:114], v[109:110]
	s_waitcnt vmcnt(13)
	v_fma_f64 v[117:118], v[117:118], v[115:116], v[109:110]
	ds_read_b128 v[109:112], v108 offset:800
	ds_read_b128 v[113:116], v108 offset:816
	s_waitcnt vmcnt(12) lgkmcnt(1)
	v_fma_f64 v[109:110], v[151:152], v[109:110], v[117:118]
	s_waitcnt vmcnt(11)
	v_fma_f64 v[109:110], v[143:144], v[111:112], v[109:110]
	s_waitcnt vmcnt(10) lgkmcnt(0)
	v_fma_f64 v[109:110], v[141:142], v[113:114], v[109:110]
	s_waitcnt vmcnt(5)
	v_fma_f64 v[113:114], v[119:120], v[115:116], v[109:110]
	ds_read_b128 v[109:112], v108 offset:832
	ds_read_b64 v[115:116], v108 offset:848
	s_waitcnt vmcnt(4) lgkmcnt(1)
	v_fma_f64 v[109:110], v[149:150], v[109:110], v[113:114]
	s_waitcnt vmcnt(3)
	v_fma_f64 v[109:110], v[147:148], v[111:112], v[109:110]
	s_waitcnt vmcnt(2) lgkmcnt(0)
	v_fma_f64 v[109:110], v[125:126], v[115:116], v[109:110]
	s_waitcnt vmcnt(0)
	v_add_f64 v[109:110], v[121:122], -v[109:110]
	buffer_store_dword v110, off, s[0:3], 0 offset:108
	buffer_store_dword v109, off, s[0:3], 0 offset:104
	v_cmpx_lt_u32_e32 12, v0
	s_cbranch_execz .LBB52_303
; %bb.302:
	s_clause 0x1
	buffer_load_dword v109, off, s[0:3], 0 offset:96
	buffer_load_dword v110, off, s[0:3], 0 offset:100
	buffer_store_dword v108, off, s[0:3], 0 offset:96
	buffer_store_dword v108, off, s[0:3], 0 offset:100
	s_waitcnt vmcnt(0)
	ds_write_b64 v107, v[109:110]
.LBB52_303:
	s_or_b32 exec_lo, exec_lo, s4
	s_waitcnt lgkmcnt(0)
	s_waitcnt_vscnt null, 0x0
	s_barrier
	buffer_gl0_inv
	s_clause 0x1c
	buffer_load_dword v117, off, s[0:3], 0 offset:104
	buffer_load_dword v118, off, s[0:3], 0 offset:108
	;; [unrolled: 1-line block ×29, first 2 shown]
	ds_read2_b64 v[109:112], v108 offset0:67 offset1:68
	ds_read2_b64 v[113:116], v108 offset0:69 offset1:70
	buffer_load_dword v142, off, s[0:3], 0 offset:220
	s_mov_b32 s4, exec_lo
	s_waitcnt vmcnt(28) lgkmcnt(1)
	v_fma_f64 v[109:110], v[117:118], v[109:110], 0
	s_clause 0x7
	buffer_load_dword v118, off, s[0:3], 0 offset:228
	buffer_load_dword v147, off, s[0:3], 0 offset:248
	buffer_load_dword v149, off, s[0:3], 0 offset:240
	buffer_load_dword v151, off, s[0:3], 0 offset:232
	buffer_load_dword v117, off, s[0:3], 0 offset:224
	buffer_load_dword v152, off, s[0:3], 0 offset:236
	buffer_load_dword v150, off, s[0:3], 0 offset:244
	buffer_load_dword v148, off, s[0:3], 0 offset:252
	s_waitcnt vmcnt(34)
	v_fma_f64 v[109:110], v[119:120], v[111:112], v[109:110]
	s_waitcnt vmcnt(32) lgkmcnt(0)
	v_fma_f64 v[109:110], v[121:122], v[113:114], v[109:110]
	s_waitcnt vmcnt(30)
	v_fma_f64 v[119:120], v[123:124], v[115:116], v[109:110]
	ds_read2_b64 v[109:112], v108 offset0:71 offset1:72
	ds_read2_b64 v[113:116], v108 offset0:73 offset1:74
	s_waitcnt vmcnt(28) lgkmcnt(1)
	v_fma_f64 v[109:110], v[125:126], v[109:110], v[119:120]
	s_clause 0x7
	buffer_load_dword v120, off, s[0:3], 0 offset:260
	buffer_load_dword v121, off, s[0:3], 0 offset:280
	buffer_load_dword v123, off, s[0:3], 0 offset:272
	buffer_load_dword v125, off, s[0:3], 0 offset:264
	buffer_load_dword v119, off, s[0:3], 0 offset:256
	buffer_load_dword v126, off, s[0:3], 0 offset:268
	buffer_load_dword v124, off, s[0:3], 0 offset:276
	buffer_load_dword v122, off, s[0:3], 0 offset:284
	s_waitcnt vmcnt(34)
	v_fma_f64 v[109:110], v[127:128], v[111:112], v[109:110]
	s_waitcnt vmcnt(32) lgkmcnt(0)
	v_fma_f64 v[109:110], v[129:130], v[113:114], v[109:110]
	s_waitcnt vmcnt(27)
	v_fma_f64 v[127:128], v[131:132], v[115:116], v[109:110]
	ds_read2_b64 v[109:112], v108 offset0:75 offset1:76
	ds_read2_b64 v[113:116], v108 offset0:77 offset1:78
	;; [unrolled: 19-line block ×6, first 2 shown]
	s_waitcnt vmcnt(26) lgkmcnt(1)
	v_fma_f64 v[109:110], v[137:138], v[109:110], v[121:122]
	s_clause 0x3
	buffer_load_dword v122, off, s[0:3], 0 offset:420
	buffer_load_dword v121, off, s[0:3], 0 offset:416
	;; [unrolled: 1-line block ×4, first 2 shown]
	s_waitcnt vmcnt(29)
	v_fma_f64 v[109:110], v[131:132], v[111:112], v[109:110]
	s_waitcnt vmcnt(28) lgkmcnt(0)
	v_fma_f64 v[109:110], v[129:130], v[113:114], v[109:110]
	s_waitcnt vmcnt(23)
	v_fma_f64 v[127:128], v[133:134], v[115:116], v[109:110]
	ds_read2_b64 v[109:112], v108 offset0:95 offset1:96
	ds_read2_b64 v[113:116], v108 offset0:97 offset1:98
	s_waitcnt vmcnt(22) lgkmcnt(1)
	v_fma_f64 v[109:110], v[145:146], v[109:110], v[127:128]
	s_waitcnt vmcnt(21)
	v_fma_f64 v[109:110], v[139:140], v[111:112], v[109:110]
	s_waitcnt vmcnt(20) lgkmcnt(0)
	v_fma_f64 v[109:110], v[135:136], v[113:114], v[109:110]
	s_waitcnt vmcnt(15)
	v_fma_f64 v[117:118], v[117:118], v[115:116], v[109:110]
	ds_read2_b64 v[109:112], v108 offset0:99 offset1:100
	ds_read2_b64 v[113:116], v108 offset0:101 offset1:102
	s_waitcnt vmcnt(14) lgkmcnt(1)
	v_fma_f64 v[109:110], v[151:152], v[109:110], v[117:118]
	;; [unrolled: 10-line block ×3, first 2 shown]
	s_waitcnt vmcnt(5)
	v_fma_f64 v[108:109], v[147:148], v[111:112], v[108:109]
	s_waitcnt vmcnt(4) lgkmcnt(0)
	v_fma_f64 v[108:109], v[125:126], v[113:114], v[108:109]
	s_waitcnt vmcnt(2)
	v_fma_f64 v[108:109], v[121:122], v[115:116], v[108:109]
	s_waitcnt vmcnt(0)
	v_add_f64 v[108:109], v[123:124], -v[108:109]
	buffer_store_dword v109, off, s[0:3], 0 offset:100
	buffer_store_dword v108, off, s[0:3], 0 offset:96
	v_cmpx_lt_u32_e32 11, v0
	s_cbranch_execz .LBB52_305
; %bb.304:
	s_clause 0x1
	buffer_load_dword v108, off, s[0:3], 0 offset:88
	buffer_load_dword v109, off, s[0:3], 0 offset:92
	v_mov_b32_e32 v110, 0
	buffer_store_dword v110, off, s[0:3], 0 offset:88
	buffer_store_dword v110, off, s[0:3], 0 offset:92
	s_waitcnt vmcnt(0)
	ds_write_b64 v107, v[108:109]
.LBB52_305:
	s_or_b32 exec_lo, exec_lo, s4
	s_waitcnt lgkmcnt(0)
	s_waitcnt_vscnt null, 0x0
	s_barrier
	buffer_gl0_inv
	s_clause 0x1c
	buffer_load_dword v117, off, s[0:3], 0 offset:96
	buffer_load_dword v118, off, s[0:3], 0 offset:100
	;; [unrolled: 1-line block ×29, first 2 shown]
	v_mov_b32_e32 v108, 0
	buffer_load_dword v142, off, s[0:3], 0 offset:212
	s_mov_b32 s4, exec_lo
	ds_read_b128 v[109:112], v108 offset:528
	ds_read_b128 v[113:116], v108 offset:544
	s_waitcnt vmcnt(28) lgkmcnt(1)
	v_fma_f64 v[109:110], v[117:118], v[109:110], 0
	s_clause 0x7
	buffer_load_dword v118, off, s[0:3], 0 offset:220
	buffer_load_dword v147, off, s[0:3], 0 offset:240
	buffer_load_dword v149, off, s[0:3], 0 offset:232
	buffer_load_dword v151, off, s[0:3], 0 offset:224
	buffer_load_dword v117, off, s[0:3], 0 offset:216
	buffer_load_dword v152, off, s[0:3], 0 offset:228
	buffer_load_dword v150, off, s[0:3], 0 offset:236
	buffer_load_dword v148, off, s[0:3], 0 offset:244
	s_waitcnt vmcnt(34)
	v_fma_f64 v[109:110], v[119:120], v[111:112], v[109:110]
	s_waitcnt vmcnt(32) lgkmcnt(0)
	v_fma_f64 v[109:110], v[121:122], v[113:114], v[109:110]
	s_waitcnt vmcnt(30)
	v_fma_f64 v[119:120], v[123:124], v[115:116], v[109:110]
	ds_read_b128 v[109:112], v108 offset:560
	ds_read_b128 v[113:116], v108 offset:576
	s_waitcnt vmcnt(28) lgkmcnt(1)
	v_fma_f64 v[109:110], v[125:126], v[109:110], v[119:120]
	s_clause 0x7
	buffer_load_dword v120, off, s[0:3], 0 offset:252
	buffer_load_dword v121, off, s[0:3], 0 offset:272
	buffer_load_dword v123, off, s[0:3], 0 offset:264
	buffer_load_dword v125, off, s[0:3], 0 offset:256
	buffer_load_dword v119, off, s[0:3], 0 offset:248
	buffer_load_dword v126, off, s[0:3], 0 offset:260
	buffer_load_dword v124, off, s[0:3], 0 offset:268
	buffer_load_dword v122, off, s[0:3], 0 offset:276
	s_waitcnt vmcnt(34)
	v_fma_f64 v[109:110], v[127:128], v[111:112], v[109:110]
	s_waitcnt vmcnt(32) lgkmcnt(0)
	v_fma_f64 v[109:110], v[129:130], v[113:114], v[109:110]
	s_waitcnt vmcnt(27)
	v_fma_f64 v[127:128], v[131:132], v[115:116], v[109:110]
	;; [unrolled: 19-line block ×6, first 2 shown]
	ds_read_b128 v[109:112], v108 offset:720
	ds_read_b128 v[113:116], v108 offset:736
	s_waitcnt vmcnt(26) lgkmcnt(1)
	v_fma_f64 v[109:110], v[137:138], v[109:110], v[121:122]
	s_clause 0x5
	buffer_load_dword v122, off, s[0:3], 0 offset:412
	buffer_load_dword v123, off, s[0:3], 0 offset:416
	;; [unrolled: 1-line block ×6, first 2 shown]
	s_waitcnt vmcnt(31)
	v_fma_f64 v[109:110], v[131:132], v[111:112], v[109:110]
	s_waitcnt vmcnt(30) lgkmcnt(0)
	v_fma_f64 v[109:110], v[129:130], v[113:114], v[109:110]
	s_waitcnt vmcnt(25)
	v_fma_f64 v[129:130], v[133:134], v[115:116], v[109:110]
	ds_read_b128 v[109:112], v108 offset:752
	ds_read_b128 v[113:116], v108 offset:768
	s_waitcnt vmcnt(24) lgkmcnt(1)
	v_fma_f64 v[109:110], v[145:146], v[109:110], v[129:130]
	s_waitcnt vmcnt(23)
	v_fma_f64 v[109:110], v[139:140], v[111:112], v[109:110]
	s_waitcnt vmcnt(22) lgkmcnt(0)
	v_fma_f64 v[109:110], v[135:136], v[113:114], v[109:110]
	s_waitcnt vmcnt(17)
	v_fma_f64 v[117:118], v[117:118], v[115:116], v[109:110]
	ds_read_b128 v[109:112], v108 offset:784
	ds_read_b128 v[113:116], v108 offset:800
	s_waitcnt vmcnt(16) lgkmcnt(1)
	v_fma_f64 v[109:110], v[151:152], v[109:110], v[117:118]
	;; [unrolled: 10-line block ×3, first 2 shown]
	s_waitcnt vmcnt(7)
	v_fma_f64 v[109:110], v[147:148], v[111:112], v[109:110]
	ds_read_b64 v[111:112], v108 offset:848
	s_waitcnt vmcnt(6) lgkmcnt(1)
	v_fma_f64 v[109:110], v[125:126], v[113:114], v[109:110]
	s_waitcnt vmcnt(3)
	v_fma_f64 v[109:110], v[121:122], v[115:116], v[109:110]
	s_waitcnt vmcnt(2) lgkmcnt(0)
	v_fma_f64 v[109:110], v[123:124], v[111:112], v[109:110]
	s_waitcnt vmcnt(0)
	v_add_f64 v[109:110], v[127:128], -v[109:110]
	buffer_store_dword v110, off, s[0:3], 0 offset:92
	buffer_store_dword v109, off, s[0:3], 0 offset:88
	v_cmpx_lt_u32_e32 10, v0
	s_cbranch_execz .LBB52_307
; %bb.306:
	s_clause 0x1
	buffer_load_dword v109, off, s[0:3], 0 offset:80
	buffer_load_dword v110, off, s[0:3], 0 offset:84
	buffer_store_dword v108, off, s[0:3], 0 offset:80
	buffer_store_dword v108, off, s[0:3], 0 offset:84
	s_waitcnt vmcnt(0)
	ds_write_b64 v107, v[109:110]
.LBB52_307:
	s_or_b32 exec_lo, exec_lo, s4
	s_waitcnt lgkmcnt(0)
	s_waitcnt_vscnt null, 0x0
	s_barrier
	buffer_gl0_inv
	s_clause 0x1c
	buffer_load_dword v117, off, s[0:3], 0 offset:88
	buffer_load_dword v118, off, s[0:3], 0 offset:92
	;; [unrolled: 1-line block ×29, first 2 shown]
	ds_read2_b64 v[109:112], v108 offset0:65 offset1:66
	ds_read2_b64 v[113:116], v108 offset0:67 offset1:68
	buffer_load_dword v142, off, s[0:3], 0 offset:204
	s_mov_b32 s4, exec_lo
	s_waitcnt vmcnt(28) lgkmcnt(1)
	v_fma_f64 v[109:110], v[117:118], v[109:110], 0
	s_clause 0x7
	buffer_load_dword v118, off, s[0:3], 0 offset:212
	buffer_load_dword v147, off, s[0:3], 0 offset:232
	buffer_load_dword v149, off, s[0:3], 0 offset:224
	buffer_load_dword v151, off, s[0:3], 0 offset:216
	buffer_load_dword v117, off, s[0:3], 0 offset:208
	buffer_load_dword v152, off, s[0:3], 0 offset:220
	buffer_load_dword v150, off, s[0:3], 0 offset:228
	buffer_load_dword v148, off, s[0:3], 0 offset:236
	s_waitcnt vmcnt(34)
	v_fma_f64 v[109:110], v[119:120], v[111:112], v[109:110]
	s_waitcnt vmcnt(32) lgkmcnt(0)
	v_fma_f64 v[109:110], v[121:122], v[113:114], v[109:110]
	s_waitcnt vmcnt(30)
	v_fma_f64 v[119:120], v[123:124], v[115:116], v[109:110]
	ds_read2_b64 v[109:112], v108 offset0:69 offset1:70
	ds_read2_b64 v[113:116], v108 offset0:71 offset1:72
	s_waitcnt vmcnt(28) lgkmcnt(1)
	v_fma_f64 v[109:110], v[125:126], v[109:110], v[119:120]
	s_clause 0x7
	buffer_load_dword v120, off, s[0:3], 0 offset:244
	buffer_load_dword v121, off, s[0:3], 0 offset:264
	buffer_load_dword v123, off, s[0:3], 0 offset:256
	buffer_load_dword v125, off, s[0:3], 0 offset:248
	buffer_load_dword v119, off, s[0:3], 0 offset:240
	buffer_load_dword v126, off, s[0:3], 0 offset:252
	buffer_load_dword v124, off, s[0:3], 0 offset:260
	buffer_load_dword v122, off, s[0:3], 0 offset:268
	s_waitcnt vmcnt(34)
	v_fma_f64 v[109:110], v[127:128], v[111:112], v[109:110]
	s_waitcnt vmcnt(32) lgkmcnt(0)
	v_fma_f64 v[109:110], v[129:130], v[113:114], v[109:110]
	s_waitcnt vmcnt(27)
	v_fma_f64 v[127:128], v[131:132], v[115:116], v[109:110]
	ds_read2_b64 v[109:112], v108 offset0:73 offset1:74
	ds_read2_b64 v[113:116], v108 offset0:75 offset1:76
	;; [unrolled: 19-line block ×6, first 2 shown]
	s_waitcnt vmcnt(26) lgkmcnt(1)
	v_fma_f64 v[109:110], v[137:138], v[109:110], v[121:122]
	s_clause 0x5
	buffer_load_dword v122, off, s[0:3], 0 offset:404
	buffer_load_dword v123, off, s[0:3], 0 offset:416
	;; [unrolled: 1-line block ×6, first 2 shown]
	s_waitcnt vmcnt(31)
	v_fma_f64 v[109:110], v[131:132], v[111:112], v[109:110]
	s_waitcnt vmcnt(30) lgkmcnt(0)
	v_fma_f64 v[109:110], v[129:130], v[113:114], v[109:110]
	s_waitcnt vmcnt(25)
	v_fma_f64 v[129:130], v[133:134], v[115:116], v[109:110]
	ds_read2_b64 v[109:112], v108 offset0:93 offset1:94
	s_clause 0x1
	buffer_load_dword v131, off, s[0:3], 0 offset:80
	buffer_load_dword v132, off, s[0:3], 0 offset:84
	ds_read2_b64 v[113:116], v108 offset0:95 offset1:96
	s_waitcnt vmcnt(26) lgkmcnt(1)
	v_fma_f64 v[109:110], v[145:146], v[109:110], v[129:130]
	s_waitcnt vmcnt(25)
	v_fma_f64 v[109:110], v[139:140], v[111:112], v[109:110]
	s_waitcnt vmcnt(24) lgkmcnt(0)
	v_fma_f64 v[109:110], v[135:136], v[113:114], v[109:110]
	s_waitcnt vmcnt(19)
	v_fma_f64 v[117:118], v[117:118], v[115:116], v[109:110]
	ds_read2_b64 v[109:112], v108 offset0:97 offset1:98
	ds_read2_b64 v[113:116], v108 offset0:99 offset1:100
	s_waitcnt vmcnt(18) lgkmcnt(1)
	v_fma_f64 v[109:110], v[151:152], v[109:110], v[117:118]
	s_waitcnt vmcnt(17)
	v_fma_f64 v[109:110], v[143:144], v[111:112], v[109:110]
	s_waitcnt vmcnt(16) lgkmcnt(0)
	v_fma_f64 v[109:110], v[141:142], v[113:114], v[109:110]
	s_waitcnt vmcnt(11)
	v_fma_f64 v[117:118], v[119:120], v[115:116], v[109:110]
	ds_read2_b64 v[109:112], v108 offset0:101 offset1:102
	;; [unrolled: 10-line block ×3, first 2 shown]
	s_waitcnt vmcnt(3) lgkmcnt(0)
	v_fma_f64 v[108:109], v[127:128], v[108:109], v[112:113]
	s_waitcnt vmcnt(2)
	v_fma_f64 v[108:109], v[123:124], v[110:111], v[108:109]
	s_waitcnt vmcnt(0)
	v_add_f64 v[108:109], v[131:132], -v[108:109]
	buffer_store_dword v109, off, s[0:3], 0 offset:84
	buffer_store_dword v108, off, s[0:3], 0 offset:80
	v_cmpx_lt_u32_e32 9, v0
	s_cbranch_execz .LBB52_309
; %bb.308:
	s_clause 0x1
	buffer_load_dword v108, off, s[0:3], 0 offset:72
	buffer_load_dword v109, off, s[0:3], 0 offset:76
	v_mov_b32_e32 v110, 0
	buffer_store_dword v110, off, s[0:3], 0 offset:72
	buffer_store_dword v110, off, s[0:3], 0 offset:76
	s_waitcnt vmcnt(0)
	ds_write_b64 v107, v[108:109]
.LBB52_309:
	s_or_b32 exec_lo, exec_lo, s4
	s_waitcnt lgkmcnt(0)
	s_waitcnt_vscnt null, 0x0
	s_barrier
	buffer_gl0_inv
	s_clause 0x1c
	buffer_load_dword v117, off, s[0:3], 0 offset:80
	buffer_load_dword v118, off, s[0:3], 0 offset:84
	buffer_load_dword v119, off, s[0:3], 0 offset:88
	buffer_load_dword v120, off, s[0:3], 0 offset:92
	buffer_load_dword v121, off, s[0:3], 0 offset:96
	buffer_load_dword v122, off, s[0:3], 0 offset:100
	buffer_load_dword v123, off, s[0:3], 0 offset:104
	buffer_load_dword v124, off, s[0:3], 0 offset:108
	buffer_load_dword v125, off, s[0:3], 0 offset:112
	buffer_load_dword v126, off, s[0:3], 0 offset:116
	buffer_load_dword v127, off, s[0:3], 0 offset:120
	buffer_load_dword v128, off, s[0:3], 0 offset:124
	buffer_load_dword v129, off, s[0:3], 0 offset:128
	buffer_load_dword v130, off, s[0:3], 0 offset:132
	buffer_load_dword v132, off, s[0:3], 0 offset:140
	buffer_load_dword v133, off, s[0:3], 0 offset:160
	buffer_load_dword v135, off, s[0:3], 0 offset:152
	buffer_load_dword v137, off, s[0:3], 0 offset:144
	buffer_load_dword v131, off, s[0:3], 0 offset:136
	buffer_load_dword v138, off, s[0:3], 0 offset:148
	buffer_load_dword v136, off, s[0:3], 0 offset:156
	buffer_load_dword v134, off, s[0:3], 0 offset:164
	buffer_load_dword v140, off, s[0:3], 0 offset:172
	buffer_load_dword v141, off, s[0:3], 0 offset:192
	buffer_load_dword v143, off, s[0:3], 0 offset:184
	buffer_load_dword v145, off, s[0:3], 0 offset:176
	buffer_load_dword v139, off, s[0:3], 0 offset:168
	buffer_load_dword v146, off, s[0:3], 0 offset:180
	buffer_load_dword v144, off, s[0:3], 0 offset:188
	v_mov_b32_e32 v108, 0
	buffer_load_dword v142, off, s[0:3], 0 offset:196
	s_mov_b32 s4, exec_lo
	ds_read_b128 v[109:112], v108 offset:512
	ds_read_b128 v[113:116], v108 offset:528
	s_waitcnt vmcnt(28) lgkmcnt(1)
	v_fma_f64 v[109:110], v[117:118], v[109:110], 0
	s_clause 0x7
	buffer_load_dword v118, off, s[0:3], 0 offset:204
	buffer_load_dword v147, off, s[0:3], 0 offset:224
	buffer_load_dword v149, off, s[0:3], 0 offset:216
	buffer_load_dword v151, off, s[0:3], 0 offset:208
	buffer_load_dword v117, off, s[0:3], 0 offset:200
	buffer_load_dword v152, off, s[0:3], 0 offset:212
	buffer_load_dword v150, off, s[0:3], 0 offset:220
	buffer_load_dword v148, off, s[0:3], 0 offset:228
	s_waitcnt vmcnt(34)
	v_fma_f64 v[109:110], v[119:120], v[111:112], v[109:110]
	s_waitcnt vmcnt(32) lgkmcnt(0)
	v_fma_f64 v[109:110], v[121:122], v[113:114], v[109:110]
	s_waitcnt vmcnt(30)
	v_fma_f64 v[119:120], v[123:124], v[115:116], v[109:110]
	ds_read_b128 v[109:112], v108 offset:544
	ds_read_b128 v[113:116], v108 offset:560
	s_waitcnt vmcnt(28) lgkmcnt(1)
	v_fma_f64 v[109:110], v[125:126], v[109:110], v[119:120]
	s_clause 0x7
	buffer_load_dword v120, off, s[0:3], 0 offset:236
	buffer_load_dword v121, off, s[0:3], 0 offset:256
	buffer_load_dword v123, off, s[0:3], 0 offset:248
	buffer_load_dword v125, off, s[0:3], 0 offset:240
	buffer_load_dword v119, off, s[0:3], 0 offset:232
	buffer_load_dword v126, off, s[0:3], 0 offset:244
	buffer_load_dword v124, off, s[0:3], 0 offset:252
	buffer_load_dword v122, off, s[0:3], 0 offset:260
	s_waitcnt vmcnt(34)
	v_fma_f64 v[109:110], v[127:128], v[111:112], v[109:110]
	s_waitcnt vmcnt(32) lgkmcnt(0)
	v_fma_f64 v[109:110], v[129:130], v[113:114], v[109:110]
	s_waitcnt vmcnt(27)
	v_fma_f64 v[127:128], v[131:132], v[115:116], v[109:110]
	;; [unrolled: 19-line block ×7, first 2 shown]
	ds_read_b128 v[109:112], v108 offset:736
	ds_read_b128 v[113:116], v108 offset:752
	s_waitcnt vmcnt(26) lgkmcnt(1)
	v_fma_f64 v[109:110], v[145:146], v[109:110], v[129:130]
	s_clause 0x1
	buffer_load_dword v129, off, s[0:3], 0 offset:72
	buffer_load_dword v130, off, s[0:3], 0 offset:76
	s_waitcnt vmcnt(27)
	v_fma_f64 v[109:110], v[139:140], v[111:112], v[109:110]
	s_waitcnt vmcnt(26) lgkmcnt(0)
	v_fma_f64 v[109:110], v[135:136], v[113:114], v[109:110]
	s_waitcnt vmcnt(21)
	v_fma_f64 v[117:118], v[117:118], v[115:116], v[109:110]
	ds_read_b128 v[109:112], v108 offset:768
	ds_read_b128 v[113:116], v108 offset:784
	s_waitcnt vmcnt(20) lgkmcnt(1)
	v_fma_f64 v[109:110], v[151:152], v[109:110], v[117:118]
	s_waitcnt vmcnt(19)
	v_fma_f64 v[109:110], v[143:144], v[111:112], v[109:110]
	s_waitcnt vmcnt(18) lgkmcnt(0)
	v_fma_f64 v[109:110], v[141:142], v[113:114], v[109:110]
	s_waitcnt vmcnt(13)
	v_fma_f64 v[117:118], v[119:120], v[115:116], v[109:110]
	ds_read_b128 v[109:112], v108 offset:800
	ds_read_b128 v[113:116], v108 offset:816
	s_waitcnt vmcnt(12) lgkmcnt(1)
	v_fma_f64 v[109:110], v[149:150], v[109:110], v[117:118]
	s_waitcnt vmcnt(11)
	v_fma_f64 v[109:110], v[147:148], v[111:112], v[109:110]
	s_waitcnt vmcnt(10) lgkmcnt(0)
	v_fma_f64 v[109:110], v[125:126], v[113:114], v[109:110]
	s_waitcnt vmcnt(5)
	v_fma_f64 v[113:114], v[121:122], v[115:116], v[109:110]
	ds_read_b128 v[109:112], v108 offset:832
	ds_read_b64 v[115:116], v108 offset:848
	s_waitcnt vmcnt(4) lgkmcnt(1)
	v_fma_f64 v[109:110], v[137:138], v[109:110], v[113:114]
	s_waitcnt vmcnt(3)
	v_fma_f64 v[109:110], v[127:128], v[111:112], v[109:110]
	s_waitcnt vmcnt(2) lgkmcnt(0)
	v_fma_f64 v[109:110], v[123:124], v[115:116], v[109:110]
	s_waitcnt vmcnt(0)
	v_add_f64 v[109:110], v[129:130], -v[109:110]
	buffer_store_dword v110, off, s[0:3], 0 offset:76
	buffer_store_dword v109, off, s[0:3], 0 offset:72
	v_cmpx_lt_u32_e32 8, v0
	s_cbranch_execz .LBB52_311
; %bb.310:
	s_clause 0x1
	buffer_load_dword v109, off, s[0:3], 0 offset:64
	buffer_load_dword v110, off, s[0:3], 0 offset:68
	buffer_store_dword v108, off, s[0:3], 0 offset:64
	buffer_store_dword v108, off, s[0:3], 0 offset:68
	s_waitcnt vmcnt(0)
	ds_write_b64 v107, v[109:110]
.LBB52_311:
	s_or_b32 exec_lo, exec_lo, s4
	s_waitcnt lgkmcnt(0)
	s_waitcnt_vscnt null, 0x0
	s_barrier
	buffer_gl0_inv
	s_clause 0x1c
	buffer_load_dword v117, off, s[0:3], 0 offset:72
	buffer_load_dword v118, off, s[0:3], 0 offset:76
	;; [unrolled: 1-line block ×29, first 2 shown]
	ds_read2_b64 v[109:112], v108 offset0:63 offset1:64
	ds_read2_b64 v[113:116], v108 offset0:65 offset1:66
	buffer_load_dword v142, off, s[0:3], 0 offset:188
	s_mov_b32 s4, exec_lo
	s_waitcnt vmcnt(28) lgkmcnt(1)
	v_fma_f64 v[109:110], v[117:118], v[109:110], 0
	s_clause 0x7
	buffer_load_dword v118, off, s[0:3], 0 offset:196
	buffer_load_dword v147, off, s[0:3], 0 offset:216
	buffer_load_dword v149, off, s[0:3], 0 offset:208
	buffer_load_dword v151, off, s[0:3], 0 offset:200
	buffer_load_dword v117, off, s[0:3], 0 offset:192
	buffer_load_dword v152, off, s[0:3], 0 offset:204
	buffer_load_dword v150, off, s[0:3], 0 offset:212
	buffer_load_dword v148, off, s[0:3], 0 offset:220
	s_waitcnt vmcnt(34)
	v_fma_f64 v[109:110], v[119:120], v[111:112], v[109:110]
	s_waitcnt vmcnt(32) lgkmcnt(0)
	v_fma_f64 v[109:110], v[121:122], v[113:114], v[109:110]
	s_waitcnt vmcnt(30)
	v_fma_f64 v[119:120], v[123:124], v[115:116], v[109:110]
	ds_read2_b64 v[109:112], v108 offset0:67 offset1:68
	ds_read2_b64 v[113:116], v108 offset0:69 offset1:70
	s_waitcnt vmcnt(28) lgkmcnt(1)
	v_fma_f64 v[109:110], v[125:126], v[109:110], v[119:120]
	s_clause 0x7
	buffer_load_dword v120, off, s[0:3], 0 offset:228
	buffer_load_dword v121, off, s[0:3], 0 offset:248
	buffer_load_dword v123, off, s[0:3], 0 offset:240
	buffer_load_dword v125, off, s[0:3], 0 offset:232
	buffer_load_dword v119, off, s[0:3], 0 offset:224
	buffer_load_dword v126, off, s[0:3], 0 offset:236
	buffer_load_dword v124, off, s[0:3], 0 offset:244
	buffer_load_dword v122, off, s[0:3], 0 offset:252
	s_waitcnt vmcnt(34)
	v_fma_f64 v[109:110], v[127:128], v[111:112], v[109:110]
	s_waitcnt vmcnt(32) lgkmcnt(0)
	v_fma_f64 v[109:110], v[129:130], v[113:114], v[109:110]
	s_waitcnt vmcnt(27)
	v_fma_f64 v[127:128], v[131:132], v[115:116], v[109:110]
	ds_read2_b64 v[109:112], v108 offset0:71 offset1:72
	ds_read2_b64 v[113:116], v108 offset0:73 offset1:74
	;; [unrolled: 19-line block ×7, first 2 shown]
	s_waitcnt vmcnt(26) lgkmcnt(1)
	v_fma_f64 v[109:110], v[145:146], v[109:110], v[129:130]
	s_clause 0x3
	buffer_load_dword v130, off, s[0:3], 0 offset:420
	buffer_load_dword v129, off, s[0:3], 0 offset:416
	;; [unrolled: 1-line block ×4, first 2 shown]
	s_waitcnt vmcnt(29)
	v_fma_f64 v[109:110], v[139:140], v[111:112], v[109:110]
	s_waitcnt vmcnt(28) lgkmcnt(0)
	v_fma_f64 v[109:110], v[135:136], v[113:114], v[109:110]
	s_waitcnt vmcnt(23)
	v_fma_f64 v[117:118], v[117:118], v[115:116], v[109:110]
	ds_read2_b64 v[109:112], v108 offset0:95 offset1:96
	ds_read2_b64 v[113:116], v108 offset0:97 offset1:98
	s_waitcnt vmcnt(22) lgkmcnt(1)
	v_fma_f64 v[109:110], v[151:152], v[109:110], v[117:118]
	s_waitcnt vmcnt(21)
	v_fma_f64 v[109:110], v[143:144], v[111:112], v[109:110]
	s_waitcnt vmcnt(20) lgkmcnt(0)
	v_fma_f64 v[109:110], v[141:142], v[113:114], v[109:110]
	s_waitcnt vmcnt(15)
	v_fma_f64 v[117:118], v[119:120], v[115:116], v[109:110]
	ds_read2_b64 v[109:112], v108 offset0:99 offset1:100
	ds_read2_b64 v[113:116], v108 offset0:101 offset1:102
	s_waitcnt vmcnt(14) lgkmcnt(1)
	v_fma_f64 v[109:110], v[149:150], v[109:110], v[117:118]
	s_waitcnt vmcnt(13)
	v_fma_f64 v[109:110], v[147:148], v[111:112], v[109:110]
	s_waitcnt vmcnt(12) lgkmcnt(0)
	v_fma_f64 v[109:110], v[125:126], v[113:114], v[109:110]
	s_waitcnt vmcnt(7)
	v_fma_f64 v[117:118], v[121:122], v[115:116], v[109:110]
	ds_read2_b64 v[109:112], v108 offset0:103 offset1:104
	ds_read2_b64 v[113:116], v108 offset0:105 offset1:106
	s_waitcnt vmcnt(6) lgkmcnt(1)
	v_fma_f64 v[108:109], v[137:138], v[109:110], v[117:118]
	s_waitcnt vmcnt(5)
	v_fma_f64 v[108:109], v[127:128], v[111:112], v[108:109]
	s_waitcnt vmcnt(4) lgkmcnt(0)
	v_fma_f64 v[108:109], v[123:124], v[113:114], v[108:109]
	s_waitcnt vmcnt(2)
	v_fma_f64 v[108:109], v[129:130], v[115:116], v[108:109]
	s_waitcnt vmcnt(0)
	v_add_f64 v[108:109], v[131:132], -v[108:109]
	buffer_store_dword v109, off, s[0:3], 0 offset:68
	buffer_store_dword v108, off, s[0:3], 0 offset:64
	v_cmpx_lt_u32_e32 7, v0
	s_cbranch_execz .LBB52_313
; %bb.312:
	s_clause 0x1
	buffer_load_dword v108, off, s[0:3], 0 offset:56
	buffer_load_dword v109, off, s[0:3], 0 offset:60
	v_mov_b32_e32 v110, 0
	buffer_store_dword v110, off, s[0:3], 0 offset:56
	buffer_store_dword v110, off, s[0:3], 0 offset:60
	s_waitcnt vmcnt(0)
	ds_write_b64 v107, v[108:109]
.LBB52_313:
	s_or_b32 exec_lo, exec_lo, s4
	s_waitcnt lgkmcnt(0)
	s_waitcnt_vscnt null, 0x0
	s_barrier
	buffer_gl0_inv
	s_clause 0x1c
	buffer_load_dword v117, off, s[0:3], 0 offset:64
	buffer_load_dword v118, off, s[0:3], 0 offset:68
	buffer_load_dword v119, off, s[0:3], 0 offset:72
	buffer_load_dword v120, off, s[0:3], 0 offset:76
	buffer_load_dword v121, off, s[0:3], 0 offset:80
	buffer_load_dword v122, off, s[0:3], 0 offset:84
	buffer_load_dword v123, off, s[0:3], 0 offset:88
	buffer_load_dword v124, off, s[0:3], 0 offset:92
	buffer_load_dword v125, off, s[0:3], 0 offset:96
	buffer_load_dword v126, off, s[0:3], 0 offset:100
	buffer_load_dword v127, off, s[0:3], 0 offset:104
	buffer_load_dword v128, off, s[0:3], 0 offset:108
	buffer_load_dword v129, off, s[0:3], 0 offset:112
	buffer_load_dword v130, off, s[0:3], 0 offset:116
	buffer_load_dword v132, off, s[0:3], 0 offset:124
	buffer_load_dword v133, off, s[0:3], 0 offset:144
	buffer_load_dword v135, off, s[0:3], 0 offset:136
	buffer_load_dword v137, off, s[0:3], 0 offset:128
	buffer_load_dword v131, off, s[0:3], 0 offset:120
	buffer_load_dword v138, off, s[0:3], 0 offset:132
	buffer_load_dword v136, off, s[0:3], 0 offset:140
	buffer_load_dword v134, off, s[0:3], 0 offset:148
	buffer_load_dword v140, off, s[0:3], 0 offset:156
	buffer_load_dword v141, off, s[0:3], 0 offset:176
	buffer_load_dword v143, off, s[0:3], 0 offset:168
	buffer_load_dword v145, off, s[0:3], 0 offset:160
	buffer_load_dword v139, off, s[0:3], 0 offset:152
	buffer_load_dword v146, off, s[0:3], 0 offset:164
	buffer_load_dword v144, off, s[0:3], 0 offset:172
	v_mov_b32_e32 v108, 0
	buffer_load_dword v142, off, s[0:3], 0 offset:180
	s_mov_b32 s4, exec_lo
	ds_read_b128 v[109:112], v108 offset:496
	ds_read_b128 v[113:116], v108 offset:512
	s_waitcnt vmcnt(28) lgkmcnt(1)
	v_fma_f64 v[109:110], v[117:118], v[109:110], 0
	s_clause 0x7
	buffer_load_dword v118, off, s[0:3], 0 offset:188
	buffer_load_dword v147, off, s[0:3], 0 offset:208
	buffer_load_dword v149, off, s[0:3], 0 offset:200
	buffer_load_dword v151, off, s[0:3], 0 offset:192
	buffer_load_dword v117, off, s[0:3], 0 offset:184
	buffer_load_dword v152, off, s[0:3], 0 offset:196
	buffer_load_dword v150, off, s[0:3], 0 offset:204
	buffer_load_dword v148, off, s[0:3], 0 offset:212
	s_waitcnt vmcnt(34)
	v_fma_f64 v[109:110], v[119:120], v[111:112], v[109:110]
	s_waitcnt vmcnt(32) lgkmcnt(0)
	v_fma_f64 v[109:110], v[121:122], v[113:114], v[109:110]
	s_waitcnt vmcnt(30)
	v_fma_f64 v[119:120], v[123:124], v[115:116], v[109:110]
	ds_read_b128 v[109:112], v108 offset:528
	ds_read_b128 v[113:116], v108 offset:544
	s_waitcnt vmcnt(28) lgkmcnt(1)
	v_fma_f64 v[109:110], v[125:126], v[109:110], v[119:120]
	s_clause 0x7
	buffer_load_dword v120, off, s[0:3], 0 offset:220
	buffer_load_dword v121, off, s[0:3], 0 offset:240
	buffer_load_dword v123, off, s[0:3], 0 offset:232
	buffer_load_dword v125, off, s[0:3], 0 offset:224
	buffer_load_dword v119, off, s[0:3], 0 offset:216
	buffer_load_dword v126, off, s[0:3], 0 offset:228
	buffer_load_dword v124, off, s[0:3], 0 offset:236
	buffer_load_dword v122, off, s[0:3], 0 offset:244
	s_waitcnt vmcnt(34)
	v_fma_f64 v[109:110], v[127:128], v[111:112], v[109:110]
	s_waitcnt vmcnt(32) lgkmcnt(0)
	v_fma_f64 v[109:110], v[129:130], v[113:114], v[109:110]
	s_waitcnt vmcnt(27)
	v_fma_f64 v[127:128], v[131:132], v[115:116], v[109:110]
	;; [unrolled: 19-line block ×7, first 2 shown]
	ds_read_b128 v[109:112], v108 offset:720
	ds_read_b128 v[113:116], v108 offset:736
	s_waitcnt vmcnt(26) lgkmcnt(1)
	v_fma_f64 v[109:110], v[145:146], v[109:110], v[129:130]
	s_clause 0x5
	buffer_load_dword v130, off, s[0:3], 0 offset:412
	buffer_load_dword v131, off, s[0:3], 0 offset:416
	;; [unrolled: 1-line block ×6, first 2 shown]
	s_waitcnt vmcnt(31)
	v_fma_f64 v[109:110], v[139:140], v[111:112], v[109:110]
	s_waitcnt vmcnt(30) lgkmcnt(0)
	v_fma_f64 v[109:110], v[135:136], v[113:114], v[109:110]
	s_waitcnt vmcnt(25)
	v_fma_f64 v[117:118], v[117:118], v[115:116], v[109:110]
	ds_read_b128 v[109:112], v108 offset:752
	ds_read_b128 v[113:116], v108 offset:768
	s_waitcnt vmcnt(24) lgkmcnt(1)
	v_fma_f64 v[109:110], v[151:152], v[109:110], v[117:118]
	s_waitcnt vmcnt(23)
	v_fma_f64 v[109:110], v[143:144], v[111:112], v[109:110]
	s_waitcnt vmcnt(22) lgkmcnt(0)
	v_fma_f64 v[109:110], v[141:142], v[113:114], v[109:110]
	s_waitcnt vmcnt(17)
	v_fma_f64 v[117:118], v[119:120], v[115:116], v[109:110]
	ds_read_b128 v[109:112], v108 offset:784
	ds_read_b128 v[113:116], v108 offset:800
	s_waitcnt vmcnt(16) lgkmcnt(1)
	v_fma_f64 v[109:110], v[149:150], v[109:110], v[117:118]
	;; [unrolled: 10-line block ×3, first 2 shown]
	s_waitcnt vmcnt(7)
	v_fma_f64 v[109:110], v[127:128], v[111:112], v[109:110]
	ds_read_b64 v[111:112], v108 offset:848
	s_waitcnt vmcnt(6) lgkmcnt(1)
	v_fma_f64 v[109:110], v[123:124], v[113:114], v[109:110]
	s_waitcnt vmcnt(3)
	v_fma_f64 v[109:110], v[129:130], v[115:116], v[109:110]
	s_waitcnt vmcnt(2) lgkmcnt(0)
	v_fma_f64 v[109:110], v[131:132], v[111:112], v[109:110]
	s_waitcnt vmcnt(0)
	v_add_f64 v[109:110], v[133:134], -v[109:110]
	buffer_store_dword v110, off, s[0:3], 0 offset:60
	buffer_store_dword v109, off, s[0:3], 0 offset:56
	v_cmpx_lt_u32_e32 6, v0
	s_cbranch_execz .LBB52_315
; %bb.314:
	s_clause 0x1
	buffer_load_dword v109, off, s[0:3], 0 offset:48
	buffer_load_dword v110, off, s[0:3], 0 offset:52
	buffer_store_dword v108, off, s[0:3], 0 offset:48
	buffer_store_dword v108, off, s[0:3], 0 offset:52
	s_waitcnt vmcnt(0)
	ds_write_b64 v107, v[109:110]
.LBB52_315:
	s_or_b32 exec_lo, exec_lo, s4
	s_waitcnt lgkmcnt(0)
	s_waitcnt_vscnt null, 0x0
	s_barrier
	buffer_gl0_inv
	s_clause 0x1c
	buffer_load_dword v117, off, s[0:3], 0 offset:56
	buffer_load_dword v118, off, s[0:3], 0 offset:60
	;; [unrolled: 1-line block ×29, first 2 shown]
	ds_read2_b64 v[109:112], v108 offset0:61 offset1:62
	ds_read2_b64 v[113:116], v108 offset0:63 offset1:64
	buffer_load_dword v142, off, s[0:3], 0 offset:172
	s_mov_b32 s4, exec_lo
	s_waitcnt vmcnt(28) lgkmcnt(1)
	v_fma_f64 v[109:110], v[117:118], v[109:110], 0
	s_clause 0x7
	buffer_load_dword v118, off, s[0:3], 0 offset:180
	buffer_load_dword v147, off, s[0:3], 0 offset:200
	buffer_load_dword v149, off, s[0:3], 0 offset:192
	buffer_load_dword v151, off, s[0:3], 0 offset:184
	buffer_load_dword v117, off, s[0:3], 0 offset:176
	buffer_load_dword v152, off, s[0:3], 0 offset:188
	buffer_load_dword v150, off, s[0:3], 0 offset:196
	buffer_load_dword v148, off, s[0:3], 0 offset:204
	s_waitcnt vmcnt(34)
	v_fma_f64 v[109:110], v[119:120], v[111:112], v[109:110]
	s_waitcnt vmcnt(32) lgkmcnt(0)
	v_fma_f64 v[109:110], v[121:122], v[113:114], v[109:110]
	s_waitcnt vmcnt(30)
	v_fma_f64 v[119:120], v[123:124], v[115:116], v[109:110]
	ds_read2_b64 v[109:112], v108 offset0:65 offset1:66
	ds_read2_b64 v[113:116], v108 offset0:67 offset1:68
	s_waitcnt vmcnt(28) lgkmcnt(1)
	v_fma_f64 v[109:110], v[125:126], v[109:110], v[119:120]
	s_clause 0x7
	buffer_load_dword v120, off, s[0:3], 0 offset:212
	buffer_load_dword v121, off, s[0:3], 0 offset:232
	buffer_load_dword v123, off, s[0:3], 0 offset:224
	buffer_load_dword v125, off, s[0:3], 0 offset:216
	buffer_load_dword v119, off, s[0:3], 0 offset:208
	buffer_load_dword v126, off, s[0:3], 0 offset:220
	buffer_load_dword v124, off, s[0:3], 0 offset:228
	buffer_load_dword v122, off, s[0:3], 0 offset:236
	s_waitcnt vmcnt(34)
	v_fma_f64 v[109:110], v[127:128], v[111:112], v[109:110]
	s_waitcnt vmcnt(32) lgkmcnt(0)
	v_fma_f64 v[109:110], v[129:130], v[113:114], v[109:110]
	s_waitcnt vmcnt(27)
	v_fma_f64 v[127:128], v[131:132], v[115:116], v[109:110]
	ds_read2_b64 v[109:112], v108 offset0:69 offset1:70
	ds_read2_b64 v[113:116], v108 offset0:71 offset1:72
	;; [unrolled: 19-line block ×7, first 2 shown]
	s_waitcnt vmcnt(26) lgkmcnt(1)
	v_fma_f64 v[109:110], v[145:146], v[109:110], v[129:130]
	s_clause 0x5
	buffer_load_dword v130, off, s[0:3], 0 offset:404
	buffer_load_dword v131, off, s[0:3], 0 offset:416
	buffer_load_dword v133, off, s[0:3], 0 offset:408
	buffer_load_dword v129, off, s[0:3], 0 offset:400
	buffer_load_dword v134, off, s[0:3], 0 offset:412
	buffer_load_dword v132, off, s[0:3], 0 offset:420
	s_waitcnt vmcnt(31)
	v_fma_f64 v[109:110], v[139:140], v[111:112], v[109:110]
	s_waitcnt vmcnt(30) lgkmcnt(0)
	v_fma_f64 v[109:110], v[135:136], v[113:114], v[109:110]
	s_waitcnt vmcnt(25)
	v_fma_f64 v[117:118], v[117:118], v[115:116], v[109:110]
	ds_read2_b64 v[109:112], v108 offset0:93 offset1:94
	s_clause 0x1
	buffer_load_dword v135, off, s[0:3], 0 offset:48
	buffer_load_dword v136, off, s[0:3], 0 offset:52
	ds_read2_b64 v[113:116], v108 offset0:95 offset1:96
	s_waitcnt vmcnt(26) lgkmcnt(1)
	v_fma_f64 v[109:110], v[151:152], v[109:110], v[117:118]
	s_waitcnt vmcnt(25)
	v_fma_f64 v[109:110], v[143:144], v[111:112], v[109:110]
	s_waitcnt vmcnt(24) lgkmcnt(0)
	v_fma_f64 v[109:110], v[141:142], v[113:114], v[109:110]
	s_waitcnt vmcnt(19)
	v_fma_f64 v[117:118], v[119:120], v[115:116], v[109:110]
	ds_read2_b64 v[109:112], v108 offset0:97 offset1:98
	ds_read2_b64 v[113:116], v108 offset0:99 offset1:100
	s_waitcnt vmcnt(18) lgkmcnt(1)
	v_fma_f64 v[109:110], v[149:150], v[109:110], v[117:118]
	s_waitcnt vmcnt(17)
	v_fma_f64 v[109:110], v[147:148], v[111:112], v[109:110]
	s_waitcnt vmcnt(16) lgkmcnt(0)
	v_fma_f64 v[109:110], v[125:126], v[113:114], v[109:110]
	s_waitcnt vmcnt(11)
	v_fma_f64 v[117:118], v[121:122], v[115:116], v[109:110]
	ds_read2_b64 v[109:112], v108 offset0:101 offset1:102
	;; [unrolled: 10-line block ×3, first 2 shown]
	s_waitcnt vmcnt(3) lgkmcnt(0)
	v_fma_f64 v[108:109], v[133:134], v[108:109], v[112:113]
	s_waitcnt vmcnt(2)
	v_fma_f64 v[108:109], v[131:132], v[110:111], v[108:109]
	s_waitcnt vmcnt(0)
	v_add_f64 v[108:109], v[135:136], -v[108:109]
	buffer_store_dword v109, off, s[0:3], 0 offset:52
	buffer_store_dword v108, off, s[0:3], 0 offset:48
	v_cmpx_lt_u32_e32 5, v0
	s_cbranch_execz .LBB52_317
; %bb.316:
	s_clause 0x1
	buffer_load_dword v108, off, s[0:3], 0 offset:40
	buffer_load_dword v109, off, s[0:3], 0 offset:44
	v_mov_b32_e32 v110, 0
	buffer_store_dword v110, off, s[0:3], 0 offset:40
	buffer_store_dword v110, off, s[0:3], 0 offset:44
	s_waitcnt vmcnt(0)
	ds_write_b64 v107, v[108:109]
.LBB52_317:
	s_or_b32 exec_lo, exec_lo, s4
	s_waitcnt lgkmcnt(0)
	s_waitcnt_vscnt null, 0x0
	s_barrier
	buffer_gl0_inv
	s_clause 0x1c
	buffer_load_dword v117, off, s[0:3], 0 offset:48
	buffer_load_dword v118, off, s[0:3], 0 offset:52
	;; [unrolled: 1-line block ×29, first 2 shown]
	v_mov_b32_e32 v108, 0
	buffer_load_dword v142, off, s[0:3], 0 offset:164
	s_mov_b32 s4, exec_lo
	ds_read_b128 v[109:112], v108 offset:480
	ds_read_b128 v[113:116], v108 offset:496
	s_waitcnt vmcnt(28) lgkmcnt(1)
	v_fma_f64 v[109:110], v[117:118], v[109:110], 0
	s_clause 0x7
	buffer_load_dword v118, off, s[0:3], 0 offset:172
	buffer_load_dword v147, off, s[0:3], 0 offset:192
	buffer_load_dword v149, off, s[0:3], 0 offset:184
	buffer_load_dword v151, off, s[0:3], 0 offset:176
	buffer_load_dword v117, off, s[0:3], 0 offset:168
	buffer_load_dword v152, off, s[0:3], 0 offset:180
	buffer_load_dword v150, off, s[0:3], 0 offset:188
	buffer_load_dword v148, off, s[0:3], 0 offset:196
	s_waitcnt vmcnt(34)
	v_fma_f64 v[109:110], v[119:120], v[111:112], v[109:110]
	s_waitcnt vmcnt(32) lgkmcnt(0)
	v_fma_f64 v[109:110], v[121:122], v[113:114], v[109:110]
	s_waitcnt vmcnt(30)
	v_fma_f64 v[119:120], v[123:124], v[115:116], v[109:110]
	ds_read_b128 v[109:112], v108 offset:512
	ds_read_b128 v[113:116], v108 offset:528
	s_waitcnt vmcnt(28) lgkmcnt(1)
	v_fma_f64 v[109:110], v[125:126], v[109:110], v[119:120]
	s_clause 0x7
	buffer_load_dword v120, off, s[0:3], 0 offset:204
	buffer_load_dword v121, off, s[0:3], 0 offset:224
	buffer_load_dword v123, off, s[0:3], 0 offset:216
	buffer_load_dword v125, off, s[0:3], 0 offset:208
	buffer_load_dword v119, off, s[0:3], 0 offset:200
	buffer_load_dword v126, off, s[0:3], 0 offset:212
	buffer_load_dword v124, off, s[0:3], 0 offset:220
	buffer_load_dword v122, off, s[0:3], 0 offset:228
	s_waitcnt vmcnt(34)
	v_fma_f64 v[109:110], v[127:128], v[111:112], v[109:110]
	s_waitcnt vmcnt(32) lgkmcnt(0)
	v_fma_f64 v[109:110], v[129:130], v[113:114], v[109:110]
	s_waitcnt vmcnt(27)
	v_fma_f64 v[127:128], v[131:132], v[115:116], v[109:110]
	;; [unrolled: 19-line block ×8, first 2 shown]
	ds_read_b128 v[109:112], v108 offset:736
	ds_read_b128 v[113:116], v108 offset:752
	s_waitcnt vmcnt(26) lgkmcnt(1)
	v_fma_f64 v[109:110], v[151:152], v[109:110], v[117:118]
	s_clause 0x1
	buffer_load_dword v117, off, s[0:3], 0 offset:40
	buffer_load_dword v118, off, s[0:3], 0 offset:44
	s_waitcnt vmcnt(27)
	v_fma_f64 v[109:110], v[143:144], v[111:112], v[109:110]
	s_waitcnt vmcnt(26) lgkmcnt(0)
	v_fma_f64 v[109:110], v[141:142], v[113:114], v[109:110]
	s_waitcnt vmcnt(21)
	v_fma_f64 v[119:120], v[119:120], v[115:116], v[109:110]
	ds_read_b128 v[109:112], v108 offset:768
	ds_read_b128 v[113:116], v108 offset:784
	s_waitcnt vmcnt(20) lgkmcnt(1)
	v_fma_f64 v[109:110], v[149:150], v[109:110], v[119:120]
	s_waitcnt vmcnt(19)
	v_fma_f64 v[109:110], v[147:148], v[111:112], v[109:110]
	s_waitcnt vmcnt(18) lgkmcnt(0)
	v_fma_f64 v[109:110], v[125:126], v[113:114], v[109:110]
	s_waitcnt vmcnt(13)
	v_fma_f64 v[119:120], v[121:122], v[115:116], v[109:110]
	ds_read_b128 v[109:112], v108 offset:800
	ds_read_b128 v[113:116], v108 offset:816
	s_waitcnt vmcnt(12) lgkmcnt(1)
	v_fma_f64 v[109:110], v[137:138], v[109:110], v[119:120]
	s_waitcnt vmcnt(11)
	v_fma_f64 v[109:110], v[127:128], v[111:112], v[109:110]
	s_waitcnt vmcnt(10) lgkmcnt(0)
	v_fma_f64 v[109:110], v[123:124], v[113:114], v[109:110]
	s_waitcnt vmcnt(5)
	v_fma_f64 v[113:114], v[129:130], v[115:116], v[109:110]
	ds_read_b128 v[109:112], v108 offset:832
	ds_read_b64 v[115:116], v108 offset:848
	s_waitcnt vmcnt(4) lgkmcnt(1)
	v_fma_f64 v[109:110], v[145:146], v[109:110], v[113:114]
	s_waitcnt vmcnt(3)
	v_fma_f64 v[109:110], v[133:134], v[111:112], v[109:110]
	s_waitcnt vmcnt(2) lgkmcnt(0)
	v_fma_f64 v[109:110], v[131:132], v[115:116], v[109:110]
	s_waitcnt vmcnt(0)
	v_add_f64 v[109:110], v[117:118], -v[109:110]
	buffer_store_dword v110, off, s[0:3], 0 offset:44
	buffer_store_dword v109, off, s[0:3], 0 offset:40
	v_cmpx_lt_u32_e32 4, v0
	s_cbranch_execz .LBB52_319
; %bb.318:
	s_clause 0x1
	buffer_load_dword v109, off, s[0:3], 0 offset:32
	buffer_load_dword v110, off, s[0:3], 0 offset:36
	buffer_store_dword v108, off, s[0:3], 0 offset:32
	buffer_store_dword v108, off, s[0:3], 0 offset:36
	s_waitcnt vmcnt(0)
	ds_write_b64 v107, v[109:110]
.LBB52_319:
	s_or_b32 exec_lo, exec_lo, s4
	s_waitcnt lgkmcnt(0)
	s_waitcnt_vscnt null, 0x0
	s_barrier
	buffer_gl0_inv
	s_clause 0x1c
	buffer_load_dword v117, off, s[0:3], 0 offset:40
	buffer_load_dword v118, off, s[0:3], 0 offset:44
	buffer_load_dword v119, off, s[0:3], 0 offset:48
	buffer_load_dword v120, off, s[0:3], 0 offset:52
	buffer_load_dword v121, off, s[0:3], 0 offset:56
	buffer_load_dword v122, off, s[0:3], 0 offset:60
	buffer_load_dword v123, off, s[0:3], 0 offset:64
	buffer_load_dword v124, off, s[0:3], 0 offset:68
	buffer_load_dword v125, off, s[0:3], 0 offset:72
	buffer_load_dword v126, off, s[0:3], 0 offset:76
	buffer_load_dword v127, off, s[0:3], 0 offset:80
	buffer_load_dword v128, off, s[0:3], 0 offset:84
	buffer_load_dword v129, off, s[0:3], 0 offset:88
	buffer_load_dword v130, off, s[0:3], 0 offset:92
	buffer_load_dword v132, off, s[0:3], 0 offset:100
	buffer_load_dword v133, off, s[0:3], 0 offset:120
	buffer_load_dword v135, off, s[0:3], 0 offset:112
	buffer_load_dword v137, off, s[0:3], 0 offset:104
	buffer_load_dword v131, off, s[0:3], 0 offset:96
	buffer_load_dword v138, off, s[0:3], 0 offset:108
	buffer_load_dword v136, off, s[0:3], 0 offset:116
	buffer_load_dword v134, off, s[0:3], 0 offset:124
	buffer_load_dword v140, off, s[0:3], 0 offset:132
	buffer_load_dword v141, off, s[0:3], 0 offset:152
	buffer_load_dword v143, off, s[0:3], 0 offset:144
	buffer_load_dword v145, off, s[0:3], 0 offset:136
	buffer_load_dword v139, off, s[0:3], 0 offset:128
	buffer_load_dword v146, off, s[0:3], 0 offset:140
	buffer_load_dword v144, off, s[0:3], 0 offset:148
	ds_read2_b64 v[109:112], v108 offset0:59 offset1:60
	ds_read2_b64 v[113:116], v108 offset0:61 offset1:62
	buffer_load_dword v142, off, s[0:3], 0 offset:156
	s_mov_b32 s4, exec_lo
	s_waitcnt vmcnt(28) lgkmcnt(1)
	v_fma_f64 v[109:110], v[117:118], v[109:110], 0
	s_clause 0x7
	buffer_load_dword v118, off, s[0:3], 0 offset:164
	buffer_load_dword v147, off, s[0:3], 0 offset:184
	buffer_load_dword v149, off, s[0:3], 0 offset:176
	buffer_load_dword v151, off, s[0:3], 0 offset:168
	buffer_load_dword v117, off, s[0:3], 0 offset:160
	buffer_load_dword v152, off, s[0:3], 0 offset:172
	buffer_load_dword v150, off, s[0:3], 0 offset:180
	buffer_load_dword v148, off, s[0:3], 0 offset:188
	s_waitcnt vmcnt(34)
	v_fma_f64 v[109:110], v[119:120], v[111:112], v[109:110]
	s_waitcnt vmcnt(32) lgkmcnt(0)
	v_fma_f64 v[109:110], v[121:122], v[113:114], v[109:110]
	s_waitcnt vmcnt(30)
	v_fma_f64 v[119:120], v[123:124], v[115:116], v[109:110]
	ds_read2_b64 v[109:112], v108 offset0:63 offset1:64
	ds_read2_b64 v[113:116], v108 offset0:65 offset1:66
	s_waitcnt vmcnt(28) lgkmcnt(1)
	v_fma_f64 v[109:110], v[125:126], v[109:110], v[119:120]
	s_clause 0x7
	buffer_load_dword v120, off, s[0:3], 0 offset:196
	buffer_load_dword v121, off, s[0:3], 0 offset:216
	buffer_load_dword v123, off, s[0:3], 0 offset:208
	buffer_load_dword v125, off, s[0:3], 0 offset:200
	buffer_load_dword v119, off, s[0:3], 0 offset:192
	buffer_load_dword v126, off, s[0:3], 0 offset:204
	buffer_load_dword v124, off, s[0:3], 0 offset:212
	buffer_load_dword v122, off, s[0:3], 0 offset:220
	s_waitcnt vmcnt(34)
	v_fma_f64 v[109:110], v[127:128], v[111:112], v[109:110]
	s_waitcnt vmcnt(32) lgkmcnt(0)
	v_fma_f64 v[109:110], v[129:130], v[113:114], v[109:110]
	s_waitcnt vmcnt(27)
	v_fma_f64 v[127:128], v[131:132], v[115:116], v[109:110]
	ds_read2_b64 v[109:112], v108 offset0:67 offset1:68
	ds_read2_b64 v[113:116], v108 offset0:69 offset1:70
	;; [unrolled: 19-line block ×8, first 2 shown]
	s_waitcnt vmcnt(26) lgkmcnt(1)
	v_fma_f64 v[109:110], v[151:152], v[109:110], v[117:118]
	s_clause 0x3
	buffer_load_dword v118, off, s[0:3], 0 offset:420
	buffer_load_dword v117, off, s[0:3], 0 offset:416
	;; [unrolled: 1-line block ×4, first 2 shown]
	s_waitcnt vmcnt(29)
	v_fma_f64 v[109:110], v[143:144], v[111:112], v[109:110]
	s_waitcnt vmcnt(28) lgkmcnt(0)
	v_fma_f64 v[109:110], v[141:142], v[113:114], v[109:110]
	s_waitcnt vmcnt(23)
	v_fma_f64 v[119:120], v[119:120], v[115:116], v[109:110]
	ds_read2_b64 v[109:112], v108 offset0:95 offset1:96
	ds_read2_b64 v[113:116], v108 offset0:97 offset1:98
	s_waitcnt vmcnt(22) lgkmcnt(1)
	v_fma_f64 v[109:110], v[149:150], v[109:110], v[119:120]
	s_waitcnt vmcnt(21)
	v_fma_f64 v[109:110], v[147:148], v[111:112], v[109:110]
	s_waitcnt vmcnt(20) lgkmcnt(0)
	v_fma_f64 v[109:110], v[125:126], v[113:114], v[109:110]
	s_waitcnt vmcnt(15)
	v_fma_f64 v[119:120], v[121:122], v[115:116], v[109:110]
	ds_read2_b64 v[109:112], v108 offset0:99 offset1:100
	ds_read2_b64 v[113:116], v108 offset0:101 offset1:102
	s_waitcnt vmcnt(14) lgkmcnt(1)
	v_fma_f64 v[109:110], v[137:138], v[109:110], v[119:120]
	;; [unrolled: 10-line block ×3, first 2 shown]
	s_waitcnt vmcnt(5)
	v_fma_f64 v[108:109], v[133:134], v[111:112], v[108:109]
	s_waitcnt vmcnt(4) lgkmcnt(0)
	v_fma_f64 v[108:109], v[131:132], v[113:114], v[108:109]
	s_waitcnt vmcnt(2)
	v_fma_f64 v[108:109], v[117:118], v[115:116], v[108:109]
	s_waitcnt vmcnt(0)
	v_add_f64 v[108:109], v[135:136], -v[108:109]
	buffer_store_dword v109, off, s[0:3], 0 offset:36
	buffer_store_dword v108, off, s[0:3], 0 offset:32
	v_cmpx_lt_u32_e32 3, v0
	s_cbranch_execz .LBB52_321
; %bb.320:
	s_clause 0x1
	buffer_load_dword v108, off, s[0:3], 0 offset:24
	buffer_load_dword v109, off, s[0:3], 0 offset:28
	v_mov_b32_e32 v110, 0
	buffer_store_dword v110, off, s[0:3], 0 offset:24
	buffer_store_dword v110, off, s[0:3], 0 offset:28
	s_waitcnt vmcnt(0)
	ds_write_b64 v107, v[108:109]
.LBB52_321:
	s_or_b32 exec_lo, exec_lo, s4
	s_waitcnt lgkmcnt(0)
	s_waitcnt_vscnt null, 0x0
	s_barrier
	buffer_gl0_inv
	s_clause 0x1c
	buffer_load_dword v117, off, s[0:3], 0 offset:32
	buffer_load_dword v118, off, s[0:3], 0 offset:36
	;; [unrolled: 1-line block ×29, first 2 shown]
	v_mov_b32_e32 v108, 0
	buffer_load_dword v142, off, s[0:3], 0 offset:148
	s_mov_b32 s4, exec_lo
	ds_read_b128 v[109:112], v108 offset:464
	ds_read_b128 v[113:116], v108 offset:480
	s_waitcnt vmcnt(28) lgkmcnt(1)
	v_fma_f64 v[109:110], v[117:118], v[109:110], 0
	s_clause 0x7
	buffer_load_dword v118, off, s[0:3], 0 offset:156
	buffer_load_dword v147, off, s[0:3], 0 offset:176
	buffer_load_dword v149, off, s[0:3], 0 offset:168
	buffer_load_dword v151, off, s[0:3], 0 offset:160
	buffer_load_dword v117, off, s[0:3], 0 offset:152
	buffer_load_dword v152, off, s[0:3], 0 offset:164
	buffer_load_dword v150, off, s[0:3], 0 offset:172
	buffer_load_dword v148, off, s[0:3], 0 offset:180
	s_waitcnt vmcnt(34)
	v_fma_f64 v[109:110], v[119:120], v[111:112], v[109:110]
	s_waitcnt vmcnt(32) lgkmcnt(0)
	v_fma_f64 v[109:110], v[121:122], v[113:114], v[109:110]
	s_waitcnt vmcnt(30)
	v_fma_f64 v[119:120], v[123:124], v[115:116], v[109:110]
	ds_read_b128 v[109:112], v108 offset:496
	ds_read_b128 v[113:116], v108 offset:512
	s_waitcnt vmcnt(28) lgkmcnt(1)
	v_fma_f64 v[109:110], v[125:126], v[109:110], v[119:120]
	s_clause 0x7
	buffer_load_dword v120, off, s[0:3], 0 offset:188
	buffer_load_dword v121, off, s[0:3], 0 offset:208
	buffer_load_dword v123, off, s[0:3], 0 offset:200
	buffer_load_dword v125, off, s[0:3], 0 offset:192
	buffer_load_dword v119, off, s[0:3], 0 offset:184
	buffer_load_dword v126, off, s[0:3], 0 offset:196
	buffer_load_dword v124, off, s[0:3], 0 offset:204
	buffer_load_dword v122, off, s[0:3], 0 offset:212
	s_waitcnt vmcnt(34)
	v_fma_f64 v[109:110], v[127:128], v[111:112], v[109:110]
	s_waitcnt vmcnt(32) lgkmcnt(0)
	v_fma_f64 v[109:110], v[129:130], v[113:114], v[109:110]
	s_waitcnt vmcnt(27)
	v_fma_f64 v[127:128], v[131:132], v[115:116], v[109:110]
	;; [unrolled: 19-line block ×8, first 2 shown]
	ds_read_b128 v[109:112], v108 offset:720
	ds_read_b128 v[113:116], v108 offset:736
	s_waitcnt vmcnt(26) lgkmcnt(1)
	v_fma_f64 v[109:110], v[151:152], v[109:110], v[117:118]
	s_clause 0x5
	buffer_load_dword v118, off, s[0:3], 0 offset:412
	buffer_load_dword v135, off, s[0:3], 0 offset:416
	;; [unrolled: 1-line block ×6, first 2 shown]
	s_waitcnt vmcnt(31)
	v_fma_f64 v[109:110], v[143:144], v[111:112], v[109:110]
	s_waitcnt vmcnt(30) lgkmcnt(0)
	v_fma_f64 v[109:110], v[141:142], v[113:114], v[109:110]
	s_waitcnt vmcnt(25)
	v_fma_f64 v[119:120], v[119:120], v[115:116], v[109:110]
	ds_read_b128 v[109:112], v108 offset:752
	ds_read_b128 v[113:116], v108 offset:768
	s_waitcnt vmcnt(24) lgkmcnt(1)
	v_fma_f64 v[109:110], v[149:150], v[109:110], v[119:120]
	s_waitcnt vmcnt(23)
	v_fma_f64 v[109:110], v[147:148], v[111:112], v[109:110]
	s_waitcnt vmcnt(22) lgkmcnt(0)
	v_fma_f64 v[109:110], v[125:126], v[113:114], v[109:110]
	s_waitcnt vmcnt(17)
	v_fma_f64 v[119:120], v[121:122], v[115:116], v[109:110]
	ds_read_b128 v[109:112], v108 offset:784
	ds_read_b128 v[113:116], v108 offset:800
	s_waitcnt vmcnt(16) lgkmcnt(1)
	v_fma_f64 v[109:110], v[137:138], v[109:110], v[119:120]
	s_waitcnt vmcnt(15)
	v_fma_f64 v[109:110], v[127:128], v[111:112], v[109:110]
	s_waitcnt vmcnt(14) lgkmcnt(0)
	v_fma_f64 v[109:110], v[123:124], v[113:114], v[109:110]
	s_waitcnt vmcnt(9)
	v_fma_f64 v[119:120], v[129:130], v[115:116], v[109:110]
	ds_read_b128 v[109:112], v108 offset:816
	ds_read_b128 v[113:116], v108 offset:832
	s_waitcnt vmcnt(8) lgkmcnt(1)
	v_fma_f64 v[109:110], v[145:146], v[109:110], v[119:120]
	s_waitcnt vmcnt(7)
	v_fma_f64 v[109:110], v[133:134], v[111:112], v[109:110]
	ds_read_b64 v[111:112], v108 offset:848
	s_waitcnt vmcnt(6) lgkmcnt(1)
	v_fma_f64 v[109:110], v[131:132], v[113:114], v[109:110]
	s_waitcnt vmcnt(3)
	v_fma_f64 v[109:110], v[117:118], v[115:116], v[109:110]
	s_waitcnt vmcnt(2) lgkmcnt(0)
	v_fma_f64 v[109:110], v[135:136], v[111:112], v[109:110]
	s_waitcnt vmcnt(0)
	v_add_f64 v[109:110], v[139:140], -v[109:110]
	buffer_store_dword v110, off, s[0:3], 0 offset:28
	buffer_store_dword v109, off, s[0:3], 0 offset:24
	v_cmpx_lt_u32_e32 2, v0
	s_cbranch_execz .LBB52_323
; %bb.322:
	s_clause 0x1
	buffer_load_dword v109, off, s[0:3], 0 offset:16
	buffer_load_dword v110, off, s[0:3], 0 offset:20
	buffer_store_dword v108, off, s[0:3], 0 offset:16
	buffer_store_dword v108, off, s[0:3], 0 offset:20
	s_waitcnt vmcnt(0)
	ds_write_b64 v107, v[109:110]
.LBB52_323:
	s_or_b32 exec_lo, exec_lo, s4
	s_waitcnt lgkmcnt(0)
	s_waitcnt_vscnt null, 0x0
	s_barrier
	buffer_gl0_inv
	s_clause 0x1c
	buffer_load_dword v117, off, s[0:3], 0 offset:24
	buffer_load_dword v118, off, s[0:3], 0 offset:28
	;; [unrolled: 1-line block ×29, first 2 shown]
	ds_read2_b64 v[109:112], v108 offset0:57 offset1:58
	ds_read2_b64 v[113:116], v108 offset0:59 offset1:60
	buffer_load_dword v142, off, s[0:3], 0 offset:140
	s_mov_b32 s4, exec_lo
	s_waitcnt vmcnt(28) lgkmcnt(1)
	v_fma_f64 v[109:110], v[117:118], v[109:110], 0
	s_clause 0x7
	buffer_load_dword v118, off, s[0:3], 0 offset:148
	buffer_load_dword v147, off, s[0:3], 0 offset:168
	buffer_load_dword v149, off, s[0:3], 0 offset:160
	buffer_load_dword v151, off, s[0:3], 0 offset:152
	buffer_load_dword v117, off, s[0:3], 0 offset:144
	buffer_load_dword v152, off, s[0:3], 0 offset:156
	buffer_load_dword v150, off, s[0:3], 0 offset:164
	buffer_load_dword v148, off, s[0:3], 0 offset:172
	s_waitcnt vmcnt(34)
	v_fma_f64 v[109:110], v[119:120], v[111:112], v[109:110]
	s_waitcnt vmcnt(32) lgkmcnt(0)
	v_fma_f64 v[109:110], v[121:122], v[113:114], v[109:110]
	s_waitcnt vmcnt(30)
	v_fma_f64 v[119:120], v[123:124], v[115:116], v[109:110]
	ds_read2_b64 v[109:112], v108 offset0:61 offset1:62
	ds_read2_b64 v[113:116], v108 offset0:63 offset1:64
	s_waitcnt vmcnt(28) lgkmcnt(1)
	v_fma_f64 v[109:110], v[125:126], v[109:110], v[119:120]
	s_clause 0x7
	buffer_load_dword v120, off, s[0:3], 0 offset:180
	buffer_load_dword v121, off, s[0:3], 0 offset:200
	buffer_load_dword v123, off, s[0:3], 0 offset:192
	buffer_load_dword v125, off, s[0:3], 0 offset:184
	buffer_load_dword v119, off, s[0:3], 0 offset:176
	buffer_load_dword v126, off, s[0:3], 0 offset:188
	buffer_load_dword v124, off, s[0:3], 0 offset:196
	buffer_load_dword v122, off, s[0:3], 0 offset:204
	s_waitcnt vmcnt(34)
	v_fma_f64 v[109:110], v[127:128], v[111:112], v[109:110]
	s_waitcnt vmcnt(32) lgkmcnt(0)
	v_fma_f64 v[109:110], v[129:130], v[113:114], v[109:110]
	s_waitcnt vmcnt(27)
	v_fma_f64 v[127:128], v[131:132], v[115:116], v[109:110]
	ds_read2_b64 v[109:112], v108 offset0:65 offset1:66
	ds_read2_b64 v[113:116], v108 offset0:67 offset1:68
	s_waitcnt vmcnt(26) lgkmcnt(1)
	v_fma_f64 v[109:110], v[137:138], v[109:110], v[127:128]
	s_clause 0x7
	buffer_load_dword v128, off, s[0:3], 0 offset:212
	buffer_load_dword v129, off, s[0:3], 0 offset:232
	buffer_load_dword v131, off, s[0:3], 0 offset:224
	buffer_load_dword v137, off, s[0:3], 0 offset:216
	buffer_load_dword v127, off, s[0:3], 0 offset:208
	buffer_load_dword v138, off, s[0:3], 0 offset:220
	buffer_load_dword v132, off, s[0:3], 0 offset:228
	buffer_load_dword v130, off, s[0:3], 0 offset:236
	s_waitcnt vmcnt(33)
	v_fma_f64 v[109:110], v[135:136], v[111:112], v[109:110]
	s_waitcnt vmcnt(32) lgkmcnt(0)
	v_fma_f64 v[109:110], v[133:134], v[113:114], v[109:110]
	s_waitcnt vmcnt(27)
	v_fma_f64 v[133:134], v[139:140], v[115:116], v[109:110]
	ds_read2_b64 v[109:112], v108 offset0:69 offset1:70
	ds_read2_b64 v[113:116], v108 offset0:71 offset1:72
	s_waitcnt vmcnt(26) lgkmcnt(1)
	v_fma_f64 v[109:110], v[145:146], v[109:110], v[133:134]
	s_clause 0x7
	buffer_load_dword v134, off, s[0:3], 0 offset:244
	buffer_load_dword v135, off, s[0:3], 0 offset:264
	buffer_load_dword v139, off, s[0:3], 0 offset:256
	buffer_load_dword v145, off, s[0:3], 0 offset:248
	buffer_load_dword v133, off, s[0:3], 0 offset:240
	buffer_load_dword v146, off, s[0:3], 0 offset:252
	buffer_load_dword v140, off, s[0:3], 0 offset:260
	buffer_load_dword v136, off, s[0:3], 0 offset:268
	s_waitcnt vmcnt(33)
	v_fma_f64 v[109:110], v[143:144], v[111:112], v[109:110]
	s_waitcnt vmcnt(32) lgkmcnt(0)
	v_fma_f64 v[109:110], v[141:142], v[113:114], v[109:110]
	s_waitcnt vmcnt(27)
	v_fma_f64 v[117:118], v[117:118], v[115:116], v[109:110]
	ds_read2_b64 v[109:112], v108 offset0:73 offset1:74
	ds_read2_b64 v[113:116], v108 offset0:75 offset1:76
	s_waitcnt vmcnt(26) lgkmcnt(1)
	v_fma_f64 v[109:110], v[151:152], v[109:110], v[117:118]
	s_clause 0x7
	buffer_load_dword v118, off, s[0:3], 0 offset:276
	buffer_load_dword v141, off, s[0:3], 0 offset:296
	buffer_load_dword v143, off, s[0:3], 0 offset:288
	buffer_load_dword v151, off, s[0:3], 0 offset:280
	buffer_load_dword v117, off, s[0:3], 0 offset:272
	buffer_load_dword v152, off, s[0:3], 0 offset:284
	buffer_load_dword v144, off, s[0:3], 0 offset:292
	buffer_load_dword v142, off, s[0:3], 0 offset:300
	s_waitcnt vmcnt(33)
	v_fma_f64 v[109:110], v[149:150], v[111:112], v[109:110]
	s_waitcnt vmcnt(32) lgkmcnt(0)
	v_fma_f64 v[109:110], v[147:148], v[113:114], v[109:110]
	s_waitcnt vmcnt(27)
	v_fma_f64 v[119:120], v[119:120], v[115:116], v[109:110]
	ds_read2_b64 v[109:112], v108 offset0:77 offset1:78
	ds_read2_b64 v[113:116], v108 offset0:79 offset1:80
	s_waitcnt vmcnt(26) lgkmcnt(1)
	v_fma_f64 v[109:110], v[125:126], v[109:110], v[119:120]
	s_clause 0x7
	buffer_load_dword v120, off, s[0:3], 0 offset:308
	buffer_load_dword v125, off, s[0:3], 0 offset:328
	buffer_load_dword v147, off, s[0:3], 0 offset:320
	buffer_load_dword v149, off, s[0:3], 0 offset:312
	buffer_load_dword v119, off, s[0:3], 0 offset:304
	buffer_load_dword v150, off, s[0:3], 0 offset:316
	buffer_load_dword v148, off, s[0:3], 0 offset:324
	buffer_load_dword v126, off, s[0:3], 0 offset:332
	s_waitcnt vmcnt(33)
	v_fma_f64 v[109:110], v[123:124], v[111:112], v[109:110]
	s_waitcnt vmcnt(32) lgkmcnt(0)
	v_fma_f64 v[109:110], v[121:122], v[113:114], v[109:110]
	s_waitcnt vmcnt(27)
	v_fma_f64 v[121:122], v[127:128], v[115:116], v[109:110]
	ds_read2_b64 v[109:112], v108 offset0:81 offset1:82
	ds_read2_b64 v[113:116], v108 offset0:83 offset1:84
	s_waitcnt vmcnt(26) lgkmcnt(1)
	v_fma_f64 v[109:110], v[137:138], v[109:110], v[121:122]
	s_clause 0x7
	buffer_load_dword v122, off, s[0:3], 0 offset:340
	buffer_load_dword v123, off, s[0:3], 0 offset:360
	buffer_load_dword v127, off, s[0:3], 0 offset:352
	buffer_load_dword v137, off, s[0:3], 0 offset:344
	buffer_load_dword v121, off, s[0:3], 0 offset:336
	buffer_load_dword v138, off, s[0:3], 0 offset:348
	buffer_load_dword v128, off, s[0:3], 0 offset:356
	buffer_load_dword v124, off, s[0:3], 0 offset:364
	s_waitcnt vmcnt(33)
	v_fma_f64 v[109:110], v[131:132], v[111:112], v[109:110]
	s_waitcnt vmcnt(32) lgkmcnt(0)
	v_fma_f64 v[109:110], v[129:130], v[113:114], v[109:110]
	s_waitcnt vmcnt(27)
	v_fma_f64 v[129:130], v[133:134], v[115:116], v[109:110]
	ds_read2_b64 v[109:112], v108 offset0:85 offset1:86
	ds_read2_b64 v[113:116], v108 offset0:87 offset1:88
	s_waitcnt vmcnt(26) lgkmcnt(1)
	v_fma_f64 v[109:110], v[145:146], v[109:110], v[129:130]
	s_clause 0x7
	buffer_load_dword v130, off, s[0:3], 0 offset:372
	buffer_load_dword v131, off, s[0:3], 0 offset:392
	buffer_load_dword v133, off, s[0:3], 0 offset:384
	buffer_load_dword v145, off, s[0:3], 0 offset:376
	buffer_load_dword v129, off, s[0:3], 0 offset:368
	buffer_load_dword v146, off, s[0:3], 0 offset:380
	buffer_load_dword v134, off, s[0:3], 0 offset:388
	buffer_load_dword v132, off, s[0:3], 0 offset:396
	s_waitcnt vmcnt(33)
	v_fma_f64 v[109:110], v[139:140], v[111:112], v[109:110]
	s_waitcnt vmcnt(32) lgkmcnt(0)
	v_fma_f64 v[109:110], v[135:136], v[113:114], v[109:110]
	s_waitcnt vmcnt(27)
	v_fma_f64 v[117:118], v[117:118], v[115:116], v[109:110]
	ds_read2_b64 v[109:112], v108 offset0:89 offset1:90
	ds_read2_b64 v[113:116], v108 offset0:91 offset1:92
	s_waitcnt vmcnt(26) lgkmcnt(1)
	v_fma_f64 v[109:110], v[151:152], v[109:110], v[117:118]
	s_clause 0x5
	buffer_load_dword v118, off, s[0:3], 0 offset:404
	buffer_load_dword v135, off, s[0:3], 0 offset:416
	;; [unrolled: 1-line block ×6, first 2 shown]
	s_waitcnt vmcnt(31)
	v_fma_f64 v[109:110], v[143:144], v[111:112], v[109:110]
	s_waitcnt vmcnt(30) lgkmcnt(0)
	v_fma_f64 v[109:110], v[141:142], v[113:114], v[109:110]
	s_waitcnt vmcnt(25)
	v_fma_f64 v[119:120], v[119:120], v[115:116], v[109:110]
	ds_read2_b64 v[109:112], v108 offset0:93 offset1:94
	s_clause 0x1
	buffer_load_dword v141, off, s[0:3], 0 offset:16
	buffer_load_dword v142, off, s[0:3], 0 offset:20
	ds_read2_b64 v[113:116], v108 offset0:95 offset1:96
	s_waitcnt vmcnt(26) lgkmcnt(1)
	v_fma_f64 v[109:110], v[149:150], v[109:110], v[119:120]
	s_waitcnt vmcnt(25)
	v_fma_f64 v[109:110], v[147:148], v[111:112], v[109:110]
	s_waitcnt vmcnt(24) lgkmcnt(0)
	v_fma_f64 v[109:110], v[125:126], v[113:114], v[109:110]
	s_waitcnt vmcnt(19)
	v_fma_f64 v[119:120], v[121:122], v[115:116], v[109:110]
	ds_read2_b64 v[109:112], v108 offset0:97 offset1:98
	ds_read2_b64 v[113:116], v108 offset0:99 offset1:100
	s_waitcnt vmcnt(18) lgkmcnt(1)
	v_fma_f64 v[109:110], v[137:138], v[109:110], v[119:120]
	s_waitcnt vmcnt(17)
	v_fma_f64 v[109:110], v[127:128], v[111:112], v[109:110]
	s_waitcnt vmcnt(16) lgkmcnt(0)
	v_fma_f64 v[109:110], v[123:124], v[113:114], v[109:110]
	s_waitcnt vmcnt(11)
	v_fma_f64 v[119:120], v[129:130], v[115:116], v[109:110]
	ds_read2_b64 v[109:112], v108 offset0:101 offset1:102
	;; [unrolled: 10-line block ×3, first 2 shown]
	s_waitcnt vmcnt(3) lgkmcnt(0)
	v_fma_f64 v[108:109], v[139:140], v[108:109], v[112:113]
	s_waitcnt vmcnt(2)
	v_fma_f64 v[108:109], v[135:136], v[110:111], v[108:109]
	s_waitcnt vmcnt(0)
	v_add_f64 v[108:109], v[141:142], -v[108:109]
	buffer_store_dword v109, off, s[0:3], 0 offset:20
	buffer_store_dword v108, off, s[0:3], 0 offset:16
	v_cmpx_lt_u32_e32 1, v0
	s_cbranch_execz .LBB52_325
; %bb.324:
	s_clause 0x1
	buffer_load_dword v108, off, s[0:3], 0 offset:8
	buffer_load_dword v109, off, s[0:3], 0 offset:12
	v_mov_b32_e32 v110, 0
	buffer_store_dword v110, off, s[0:3], 0 offset:8
	buffer_store_dword v110, off, s[0:3], 0 offset:12
	s_waitcnt vmcnt(0)
	ds_write_b64 v107, v[108:109]
.LBB52_325:
	s_or_b32 exec_lo, exec_lo, s4
	s_waitcnt lgkmcnt(0)
	s_waitcnt_vscnt null, 0x0
	s_barrier
	buffer_gl0_inv
	s_clause 0x1c
	buffer_load_dword v117, off, s[0:3], 0 offset:16
	buffer_load_dword v118, off, s[0:3], 0 offset:20
	;; [unrolled: 1-line block ×29, first 2 shown]
	v_mov_b32_e32 v108, 0
	buffer_load_dword v142, off, s[0:3], 0 offset:132
	s_mov_b32 s4, exec_lo
	ds_read_b128 v[109:112], v108 offset:448
	ds_read_b128 v[113:116], v108 offset:464
	s_waitcnt vmcnt(28) lgkmcnt(1)
	v_fma_f64 v[109:110], v[117:118], v[109:110], 0
	s_clause 0x7
	buffer_load_dword v118, off, s[0:3], 0 offset:140
	buffer_load_dword v147, off, s[0:3], 0 offset:160
	buffer_load_dword v149, off, s[0:3], 0 offset:152
	buffer_load_dword v151, off, s[0:3], 0 offset:144
	buffer_load_dword v117, off, s[0:3], 0 offset:136
	buffer_load_dword v152, off, s[0:3], 0 offset:148
	buffer_load_dword v150, off, s[0:3], 0 offset:156
	buffer_load_dword v148, off, s[0:3], 0 offset:164
	s_waitcnt vmcnt(34)
	v_fma_f64 v[109:110], v[119:120], v[111:112], v[109:110]
	s_waitcnt vmcnt(32) lgkmcnt(0)
	v_fma_f64 v[109:110], v[121:122], v[113:114], v[109:110]
	s_waitcnt vmcnt(30)
	v_fma_f64 v[119:120], v[123:124], v[115:116], v[109:110]
	ds_read_b128 v[109:112], v108 offset:480
	ds_read_b128 v[113:116], v108 offset:496
	s_waitcnt vmcnt(28) lgkmcnt(1)
	v_fma_f64 v[109:110], v[125:126], v[109:110], v[119:120]
	s_clause 0x7
	buffer_load_dword v120, off, s[0:3], 0 offset:172
	buffer_load_dword v121, off, s[0:3], 0 offset:192
	buffer_load_dword v123, off, s[0:3], 0 offset:184
	buffer_load_dword v125, off, s[0:3], 0 offset:176
	buffer_load_dword v119, off, s[0:3], 0 offset:168
	buffer_load_dword v126, off, s[0:3], 0 offset:180
	buffer_load_dword v124, off, s[0:3], 0 offset:188
	buffer_load_dword v122, off, s[0:3], 0 offset:196
	s_waitcnt vmcnt(34)
	v_fma_f64 v[109:110], v[127:128], v[111:112], v[109:110]
	s_waitcnt vmcnt(32) lgkmcnt(0)
	v_fma_f64 v[109:110], v[129:130], v[113:114], v[109:110]
	s_waitcnt vmcnt(27)
	v_fma_f64 v[127:128], v[131:132], v[115:116], v[109:110]
	ds_read_b128 v[109:112], v108 offset:512
	ds_read_b128 v[113:116], v108 offset:528
	s_waitcnt vmcnt(26) lgkmcnt(1)
	v_fma_f64 v[109:110], v[137:138], v[109:110], v[127:128]
	s_clause 0x7
	buffer_load_dword v128, off, s[0:3], 0 offset:204
	buffer_load_dword v129, off, s[0:3], 0 offset:224
	buffer_load_dword v131, off, s[0:3], 0 offset:216
	buffer_load_dword v137, off, s[0:3], 0 offset:208
	buffer_load_dword v127, off, s[0:3], 0 offset:200
	buffer_load_dword v138, off, s[0:3], 0 offset:212
	buffer_load_dword v132, off, s[0:3], 0 offset:220
	buffer_load_dword v130, off, s[0:3], 0 offset:228
	s_waitcnt vmcnt(33)
	v_fma_f64 v[109:110], v[135:136], v[111:112], v[109:110]
	s_waitcnt vmcnt(32) lgkmcnt(0)
	v_fma_f64 v[109:110], v[133:134], v[113:114], v[109:110]
	s_waitcnt vmcnt(27)
	v_fma_f64 v[133:134], v[139:140], v[115:116], v[109:110]
	ds_read_b128 v[109:112], v108 offset:544
	ds_read_b128 v[113:116], v108 offset:560
	s_waitcnt vmcnt(26) lgkmcnt(1)
	v_fma_f64 v[109:110], v[145:146], v[109:110], v[133:134]
	s_clause 0x7
	buffer_load_dword v134, off, s[0:3], 0 offset:236
	buffer_load_dword v135, off, s[0:3], 0 offset:256
	buffer_load_dword v139, off, s[0:3], 0 offset:248
	buffer_load_dword v145, off, s[0:3], 0 offset:240
	buffer_load_dword v133, off, s[0:3], 0 offset:232
	buffer_load_dword v146, off, s[0:3], 0 offset:244
	buffer_load_dword v140, off, s[0:3], 0 offset:252
	buffer_load_dword v136, off, s[0:3], 0 offset:260
	s_waitcnt vmcnt(33)
	v_fma_f64 v[109:110], v[143:144], v[111:112], v[109:110]
	s_waitcnt vmcnt(32) lgkmcnt(0)
	v_fma_f64 v[109:110], v[141:142], v[113:114], v[109:110]
	s_waitcnt vmcnt(27)
	v_fma_f64 v[117:118], v[117:118], v[115:116], v[109:110]
	ds_read_b128 v[109:112], v108 offset:576
	ds_read_b128 v[113:116], v108 offset:592
	s_waitcnt vmcnt(26) lgkmcnt(1)
	v_fma_f64 v[109:110], v[151:152], v[109:110], v[117:118]
	s_clause 0x7
	buffer_load_dword v118, off, s[0:3], 0 offset:268
	buffer_load_dword v141, off, s[0:3], 0 offset:288
	buffer_load_dword v143, off, s[0:3], 0 offset:280
	buffer_load_dword v151, off, s[0:3], 0 offset:272
	buffer_load_dword v117, off, s[0:3], 0 offset:264
	buffer_load_dword v152, off, s[0:3], 0 offset:276
	buffer_load_dword v144, off, s[0:3], 0 offset:284
	buffer_load_dword v142, off, s[0:3], 0 offset:292
	s_waitcnt vmcnt(33)
	v_fma_f64 v[109:110], v[149:150], v[111:112], v[109:110]
	s_waitcnt vmcnt(32) lgkmcnt(0)
	v_fma_f64 v[109:110], v[147:148], v[113:114], v[109:110]
	s_waitcnt vmcnt(27)
	v_fma_f64 v[119:120], v[119:120], v[115:116], v[109:110]
	ds_read_b128 v[109:112], v108 offset:608
	ds_read_b128 v[113:116], v108 offset:624
	s_waitcnt vmcnt(26) lgkmcnt(1)
	v_fma_f64 v[109:110], v[125:126], v[109:110], v[119:120]
	s_clause 0x7
	buffer_load_dword v120, off, s[0:3], 0 offset:300
	buffer_load_dword v125, off, s[0:3], 0 offset:320
	buffer_load_dword v147, off, s[0:3], 0 offset:312
	buffer_load_dword v149, off, s[0:3], 0 offset:304
	buffer_load_dword v119, off, s[0:3], 0 offset:296
	buffer_load_dword v150, off, s[0:3], 0 offset:308
	buffer_load_dword v148, off, s[0:3], 0 offset:316
	buffer_load_dword v126, off, s[0:3], 0 offset:324
	s_waitcnt vmcnt(33)
	v_fma_f64 v[109:110], v[123:124], v[111:112], v[109:110]
	s_waitcnt vmcnt(32) lgkmcnt(0)
	v_fma_f64 v[109:110], v[121:122], v[113:114], v[109:110]
	s_waitcnt vmcnt(27)
	v_fma_f64 v[121:122], v[127:128], v[115:116], v[109:110]
	ds_read_b128 v[109:112], v108 offset:640
	ds_read_b128 v[113:116], v108 offset:656
	s_waitcnt vmcnt(26) lgkmcnt(1)
	v_fma_f64 v[109:110], v[137:138], v[109:110], v[121:122]
	s_clause 0x7
	buffer_load_dword v122, off, s[0:3], 0 offset:332
	buffer_load_dword v123, off, s[0:3], 0 offset:352
	buffer_load_dword v127, off, s[0:3], 0 offset:344
	buffer_load_dword v137, off, s[0:3], 0 offset:336
	buffer_load_dword v121, off, s[0:3], 0 offset:328
	buffer_load_dword v138, off, s[0:3], 0 offset:340
	buffer_load_dword v128, off, s[0:3], 0 offset:348
	buffer_load_dword v124, off, s[0:3], 0 offset:356
	s_waitcnt vmcnt(33)
	v_fma_f64 v[109:110], v[131:132], v[111:112], v[109:110]
	s_waitcnt vmcnt(32) lgkmcnt(0)
	v_fma_f64 v[109:110], v[129:130], v[113:114], v[109:110]
	s_waitcnt vmcnt(27)
	v_fma_f64 v[129:130], v[133:134], v[115:116], v[109:110]
	ds_read_b128 v[109:112], v108 offset:672
	ds_read_b128 v[113:116], v108 offset:688
	s_waitcnt vmcnt(26) lgkmcnt(1)
	v_fma_f64 v[109:110], v[145:146], v[109:110], v[129:130]
	s_clause 0x7
	buffer_load_dword v130, off, s[0:3], 0 offset:364
	buffer_load_dword v131, off, s[0:3], 0 offset:384
	buffer_load_dword v133, off, s[0:3], 0 offset:376
	buffer_load_dword v145, off, s[0:3], 0 offset:368
	buffer_load_dword v129, off, s[0:3], 0 offset:360
	buffer_load_dword v146, off, s[0:3], 0 offset:372
	buffer_load_dword v134, off, s[0:3], 0 offset:380
	buffer_load_dword v132, off, s[0:3], 0 offset:388
	s_waitcnt vmcnt(33)
	v_fma_f64 v[109:110], v[139:140], v[111:112], v[109:110]
	s_waitcnt vmcnt(32) lgkmcnt(0)
	v_fma_f64 v[109:110], v[135:136], v[113:114], v[109:110]
	s_waitcnt vmcnt(27)
	v_fma_f64 v[117:118], v[117:118], v[115:116], v[109:110]
	ds_read_b128 v[109:112], v108 offset:704
	ds_read_b128 v[113:116], v108 offset:720
	s_waitcnt vmcnt(26) lgkmcnt(1)
	v_fma_f64 v[109:110], v[151:152], v[109:110], v[117:118]
	s_clause 0x7
	buffer_load_dword v118, off, s[0:3], 0 offset:396
	buffer_load_dword v135, off, s[0:3], 0 offset:416
	buffer_load_dword v139, off, s[0:3], 0 offset:408
	buffer_load_dword v151, off, s[0:3], 0 offset:400
	buffer_load_dword v117, off, s[0:3], 0 offset:392
	buffer_load_dword v152, off, s[0:3], 0 offset:404
	buffer_load_dword v140, off, s[0:3], 0 offset:412
	buffer_load_dword v136, off, s[0:3], 0 offset:420
	s_waitcnt vmcnt(33)
	v_fma_f64 v[109:110], v[143:144], v[111:112], v[109:110]
	s_waitcnt vmcnt(32) lgkmcnt(0)
	v_fma_f64 v[109:110], v[141:142], v[113:114], v[109:110]
	s_waitcnt vmcnt(27)
	v_fma_f64 v[119:120], v[119:120], v[115:116], v[109:110]
	ds_read_b128 v[109:112], v108 offset:736
	ds_read_b128 v[113:116], v108 offset:752
	s_waitcnt vmcnt(26) lgkmcnt(1)
	v_fma_f64 v[109:110], v[149:150], v[109:110], v[119:120]
	s_clause 0x1
	buffer_load_dword v119, off, s[0:3], 0 offset:8
	buffer_load_dword v120, off, s[0:3], 0 offset:12
	s_waitcnt vmcnt(27)
	v_fma_f64 v[109:110], v[147:148], v[111:112], v[109:110]
	s_waitcnt vmcnt(26) lgkmcnt(0)
	v_fma_f64 v[109:110], v[125:126], v[113:114], v[109:110]
	s_waitcnt vmcnt(21)
	v_fma_f64 v[121:122], v[121:122], v[115:116], v[109:110]
	ds_read_b128 v[109:112], v108 offset:768
	ds_read_b128 v[113:116], v108 offset:784
	s_waitcnt vmcnt(20) lgkmcnt(1)
	v_fma_f64 v[109:110], v[137:138], v[109:110], v[121:122]
	s_waitcnt vmcnt(19)
	v_fma_f64 v[109:110], v[127:128], v[111:112], v[109:110]
	s_waitcnt vmcnt(18) lgkmcnt(0)
	v_fma_f64 v[109:110], v[123:124], v[113:114], v[109:110]
	s_waitcnt vmcnt(13)
	v_fma_f64 v[121:122], v[129:130], v[115:116], v[109:110]
	ds_read_b128 v[109:112], v108 offset:800
	ds_read_b128 v[113:116], v108 offset:816
	s_waitcnt vmcnt(12) lgkmcnt(1)
	v_fma_f64 v[109:110], v[145:146], v[109:110], v[121:122]
	s_waitcnt vmcnt(11)
	v_fma_f64 v[109:110], v[133:134], v[111:112], v[109:110]
	s_waitcnt vmcnt(10) lgkmcnt(0)
	v_fma_f64 v[109:110], v[131:132], v[113:114], v[109:110]
	s_waitcnt vmcnt(5)
	v_fma_f64 v[113:114], v[117:118], v[115:116], v[109:110]
	ds_read_b128 v[109:112], v108 offset:832
	ds_read_b64 v[115:116], v108 offset:848
	s_waitcnt vmcnt(4) lgkmcnt(1)
	v_fma_f64 v[109:110], v[151:152], v[109:110], v[113:114]
	s_waitcnt vmcnt(3)
	v_fma_f64 v[109:110], v[139:140], v[111:112], v[109:110]
	s_waitcnt vmcnt(2) lgkmcnt(0)
	v_fma_f64 v[109:110], v[135:136], v[115:116], v[109:110]
	s_waitcnt vmcnt(0)
	v_add_f64 v[109:110], v[119:120], -v[109:110]
	buffer_store_dword v110, off, s[0:3], 0 offset:12
	buffer_store_dword v109, off, s[0:3], 0 offset:8
	v_cmpx_ne_u32_e32 0, v0
	s_cbranch_execz .LBB52_327
; %bb.326:
	s_clause 0x1
	buffer_load_dword v109, off, s[0:3], 0
	buffer_load_dword v110, off, s[0:3], 0 offset:4
	buffer_store_dword v108, off, s[0:3], 0
	buffer_store_dword v108, off, s[0:3], 0 offset:4
	s_waitcnt vmcnt(0)
	ds_write_b64 v107, v[109:110]
.LBB52_327:
	s_or_b32 exec_lo, exec_lo, s4
	s_waitcnt lgkmcnt(0)
	s_waitcnt_vscnt null, 0x0
	s_barrier
	buffer_gl0_inv
	s_clause 0x1c
	buffer_load_dword v117, off, s[0:3], 0 offset:8
	buffer_load_dword v118, off, s[0:3], 0 offset:12
	;; [unrolled: 1-line block ×29, first 2 shown]
	ds_read2_b64 v[109:112], v108 offset0:55 offset1:56
	ds_read2_b64 v[113:116], v108 offset0:57 offset1:58
	buffer_load_dword v142, off, s[0:3], 0 offset:124
	s_and_b32 vcc_lo, exec_lo, s22
	s_waitcnt vmcnt(28) lgkmcnt(1)
	v_fma_f64 v[109:110], v[117:118], v[109:110], 0
	s_clause 0x7
	buffer_load_dword v118, off, s[0:3], 0 offset:132
	buffer_load_dword v147, off, s[0:3], 0 offset:152
	buffer_load_dword v149, off, s[0:3], 0 offset:144
	buffer_load_dword v151, off, s[0:3], 0 offset:136
	buffer_load_dword v117, off, s[0:3], 0 offset:128
	buffer_load_dword v152, off, s[0:3], 0 offset:140
	buffer_load_dword v150, off, s[0:3], 0 offset:148
	buffer_load_dword v148, off, s[0:3], 0 offset:156
	s_waitcnt vmcnt(34)
	v_fma_f64 v[109:110], v[119:120], v[111:112], v[109:110]
	s_waitcnt vmcnt(32) lgkmcnt(0)
	v_fma_f64 v[109:110], v[121:122], v[113:114], v[109:110]
	s_waitcnt vmcnt(30)
	v_fma_f64 v[119:120], v[123:124], v[115:116], v[109:110]
	ds_read2_b64 v[109:112], v108 offset0:59 offset1:60
	ds_read2_b64 v[113:116], v108 offset0:61 offset1:62
	s_waitcnt vmcnt(28) lgkmcnt(1)
	v_fma_f64 v[109:110], v[125:126], v[109:110], v[119:120]
	s_clause 0x7
	buffer_load_dword v120, off, s[0:3], 0 offset:164
	buffer_load_dword v121, off, s[0:3], 0 offset:184
	buffer_load_dword v123, off, s[0:3], 0 offset:176
	buffer_load_dword v125, off, s[0:3], 0 offset:168
	buffer_load_dword v119, off, s[0:3], 0 offset:160
	buffer_load_dword v126, off, s[0:3], 0 offset:172
	buffer_load_dword v124, off, s[0:3], 0 offset:180
	buffer_load_dword v122, off, s[0:3], 0 offset:188
	s_waitcnt vmcnt(34)
	v_fma_f64 v[109:110], v[127:128], v[111:112], v[109:110]
	s_waitcnt vmcnt(32) lgkmcnt(0)
	v_fma_f64 v[109:110], v[129:130], v[113:114], v[109:110]
	s_waitcnt vmcnt(27)
	v_fma_f64 v[127:128], v[131:132], v[115:116], v[109:110]
	ds_read2_b64 v[109:112], v108 offset0:63 offset1:64
	ds_read2_b64 v[113:116], v108 offset0:65 offset1:66
	;; [unrolled: 19-line block ×8, first 2 shown]
	s_waitcnt vmcnt(26) lgkmcnt(1)
	v_fma_f64 v[117:118], v[151:152], v[109:110], v[117:118]
	s_clause 0x6
	buffer_load_dword v136, off, s[0:3], 0 offset:388
	buffer_load_dword v109, off, s[0:3], 0 offset:408
	buffer_load_dword v139, off, s[0:3], 0 offset:400
	buffer_load_dword v151, off, s[0:3], 0 offset:392
	buffer_load_dword v135, off, s[0:3], 0 offset:384
	buffer_load_dword v152, off, s[0:3], 0 offset:396
	buffer_load_dword v140, off, s[0:3], 0 offset:404
	s_waitcnt vmcnt(32)
	v_fma_f64 v[110:111], v[143:144], v[111:112], v[117:118]
	s_waitcnt vmcnt(31) lgkmcnt(0)
	v_fma_f64 v[110:111], v[141:142], v[113:114], v[110:111]
	s_waitcnt vmcnt(26)
	v_fma_f64 v[119:120], v[119:120], v[115:116], v[110:111]
	ds_read2_b64 v[111:114], v108 offset0:91 offset1:92
	ds_read2_b64 v[115:118], v108 offset0:93 offset1:94
	buffer_load_dword v110, off, s[0:3], 0 offset:412
	s_waitcnt vmcnt(26) lgkmcnt(1)
	v_fma_f64 v[111:112], v[149:150], v[111:112], v[119:120]
	s_clause 0x3
	buffer_load_dword v120, off, s[0:3], 0 offset:420
	buffer_load_dword v119, off, s[0:3], 0 offset:416
	buffer_load_dword v141, off, s[0:3], 0
	buffer_load_dword v142, off, s[0:3], 0 offset:4
	s_waitcnt vmcnt(29)
	v_fma_f64 v[111:112], v[147:148], v[113:114], v[111:112]
	s_waitcnt vmcnt(28) lgkmcnt(0)
	v_fma_f64 v[111:112], v[125:126], v[115:116], v[111:112]
	s_waitcnt vmcnt(23)
	v_fma_f64 v[121:122], v[121:122], v[117:118], v[111:112]
	ds_read2_b64 v[111:114], v108 offset0:95 offset1:96
	ds_read2_b64 v[115:118], v108 offset0:97 offset1:98
	s_waitcnt vmcnt(22) lgkmcnt(1)
	v_fma_f64 v[111:112], v[137:138], v[111:112], v[121:122]
	s_waitcnt vmcnt(21)
	v_fma_f64 v[111:112], v[127:128], v[113:114], v[111:112]
	s_waitcnt vmcnt(20) lgkmcnt(0)
	v_fma_f64 v[111:112], v[123:124], v[115:116], v[111:112]
	s_waitcnt vmcnt(15)
	v_fma_f64 v[121:122], v[129:130], v[117:118], v[111:112]
	ds_read2_b64 v[111:114], v108 offset0:99 offset1:100
	ds_read2_b64 v[115:118], v108 offset0:101 offset1:102
	s_waitcnt vmcnt(14) lgkmcnt(1)
	v_fma_f64 v[111:112], v[145:146], v[111:112], v[121:122]
	;; [unrolled: 10-line block ×3, first 2 shown]
	s_waitcnt vmcnt(5)
	v_fma_f64 v[107:108], v[139:140], v[113:114], v[107:108]
	s_waitcnt vmcnt(4) lgkmcnt(0)
	v_fma_f64 v[107:108], v[109:110], v[115:116], v[107:108]
	s_waitcnt vmcnt(2)
	v_fma_f64 v[107:108], v[119:120], v[117:118], v[107:108]
	s_waitcnt vmcnt(0)
	v_add_f64 v[107:108], v[141:142], -v[107:108]
	buffer_store_dword v108, off, s[0:3], 0 offset:4
	buffer_store_dword v107, off, s[0:3], 0
	s_cbranch_vccz .LBB52_432
; %bb.328:
	v_mov_b32_e32 v0, 0
	global_load_dword v107, v0, s[20:21] offset:204
	s_waitcnt vmcnt(0)
	v_add_nc_u32_e32 v107, -1, v107
	v_cmp_ne_u32_e32 vcc_lo, 51, v107
	s_cbranch_vccz .LBB52_330
; %bb.329:
	v_lshlrev_b32_e32 v107, 3, v107
	s_clause 0x1
	buffer_load_dword v108, v107, s[0:3], 0 offen
	buffer_load_dword v111, v107, s[0:3], 0 offen offset:4
	s_waitcnt vmcnt(1)
	buffer_store_dword v108, off, s[0:3], 0 offset:408
	s_waitcnt vmcnt(0)
	buffer_store_dword v111, off, s[0:3], 0 offset:412
	buffer_store_dword v109, v107, s[0:3], 0 offen
	buffer_store_dword v110, v107, s[0:3], 0 offen offset:4
.LBB52_330:
	global_load_dword v0, v0, s[20:21] offset:200
	s_waitcnt vmcnt(0)
	v_add_nc_u32_e32 v0, -1, v0
	v_cmp_eq_u32_e32 vcc_lo, 50, v0
	s_cbranch_vccnz .LBB52_332
; %bb.331:
	v_lshlrev_b32_e32 v0, 3, v0
	s_clause 0x3
	buffer_load_dword v107, v0, s[0:3], 0 offen
	buffer_load_dword v108, v0, s[0:3], 0 offen offset:4
	buffer_load_dword v109, off, s[0:3], 0 offset:404
	buffer_load_dword v110, off, s[0:3], 0 offset:400
	s_waitcnt vmcnt(3)
	buffer_store_dword v107, off, s[0:3], 0 offset:400
	s_waitcnt vmcnt(2)
	buffer_store_dword v108, off, s[0:3], 0 offset:404
	s_waitcnt vmcnt(1)
	buffer_store_dword v109, v0, s[0:3], 0 offen offset:4
	s_waitcnt vmcnt(0)
	buffer_store_dword v110, v0, s[0:3], 0 offen
.LBB52_332:
	v_mov_b32_e32 v0, 0
	global_load_dword v107, v0, s[20:21] offset:196
	s_waitcnt vmcnt(0)
	v_add_nc_u32_e32 v107, -1, v107
	v_cmp_eq_u32_e32 vcc_lo, 49, v107
	s_cbranch_vccnz .LBB52_334
; %bb.333:
	v_lshlrev_b32_e32 v107, 3, v107
	s_clause 0x3
	buffer_load_dword v108, v107, s[0:3], 0 offen
	buffer_load_dword v109, v107, s[0:3], 0 offen offset:4
	buffer_load_dword v110, off, s[0:3], 0 offset:392
	buffer_load_dword v111, off, s[0:3], 0 offset:396
	s_waitcnt vmcnt(3)
	buffer_store_dword v108, off, s[0:3], 0 offset:392
	s_waitcnt vmcnt(2)
	buffer_store_dword v109, off, s[0:3], 0 offset:396
	s_waitcnt vmcnt(1)
	buffer_store_dword v110, v107, s[0:3], 0 offen
	s_waitcnt vmcnt(0)
	buffer_store_dword v111, v107, s[0:3], 0 offen offset:4
.LBB52_334:
	global_load_dword v0, v0, s[20:21] offset:192
	s_waitcnt vmcnt(0)
	v_add_nc_u32_e32 v0, -1, v0
	v_cmp_eq_u32_e32 vcc_lo, 48, v0
	s_cbranch_vccnz .LBB52_336
; %bb.335:
	v_lshlrev_b32_e32 v0, 3, v0
	s_clause 0x3
	buffer_load_dword v107, v0, s[0:3], 0 offen
	buffer_load_dword v108, v0, s[0:3], 0 offen offset:4
	buffer_load_dword v109, off, s[0:3], 0 offset:388
	buffer_load_dword v110, off, s[0:3], 0 offset:384
	s_waitcnt vmcnt(3)
	buffer_store_dword v107, off, s[0:3], 0 offset:384
	s_waitcnt vmcnt(2)
	buffer_store_dword v108, off, s[0:3], 0 offset:388
	s_waitcnt vmcnt(1)
	buffer_store_dword v109, v0, s[0:3], 0 offen offset:4
	s_waitcnt vmcnt(0)
	buffer_store_dword v110, v0, s[0:3], 0 offen
.LBB52_336:
	v_mov_b32_e32 v0, 0
	global_load_dword v107, v0, s[20:21] offset:188
	s_waitcnt vmcnt(0)
	v_add_nc_u32_e32 v107, -1, v107
	v_cmp_eq_u32_e32 vcc_lo, 47, v107
	s_cbranch_vccnz .LBB52_338
; %bb.337:
	v_lshlrev_b32_e32 v107, 3, v107
	s_clause 0x3
	buffer_load_dword v108, v107, s[0:3], 0 offen
	buffer_load_dword v109, v107, s[0:3], 0 offen offset:4
	buffer_load_dword v110, off, s[0:3], 0 offset:376
	buffer_load_dword v111, off, s[0:3], 0 offset:380
	s_waitcnt vmcnt(3)
	buffer_store_dword v108, off, s[0:3], 0 offset:376
	s_waitcnt vmcnt(2)
	buffer_store_dword v109, off, s[0:3], 0 offset:380
	s_waitcnt vmcnt(1)
	buffer_store_dword v110, v107, s[0:3], 0 offen
	s_waitcnt vmcnt(0)
	buffer_store_dword v111, v107, s[0:3], 0 offen offset:4
.LBB52_338:
	;; [unrolled: 43-line block ×25, first 2 shown]
	global_load_dword v0, v0, s[20:21]
	s_clause 0x1
	buffer_load_dword v107, off, s[0:3], 0
	buffer_load_dword v108, off, s[0:3], 0 offset:4
	s_waitcnt vmcnt(2)
	v_add_nc_u32_e32 v0, -1, v0
	v_cmp_eq_u32_e32 vcc_lo, 0, v0
	s_cbranch_vccnz .LBB52_432
; %bb.431:
	v_lshlrev_b32_e32 v0, 3, v0
	s_clause 0x1
	buffer_load_dword v109, v0, s[0:3], 0 offen offset:4
	buffer_load_dword v110, v0, s[0:3], 0 offen
	s_waitcnt vmcnt(1)
	buffer_store_dword v109, off, s[0:3], 0 offset:4
	s_waitcnt vmcnt(0)
	buffer_store_dword v110, off, s[0:3], 0
	buffer_store_dword v108, v0, s[0:3], 0 offen offset:4
	buffer_store_dword v107, v0, s[0:3], 0 offen
	s_clause 0x1
	buffer_load_dword v107, off, s[0:3], 0
	buffer_load_dword v108, off, s[0:3], 0 offset:4
.LBB52_432:
	s_clause 0x19
	buffer_load_dword v109, off, s[0:3], 0 offset:8
	buffer_load_dword v110, off, s[0:3], 0 offset:12
	buffer_load_dword v111, off, s[0:3], 0 offset:16
	buffer_load_dword v112, off, s[0:3], 0 offset:20
	buffer_load_dword v113, off, s[0:3], 0 offset:24
	buffer_load_dword v114, off, s[0:3], 0 offset:28
	buffer_load_dword v115, off, s[0:3], 0 offset:32
	buffer_load_dword v116, off, s[0:3], 0 offset:36
	buffer_load_dword v117, off, s[0:3], 0 offset:40
	buffer_load_dword v118, off, s[0:3], 0 offset:44
	buffer_load_dword v119, off, s[0:3], 0 offset:48
	buffer_load_dword v120, off, s[0:3], 0 offset:52
	buffer_load_dword v121, off, s[0:3], 0 offset:56
	buffer_load_dword v122, off, s[0:3], 0 offset:60
	buffer_load_dword v123, off, s[0:3], 0 offset:64
	buffer_load_dword v124, off, s[0:3], 0 offset:68
	buffer_load_dword v125, off, s[0:3], 0 offset:72
	buffer_load_dword v126, off, s[0:3], 0 offset:76
	buffer_load_dword v127, off, s[0:3], 0 offset:80
	buffer_load_dword v128, off, s[0:3], 0 offset:84
	buffer_load_dword v129, off, s[0:3], 0 offset:88
	buffer_load_dword v130, off, s[0:3], 0 offset:92
	buffer_load_dword v131, off, s[0:3], 0 offset:96
	buffer_load_dword v132, off, s[0:3], 0 offset:100
	buffer_load_dword v133, off, s[0:3], 0 offset:104
	buffer_load_dword v134, off, s[0:3], 0 offset:108
	s_waitcnt vmcnt(26)
	global_store_dwordx2 v[83:84], v[107:108], off
	s_clause 0x15
	buffer_load_dword v83, off, s[0:3], 0 offset:112
	buffer_load_dword v84, off, s[0:3], 0 offset:116
	;; [unrolled: 1-line block ×22, first 2 shown]
	s_waitcnt vmcnt(46)
	global_store_dwordx2 v[77:78], v[109:110], off
	s_clause 0x7
	buffer_load_dword v77, off, s[0:3], 0 offset:200
	buffer_load_dword v78, off, s[0:3], 0 offset:204
	buffer_load_dword v109, off, s[0:3], 0 offset:208
	buffer_load_dword v110, off, s[0:3], 0 offset:212
	buffer_load_dword v153, off, s[0:3], 0 offset:216
	buffer_load_dword v154, off, s[0:3], 0 offset:220
	buffer_load_dword v155, off, s[0:3], 0 offset:224
	buffer_load_dword v156, off, s[0:3], 0 offset:228
	s_waitcnt vmcnt(52)
	global_store_dwordx2 v[55:56], v[111:112], off
	s_waitcnt vmcnt(50)
	global_store_dwordx2 v[59:60], v[113:114], off
	s_clause 0x7
	buffer_load_dword v55, off, s[0:3], 0 offset:232
	buffer_load_dword v56, off, s[0:3], 0 offset:236
	buffer_load_dword v59, off, s[0:3], 0 offset:240
	buffer_load_dword v60, off, s[0:3], 0 offset:244
	buffer_load_dword v111, off, s[0:3], 0 offset:248
	buffer_load_dword v112, off, s[0:3], 0 offset:252
	buffer_load_dword v113, off, s[0:3], 0 offset:256
	buffer_load_dword v114, off, s[0:3], 0 offset:260
	s_waitcnt vmcnt(56)
	global_store_dwordx2 v[45:46], v[115:116], off
	;; [unrolled: 13-line block ×4, first 2 shown]
	global_store_dwordx2 v[31:32], v[125:126], off
	s_clause 0x7
	buffer_load_dword v27, off, s[0:3], 0 offset:328
	buffer_load_dword v28, off, s[0:3], 0 offset:332
	;; [unrolled: 1-line block ×8, first 2 shown]
	s_waitcnt vmcnt(62)
	global_store_dwordx2 v[17:18], v[127:128], off
	global_store_dwordx2 v[21:22], v[129:130], off
	s_clause 0x7
	buffer_load_dword v17, off, s[0:3], 0 offset:360
	buffer_load_dword v18, off, s[0:3], 0 offset:364
	;; [unrolled: 1-line block ×8, first 2 shown]
	global_store_dwordx2 v[7:8], v[131:132], off
	global_store_dwordx2 v[11:12], v[133:134], off
	s_clause 0x7
	buffer_load_dword v7, off, s[0:3], 0 offset:392
	buffer_load_dword v8, off, s[0:3], 0 offset:396
	;; [unrolled: 1-line block ×8, first 2 shown]
	s_waitcnt vmcnt(62)
	global_store_dwordx2 v[1:2], v[83:84], off
	global_store_dwordx2 v[3:4], v[107:108], off
	;; [unrolled: 1-line block ×8, first 2 shown]
	s_waitcnt vmcnt(60)
	global_store_dwordx2 v[25:26], v[147:148], off
	s_waitcnt vmcnt(58)
	global_store_dwordx2 v[29:30], v[149:150], off
	;; [unrolled: 2-line block ×31, first 2 shown]
	s_endpgm
	.section	.rodata,"a",@progbits
	.p2align	6, 0x0
	.amdhsa_kernel _ZN9rocsolver6v33100L18getri_kernel_smallILi53EdPdEEvT1_iilPiilS4_bb
		.amdhsa_group_segment_fixed_size 856
		.amdhsa_private_segment_fixed_size 432
		.amdhsa_kernarg_size 60
		.amdhsa_user_sgpr_count 6
		.amdhsa_user_sgpr_private_segment_buffer 1
		.amdhsa_user_sgpr_dispatch_ptr 0
		.amdhsa_user_sgpr_queue_ptr 0
		.amdhsa_user_sgpr_kernarg_segment_ptr 1
		.amdhsa_user_sgpr_dispatch_id 0
		.amdhsa_user_sgpr_flat_scratch_init 0
		.amdhsa_user_sgpr_private_segment_size 0
		.amdhsa_wavefront_size32 1
		.amdhsa_uses_dynamic_stack 0
		.amdhsa_system_sgpr_private_segment_wavefront_offset 1
		.amdhsa_system_sgpr_workgroup_id_x 1
		.amdhsa_system_sgpr_workgroup_id_y 0
		.amdhsa_system_sgpr_workgroup_id_z 0
		.amdhsa_system_sgpr_workgroup_info 0
		.amdhsa_system_vgpr_workitem_id 0
		.amdhsa_next_free_vgpr 158
		.amdhsa_next_free_sgpr 23
		.amdhsa_reserve_vcc 1
		.amdhsa_reserve_flat_scratch 0
		.amdhsa_float_round_mode_32 0
		.amdhsa_float_round_mode_16_64 0
		.amdhsa_float_denorm_mode_32 3
		.amdhsa_float_denorm_mode_16_64 3
		.amdhsa_dx10_clamp 1
		.amdhsa_ieee_mode 1
		.amdhsa_fp16_overflow 0
		.amdhsa_workgroup_processor_mode 1
		.amdhsa_memory_ordered 1
		.amdhsa_forward_progress 1
		.amdhsa_shared_vgpr_count 0
		.amdhsa_exception_fp_ieee_invalid_op 0
		.amdhsa_exception_fp_denorm_src 0
		.amdhsa_exception_fp_ieee_div_zero 0
		.amdhsa_exception_fp_ieee_overflow 0
		.amdhsa_exception_fp_ieee_underflow 0
		.amdhsa_exception_fp_ieee_inexact 0
		.amdhsa_exception_int_div_zero 0
	.end_amdhsa_kernel
	.section	.text._ZN9rocsolver6v33100L18getri_kernel_smallILi53EdPdEEvT1_iilPiilS4_bb,"axG",@progbits,_ZN9rocsolver6v33100L18getri_kernel_smallILi53EdPdEEvT1_iilPiilS4_bb,comdat
.Lfunc_end52:
	.size	_ZN9rocsolver6v33100L18getri_kernel_smallILi53EdPdEEvT1_iilPiilS4_bb, .Lfunc_end52-_ZN9rocsolver6v33100L18getri_kernel_smallILi53EdPdEEvT1_iilPiilS4_bb
                                        ; -- End function
	.set _ZN9rocsolver6v33100L18getri_kernel_smallILi53EdPdEEvT1_iilPiilS4_bb.num_vgpr, 158
	.set _ZN9rocsolver6v33100L18getri_kernel_smallILi53EdPdEEvT1_iilPiilS4_bb.num_agpr, 0
	.set _ZN9rocsolver6v33100L18getri_kernel_smallILi53EdPdEEvT1_iilPiilS4_bb.numbered_sgpr, 23
	.set _ZN9rocsolver6v33100L18getri_kernel_smallILi53EdPdEEvT1_iilPiilS4_bb.num_named_barrier, 0
	.set _ZN9rocsolver6v33100L18getri_kernel_smallILi53EdPdEEvT1_iilPiilS4_bb.private_seg_size, 432
	.set _ZN9rocsolver6v33100L18getri_kernel_smallILi53EdPdEEvT1_iilPiilS4_bb.uses_vcc, 1
	.set _ZN9rocsolver6v33100L18getri_kernel_smallILi53EdPdEEvT1_iilPiilS4_bb.uses_flat_scratch, 0
	.set _ZN9rocsolver6v33100L18getri_kernel_smallILi53EdPdEEvT1_iilPiilS4_bb.has_dyn_sized_stack, 0
	.set _ZN9rocsolver6v33100L18getri_kernel_smallILi53EdPdEEvT1_iilPiilS4_bb.has_recursion, 0
	.set _ZN9rocsolver6v33100L18getri_kernel_smallILi53EdPdEEvT1_iilPiilS4_bb.has_indirect_call, 0
	.section	.AMDGPU.csdata,"",@progbits
; Kernel info:
; codeLenInByte = 74776
; TotalNumSgprs: 25
; NumVgprs: 158
; ScratchSize: 432
; MemoryBound: 1
; FloatMode: 240
; IeeeMode: 1
; LDSByteSize: 856 bytes/workgroup (compile time only)
; SGPRBlocks: 0
; VGPRBlocks: 19
; NumSGPRsForWavesPerEU: 25
; NumVGPRsForWavesPerEU: 158
; Occupancy: 6
; WaveLimiterHint : 1
; COMPUTE_PGM_RSRC2:SCRATCH_EN: 1
; COMPUTE_PGM_RSRC2:USER_SGPR: 6
; COMPUTE_PGM_RSRC2:TRAP_HANDLER: 0
; COMPUTE_PGM_RSRC2:TGID_X_EN: 1
; COMPUTE_PGM_RSRC2:TGID_Y_EN: 0
; COMPUTE_PGM_RSRC2:TGID_Z_EN: 0
; COMPUTE_PGM_RSRC2:TIDIG_COMP_CNT: 0
	.section	.text._ZN9rocsolver6v33100L18getri_kernel_smallILi54EdPdEEvT1_iilPiilS4_bb,"axG",@progbits,_ZN9rocsolver6v33100L18getri_kernel_smallILi54EdPdEEvT1_iilPiilS4_bb,comdat
	.globl	_ZN9rocsolver6v33100L18getri_kernel_smallILi54EdPdEEvT1_iilPiilS4_bb ; -- Begin function _ZN9rocsolver6v33100L18getri_kernel_smallILi54EdPdEEvT1_iilPiilS4_bb
	.p2align	8
	.type	_ZN9rocsolver6v33100L18getri_kernel_smallILi54EdPdEEvT1_iilPiilS4_bb,@function
_ZN9rocsolver6v33100L18getri_kernel_smallILi54EdPdEEvT1_iilPiilS4_bb: ; @_ZN9rocsolver6v33100L18getri_kernel_smallILi54EdPdEEvT1_iilPiilS4_bb
; %bb.0:
	s_add_u32 s0, s0, s7
	s_addc_u32 s1, s1, 0
	s_mov_b32 s7, exec_lo
	v_cmpx_gt_u32_e32 54, v0
	s_cbranch_execz .LBB53_226
; %bb.1:
	s_clause 0x2
	s_load_dword s7, s[4:5], 0x38
	s_load_dwordx4 s[16:19], s[4:5], 0x10
	s_load_dwordx4 s[8:11], s[4:5], 0x28
                                        ; implicit-def: $sgpr20_sgpr21
	s_waitcnt lgkmcnt(0)
	s_bitcmp1_b32 s7, 8
	s_cselect_b32 s22, -1, 0
	s_bfe_u32 s12, s7, 0x10008
	s_ashr_i32 s7, s6, 31
	s_cmp_eq_u32 s12, 0
	s_cbranch_scc1 .LBB53_3
; %bb.2:
	s_load_dword s12, s[4:5], 0x20
	s_mul_i32 s13, s8, s7
	s_mul_hi_u32 s14, s8, s6
	s_mul_i32 s9, s9, s6
	s_add_i32 s13, s14, s13
	s_mul_i32 s8, s8, s6
	s_add_i32 s9, s13, s9
	s_lshl_b64 s[8:9], s[8:9], 2
	s_waitcnt lgkmcnt(0)
	s_ashr_i32 s13, s12, 31
	s_add_u32 s14, s18, s8
	s_addc_u32 s15, s19, s9
	s_lshl_b64 s[8:9], s[12:13], 2
	s_add_u32 s20, s14, s8
	s_addc_u32 s21, s15, s9
.LBB53_3:
	s_clause 0x1
	s_load_dwordx4 s[12:15], s[4:5], 0x0
	s_load_dword s8, s[4:5], 0x38
	s_mul_i32 s4, s16, s7
	s_mul_hi_u32 s5, s16, s6
	s_mul_i32 s9, s17, s6
	s_add_i32 s5, s5, s4
	s_mul_i32 s4, s16, s6
	s_add_i32 s5, s5, s9
	v_lshlrev_b32_e32 v111, 3, v0
	s_lshl_b64 s[4:5], s[4:5], 3
	s_waitcnt lgkmcnt(0)
	v_add3_u32 v1, s15, s15, v0
	s_ashr_i32 s17, s14, 31
	s_mov_b32 s16, s14
	s_add_u32 s9, s12, s4
	s_addc_u32 s13, s13, s5
	v_add_nc_u32_e32 v3, s15, v1
	v_ashrrev_i32_e32 v2, 31, v1
	s_lshl_b64 s[4:5], s[16:17], 3
	s_mov_b32 s12, s15
	s_add_u32 s4, s9, s4
	v_add_nc_u32_e32 v5, s15, v3
	v_lshlrev_b64 v[1:2], 3, v[1:2]
	v_ashrrev_i32_e32 v4, 31, v3
	s_addc_u32 s5, s13, s5
	v_add_co_u32 v83, s9, s4, v111
	v_ashrrev_i32_e32 v6, 31, v5
	v_lshlrev_b64 v[3:4], 3, v[3:4]
	v_add_co_u32 v67, vcc_lo, s4, v1
	v_add_co_ci_u32_e64 v68, null, s5, v2, vcc_lo
	v_lshlrev_b64 v[1:2], 3, v[5:6]
	global_load_dwordx2 v[97:98], v111, s[4:5]
	s_ashr_i32 s13, s15, 31
	v_add_co_u32 v55, vcc_lo, s4, v3
	v_add_co_ci_u32_e64 v84, null, s5, 0, s9
	v_add_co_ci_u32_e64 v56, null, s5, v4, vcc_lo
	v_add_co_u32 v59, vcc_lo, s4, v1
	s_lshl_b64 s[12:13], s[12:13], 3
	v_add_co_ci_u32_e64 v60, null, s5, v2, vcc_lo
	v_add_co_u32 v77, vcc_lo, v83, s12
	v_add_co_ci_u32_e64 v78, null, s13, v84, vcc_lo
	s_clause 0x1
	global_load_dwordx2 v[99:100], v[77:78], off
	global_load_dwordx2 v[101:102], v[67:68], off
	v_add_nc_u32_e32 v7, s15, v5
	s_clause 0x1
	global_load_dwordx2 v[103:104], v[55:56], off
	global_load_dwordx2 v[105:106], v[59:60], off
	s_bitcmp0_b32 s8, 0
	v_ashrrev_i32_e32 v8, 31, v7
	v_add_nc_u32_e32 v5, s15, v7
	v_lshlrev_b64 v[3:4], 3, v[7:8]
	v_ashrrev_i32_e32 v6, 31, v5
	v_add_nc_u32_e32 v7, s15, v5
	v_lshlrev_b64 v[1:2], 3, v[5:6]
	v_ashrrev_i32_e32 v8, 31, v7
	v_add_nc_u32_e32 v5, s15, v7
	v_add_co_u32 v49, vcc_lo, s4, v3
	v_add_co_ci_u32_e64 v50, null, s5, v4, vcc_lo
	v_lshlrev_b64 v[3:4], 3, v[7:8]
	v_ashrrev_i32_e32 v6, 31, v5
	v_add_nc_u32_e32 v7, s15, v5
	v_add_co_u32 v53, vcc_lo, s4, v1
	v_add_co_ci_u32_e64 v54, null, s5, v2, vcc_lo
	;; [unrolled: 5-line block ×9, first 2 shown]
	v_lshlrev_b64 v[3:4], 3, v[7:8]
	v_add_nc_u32_e32 v7, s15, v5
	v_ashrrev_i32_e32 v6, 31, v5
	v_add_co_u32 v15, vcc_lo, s4, v1
	v_add_co_ci_u32_e64 v16, null, s5, v2, vcc_lo
	v_add_nc_u32_e32 v9, s15, v7
	v_ashrrev_i32_e32 v8, 31, v7
	v_lshlrev_b64 v[5:6], 3, v[5:6]
	v_add_co_u32 v1, vcc_lo, s4, v3
	v_add_nc_u32_e32 v13, s15, v9
	v_ashrrev_i32_e32 v10, 31, v9
	v_lshlrev_b64 v[7:8], 3, v[7:8]
	v_add_co_ci_u32_e64 v2, null, s5, v4, vcc_lo
	v_add_nc_u32_e32 v17, s15, v13
	v_ashrrev_i32_e32 v14, 31, v13
	v_lshlrev_b64 v[9:10], 3, v[9:10]
	v_add_co_u32 v3, vcc_lo, s4, v5
	v_add_nc_u32_e32 v19, s15, v17
	v_ashrrev_i32_e32 v18, 31, v17
	v_lshlrev_b64 v[13:14], 3, v[13:14]
	v_add_co_ci_u32_e64 v4, null, s5, v6, vcc_lo
	v_add_nc_u32_e32 v23, s15, v19
	v_ashrrev_i32_e32 v20, 31, v19
	v_add_co_u32 v5, vcc_lo, s4, v7
	v_lshlrev_b64 v[17:18], 3, v[17:18]
	v_add_nc_u32_e32 v27, s15, v23
	v_ashrrev_i32_e32 v24, 31, v23
	v_add_co_ci_u32_e64 v6, null, s5, v8, vcc_lo
	v_add_co_u32 v7, vcc_lo, s4, v9
	v_add_nc_u32_e32 v29, s15, v27
	v_ashrrev_i32_e32 v28, 31, v27
	v_lshlrev_b64 v[19:20], 3, v[19:20]
	v_add_co_ci_u32_e64 v8, null, s5, v10, vcc_lo
	v_add_nc_u32_e32 v33, s15, v29
	v_ashrrev_i32_e32 v30, 31, v29
	v_add_co_u32 v9, vcc_lo, s4, v13
	v_lshlrev_b64 v[23:24], 3, v[23:24]
	v_add_nc_u32_e32 v37, s15, v33
	v_ashrrev_i32_e32 v34, 31, v33
	v_add_co_ci_u32_e64 v10, null, s5, v14, vcc_lo
	v_add_co_u32 v13, vcc_lo, s4, v17
	v_add_nc_u32_e32 v39, s15, v37
	v_lshlrev_b64 v[27:28], 3, v[27:28]
	v_ashrrev_i32_e32 v38, 31, v37
	v_add_co_ci_u32_e64 v14, null, s5, v18, vcc_lo
	v_add_nc_u32_e32 v43, s15, v39
	v_add_co_u32 v17, vcc_lo, s4, v19
	v_lshlrev_b64 v[29:30], 3, v[29:30]
	v_ashrrev_i32_e32 v40, 31, v39
	v_add_nc_u32_e32 v47, s15, v43
	v_add_co_ci_u32_e64 v18, null, s5, v20, vcc_lo
	v_add_co_u32 v19, vcc_lo, s4, v23
	v_add_nc_u32_e32 v51, s15, v47
	v_lshlrev_b64 v[33:34], 3, v[33:34]
	v_ashrrev_i32_e32 v44, 31, v43
	v_add_co_ci_u32_e64 v20, null, s5, v24, vcc_lo
	v_add_nc_u32_e32 v57, s15, v51
	v_add_co_u32 v23, vcc_lo, s4, v27
	v_lshlrev_b64 v[37:38], 3, v[37:38]
	v_ashrrev_i32_e32 v48, 31, v47
	v_add_nc_u32_e32 v61, s15, v57
	;; [unrolled: 11-line block ×4, first 2 shown]
	v_add_co_ci_u32_e64 v38, null, s5, v40, vcc_lo
	v_add_co_u32 v39, vcc_lo, s4, v43
	v_lshlrev_b64 v[57:58], 3, v[57:58]
	v_ashrrev_i32_e32 v66, 31, v65
	v_add_co_ci_u32_e64 v40, null, s5, v44, vcc_lo
	v_add_co_u32 v43, vcc_lo, s4, v47
	v_lshlrev_b64 v[61:62], 3, v[61:62]
	v_ashrrev_i32_e32 v70, 31, v69
	v_add_co_ci_u32_e64 v44, null, s5, v48, vcc_lo
	v_add_co_u32 v47, vcc_lo, s4, v51
	v_lshlrev_b64 v[63:64], 3, v[63:64]
	v_add_nc_u32_e32 v79, s15, v75
	v_ashrrev_i32_e32 v72, 31, v71
	v_add_co_ci_u32_e64 v48, null, s5, v52, vcc_lo
	v_add_co_u32 v51, vcc_lo, s4, v57
	v_lshlrev_b64 v[65:66], 3, v[65:66]
	v_ashrrev_i32_e32 v74, 31, v73
	v_add_co_ci_u32_e64 v52, null, s5, v58, vcc_lo
	v_add_co_u32 v57, vcc_lo, s4, v61
	v_lshlrev_b64 v[69:70], 3, v[69:70]
	v_ashrrev_i32_e32 v76, 31, v75
	v_add_nc_u32_e32 v81, s15, v79
	v_add_co_ci_u32_e64 v58, null, s5, v62, vcc_lo
	v_add_co_u32 v61, vcc_lo, s4, v63
	v_lshlrev_b64 v[71:72], 3, v[71:72]
	v_ashrrev_i32_e32 v80, 31, v79
	v_add_co_ci_u32_e64 v62, null, s5, v64, vcc_lo
	v_add_co_u32 v63, vcc_lo, s4, v65
	v_lshlrev_b64 v[73:74], 3, v[73:74]
	v_add_co_ci_u32_e64 v64, null, s5, v66, vcc_lo
	v_add_co_u32 v65, vcc_lo, s4, v69
	v_lshlrev_b64 v[75:76], 3, v[75:76]
	v_add_nc_u32_e32 v85, s15, v81
	v_add_co_ci_u32_e64 v66, null, s5, v70, vcc_lo
	v_add_co_u32 v69, vcc_lo, s4, v71
	v_lshlrev_b64 v[79:80], 3, v[79:80]
	v_add_co_ci_u32_e64 v70, null, s5, v72, vcc_lo
	v_add_co_u32 v71, vcc_lo, s4, v73
	v_ashrrev_i32_e32 v82, 31, v81
	v_ashrrev_i32_e32 v86, 31, v85
	v_add_co_ci_u32_e64 v72, null, s5, v74, vcc_lo
	v_add_co_u32 v73, vcc_lo, s4, v75
	v_add_co_ci_u32_e64 v74, null, s5, v76, vcc_lo
	v_add_co_u32 v75, vcc_lo, s4, v79
	v_add_co_ci_u32_e64 v76, null, s5, v80, vcc_lo
	v_lshlrev_b64 v[79:80], 3, v[81:82]
	v_lshlrev_b64 v[81:82], 3, v[85:86]
	v_add_nc_u32_e32 v85, s15, v85
	s_clause 0x7
	global_load_dwordx2 v[107:108], v[49:50], off
	global_load_dwordx2 v[109:110], v[53:54], off
	;; [unrolled: 1-line block ×8, first 2 shown]
	v_add_nc_u32_e32 v87, s15, v85
	v_ashrrev_i32_e32 v86, 31, v85
	s_clause 0x5
	global_load_dwordx2 v[124:125], v[11:12], off
	global_load_dwordx2 v[126:127], v[15:16], off
	;; [unrolled: 1-line block ×6, first 2 shown]
	v_add_nc_u32_e32 v89, s15, v87
	s_clause 0x1
	global_load_dwordx2 v[136:137], v[9:10], off
	global_load_dwordx2 v[138:139], v[13:14], off
	v_ashrrev_i32_e32 v88, 31, v87
	v_lshlrev_b64 v[85:86], 3, v[85:86]
	v_add_co_u32 v79, vcc_lo, s4, v79
	v_add_nc_u32_e32 v91, s15, v89
	v_ashrrev_i32_e32 v90, 31, v89
	v_lshlrev_b64 v[87:88], 3, v[87:88]
	v_add_co_ci_u32_e64 v80, null, s5, v80, vcc_lo
	v_add_nc_u32_e32 v93, s15, v91
	v_ashrrev_i32_e32 v92, 31, v91
	v_add_co_u32 v81, vcc_lo, s4, v81
	v_lshlrev_b64 v[89:90], 3, v[89:90]
	v_add_nc_u32_e32 v95, s15, v93
	v_ashrrev_i32_e32 v94, 31, v93
	v_add_co_ci_u32_e64 v82, null, s5, v82, vcc_lo
	v_add_co_u32 v85, vcc_lo, s4, v85
	v_ashrrev_i32_e32 v96, 31, v95
	v_lshlrev_b64 v[91:92], 3, v[91:92]
	v_add_co_ci_u32_e64 v86, null, s5, v86, vcc_lo
	v_add_co_u32 v87, vcc_lo, s4, v87
	v_lshlrev_b64 v[93:94], 3, v[93:94]
	v_add_nc_u32_e32 v142, s15, v95
	v_add_co_ci_u32_e64 v88, null, s5, v88, vcc_lo
	v_add_co_u32 v89, vcc_lo, s4, v89
	v_lshlrev_b64 v[140:141], 3, v[95:96]
	v_add_co_ci_u32_e64 v90, null, s5, v90, vcc_lo
	v_add_co_u32 v91, vcc_lo, s4, v91
	v_ashrrev_i32_e32 v143, 31, v142
	v_add_co_ci_u32_e64 v92, null, s5, v92, vcc_lo
	v_add_co_u32 v93, vcc_lo, s4, v93
	v_add_co_ci_u32_e64 v94, null, s5, v94, vcc_lo
	v_add_co_u32 v95, vcc_lo, s4, v140
	v_add_co_ci_u32_e64 v96, null, s5, v141, vcc_lo
	v_lshlrev_b64 v[140:141], 3, v[142:143]
	s_clause 0x2
	global_load_dwordx2 v[144:145], v[17:18], off
	global_load_dwordx2 v[146:147], v[19:20], off
	;; [unrolled: 1-line block ×3, first 2 shown]
	s_waitcnt vmcnt(23)
	buffer_store_dword v98, off, s[0:3], 0 offset:4
	buffer_store_dword v97, off, s[0:3], 0
	global_load_dwordx2 v[150:151], v[27:28], off
	v_add_co_u32 v97, vcc_lo, s4, v140
	v_add_co_ci_u32_e64 v98, null, s5, v141, vcc_lo
	global_load_dwordx2 v[140:141], v[29:30], off
	s_waitcnt vmcnt(24)
	buffer_store_dword v100, off, s[0:3], 0 offset:12
	buffer_store_dword v99, off, s[0:3], 0 offset:8
	s_clause 0x1
	global_load_dwordx2 v[152:153], v[33:34], off
	global_load_dwordx2 v[154:155], v[37:38], off
	v_add_nc_u32_e32 v142, s15, v142
	s_waitcnt vmcnt(25)
	buffer_store_dword v102, off, s[0:3], 0 offset:20
	buffer_store_dword v101, off, s[0:3], 0 offset:16
	s_waitcnt vmcnt(24)
	buffer_store_dword v104, off, s[0:3], 0 offset:28
	buffer_store_dword v103, off, s[0:3], 0 offset:24
	global_load_dwordx2 v[156:157], v[39:40], off
	s_waitcnt vmcnt(24)
	buffer_store_dword v106, off, s[0:3], 0 offset:36
	buffer_store_dword v105, off, s[0:3], 0 offset:32
	v_add_nc_u32_e32 v101, s15, v142
	s_clause 0x1
	global_load_dwordx2 v[158:159], v[43:44], off
	global_load_dwordx2 v[160:161], v[47:48], off
	v_ashrrev_i32_e32 v143, 31, v142
	v_add_nc_u32_e32 v104, s15, v101
	v_ashrrev_i32_e32 v102, 31, v101
	v_lshlrev_b64 v[99:100], 3, v[142:143]
	v_ashrrev_i32_e32 v105, 31, v104
	v_lshlrev_b64 v[102:103], 3, v[101:102]
	v_add_co_u32 v99, vcc_lo, s4, v99
	v_lshlrev_b64 v[105:106], 3, v[104:105]
	v_add_co_ci_u32_e64 v100, null, s5, v100, vcc_lo
	v_add_co_u32 v101, vcc_lo, s4, v102
	v_add_co_ci_u32_e64 v102, null, s5, v103, vcc_lo
	v_add_co_u32 v103, vcc_lo, s4, v105
	s_waitcnt vmcnt(25)
	buffer_store_dword v108, off, s[0:3], 0 offset:44
	buffer_store_dword v107, off, s[0:3], 0 offset:40
	s_waitcnt vmcnt(24)
	buffer_store_dword v110, off, s[0:3], 0 offset:52
	buffer_store_dword v109, off, s[0:3], 0 offset:48
	;; [unrolled: 3-line block ×8, first 2 shown]
	v_add_nc_u32_e32 v107, s15, v104
	s_waitcnt vmcnt(17)
	buffer_store_dword v124, off, s[0:3], 0 offset:104
	buffer_store_dword v125, off, s[0:3], 0 offset:108
	s_waitcnt vmcnt(16)
	buffer_store_dword v127, off, s[0:3], 0 offset:116
	buffer_store_dword v126, off, s[0:3], 0 offset:112
	;; [unrolled: 3-line block ×8, first 2 shown]
	s_clause 0x9
	global_load_dwordx2 v[109:110], v[51:52], off
	global_load_dwordx2 v[112:113], v[57:58], off
	;; [unrolled: 1-line block ×10, first 2 shown]
	v_ashrrev_i32_e32 v108, 31, v107
	s_clause 0x3
	global_load_dwordx2 v[130:131], v[81:82], off
	global_load_dwordx2 v[132:133], v[85:86], off
	;; [unrolled: 1-line block ×4, first 2 shown]
	v_add_co_ci_u32_e64 v104, null, s5, v106, vcc_lo
	v_lshlrev_b64 v[105:106], 3, v[107:108]
	v_add_nc_u32_e32 v107, s15, v107
	s_clause 0x1
	global_load_dwordx2 v[138:139], v[91:92], off
	global_load_dwordx2 v[142:143], v[95:96], off
	v_ashrrev_i32_e32 v108, 31, v107
	v_add_co_u32 v105, vcc_lo, s4, v105
	v_add_co_ci_u32_e64 v106, null, s5, v106, vcc_lo
	v_lshlrev_b64 v[107:108], 3, v[107:108]
	v_add_co_u32 v107, vcc_lo, s4, v107
	v_add_co_ci_u32_e64 v108, null, s5, v108, vcc_lo
	s_mov_b32 s5, -1
	s_waitcnt vmcnt(25)
	buffer_store_dword v144, off, s[0:3], 0 offset:168
	buffer_store_dword v145, off, s[0:3], 0 offset:172
	global_load_dwordx2 v[144:145], v[97:98], off
	s_waitcnt vmcnt(25)
	buffer_store_dword v146, off, s[0:3], 0 offset:176
	buffer_store_dword v147, off, s[0:3], 0 offset:180
	global_load_dwordx2 v[146:147], v[99:100], off
	;; [unrolled: 4-line block ×4, first 2 shown]
	buffer_store_dword v150, off, s[0:3], 0 offset:192
	buffer_store_dword v151, off, s[0:3], 0 offset:196
	global_load_dwordx2 v[150:151], v[103:104], off
	s_waitcnt vmcnt(25)
	buffer_store_dword v153, off, s[0:3], 0 offset:212
	buffer_store_dword v152, off, s[0:3], 0 offset:208
	global_load_dwordx2 v[152:153], v[105:106], off
	s_waitcnt vmcnt(25)
	;; [unrolled: 4-line block ×3, first 2 shown]
	buffer_store_dword v156, off, s[0:3], 0 offset:224
	buffer_store_dword v157, off, s[0:3], 0 offset:228
	s_waitcnt vmcnt(24)
	buffer_store_dword v158, off, s[0:3], 0 offset:232
	buffer_store_dword v159, off, s[0:3], 0 offset:236
	s_waitcnt vmcnt(23)
	;; [unrolled: 3-line block ×18, first 2 shown]
	buffer_store_dword v140, off, s[0:3], 0 offset:368
	buffer_store_dword v141, off, s[0:3], 0 offset:372
	;; [unrolled: 1-line block ×10, first 2 shown]
	s_waitcnt vmcnt(2)
	buffer_store_dword v150, off, s[0:3], 0 offset:408
	buffer_store_dword v151, off, s[0:3], 0 offset:412
	s_waitcnt vmcnt(1)
	buffer_store_dword v152, off, s[0:3], 0 offset:416
	buffer_store_dword v153, off, s[0:3], 0 offset:420
	s_waitcnt vmcnt(0)
	buffer_store_dword v154, off, s[0:3], 0 offset:424
	buffer_store_dword v155, off, s[0:3], 0 offset:428
	s_cbranch_scc1 .LBB53_224
; %bb.4:
	v_cmp_eq_u32_e64 s4, 0, v0
	s_and_saveexec_b32 s5, s4
; %bb.5:
	v_mov_b32_e32 v109, 0
	ds_write_b32 v109, v109 offset:864
; %bb.6:
	s_or_b32 exec_lo, exec_lo, s5
	v_lshl_add_u32 v109, v0, 3, 0
	s_waitcnt lgkmcnt(0)
	s_waitcnt_vscnt null, 0x0
	s_barrier
	buffer_gl0_inv
	s_mov_b32 s8, exec_lo
	s_clause 0x1
	buffer_load_dword v112, v109, s[0:3], 0 offen
	buffer_load_dword v113, v109, s[0:3], 0 offen offset:4
	s_waitcnt vmcnt(0)
	v_cmpx_eq_f64_e32 0, v[112:113]
	s_cbranch_execz .LBB53_10
; %bb.7:
	v_mov_b32_e32 v110, 0
	s_mov_b32 s9, 0
	ds_read_b32 v112, v110 offset:864
	s_waitcnt lgkmcnt(0)
	v_readfirstlane_b32 s5, v112
	v_add_nc_u32_e32 v112, 1, v0
	s_cmp_eq_u32 s5, 0
	v_cmp_gt_i32_e32 vcc_lo, s5, v112
	s_cselect_b32 s12, -1, 0
	s_or_b32 s12, s12, vcc_lo
	s_and_b32 exec_lo, exec_lo, s12
	s_cbranch_execz .LBB53_10
; %bb.8:
	v_mov_b32_e32 v113, s5
.LBB53_9:                               ; =>This Inner Loop Header: Depth=1
	ds_cmpst_rtn_b32 v113, v110, v113, v112 offset:864
	s_waitcnt lgkmcnt(0)
	v_cmp_ne_u32_e32 vcc_lo, 0, v113
	v_cmp_le_i32_e64 s5, v113, v112
	s_and_b32 s5, vcc_lo, s5
	s_and_b32 s5, exec_lo, s5
	s_or_b32 s9, s5, s9
	s_andn2_b32 exec_lo, exec_lo, s9
	s_cbranch_execnz .LBB53_9
.LBB53_10:
	s_or_b32 exec_lo, exec_lo, s8
	v_mov_b32_e32 v110, 0
	s_barrier
	buffer_gl0_inv
	ds_read_b32 v112, v110 offset:864
	s_and_saveexec_b32 s5, s4
	s_cbranch_execz .LBB53_12
; %bb.11:
	s_lshl_b64 s[8:9], s[6:7], 2
	s_add_u32 s8, s10, s8
	s_addc_u32 s9, s11, s9
	s_waitcnt lgkmcnt(0)
	global_store_dword v110, v112, s[8:9]
.LBB53_12:
	s_or_b32 exec_lo, exec_lo, s5
	s_waitcnt lgkmcnt(0)
	v_cmp_ne_u32_e32 vcc_lo, 0, v112
	s_mov_b32 s5, 0
	s_cbranch_vccnz .LBB53_224
; %bb.13:
	s_clause 0x1
	buffer_load_dword v112, v109, s[0:3], 0 offen
	buffer_load_dword v113, v109, s[0:3], 0 offen offset:4
	s_waitcnt vmcnt(0)
	v_div_scale_f64 v[114:115], null, v[112:113], v[112:113], 1.0
	v_div_scale_f64 v[120:121], vcc_lo, 1.0, v[112:113], 1.0
	v_rcp_f64_e32 v[116:117], v[114:115]
	v_fma_f64 v[118:119], -v[114:115], v[116:117], 1.0
	v_fma_f64 v[116:117], v[116:117], v[118:119], v[116:117]
	v_fma_f64 v[118:119], -v[114:115], v[116:117], 1.0
	v_fma_f64 v[116:117], v[116:117], v[118:119], v[116:117]
	v_mul_f64 v[118:119], v[120:121], v[116:117]
	v_fma_f64 v[114:115], -v[114:115], v[118:119], v[120:121]
	v_div_fmas_f64 v[114:115], v[114:115], v[116:117], v[118:119]
	v_div_fixup_f64 v[113:114], v[114:115], v[112:113], 1.0
	v_add_nc_u32_e32 v112, 0x1b0, v111
	buffer_store_dword v114, v109, s[0:3], 0 offen offset:4
	buffer_store_dword v113, v109, s[0:3], 0 offen
	s_clause 0x1
	buffer_load_dword v116, off, s[0:3], 0 offset:12
	buffer_load_dword v115, off, s[0:3], 0 offset:8
	v_xor_b32_e32 v114, 0x80000000, v114
	s_waitcnt vmcnt(0)
	ds_write2_b64 v111, v[113:114], v[115:116] offset1:54
	s_waitcnt lgkmcnt(0)
	s_waitcnt_vscnt null, 0x0
	s_barrier
	buffer_gl0_inv
	s_and_saveexec_b32 s5, s4
	s_cbranch_execz .LBB53_15
; %bb.14:
	s_clause 0x1
	buffer_load_dword v113, v109, s[0:3], 0 offen
	buffer_load_dword v114, v109, s[0:3], 0 offen offset:4
	ds_read_b64 v[115:116], v112
	v_mov_b32_e32 v110, 0
	ds_read_b64 v[117:118], v110 offset:8
	s_waitcnt vmcnt(0) lgkmcnt(1)
	v_fma_f64 v[113:114], v[113:114], v[115:116], 0
	s_waitcnt lgkmcnt(0)
	v_mul_f64 v[113:114], v[113:114], v[117:118]
	buffer_store_dword v113, off, s[0:3], 0 offset:8
	buffer_store_dword v114, off, s[0:3], 0 offset:12
.LBB53_15:
	s_or_b32 exec_lo, exec_lo, s5
	s_waitcnt_vscnt null, 0x0
	s_barrier
	buffer_gl0_inv
	s_clause 0x1
	buffer_load_dword v113, off, s[0:3], 0 offset:16
	buffer_load_dword v114, off, s[0:3], 0 offset:20
	s_mov_b32 s5, exec_lo
	s_waitcnt vmcnt(0)
	ds_write_b64 v112, v[113:114]
	s_waitcnt lgkmcnt(0)
	s_barrier
	buffer_gl0_inv
	v_cmpx_gt_u32_e32 2, v0
	s_cbranch_execz .LBB53_19
; %bb.16:
	s_clause 0x1
	buffer_load_dword v113, v109, s[0:3], 0 offen
	buffer_load_dword v114, v109, s[0:3], 0 offen offset:4
	ds_read_b64 v[109:110], v112
	s_waitcnt vmcnt(0) lgkmcnt(0)
	v_fma_f64 v[109:110], v[113:114], v[109:110], 0
	s_and_saveexec_b32 s8, s4
	s_cbranch_execz .LBB53_18
; %bb.17:
	s_clause 0x1
	buffer_load_dword v113, off, s[0:3], 0 offset:8
	buffer_load_dword v114, off, s[0:3], 0 offset:12
	v_mov_b32_e32 v115, 0
	ds_read_b64 v[115:116], v115 offset:440
	s_waitcnt vmcnt(0) lgkmcnt(0)
	v_fma_f64 v[109:110], v[113:114], v[115:116], v[109:110]
.LBB53_18:
	s_or_b32 exec_lo, exec_lo, s8
	v_mov_b32_e32 v113, 0
	ds_read_b64 v[113:114], v113 offset:16
	s_waitcnt lgkmcnt(0)
	v_mul_f64 v[109:110], v[109:110], v[113:114]
	buffer_store_dword v110, off, s[0:3], 0 offset:20
	buffer_store_dword v109, off, s[0:3], 0 offset:16
.LBB53_19:
	s_or_b32 exec_lo, exec_lo, s5
	s_waitcnt_vscnt null, 0x0
	s_barrier
	buffer_gl0_inv
	s_clause 0x1
	buffer_load_dword v109, off, s[0:3], 0 offset:24
	buffer_load_dword v110, off, s[0:3], 0 offset:28
	v_add_nc_u32_e32 v113, -1, v0
	s_mov_b32 s4, exec_lo
	s_waitcnt vmcnt(0)
	ds_write_b64 v112, v[109:110]
	s_waitcnt lgkmcnt(0)
	s_barrier
	buffer_gl0_inv
	v_cmpx_gt_u32_e32 3, v0
	s_cbranch_execz .LBB53_23
; %bb.20:
	v_mov_b32_e32 v109, 0
	v_add_nc_u32_e32 v114, -1, v0
	v_add_nc_u32_e32 v115, 0x1b0, v111
	v_mov_b32_e32 v110, 0
	v_mov_b32_e32 v116, v111
	s_mov_b32 s5, 0
.LBB53_21:                              ; =>This Inner Loop Header: Depth=1
	s_clause 0x1
	buffer_load_dword v117, v116, s[0:3], 0 offen
	buffer_load_dword v118, v116, s[0:3], 0 offen offset:4
	ds_read_b64 v[119:120], v115
	v_add_nc_u32_e32 v114, 1, v114
	v_add_nc_u32_e32 v115, 8, v115
	v_add_nc_u32_e32 v116, 8, v116
	v_cmp_lt_u32_e32 vcc_lo, 1, v114
	s_or_b32 s5, vcc_lo, s5
	s_waitcnt vmcnt(0) lgkmcnt(0)
	v_fma_f64 v[109:110], v[117:118], v[119:120], v[109:110]
	s_andn2_b32 exec_lo, exec_lo, s5
	s_cbranch_execnz .LBB53_21
; %bb.22:
	s_or_b32 exec_lo, exec_lo, s5
	v_mov_b32_e32 v114, 0
	ds_read_b64 v[114:115], v114 offset:24
	s_waitcnt lgkmcnt(0)
	v_mul_f64 v[109:110], v[109:110], v[114:115]
	buffer_store_dword v110, off, s[0:3], 0 offset:28
	buffer_store_dword v109, off, s[0:3], 0 offset:24
.LBB53_23:
	s_or_b32 exec_lo, exec_lo, s4
	s_waitcnt_vscnt null, 0x0
	s_barrier
	buffer_gl0_inv
	s_clause 0x1
	buffer_load_dword v109, off, s[0:3], 0 offset:32
	buffer_load_dword v110, off, s[0:3], 0 offset:36
	s_mov_b32 s4, exec_lo
	s_waitcnt vmcnt(0)
	ds_write_b64 v112, v[109:110]
	s_waitcnt lgkmcnt(0)
	s_barrier
	buffer_gl0_inv
	v_cmpx_gt_u32_e32 4, v0
	s_cbranch_execz .LBB53_27
; %bb.24:
	v_mov_b32_e32 v109, 0
	v_add_nc_u32_e32 v114, -1, v0
	v_add_nc_u32_e32 v115, 0x1b0, v111
	v_mov_b32_e32 v110, 0
	v_mov_b32_e32 v116, v111
	s_mov_b32 s5, 0
.LBB53_25:                              ; =>This Inner Loop Header: Depth=1
	s_clause 0x1
	buffer_load_dword v117, v116, s[0:3], 0 offen
	buffer_load_dword v118, v116, s[0:3], 0 offen offset:4
	ds_read_b64 v[119:120], v115
	v_add_nc_u32_e32 v114, 1, v114
	v_add_nc_u32_e32 v115, 8, v115
	v_add_nc_u32_e32 v116, 8, v116
	v_cmp_lt_u32_e32 vcc_lo, 2, v114
	s_or_b32 s5, vcc_lo, s5
	s_waitcnt vmcnt(0) lgkmcnt(0)
	v_fma_f64 v[109:110], v[117:118], v[119:120], v[109:110]
	s_andn2_b32 exec_lo, exec_lo, s5
	s_cbranch_execnz .LBB53_25
; %bb.26:
	s_or_b32 exec_lo, exec_lo, s5
	v_mov_b32_e32 v114, 0
	ds_read_b64 v[114:115], v114 offset:32
	s_waitcnt lgkmcnt(0)
	v_mul_f64 v[109:110], v[109:110], v[114:115]
	buffer_store_dword v110, off, s[0:3], 0 offset:36
	buffer_store_dword v109, off, s[0:3], 0 offset:32
.LBB53_27:
	s_or_b32 exec_lo, exec_lo, s4
	s_waitcnt_vscnt null, 0x0
	s_barrier
	buffer_gl0_inv
	s_clause 0x1
	buffer_load_dword v109, off, s[0:3], 0 offset:40
	buffer_load_dword v110, off, s[0:3], 0 offset:44
	;; [unrolled: 45-line block ×20, first 2 shown]
	s_mov_b32 s4, exec_lo
	s_waitcnt vmcnt(0)
	ds_write_b64 v112, v[109:110]
	s_waitcnt lgkmcnt(0)
	s_barrier
	buffer_gl0_inv
	v_cmpx_gt_u32_e32 23, v0
	s_cbranch_execz .LBB53_103
; %bb.100:
	v_mov_b32_e32 v109, 0
	v_add_nc_u32_e32 v114, -1, v0
	v_add_nc_u32_e32 v115, 0x1b0, v111
	v_mov_b32_e32 v110, 0
	v_mov_b32_e32 v116, v111
	s_mov_b32 s5, 0
.LBB53_101:                             ; =>This Inner Loop Header: Depth=1
	s_clause 0x1
	buffer_load_dword v117, v116, s[0:3], 0 offen
	buffer_load_dword v118, v116, s[0:3], 0 offen offset:4
	ds_read_b64 v[119:120], v115
	v_add_nc_u32_e32 v114, 1, v114
	v_add_nc_u32_e32 v115, 8, v115
	v_add_nc_u32_e32 v116, 8, v116
	v_cmp_lt_u32_e32 vcc_lo, 21, v114
	s_or_b32 s5, vcc_lo, s5
	s_waitcnt vmcnt(0) lgkmcnt(0)
	v_fma_f64 v[109:110], v[117:118], v[119:120], v[109:110]
	s_andn2_b32 exec_lo, exec_lo, s5
	s_cbranch_execnz .LBB53_101
; %bb.102:
	s_or_b32 exec_lo, exec_lo, s5
	v_mov_b32_e32 v114, 0
	ds_read_b64 v[114:115], v114 offset:184
	s_waitcnt lgkmcnt(0)
	v_mul_f64 v[109:110], v[109:110], v[114:115]
	buffer_store_dword v110, off, s[0:3], 0 offset:188
	buffer_store_dword v109, off, s[0:3], 0 offset:184
.LBB53_103:
	s_or_b32 exec_lo, exec_lo, s4
	s_waitcnt_vscnt null, 0x0
	s_barrier
	buffer_gl0_inv
	s_clause 0x1
	buffer_load_dword v109, off, s[0:3], 0 offset:192
	buffer_load_dword v110, off, s[0:3], 0 offset:196
	s_mov_b32 s4, exec_lo
	s_waitcnt vmcnt(0)
	ds_write_b64 v112, v[109:110]
	s_waitcnt lgkmcnt(0)
	s_barrier
	buffer_gl0_inv
	v_cmpx_gt_u32_e32 24, v0
	s_cbranch_execz .LBB53_107
; %bb.104:
	v_mov_b32_e32 v109, 0
	v_add_nc_u32_e32 v114, -1, v0
	v_add_nc_u32_e32 v115, 0x1b0, v111
	v_mov_b32_e32 v110, 0
	v_mov_b32_e32 v116, v111
	s_mov_b32 s5, 0
.LBB53_105:                             ; =>This Inner Loop Header: Depth=1
	s_clause 0x1
	buffer_load_dword v117, v116, s[0:3], 0 offen
	buffer_load_dword v118, v116, s[0:3], 0 offen offset:4
	ds_read_b64 v[119:120], v115
	v_add_nc_u32_e32 v114, 1, v114
	v_add_nc_u32_e32 v115, 8, v115
	v_add_nc_u32_e32 v116, 8, v116
	v_cmp_lt_u32_e32 vcc_lo, 22, v114
	s_or_b32 s5, vcc_lo, s5
	s_waitcnt vmcnt(0) lgkmcnt(0)
	v_fma_f64 v[109:110], v[117:118], v[119:120], v[109:110]
	s_andn2_b32 exec_lo, exec_lo, s5
	s_cbranch_execnz .LBB53_105
; %bb.106:
	s_or_b32 exec_lo, exec_lo, s5
	v_mov_b32_e32 v114, 0
	ds_read_b64 v[114:115], v114 offset:192
	s_waitcnt lgkmcnt(0)
	v_mul_f64 v[109:110], v[109:110], v[114:115]
	buffer_store_dword v110, off, s[0:3], 0 offset:196
	buffer_store_dword v109, off, s[0:3], 0 offset:192
.LBB53_107:
	s_or_b32 exec_lo, exec_lo, s4
	s_waitcnt_vscnt null, 0x0
	s_barrier
	buffer_gl0_inv
	s_clause 0x1
	buffer_load_dword v109, off, s[0:3], 0 offset:200
	buffer_load_dword v110, off, s[0:3], 0 offset:204
	;; [unrolled: 45-line block ×30, first 2 shown]
	s_mov_b32 s4, exec_lo
	s_waitcnt vmcnt(0)
	ds_write_b64 v112, v[109:110]
	s_waitcnt lgkmcnt(0)
	s_barrier
	buffer_gl0_inv
	v_cmpx_ne_u32_e32 53, v0
	s_cbranch_execz .LBB53_223
; %bb.220:
	v_mov_b32_e32 v109, 0
	v_mov_b32_e32 v110, 0
	s_mov_b32 s5, 0
.LBB53_221:                             ; =>This Inner Loop Header: Depth=1
	s_clause 0x1
	buffer_load_dword v114, v111, s[0:3], 0 offen
	buffer_load_dword v115, v111, s[0:3], 0 offen offset:4
	ds_read_b64 v[116:117], v112
	v_add_nc_u32_e32 v113, 1, v113
	v_add_nc_u32_e32 v112, 8, v112
	;; [unrolled: 1-line block ×3, first 2 shown]
	v_cmp_lt_u32_e32 vcc_lo, 51, v113
	s_or_b32 s5, vcc_lo, s5
	s_waitcnt vmcnt(0) lgkmcnt(0)
	v_fma_f64 v[109:110], v[114:115], v[116:117], v[109:110]
	s_andn2_b32 exec_lo, exec_lo, s5
	s_cbranch_execnz .LBB53_221
; %bb.222:
	s_or_b32 exec_lo, exec_lo, s5
	v_mov_b32_e32 v111, 0
	ds_read_b64 v[111:112], v111 offset:424
	s_waitcnt lgkmcnt(0)
	v_mul_f64 v[109:110], v[109:110], v[111:112]
	buffer_store_dword v110, off, s[0:3], 0 offset:428
	buffer_store_dword v109, off, s[0:3], 0 offset:424
.LBB53_223:
	s_or_b32 exec_lo, exec_lo, s4
	s_mov_b32 s5, -1
	s_waitcnt_vscnt null, 0x0
	s_barrier
	buffer_gl0_inv
.LBB53_224:
	s_and_b32 vcc_lo, exec_lo, s5
	s_cbranch_vccz .LBB53_226
; %bb.225:
	s_lshl_b64 s[4:5], s[6:7], 2
	v_mov_b32_e32 v109, 0
	s_add_u32 s4, s10, s4
	s_addc_u32 s5, s11, s5
	global_load_dword v109, v109, s[4:5]
	s_waitcnt vmcnt(0)
	v_cmp_ne_u32_e32 vcc_lo, 0, v109
	s_cbranch_vccz .LBB53_227
.LBB53_226:
	s_endpgm
.LBB53_227:
	v_lshl_add_u32 v109, v0, 3, 0x1b0
	s_mov_b32 s4, exec_lo
	v_cmpx_eq_u32_e32 53, v0
	s_cbranch_execz .LBB53_229
; %bb.228:
	s_clause 0x1
	buffer_load_dword v110, off, s[0:3], 0 offset:416
	buffer_load_dword v111, off, s[0:3], 0 offset:420
	v_mov_b32_e32 v112, 0
	buffer_store_dword v112, off, s[0:3], 0 offset:416
	buffer_store_dword v112, off, s[0:3], 0 offset:420
	s_waitcnt vmcnt(0)
	ds_write_b64 v109, v[110:111]
.LBB53_229:
	s_or_b32 exec_lo, exec_lo, s4
	s_waitcnt lgkmcnt(0)
	s_waitcnt_vscnt null, 0x0
	s_barrier
	buffer_gl0_inv
	s_clause 0x3
	buffer_load_dword v111, off, s[0:3], 0 offset:424
	buffer_load_dword v112, off, s[0:3], 0 offset:428
	;; [unrolled: 1-line block ×4, first 2 shown]
	v_mov_b32_e32 v110, 0
	s_mov_b32 s4, exec_lo
	ds_read_b64 v[115:116], v110 offset:856
	s_waitcnt vmcnt(2) lgkmcnt(0)
	v_fma_f64 v[111:112], v[111:112], v[115:116], 0
	s_waitcnt vmcnt(0)
	v_add_f64 v[111:112], v[113:114], -v[111:112]
	buffer_store_dword v111, off, s[0:3], 0 offset:416
	buffer_store_dword v112, off, s[0:3], 0 offset:420
	v_cmpx_lt_u32_e32 51, v0
	s_cbranch_execz .LBB53_231
; %bb.230:
	s_clause 0x1
	buffer_load_dword v111, off, s[0:3], 0 offset:408
	buffer_load_dword v112, off, s[0:3], 0 offset:412
	buffer_store_dword v110, off, s[0:3], 0 offset:408
	buffer_store_dword v110, off, s[0:3], 0 offset:412
	s_waitcnt vmcnt(0)
	ds_write_b64 v109, v[111:112]
.LBB53_231:
	s_or_b32 exec_lo, exec_lo, s4
	s_waitcnt lgkmcnt(0)
	s_waitcnt_vscnt null, 0x0
	s_barrier
	buffer_gl0_inv
	s_clause 0x5
	buffer_load_dword v114, off, s[0:3], 0 offset:416
	buffer_load_dword v115, off, s[0:3], 0 offset:420
	;; [unrolled: 1-line block ×6, first 2 shown]
	ds_read_b128 v[110:113], v110 offset:848
	s_mov_b32 s4, exec_lo
	s_waitcnt vmcnt(4) lgkmcnt(0)
	v_fma_f64 v[110:111], v[114:115], v[110:111], 0
	s_waitcnt vmcnt(2)
	v_fma_f64 v[110:111], v[116:117], v[112:113], v[110:111]
	s_waitcnt vmcnt(0)
	v_add_f64 v[110:111], v[118:119], -v[110:111]
	buffer_store_dword v110, off, s[0:3], 0 offset:408
	buffer_store_dword v111, off, s[0:3], 0 offset:412
	v_cmpx_lt_u32_e32 50, v0
	s_cbranch_execz .LBB53_233
; %bb.232:
	s_clause 0x1
	buffer_load_dword v110, off, s[0:3], 0 offset:400
	buffer_load_dword v111, off, s[0:3], 0 offset:404
	v_mov_b32_e32 v112, 0
	buffer_store_dword v112, off, s[0:3], 0 offset:400
	buffer_store_dword v112, off, s[0:3], 0 offset:404
	s_waitcnt vmcnt(0)
	ds_write_b64 v109, v[110:111]
.LBB53_233:
	s_or_b32 exec_lo, exec_lo, s4
	s_waitcnt lgkmcnt(0)
	s_waitcnt_vscnt null, 0x0
	s_barrier
	buffer_gl0_inv
	s_clause 0x7
	buffer_load_dword v115, off, s[0:3], 0 offset:408
	buffer_load_dword v116, off, s[0:3], 0 offset:412
	buffer_load_dword v117, off, s[0:3], 0 offset:416
	buffer_load_dword v118, off, s[0:3], 0 offset:420
	buffer_load_dword v119, off, s[0:3], 0 offset:424
	buffer_load_dword v120, off, s[0:3], 0 offset:428
	buffer_load_dword v121, off, s[0:3], 0 offset:400
	buffer_load_dword v122, off, s[0:3], 0 offset:404
	v_mov_b32_e32 v110, 0
	ds_read2_b64 v[111:114], v110 offset0:105 offset1:106
	ds_read_b64 v[123:124], v110 offset:856
	s_mov_b32 s4, exec_lo
	s_waitcnt vmcnt(6) lgkmcnt(1)
	v_fma_f64 v[111:112], v[115:116], v[111:112], 0
	s_waitcnt vmcnt(4)
	v_fma_f64 v[111:112], v[117:118], v[113:114], v[111:112]
	s_waitcnt vmcnt(2) lgkmcnt(0)
	v_fma_f64 v[111:112], v[119:120], v[123:124], v[111:112]
	s_waitcnt vmcnt(0)
	v_add_f64 v[111:112], v[121:122], -v[111:112]
	buffer_store_dword v111, off, s[0:3], 0 offset:400
	buffer_store_dword v112, off, s[0:3], 0 offset:404
	v_cmpx_lt_u32_e32 49, v0
	s_cbranch_execz .LBB53_235
; %bb.234:
	s_clause 0x1
	buffer_load_dword v111, off, s[0:3], 0 offset:392
	buffer_load_dword v112, off, s[0:3], 0 offset:396
	buffer_store_dword v110, off, s[0:3], 0 offset:392
	buffer_store_dword v110, off, s[0:3], 0 offset:396
	s_waitcnt vmcnt(0)
	ds_write_b64 v109, v[111:112]
.LBB53_235:
	s_or_b32 exec_lo, exec_lo, s4
	s_waitcnt lgkmcnt(0)
	s_waitcnt_vscnt null, 0x0
	s_barrier
	buffer_gl0_inv
	s_clause 0x9
	buffer_load_dword v119, off, s[0:3], 0 offset:400
	buffer_load_dword v120, off, s[0:3], 0 offset:404
	buffer_load_dword v121, off, s[0:3], 0 offset:408
	buffer_load_dword v122, off, s[0:3], 0 offset:412
	buffer_load_dword v123, off, s[0:3], 0 offset:416
	buffer_load_dword v124, off, s[0:3], 0 offset:420
	buffer_load_dword v125, off, s[0:3], 0 offset:424
	buffer_load_dword v126, off, s[0:3], 0 offset:428
	buffer_load_dword v127, off, s[0:3], 0 offset:392
	buffer_load_dword v128, off, s[0:3], 0 offset:396
	ds_read_b128 v[111:114], v110 offset:832
	ds_read_b128 v[115:118], v110 offset:848
	s_mov_b32 s4, exec_lo
	s_waitcnt vmcnt(8) lgkmcnt(1)
	v_fma_f64 v[110:111], v[119:120], v[111:112], 0
	s_waitcnt vmcnt(6)
	v_fma_f64 v[110:111], v[121:122], v[113:114], v[110:111]
	s_waitcnt vmcnt(4) lgkmcnt(0)
	v_fma_f64 v[110:111], v[123:124], v[115:116], v[110:111]
	s_waitcnt vmcnt(2)
	v_fma_f64 v[110:111], v[125:126], v[117:118], v[110:111]
	s_waitcnt vmcnt(0)
	v_add_f64 v[110:111], v[127:128], -v[110:111]
	buffer_store_dword v110, off, s[0:3], 0 offset:392
	buffer_store_dword v111, off, s[0:3], 0 offset:396
	v_cmpx_lt_u32_e32 48, v0
	s_cbranch_execz .LBB53_237
; %bb.236:
	s_clause 0x1
	buffer_load_dword v110, off, s[0:3], 0 offset:384
	buffer_load_dword v111, off, s[0:3], 0 offset:388
	v_mov_b32_e32 v112, 0
	buffer_store_dword v112, off, s[0:3], 0 offset:384
	buffer_store_dword v112, off, s[0:3], 0 offset:388
	s_waitcnt vmcnt(0)
	ds_write_b64 v109, v[110:111]
.LBB53_237:
	s_or_b32 exec_lo, exec_lo, s4
	s_waitcnt lgkmcnt(0)
	s_waitcnt_vscnt null, 0x0
	s_barrier
	buffer_gl0_inv
	s_clause 0xb
	buffer_load_dword v119, off, s[0:3], 0 offset:392
	buffer_load_dword v120, off, s[0:3], 0 offset:396
	;; [unrolled: 1-line block ×12, first 2 shown]
	v_mov_b32_e32 v110, 0
	ds_read2_b64 v[111:114], v110 offset0:103 offset1:104
	ds_read2_b64 v[115:118], v110 offset0:105 offset1:106
	s_mov_b32 s4, exec_lo
	s_waitcnt vmcnt(10) lgkmcnt(1)
	v_fma_f64 v[111:112], v[119:120], v[111:112], 0
	s_waitcnt vmcnt(8)
	v_fma_f64 v[111:112], v[121:122], v[113:114], v[111:112]
	ds_read_b64 v[113:114], v110 offset:856
	s_waitcnt vmcnt(6) lgkmcnt(1)
	v_fma_f64 v[111:112], v[123:124], v[115:116], v[111:112]
	s_waitcnt vmcnt(4)
	v_fma_f64 v[111:112], v[125:126], v[117:118], v[111:112]
	s_waitcnt vmcnt(2) lgkmcnt(0)
	v_fma_f64 v[111:112], v[127:128], v[113:114], v[111:112]
	s_waitcnt vmcnt(0)
	v_add_f64 v[111:112], v[129:130], -v[111:112]
	buffer_store_dword v111, off, s[0:3], 0 offset:384
	buffer_store_dword v112, off, s[0:3], 0 offset:388
	v_cmpx_lt_u32_e32 47, v0
	s_cbranch_execz .LBB53_239
; %bb.238:
	s_clause 0x1
	buffer_load_dword v111, off, s[0:3], 0 offset:376
	buffer_load_dword v112, off, s[0:3], 0 offset:380
	buffer_store_dword v110, off, s[0:3], 0 offset:376
	buffer_store_dword v110, off, s[0:3], 0 offset:380
	s_waitcnt vmcnt(0)
	ds_write_b64 v109, v[111:112]
.LBB53_239:
	s_or_b32 exec_lo, exec_lo, s4
	s_waitcnt lgkmcnt(0)
	s_waitcnt_vscnt null, 0x0
	s_barrier
	buffer_gl0_inv
	s_clause 0xd
	buffer_load_dword v119, off, s[0:3], 0 offset:384
	buffer_load_dword v120, off, s[0:3], 0 offset:388
	buffer_load_dword v121, off, s[0:3], 0 offset:392
	buffer_load_dword v122, off, s[0:3], 0 offset:396
	buffer_load_dword v123, off, s[0:3], 0 offset:400
	buffer_load_dword v124, off, s[0:3], 0 offset:404
	buffer_load_dword v125, off, s[0:3], 0 offset:408
	buffer_load_dword v126, off, s[0:3], 0 offset:412
	buffer_load_dword v127, off, s[0:3], 0 offset:416
	buffer_load_dword v128, off, s[0:3], 0 offset:420
	buffer_load_dword v129, off, s[0:3], 0 offset:424
	buffer_load_dword v130, off, s[0:3], 0 offset:428
	buffer_load_dword v131, off, s[0:3], 0 offset:376
	buffer_load_dword v132, off, s[0:3], 0 offset:380
	ds_read_b128 v[111:114], v110 offset:816
	ds_read_b128 v[115:118], v110 offset:832
	s_mov_b32 s4, exec_lo
	s_waitcnt vmcnt(12) lgkmcnt(1)
	v_fma_f64 v[111:112], v[119:120], v[111:112], 0
	s_waitcnt vmcnt(10)
	v_fma_f64 v[111:112], v[121:122], v[113:114], v[111:112]
	s_waitcnt vmcnt(8) lgkmcnt(0)
	v_fma_f64 v[111:112], v[123:124], v[115:116], v[111:112]
	s_waitcnt vmcnt(6)
	v_fma_f64 v[114:115], v[125:126], v[117:118], v[111:112]
	ds_read_b128 v[110:113], v110 offset:848
	s_waitcnt vmcnt(4) lgkmcnt(0)
	v_fma_f64 v[110:111], v[127:128], v[110:111], v[114:115]
	s_waitcnt vmcnt(2)
	v_fma_f64 v[110:111], v[129:130], v[112:113], v[110:111]
	s_waitcnt vmcnt(0)
	v_add_f64 v[110:111], v[131:132], -v[110:111]
	buffer_store_dword v110, off, s[0:3], 0 offset:376
	buffer_store_dword v111, off, s[0:3], 0 offset:380
	v_cmpx_lt_u32_e32 46, v0
	s_cbranch_execz .LBB53_241
; %bb.240:
	s_clause 0x1
	buffer_load_dword v110, off, s[0:3], 0 offset:368
	buffer_load_dword v111, off, s[0:3], 0 offset:372
	v_mov_b32_e32 v112, 0
	buffer_store_dword v112, off, s[0:3], 0 offset:368
	buffer_store_dword v112, off, s[0:3], 0 offset:372
	s_waitcnt vmcnt(0)
	ds_write_b64 v109, v[110:111]
.LBB53_241:
	s_or_b32 exec_lo, exec_lo, s4
	s_waitcnt lgkmcnt(0)
	s_waitcnt_vscnt null, 0x0
	s_barrier
	buffer_gl0_inv
	s_clause 0xf
	buffer_load_dword v119, off, s[0:3], 0 offset:376
	buffer_load_dword v120, off, s[0:3], 0 offset:380
	;; [unrolled: 1-line block ×16, first 2 shown]
	v_mov_b32_e32 v110, 0
	ds_read2_b64 v[111:114], v110 offset0:101 offset1:102
	ds_read2_b64 v[115:118], v110 offset0:103 offset1:104
	s_mov_b32 s4, exec_lo
	s_waitcnt vmcnt(14) lgkmcnt(1)
	v_fma_f64 v[111:112], v[119:120], v[111:112], 0
	s_waitcnt vmcnt(12)
	v_fma_f64 v[111:112], v[121:122], v[113:114], v[111:112]
	s_waitcnt vmcnt(10) lgkmcnt(0)
	v_fma_f64 v[111:112], v[123:124], v[115:116], v[111:112]
	s_waitcnt vmcnt(8)
	v_fma_f64 v[115:116], v[125:126], v[117:118], v[111:112]
	ds_read2_b64 v[111:114], v110 offset0:105 offset1:106
	ds_read_b64 v[117:118], v110 offset:856
	s_waitcnt vmcnt(6) lgkmcnt(1)
	v_fma_f64 v[111:112], v[127:128], v[111:112], v[115:116]
	s_waitcnt vmcnt(4)
	v_fma_f64 v[111:112], v[129:130], v[113:114], v[111:112]
	s_waitcnt vmcnt(2) lgkmcnt(0)
	v_fma_f64 v[111:112], v[131:132], v[117:118], v[111:112]
	s_waitcnt vmcnt(0)
	v_add_f64 v[111:112], v[133:134], -v[111:112]
	buffer_store_dword v111, off, s[0:3], 0 offset:368
	buffer_store_dword v112, off, s[0:3], 0 offset:372
	v_cmpx_lt_u32_e32 45, v0
	s_cbranch_execz .LBB53_243
; %bb.242:
	s_clause 0x1
	buffer_load_dword v111, off, s[0:3], 0 offset:360
	buffer_load_dword v112, off, s[0:3], 0 offset:364
	buffer_store_dword v110, off, s[0:3], 0 offset:360
	buffer_store_dword v110, off, s[0:3], 0 offset:364
	s_waitcnt vmcnt(0)
	ds_write_b64 v109, v[111:112]
.LBB53_243:
	s_or_b32 exec_lo, exec_lo, s4
	s_waitcnt lgkmcnt(0)
	s_waitcnt_vscnt null, 0x0
	s_barrier
	buffer_gl0_inv
	s_clause 0x11
	buffer_load_dword v119, off, s[0:3], 0 offset:368
	buffer_load_dword v120, off, s[0:3], 0 offset:372
	buffer_load_dword v121, off, s[0:3], 0 offset:376
	buffer_load_dword v122, off, s[0:3], 0 offset:380
	buffer_load_dword v123, off, s[0:3], 0 offset:384
	buffer_load_dword v124, off, s[0:3], 0 offset:388
	buffer_load_dword v125, off, s[0:3], 0 offset:392
	buffer_load_dword v126, off, s[0:3], 0 offset:396
	buffer_load_dword v127, off, s[0:3], 0 offset:400
	buffer_load_dword v128, off, s[0:3], 0 offset:404
	buffer_load_dword v129, off, s[0:3], 0 offset:408
	buffer_load_dword v130, off, s[0:3], 0 offset:412
	buffer_load_dword v131, off, s[0:3], 0 offset:416
	buffer_load_dword v132, off, s[0:3], 0 offset:420
	buffer_load_dword v134, off, s[0:3], 0 offset:428
	buffer_load_dword v133, off, s[0:3], 0 offset:424
	buffer_load_dword v135, off, s[0:3], 0 offset:360
	buffer_load_dword v136, off, s[0:3], 0 offset:364
	ds_read_b128 v[111:114], v110 offset:800
	ds_read_b128 v[115:118], v110 offset:816
	s_mov_b32 s4, exec_lo
	s_waitcnt vmcnt(16) lgkmcnt(1)
	v_fma_f64 v[111:112], v[119:120], v[111:112], 0
	s_waitcnt vmcnt(14)
	v_fma_f64 v[111:112], v[121:122], v[113:114], v[111:112]
	s_waitcnt vmcnt(12) lgkmcnt(0)
	v_fma_f64 v[111:112], v[123:124], v[115:116], v[111:112]
	s_waitcnt vmcnt(10)
	v_fma_f64 v[119:120], v[125:126], v[117:118], v[111:112]
	ds_read_b128 v[111:114], v110 offset:832
	ds_read_b128 v[115:118], v110 offset:848
	s_waitcnt vmcnt(8) lgkmcnt(1)
	v_fma_f64 v[110:111], v[127:128], v[111:112], v[119:120]
	s_waitcnt vmcnt(6)
	v_fma_f64 v[110:111], v[129:130], v[113:114], v[110:111]
	s_waitcnt vmcnt(4) lgkmcnt(0)
	v_fma_f64 v[110:111], v[131:132], v[115:116], v[110:111]
	s_waitcnt vmcnt(2)
	v_fma_f64 v[110:111], v[133:134], v[117:118], v[110:111]
	s_waitcnt vmcnt(0)
	v_add_f64 v[110:111], v[135:136], -v[110:111]
	buffer_store_dword v110, off, s[0:3], 0 offset:360
	buffer_store_dword v111, off, s[0:3], 0 offset:364
	v_cmpx_lt_u32_e32 44, v0
	s_cbranch_execz .LBB53_245
; %bb.244:
	s_clause 0x1
	buffer_load_dword v110, off, s[0:3], 0 offset:352
	buffer_load_dword v111, off, s[0:3], 0 offset:356
	v_mov_b32_e32 v112, 0
	buffer_store_dword v112, off, s[0:3], 0 offset:352
	buffer_store_dword v112, off, s[0:3], 0 offset:356
	s_waitcnt vmcnt(0)
	ds_write_b64 v109, v[110:111]
.LBB53_245:
	s_or_b32 exec_lo, exec_lo, s4
	s_waitcnt lgkmcnt(0)
	s_waitcnt_vscnt null, 0x0
	s_barrier
	buffer_gl0_inv
	s_clause 0x13
	buffer_load_dword v119, off, s[0:3], 0 offset:360
	buffer_load_dword v120, off, s[0:3], 0 offset:364
	;; [unrolled: 1-line block ×20, first 2 shown]
	v_mov_b32_e32 v110, 0
	ds_read2_b64 v[111:114], v110 offset0:99 offset1:100
	ds_read2_b64 v[115:118], v110 offset0:101 offset1:102
	s_mov_b32 s4, exec_lo
	s_waitcnt vmcnt(18) lgkmcnt(1)
	v_fma_f64 v[111:112], v[119:120], v[111:112], 0
	s_waitcnt vmcnt(16)
	v_fma_f64 v[111:112], v[121:122], v[113:114], v[111:112]
	s_waitcnt vmcnt(14) lgkmcnt(0)
	v_fma_f64 v[111:112], v[123:124], v[115:116], v[111:112]
	s_waitcnt vmcnt(12)
	v_fma_f64 v[119:120], v[125:126], v[117:118], v[111:112]
	ds_read2_b64 v[111:114], v110 offset0:103 offset1:104
	ds_read2_b64 v[115:118], v110 offset0:105 offset1:106
	s_waitcnt vmcnt(10) lgkmcnt(1)
	v_fma_f64 v[111:112], v[127:128], v[111:112], v[119:120]
	s_waitcnt vmcnt(8)
	v_fma_f64 v[111:112], v[129:130], v[113:114], v[111:112]
	ds_read_b64 v[113:114], v110 offset:856
	s_waitcnt vmcnt(6) lgkmcnt(1)
	v_fma_f64 v[111:112], v[131:132], v[115:116], v[111:112]
	s_waitcnt vmcnt(3)
	v_fma_f64 v[111:112], v[133:134], v[117:118], v[111:112]
	s_waitcnt vmcnt(2) lgkmcnt(0)
	v_fma_f64 v[111:112], v[135:136], v[113:114], v[111:112]
	s_waitcnt vmcnt(0)
	v_add_f64 v[111:112], v[137:138], -v[111:112]
	buffer_store_dword v111, off, s[0:3], 0 offset:352
	buffer_store_dword v112, off, s[0:3], 0 offset:356
	v_cmpx_lt_u32_e32 43, v0
	s_cbranch_execz .LBB53_247
; %bb.246:
	s_clause 0x1
	buffer_load_dword v111, off, s[0:3], 0 offset:344
	buffer_load_dword v112, off, s[0:3], 0 offset:348
	buffer_store_dword v110, off, s[0:3], 0 offset:344
	buffer_store_dword v110, off, s[0:3], 0 offset:348
	s_waitcnt vmcnt(0)
	ds_write_b64 v109, v[111:112]
.LBB53_247:
	s_or_b32 exec_lo, exec_lo, s4
	s_waitcnt lgkmcnt(0)
	s_waitcnt_vscnt null, 0x0
	s_barrier
	buffer_gl0_inv
	s_clause 0x15
	buffer_load_dword v119, off, s[0:3], 0 offset:352
	buffer_load_dword v120, off, s[0:3], 0 offset:356
	buffer_load_dword v121, off, s[0:3], 0 offset:360
	buffer_load_dword v122, off, s[0:3], 0 offset:364
	buffer_load_dword v123, off, s[0:3], 0 offset:368
	buffer_load_dword v124, off, s[0:3], 0 offset:372
	buffer_load_dword v125, off, s[0:3], 0 offset:376
	buffer_load_dword v126, off, s[0:3], 0 offset:380
	buffer_load_dword v127, off, s[0:3], 0 offset:384
	buffer_load_dword v128, off, s[0:3], 0 offset:388
	buffer_load_dword v129, off, s[0:3], 0 offset:392
	buffer_load_dword v130, off, s[0:3], 0 offset:396
	buffer_load_dword v131, off, s[0:3], 0 offset:400
	buffer_load_dword v132, off, s[0:3], 0 offset:404
	buffer_load_dword v134, off, s[0:3], 0 offset:412
	buffer_load_dword v135, off, s[0:3], 0 offset:424
	buffer_load_dword v137, off, s[0:3], 0 offset:416
	buffer_load_dword v133, off, s[0:3], 0 offset:408
	buffer_load_dword v138, off, s[0:3], 0 offset:420
	buffer_load_dword v136, off, s[0:3], 0 offset:428
	buffer_load_dword v139, off, s[0:3], 0 offset:344
	buffer_load_dword v140, off, s[0:3], 0 offset:348
	ds_read_b128 v[111:114], v110 offset:784
	ds_read_b128 v[115:118], v110 offset:800
	s_mov_b32 s4, exec_lo
	s_waitcnt vmcnt(20) lgkmcnt(1)
	v_fma_f64 v[111:112], v[119:120], v[111:112], 0
	s_waitcnt vmcnt(18)
	v_fma_f64 v[111:112], v[121:122], v[113:114], v[111:112]
	s_waitcnt vmcnt(16) lgkmcnt(0)
	v_fma_f64 v[111:112], v[123:124], v[115:116], v[111:112]
	s_waitcnt vmcnt(14)
	v_fma_f64 v[119:120], v[125:126], v[117:118], v[111:112]
	ds_read_b128 v[111:114], v110 offset:816
	ds_read_b128 v[115:118], v110 offset:832
	s_waitcnt vmcnt(12) lgkmcnt(1)
	v_fma_f64 v[111:112], v[127:128], v[111:112], v[119:120]
	s_waitcnt vmcnt(10)
	v_fma_f64 v[111:112], v[129:130], v[113:114], v[111:112]
	s_waitcnt vmcnt(8) lgkmcnt(0)
	v_fma_f64 v[111:112], v[131:132], v[115:116], v[111:112]
	s_waitcnt vmcnt(4)
	v_fma_f64 v[114:115], v[133:134], v[117:118], v[111:112]
	ds_read_b128 v[110:113], v110 offset:848
	s_waitcnt vmcnt(3) lgkmcnt(0)
	v_fma_f64 v[110:111], v[137:138], v[110:111], v[114:115]
	s_waitcnt vmcnt(2)
	v_fma_f64 v[110:111], v[135:136], v[112:113], v[110:111]
	s_waitcnt vmcnt(0)
	v_add_f64 v[110:111], v[139:140], -v[110:111]
	buffer_store_dword v110, off, s[0:3], 0 offset:344
	buffer_store_dword v111, off, s[0:3], 0 offset:348
	v_cmpx_lt_u32_e32 42, v0
	s_cbranch_execz .LBB53_249
; %bb.248:
	s_clause 0x1
	buffer_load_dword v110, off, s[0:3], 0 offset:336
	buffer_load_dword v111, off, s[0:3], 0 offset:340
	v_mov_b32_e32 v112, 0
	buffer_store_dword v112, off, s[0:3], 0 offset:336
	buffer_store_dword v112, off, s[0:3], 0 offset:340
	s_waitcnt vmcnt(0)
	ds_write_b64 v109, v[110:111]
.LBB53_249:
	s_or_b32 exec_lo, exec_lo, s4
	s_waitcnt lgkmcnt(0)
	s_waitcnt_vscnt null, 0x0
	s_barrier
	buffer_gl0_inv
	s_clause 0x17
	buffer_load_dword v115, off, s[0:3], 0 offset:344
	buffer_load_dword v116, off, s[0:3], 0 offset:348
	;; [unrolled: 1-line block ×24, first 2 shown]
	v_mov_b32_e32 v110, 0
	s_mov_b32 s4, exec_lo
	ds_read2_b64 v[111:114], v110 offset0:97 offset1:98
	s_waitcnt vmcnt(22) lgkmcnt(0)
	v_fma_f64 v[111:112], v[115:116], v[111:112], 0
	s_waitcnt vmcnt(20)
	v_fma_f64 v[115:116], v[117:118], v[113:114], v[111:112]
	ds_read2_b64 v[111:114], v110 offset0:99 offset1:100
	s_waitcnt vmcnt(18) lgkmcnt(0)
	v_fma_f64 v[111:112], v[119:120], v[111:112], v[115:116]
	s_waitcnt vmcnt(16)
	v_fma_f64 v[115:116], v[121:122], v[113:114], v[111:112]
	;; [unrolled: 5-line block ×5, first 2 shown]
	ds_read_b64 v[113:114], v110 offset:856
	s_waitcnt vmcnt(2) lgkmcnt(0)
	v_fma_f64 v[111:112], v[135:136], v[113:114], v[111:112]
	s_waitcnt vmcnt(0)
	v_add_f64 v[111:112], v[137:138], -v[111:112]
	buffer_store_dword v112, off, s[0:3], 0 offset:340
	buffer_store_dword v111, off, s[0:3], 0 offset:336
	v_cmpx_lt_u32_e32 41, v0
	s_cbranch_execz .LBB53_251
; %bb.250:
	s_clause 0x1
	buffer_load_dword v111, off, s[0:3], 0 offset:328
	buffer_load_dword v112, off, s[0:3], 0 offset:332
	buffer_store_dword v110, off, s[0:3], 0 offset:328
	buffer_store_dword v110, off, s[0:3], 0 offset:332
	s_waitcnt vmcnt(0)
	ds_write_b64 v109, v[111:112]
.LBB53_251:
	s_or_b32 exec_lo, exec_lo, s4
	s_waitcnt lgkmcnt(0)
	s_waitcnt_vscnt null, 0x0
	s_barrier
	buffer_gl0_inv
	s_clause 0x19
	buffer_load_dword v115, off, s[0:3], 0 offset:336
	buffer_load_dword v116, off, s[0:3], 0 offset:340
	;; [unrolled: 1-line block ×26, first 2 shown]
	ds_read_b128 v[111:114], v110 offset:768
	s_mov_b32 s4, exec_lo
	s_waitcnt vmcnt(24) lgkmcnt(0)
	v_fma_f64 v[111:112], v[115:116], v[111:112], 0
	s_waitcnt vmcnt(22)
	v_fma_f64 v[115:116], v[117:118], v[113:114], v[111:112]
	ds_read_b128 v[111:114], v110 offset:784
	s_waitcnt vmcnt(20) lgkmcnt(0)
	v_fma_f64 v[111:112], v[119:120], v[111:112], v[115:116]
	s_waitcnt vmcnt(18)
	v_fma_f64 v[115:116], v[121:122], v[113:114], v[111:112]
	ds_read_b128 v[111:114], v110 offset:800
	;; [unrolled: 5-line block ×5, first 2 shown]
	s_waitcnt vmcnt(4) lgkmcnt(0)
	v_fma_f64 v[110:111], v[135:136], v[110:111], v[114:115]
	s_waitcnt vmcnt(2)
	v_fma_f64 v[110:111], v[137:138], v[112:113], v[110:111]
	s_waitcnt vmcnt(0)
	v_add_f64 v[110:111], v[139:140], -v[110:111]
	buffer_store_dword v111, off, s[0:3], 0 offset:332
	buffer_store_dword v110, off, s[0:3], 0 offset:328
	v_cmpx_lt_u32_e32 40, v0
	s_cbranch_execz .LBB53_253
; %bb.252:
	s_clause 0x1
	buffer_load_dword v110, off, s[0:3], 0 offset:320
	buffer_load_dword v111, off, s[0:3], 0 offset:324
	v_mov_b32_e32 v112, 0
	buffer_store_dword v112, off, s[0:3], 0 offset:320
	buffer_store_dword v112, off, s[0:3], 0 offset:324
	s_waitcnt vmcnt(0)
	ds_write_b64 v109, v[110:111]
.LBB53_253:
	s_or_b32 exec_lo, exec_lo, s4
	s_waitcnt lgkmcnt(0)
	s_waitcnt_vscnt null, 0x0
	s_barrier
	buffer_gl0_inv
	s_clause 0x1b
	buffer_load_dword v115, off, s[0:3], 0 offset:328
	buffer_load_dword v116, off, s[0:3], 0 offset:332
	buffer_load_dword v117, off, s[0:3], 0 offset:336
	buffer_load_dword v118, off, s[0:3], 0 offset:340
	buffer_load_dword v119, off, s[0:3], 0 offset:344
	buffer_load_dword v120, off, s[0:3], 0 offset:348
	buffer_load_dword v121, off, s[0:3], 0 offset:352
	buffer_load_dword v122, off, s[0:3], 0 offset:356
	buffer_load_dword v123, off, s[0:3], 0 offset:360
	buffer_load_dword v124, off, s[0:3], 0 offset:364
	buffer_load_dword v125, off, s[0:3], 0 offset:368
	buffer_load_dword v126, off, s[0:3], 0 offset:372
	buffer_load_dword v127, off, s[0:3], 0 offset:376
	buffer_load_dword v128, off, s[0:3], 0 offset:380
	buffer_load_dword v130, off, s[0:3], 0 offset:388
	buffer_load_dword v129, off, s[0:3], 0 offset:384
	buffer_load_dword v131, off, s[0:3], 0 offset:392
	buffer_load_dword v132, off, s[0:3], 0 offset:396
	buffer_load_dword v133, off, s[0:3], 0 offset:400
	buffer_load_dword v134, off, s[0:3], 0 offset:404
	buffer_load_dword v135, off, s[0:3], 0 offset:408
	buffer_load_dword v136, off, s[0:3], 0 offset:412
	buffer_load_dword v138, off, s[0:3], 0 offset:420
	buffer_load_dword v137, off, s[0:3], 0 offset:416
	buffer_load_dword v139, off, s[0:3], 0 offset:424
	buffer_load_dword v140, off, s[0:3], 0 offset:428
	buffer_load_dword v141, off, s[0:3], 0 offset:320
	buffer_load_dword v142, off, s[0:3], 0 offset:324
	v_mov_b32_e32 v110, 0
	s_mov_b32 s4, exec_lo
	ds_read2_b64 v[111:114], v110 offset0:95 offset1:96
	s_waitcnt vmcnt(26) lgkmcnt(0)
	v_fma_f64 v[111:112], v[115:116], v[111:112], 0
	s_waitcnt vmcnt(24)
	v_fma_f64 v[115:116], v[117:118], v[113:114], v[111:112]
	ds_read2_b64 v[111:114], v110 offset0:97 offset1:98
	s_waitcnt vmcnt(22) lgkmcnt(0)
	v_fma_f64 v[111:112], v[119:120], v[111:112], v[115:116]
	s_waitcnt vmcnt(20)
	v_fma_f64 v[115:116], v[121:122], v[113:114], v[111:112]
	;; [unrolled: 5-line block ×6, first 2 shown]
	ds_read_b64 v[113:114], v110 offset:856
	s_waitcnt vmcnt(2) lgkmcnt(0)
	v_fma_f64 v[111:112], v[139:140], v[113:114], v[111:112]
	s_waitcnt vmcnt(0)
	v_add_f64 v[111:112], v[141:142], -v[111:112]
	buffer_store_dword v112, off, s[0:3], 0 offset:324
	buffer_store_dword v111, off, s[0:3], 0 offset:320
	v_cmpx_lt_u32_e32 39, v0
	s_cbranch_execz .LBB53_255
; %bb.254:
	s_clause 0x1
	buffer_load_dword v111, off, s[0:3], 0 offset:312
	buffer_load_dword v112, off, s[0:3], 0 offset:316
	buffer_store_dword v110, off, s[0:3], 0 offset:312
	buffer_store_dword v110, off, s[0:3], 0 offset:316
	s_waitcnt vmcnt(0)
	ds_write_b64 v109, v[111:112]
.LBB53_255:
	s_or_b32 exec_lo, exec_lo, s4
	s_waitcnt lgkmcnt(0)
	s_waitcnt_vscnt null, 0x0
	s_barrier
	buffer_gl0_inv
	s_clause 0x1b
	buffer_load_dword v119, off, s[0:3], 0 offset:320
	buffer_load_dword v120, off, s[0:3], 0 offset:324
	buffer_load_dword v121, off, s[0:3], 0 offset:328
	buffer_load_dword v122, off, s[0:3], 0 offset:332
	buffer_load_dword v123, off, s[0:3], 0 offset:336
	buffer_load_dword v124, off, s[0:3], 0 offset:340
	buffer_load_dword v125, off, s[0:3], 0 offset:344
	buffer_load_dword v126, off, s[0:3], 0 offset:348
	buffer_load_dword v127, off, s[0:3], 0 offset:352
	buffer_load_dword v128, off, s[0:3], 0 offset:356
	buffer_load_dword v129, off, s[0:3], 0 offset:360
	buffer_load_dword v130, off, s[0:3], 0 offset:364
	buffer_load_dword v131, off, s[0:3], 0 offset:368
	buffer_load_dword v132, off, s[0:3], 0 offset:372
	buffer_load_dword v134, off, s[0:3], 0 offset:380
	buffer_load_dword v135, off, s[0:3], 0 offset:400
	buffer_load_dword v137, off, s[0:3], 0 offset:392
	buffer_load_dword v139, off, s[0:3], 0 offset:384
	buffer_load_dword v133, off, s[0:3], 0 offset:376
	buffer_load_dword v140, off, s[0:3], 0 offset:388
	buffer_load_dword v138, off, s[0:3], 0 offset:396
	buffer_load_dword v136, off, s[0:3], 0 offset:404
	buffer_load_dword v142, off, s[0:3], 0 offset:412
	buffer_load_dword v143, off, s[0:3], 0 offset:424
	buffer_load_dword v145, off, s[0:3], 0 offset:416
	buffer_load_dword v141, off, s[0:3], 0 offset:408
	buffer_load_dword v146, off, s[0:3], 0 offset:420
	buffer_load_dword v144, off, s[0:3], 0 offset:428
	ds_read_b128 v[111:114], v110 offset:752
	s_clause 0x1
	buffer_load_dword v147, off, s[0:3], 0 offset:312
	buffer_load_dword v148, off, s[0:3], 0 offset:316
	ds_read_b128 v[115:118], v110 offset:768
	s_mov_b32 s4, exec_lo
	s_waitcnt vmcnt(28) lgkmcnt(1)
	v_fma_f64 v[111:112], v[119:120], v[111:112], 0
	s_waitcnt vmcnt(26)
	v_fma_f64 v[111:112], v[121:122], v[113:114], v[111:112]
	s_waitcnt vmcnt(24) lgkmcnt(0)
	v_fma_f64 v[111:112], v[123:124], v[115:116], v[111:112]
	s_waitcnt vmcnt(22)
	v_fma_f64 v[119:120], v[125:126], v[117:118], v[111:112]
	ds_read_b128 v[111:114], v110 offset:784
	ds_read_b128 v[115:118], v110 offset:800
	s_waitcnt vmcnt(20) lgkmcnt(1)
	v_fma_f64 v[111:112], v[127:128], v[111:112], v[119:120]
	s_waitcnt vmcnt(18)
	v_fma_f64 v[111:112], v[129:130], v[113:114], v[111:112]
	s_waitcnt vmcnt(16) lgkmcnt(0)
	v_fma_f64 v[111:112], v[131:132], v[115:116], v[111:112]
	s_waitcnt vmcnt(11)
	v_fma_f64 v[119:120], v[133:134], v[117:118], v[111:112]
	ds_read_b128 v[111:114], v110 offset:816
	ds_read_b128 v[115:118], v110 offset:832
	s_waitcnt vmcnt(10) lgkmcnt(1)
	v_fma_f64 v[111:112], v[139:140], v[111:112], v[119:120]
	s_waitcnt vmcnt(9)
	v_fma_f64 v[111:112], v[137:138], v[113:114], v[111:112]
	s_waitcnt vmcnt(8) lgkmcnt(0)
	v_fma_f64 v[111:112], v[135:136], v[115:116], v[111:112]
	s_waitcnt vmcnt(4)
	v_fma_f64 v[114:115], v[141:142], v[117:118], v[111:112]
	ds_read_b128 v[110:113], v110 offset:848
	s_waitcnt vmcnt(3) lgkmcnt(0)
	v_fma_f64 v[110:111], v[145:146], v[110:111], v[114:115]
	s_waitcnt vmcnt(2)
	v_fma_f64 v[110:111], v[143:144], v[112:113], v[110:111]
	s_waitcnt vmcnt(0)
	v_add_f64 v[110:111], v[147:148], -v[110:111]
	buffer_store_dword v111, off, s[0:3], 0 offset:316
	buffer_store_dword v110, off, s[0:3], 0 offset:312
	v_cmpx_lt_u32_e32 38, v0
	s_cbranch_execz .LBB53_257
; %bb.256:
	s_clause 0x1
	buffer_load_dword v110, off, s[0:3], 0 offset:304
	buffer_load_dword v111, off, s[0:3], 0 offset:308
	v_mov_b32_e32 v112, 0
	buffer_store_dword v112, off, s[0:3], 0 offset:304
	buffer_store_dword v112, off, s[0:3], 0 offset:308
	s_waitcnt vmcnt(0)
	ds_write_b64 v109, v[110:111]
.LBB53_257:
	s_or_b32 exec_lo, exec_lo, s4
	s_waitcnt lgkmcnt(0)
	s_waitcnt_vscnt null, 0x0
	s_barrier
	buffer_gl0_inv
	s_clause 0x1c
	buffer_load_dword v119, off, s[0:3], 0 offset:312
	buffer_load_dword v120, off, s[0:3], 0 offset:316
	;; [unrolled: 1-line block ×29, first 2 shown]
	v_mov_b32_e32 v110, 0
	buffer_load_dword v144, off, s[0:3], 0 offset:428
	s_mov_b32 s4, exec_lo
	ds_read2_b64 v[111:114], v110 offset0:93 offset1:94
	ds_read2_b64 v[115:118], v110 offset0:95 offset1:96
	s_waitcnt vmcnt(28) lgkmcnt(1)
	v_fma_f64 v[111:112], v[119:120], v[111:112], 0
	s_clause 0x1
	buffer_load_dword v119, off, s[0:3], 0 offset:304
	buffer_load_dword v120, off, s[0:3], 0 offset:308
	s_waitcnt vmcnt(28)
	v_fma_f64 v[111:112], v[121:122], v[113:114], v[111:112]
	s_waitcnt vmcnt(26) lgkmcnt(0)
	v_fma_f64 v[111:112], v[123:124], v[115:116], v[111:112]
	s_waitcnt vmcnt(24)
	v_fma_f64 v[121:122], v[125:126], v[117:118], v[111:112]
	ds_read2_b64 v[111:114], v110 offset0:97 offset1:98
	ds_read2_b64 v[115:118], v110 offset0:99 offset1:100
	s_waitcnt vmcnt(22) lgkmcnt(1)
	v_fma_f64 v[111:112], v[127:128], v[111:112], v[121:122]
	s_waitcnt vmcnt(20)
	v_fma_f64 v[111:112], v[129:130], v[113:114], v[111:112]
	s_waitcnt vmcnt(18) lgkmcnt(0)
	v_fma_f64 v[111:112], v[131:132], v[115:116], v[111:112]
	s_waitcnt vmcnt(13)
	v_fma_f64 v[121:122], v[133:134], v[117:118], v[111:112]
	ds_read2_b64 v[111:114], v110 offset0:101 offset1:102
	ds_read2_b64 v[115:118], v110 offset0:103 offset1:104
	s_waitcnt vmcnt(12) lgkmcnt(1)
	v_fma_f64 v[111:112], v[139:140], v[111:112], v[121:122]
	s_waitcnt vmcnt(11)
	v_fma_f64 v[111:112], v[137:138], v[113:114], v[111:112]
	s_waitcnt vmcnt(10) lgkmcnt(0)
	v_fma_f64 v[111:112], v[135:136], v[115:116], v[111:112]
	s_waitcnt vmcnt(5)
	v_fma_f64 v[115:116], v[141:142], v[117:118], v[111:112]
	ds_read2_b64 v[111:114], v110 offset0:105 offset1:106
	ds_read_b64 v[117:118], v110 offset:856
	s_waitcnt vmcnt(4) lgkmcnt(1)
	v_fma_f64 v[111:112], v[147:148], v[111:112], v[115:116]
	s_waitcnt vmcnt(3)
	v_fma_f64 v[111:112], v[145:146], v[113:114], v[111:112]
	s_waitcnt vmcnt(2) lgkmcnt(0)
	v_fma_f64 v[111:112], v[143:144], v[117:118], v[111:112]
	s_waitcnt vmcnt(0)
	v_add_f64 v[111:112], v[119:120], -v[111:112]
	buffer_store_dword v112, off, s[0:3], 0 offset:308
	buffer_store_dword v111, off, s[0:3], 0 offset:304
	v_cmpx_lt_u32_e32 37, v0
	s_cbranch_execz .LBB53_259
; %bb.258:
	s_clause 0x1
	buffer_load_dword v111, off, s[0:3], 0 offset:296
	buffer_load_dword v112, off, s[0:3], 0 offset:300
	buffer_store_dword v110, off, s[0:3], 0 offset:296
	buffer_store_dword v110, off, s[0:3], 0 offset:300
	s_waitcnt vmcnt(0)
	ds_write_b64 v109, v[111:112]
.LBB53_259:
	s_or_b32 exec_lo, exec_lo, s4
	s_waitcnt lgkmcnt(0)
	s_waitcnt_vscnt null, 0x0
	s_barrier
	buffer_gl0_inv
	s_clause 0x1c
	buffer_load_dword v119, off, s[0:3], 0 offset:304
	buffer_load_dword v120, off, s[0:3], 0 offset:308
	;; [unrolled: 1-line block ×29, first 2 shown]
	ds_read_b128 v[111:114], v110 offset:736
	ds_read_b128 v[115:118], v110 offset:752
	buffer_load_dword v144, off, s[0:3], 0 offset:420
	s_mov_b32 s4, exec_lo
	s_waitcnt vmcnt(28) lgkmcnt(1)
	v_fma_f64 v[111:112], v[119:120], v[111:112], 0
	s_clause 0x1
	buffer_load_dword v120, off, s[0:3], 0 offset:428
	buffer_load_dword v119, off, s[0:3], 0 offset:424
	s_waitcnt vmcnt(28)
	v_fma_f64 v[111:112], v[121:122], v[113:114], v[111:112]
	s_clause 0x1
	buffer_load_dword v121, off, s[0:3], 0 offset:296
	buffer_load_dword v122, off, s[0:3], 0 offset:300
	s_waitcnt vmcnt(28) lgkmcnt(0)
	v_fma_f64 v[111:112], v[123:124], v[115:116], v[111:112]
	s_waitcnt vmcnt(26)
	v_fma_f64 v[123:124], v[125:126], v[117:118], v[111:112]
	ds_read_b128 v[111:114], v110 offset:768
	ds_read_b128 v[115:118], v110 offset:784
	s_waitcnt vmcnt(24) lgkmcnt(1)
	v_fma_f64 v[111:112], v[127:128], v[111:112], v[123:124]
	s_waitcnt vmcnt(22)
	v_fma_f64 v[111:112], v[129:130], v[113:114], v[111:112]
	s_waitcnt vmcnt(20) lgkmcnt(0)
	v_fma_f64 v[111:112], v[131:132], v[115:116], v[111:112]
	s_waitcnt vmcnt(15)
	v_fma_f64 v[123:124], v[133:134], v[117:118], v[111:112]
	ds_read_b128 v[111:114], v110 offset:800
	ds_read_b128 v[115:118], v110 offset:816
	s_waitcnt vmcnt(14) lgkmcnt(1)
	v_fma_f64 v[111:112], v[139:140], v[111:112], v[123:124]
	s_waitcnt vmcnt(13)
	v_fma_f64 v[111:112], v[137:138], v[113:114], v[111:112]
	;; [unrolled: 10-line block ×3, first 2 shown]
	s_waitcnt vmcnt(4) lgkmcnt(0)
	v_fma_f64 v[110:111], v[143:144], v[115:116], v[110:111]
	s_waitcnt vmcnt(2)
	v_fma_f64 v[110:111], v[119:120], v[117:118], v[110:111]
	s_waitcnt vmcnt(0)
	v_add_f64 v[110:111], v[121:122], -v[110:111]
	buffer_store_dword v111, off, s[0:3], 0 offset:300
	buffer_store_dword v110, off, s[0:3], 0 offset:296
	v_cmpx_lt_u32_e32 36, v0
	s_cbranch_execz .LBB53_261
; %bb.260:
	s_clause 0x1
	buffer_load_dword v110, off, s[0:3], 0 offset:288
	buffer_load_dword v111, off, s[0:3], 0 offset:292
	v_mov_b32_e32 v112, 0
	buffer_store_dword v112, off, s[0:3], 0 offset:288
	buffer_store_dword v112, off, s[0:3], 0 offset:292
	s_waitcnt vmcnt(0)
	ds_write_b64 v109, v[110:111]
.LBB53_261:
	s_or_b32 exec_lo, exec_lo, s4
	s_waitcnt lgkmcnt(0)
	s_waitcnt_vscnt null, 0x0
	s_barrier
	buffer_gl0_inv
	s_clause 0x1c
	buffer_load_dword v119, off, s[0:3], 0 offset:296
	buffer_load_dword v120, off, s[0:3], 0 offset:300
	;; [unrolled: 1-line block ×29, first 2 shown]
	v_mov_b32_e32 v110, 0
	buffer_load_dword v144, off, s[0:3], 0 offset:412
	s_mov_b32 s4, exec_lo
	ds_read2_b64 v[111:114], v110 offset0:91 offset1:92
	ds_read2_b64 v[115:118], v110 offset0:93 offset1:94
	s_waitcnt vmcnt(28) lgkmcnt(1)
	v_fma_f64 v[111:112], v[119:120], v[111:112], 0
	s_clause 0x3
	buffer_load_dword v120, off, s[0:3], 0 offset:420
	buffer_load_dword v149, off, s[0:3], 0 offset:424
	;; [unrolled: 1-line block ×4, first 2 shown]
	s_waitcnt vmcnt(30)
	v_fma_f64 v[111:112], v[121:122], v[113:114], v[111:112]
	s_clause 0x1
	buffer_load_dword v121, off, s[0:3], 0 offset:288
	buffer_load_dword v122, off, s[0:3], 0 offset:292
	s_waitcnt vmcnt(30) lgkmcnt(0)
	v_fma_f64 v[111:112], v[123:124], v[115:116], v[111:112]
	s_waitcnt vmcnt(28)
	v_fma_f64 v[123:124], v[125:126], v[117:118], v[111:112]
	ds_read2_b64 v[111:114], v110 offset0:95 offset1:96
	ds_read2_b64 v[115:118], v110 offset0:97 offset1:98
	s_waitcnt vmcnt(26) lgkmcnt(1)
	v_fma_f64 v[111:112], v[127:128], v[111:112], v[123:124]
	s_waitcnt vmcnt(24)
	v_fma_f64 v[111:112], v[129:130], v[113:114], v[111:112]
	s_waitcnt vmcnt(22) lgkmcnt(0)
	v_fma_f64 v[111:112], v[131:132], v[115:116], v[111:112]
	s_waitcnt vmcnt(17)
	v_fma_f64 v[123:124], v[133:134], v[117:118], v[111:112]
	ds_read2_b64 v[111:114], v110 offset0:99 offset1:100
	ds_read2_b64 v[115:118], v110 offset0:101 offset1:102
	s_waitcnt vmcnt(16) lgkmcnt(1)
	v_fma_f64 v[111:112], v[139:140], v[111:112], v[123:124]
	s_waitcnt vmcnt(15)
	v_fma_f64 v[111:112], v[137:138], v[113:114], v[111:112]
	;; [unrolled: 10-line block ×3, first 2 shown]
	ds_read_b64 v[113:114], v110 offset:856
	s_waitcnt vmcnt(6) lgkmcnt(1)
	v_fma_f64 v[111:112], v[143:144], v[115:116], v[111:112]
	s_waitcnt vmcnt(3)
	v_fma_f64 v[111:112], v[119:120], v[117:118], v[111:112]
	s_waitcnt vmcnt(2) lgkmcnt(0)
	v_fma_f64 v[111:112], v[149:150], v[113:114], v[111:112]
	s_waitcnt vmcnt(0)
	v_add_f64 v[111:112], v[121:122], -v[111:112]
	buffer_store_dword v112, off, s[0:3], 0 offset:292
	buffer_store_dword v111, off, s[0:3], 0 offset:288
	v_cmpx_lt_u32_e32 35, v0
	s_cbranch_execz .LBB53_263
; %bb.262:
	s_clause 0x1
	buffer_load_dword v111, off, s[0:3], 0 offset:280
	buffer_load_dword v112, off, s[0:3], 0 offset:284
	buffer_store_dword v110, off, s[0:3], 0 offset:280
	buffer_store_dword v110, off, s[0:3], 0 offset:284
	s_waitcnt vmcnt(0)
	ds_write_b64 v109, v[111:112]
.LBB53_263:
	s_or_b32 exec_lo, exec_lo, s4
	s_waitcnt lgkmcnt(0)
	s_waitcnt_vscnt null, 0x0
	s_barrier
	buffer_gl0_inv
	s_clause 0x1c
	buffer_load_dword v119, off, s[0:3], 0 offset:288
	buffer_load_dword v120, off, s[0:3], 0 offset:292
	;; [unrolled: 1-line block ×29, first 2 shown]
	ds_read_b128 v[111:114], v110 offset:720
	ds_read_b128 v[115:118], v110 offset:736
	buffer_load_dword v144, off, s[0:3], 0 offset:404
	s_mov_b32 s4, exec_lo
	s_waitcnt vmcnt(28) lgkmcnt(1)
	v_fma_f64 v[111:112], v[119:120], v[111:112], 0
	s_clause 0x5
	buffer_load_dword v120, off, s[0:3], 0 offset:412
	buffer_load_dword v149, off, s[0:3], 0 offset:424
	;; [unrolled: 1-line block ×6, first 2 shown]
	s_waitcnt vmcnt(32)
	v_fma_f64 v[111:112], v[121:122], v[113:114], v[111:112]
	s_waitcnt vmcnt(30) lgkmcnt(0)
	v_fma_f64 v[111:112], v[123:124], v[115:116], v[111:112]
	s_waitcnt vmcnt(28)
	v_fma_f64 v[121:122], v[125:126], v[117:118], v[111:112]
	ds_read_b128 v[111:114], v110 offset:752
	s_clause 0x1
	buffer_load_dword v123, off, s[0:3], 0 offset:280
	buffer_load_dword v124, off, s[0:3], 0 offset:284
	ds_read_b128 v[115:118], v110 offset:768
	s_waitcnt vmcnt(28) lgkmcnt(1)
	v_fma_f64 v[111:112], v[127:128], v[111:112], v[121:122]
	s_waitcnt vmcnt(26)
	v_fma_f64 v[111:112], v[129:130], v[113:114], v[111:112]
	s_waitcnt vmcnt(24) lgkmcnt(0)
	v_fma_f64 v[111:112], v[131:132], v[115:116], v[111:112]
	s_waitcnt vmcnt(19)
	v_fma_f64 v[121:122], v[133:134], v[117:118], v[111:112]
	ds_read_b128 v[111:114], v110 offset:784
	ds_read_b128 v[115:118], v110 offset:800
	s_waitcnt vmcnt(18) lgkmcnt(1)
	v_fma_f64 v[111:112], v[139:140], v[111:112], v[121:122]
	s_waitcnt vmcnt(17)
	v_fma_f64 v[111:112], v[137:138], v[113:114], v[111:112]
	s_waitcnt vmcnt(16) lgkmcnt(0)
	v_fma_f64 v[111:112], v[135:136], v[115:116], v[111:112]
	s_waitcnt vmcnt(11)
	v_fma_f64 v[121:122], v[141:142], v[117:118], v[111:112]
	ds_read_b128 v[111:114], v110 offset:816
	;; [unrolled: 10-line block ×3, first 2 shown]
	s_waitcnt vmcnt(3) lgkmcnt(0)
	v_fma_f64 v[110:111], v[151:152], v[110:111], v[114:115]
	s_waitcnt vmcnt(2)
	v_fma_f64 v[110:111], v[149:150], v[112:113], v[110:111]
	s_waitcnt vmcnt(0)
	v_add_f64 v[110:111], v[123:124], -v[110:111]
	buffer_store_dword v111, off, s[0:3], 0 offset:284
	buffer_store_dword v110, off, s[0:3], 0 offset:280
	v_cmpx_lt_u32_e32 34, v0
	s_cbranch_execz .LBB53_265
; %bb.264:
	s_clause 0x1
	buffer_load_dword v110, off, s[0:3], 0 offset:272
	buffer_load_dword v111, off, s[0:3], 0 offset:276
	v_mov_b32_e32 v112, 0
	buffer_store_dword v112, off, s[0:3], 0 offset:272
	buffer_store_dword v112, off, s[0:3], 0 offset:276
	s_waitcnt vmcnt(0)
	ds_write_b64 v109, v[110:111]
.LBB53_265:
	s_or_b32 exec_lo, exec_lo, s4
	s_waitcnt lgkmcnt(0)
	s_waitcnt_vscnt null, 0x0
	s_barrier
	buffer_gl0_inv
	s_clause 0x1c
	buffer_load_dword v119, off, s[0:3], 0 offset:280
	buffer_load_dword v120, off, s[0:3], 0 offset:284
	;; [unrolled: 1-line block ×29, first 2 shown]
	v_mov_b32_e32 v110, 0
	buffer_load_dword v144, off, s[0:3], 0 offset:396
	s_mov_b32 s4, exec_lo
	ds_read2_b64 v[111:114], v110 offset0:89 offset1:90
	ds_read2_b64 v[115:118], v110 offset0:91 offset1:92
	s_waitcnt vmcnt(28) lgkmcnt(1)
	v_fma_f64 v[111:112], v[119:120], v[111:112], 0
	s_clause 0x7
	buffer_load_dword v120, off, s[0:3], 0 offset:404
	buffer_load_dword v149, off, s[0:3], 0 offset:424
	;; [unrolled: 1-line block ×8, first 2 shown]
	s_waitcnt vmcnt(34)
	v_fma_f64 v[111:112], v[121:122], v[113:114], v[111:112]
	s_waitcnt vmcnt(32) lgkmcnt(0)
	v_fma_f64 v[111:112], v[123:124], v[115:116], v[111:112]
	s_waitcnt vmcnt(30)
	v_fma_f64 v[121:122], v[125:126], v[117:118], v[111:112]
	ds_read2_b64 v[111:114], v110 offset0:93 offset1:94
	ds_read2_b64 v[115:118], v110 offset0:95 offset1:96
	s_waitcnt vmcnt(28) lgkmcnt(1)
	v_fma_f64 v[111:112], v[127:128], v[111:112], v[121:122]
	s_clause 0x1
	buffer_load_dword v121, off, s[0:3], 0 offset:272
	buffer_load_dword v122, off, s[0:3], 0 offset:276
	s_waitcnt vmcnt(28)
	v_fma_f64 v[111:112], v[129:130], v[113:114], v[111:112]
	s_waitcnt vmcnt(26) lgkmcnt(0)
	v_fma_f64 v[111:112], v[131:132], v[115:116], v[111:112]
	s_waitcnt vmcnt(21)
	v_fma_f64 v[123:124], v[133:134], v[117:118], v[111:112]
	ds_read2_b64 v[111:114], v110 offset0:97 offset1:98
	ds_read2_b64 v[115:118], v110 offset0:99 offset1:100
	s_waitcnt vmcnt(20) lgkmcnt(1)
	v_fma_f64 v[111:112], v[139:140], v[111:112], v[123:124]
	s_waitcnt vmcnt(19)
	v_fma_f64 v[111:112], v[137:138], v[113:114], v[111:112]
	s_waitcnt vmcnt(18) lgkmcnt(0)
	v_fma_f64 v[111:112], v[135:136], v[115:116], v[111:112]
	s_waitcnt vmcnt(13)
	v_fma_f64 v[123:124], v[141:142], v[117:118], v[111:112]
	ds_read2_b64 v[111:114], v110 offset0:101 offset1:102
	ds_read2_b64 v[115:118], v110 offset0:103 offset1:104
	s_waitcnt vmcnt(12) lgkmcnt(1)
	v_fma_f64 v[111:112], v[147:148], v[111:112], v[123:124]
	s_waitcnt vmcnt(11)
	v_fma_f64 v[111:112], v[145:146], v[113:114], v[111:112]
	s_waitcnt vmcnt(10) lgkmcnt(0)
	v_fma_f64 v[111:112], v[143:144], v[115:116], v[111:112]
	s_waitcnt vmcnt(5)
	v_fma_f64 v[115:116], v[119:120], v[117:118], v[111:112]
	ds_read2_b64 v[111:114], v110 offset0:105 offset1:106
	ds_read_b64 v[117:118], v110 offset:856
	s_waitcnt vmcnt(4) lgkmcnt(1)
	v_fma_f64 v[111:112], v[153:154], v[111:112], v[115:116]
	s_waitcnt vmcnt(3)
	v_fma_f64 v[111:112], v[151:152], v[113:114], v[111:112]
	s_waitcnt vmcnt(2) lgkmcnt(0)
	v_fma_f64 v[111:112], v[149:150], v[117:118], v[111:112]
	s_waitcnt vmcnt(0)
	v_add_f64 v[111:112], v[121:122], -v[111:112]
	buffer_store_dword v112, off, s[0:3], 0 offset:276
	buffer_store_dword v111, off, s[0:3], 0 offset:272
	v_cmpx_lt_u32_e32 33, v0
	s_cbranch_execz .LBB53_267
; %bb.266:
	s_clause 0x1
	buffer_load_dword v111, off, s[0:3], 0 offset:264
	buffer_load_dword v112, off, s[0:3], 0 offset:268
	buffer_store_dword v110, off, s[0:3], 0 offset:264
	buffer_store_dword v110, off, s[0:3], 0 offset:268
	s_waitcnt vmcnt(0)
	ds_write_b64 v109, v[111:112]
.LBB53_267:
	s_or_b32 exec_lo, exec_lo, s4
	s_waitcnt lgkmcnt(0)
	s_waitcnt_vscnt null, 0x0
	s_barrier
	buffer_gl0_inv
	s_clause 0x1c
	buffer_load_dword v119, off, s[0:3], 0 offset:272
	buffer_load_dword v120, off, s[0:3], 0 offset:276
	buffer_load_dword v121, off, s[0:3], 0 offset:280
	buffer_load_dword v122, off, s[0:3], 0 offset:284
	buffer_load_dword v123, off, s[0:3], 0 offset:288
	buffer_load_dword v124, off, s[0:3], 0 offset:292
	buffer_load_dword v125, off, s[0:3], 0 offset:296
	buffer_load_dword v126, off, s[0:3], 0 offset:300
	buffer_load_dword v127, off, s[0:3], 0 offset:304
	buffer_load_dword v128, off, s[0:3], 0 offset:308
	buffer_load_dword v129, off, s[0:3], 0 offset:312
	buffer_load_dword v130, off, s[0:3], 0 offset:316
	buffer_load_dword v131, off, s[0:3], 0 offset:320
	buffer_load_dword v132, off, s[0:3], 0 offset:324
	buffer_load_dword v134, off, s[0:3], 0 offset:332
	buffer_load_dword v135, off, s[0:3], 0 offset:352
	buffer_load_dword v137, off, s[0:3], 0 offset:344
	buffer_load_dword v139, off, s[0:3], 0 offset:336
	buffer_load_dword v133, off, s[0:3], 0 offset:328
	buffer_load_dword v140, off, s[0:3], 0 offset:340
	buffer_load_dword v138, off, s[0:3], 0 offset:348
	buffer_load_dword v136, off, s[0:3], 0 offset:356
	buffer_load_dword v142, off, s[0:3], 0 offset:364
	buffer_load_dword v143, off, s[0:3], 0 offset:384
	buffer_load_dword v145, off, s[0:3], 0 offset:376
	buffer_load_dword v147, off, s[0:3], 0 offset:368
	buffer_load_dword v141, off, s[0:3], 0 offset:360
	buffer_load_dword v148, off, s[0:3], 0 offset:372
	buffer_load_dword v146, off, s[0:3], 0 offset:380
	ds_read_b128 v[111:114], v110 offset:704
	ds_read_b128 v[115:118], v110 offset:720
	buffer_load_dword v144, off, s[0:3], 0 offset:388
	s_mov_b32 s4, exec_lo
	s_waitcnt vmcnt(28) lgkmcnt(1)
	v_fma_f64 v[111:112], v[119:120], v[111:112], 0
	s_clause 0x7
	buffer_load_dword v120, off, s[0:3], 0 offset:396
	buffer_load_dword v149, off, s[0:3], 0 offset:416
	;; [unrolled: 1-line block ×8, first 2 shown]
	s_waitcnt vmcnt(34)
	v_fma_f64 v[111:112], v[121:122], v[113:114], v[111:112]
	s_waitcnt vmcnt(32) lgkmcnt(0)
	v_fma_f64 v[111:112], v[123:124], v[115:116], v[111:112]
	s_waitcnt vmcnt(30)
	v_fma_f64 v[121:122], v[125:126], v[117:118], v[111:112]
	ds_read_b128 v[111:114], v110 offset:736
	ds_read_b128 v[115:118], v110 offset:752
	s_waitcnt vmcnt(28) lgkmcnt(1)
	v_fma_f64 v[111:112], v[127:128], v[111:112], v[121:122]
	s_clause 0x3
	buffer_load_dword v122, off, s[0:3], 0 offset:428
	buffer_load_dword v121, off, s[0:3], 0 offset:424
	;; [unrolled: 1-line block ×4, first 2 shown]
	s_waitcnt vmcnt(30)
	v_fma_f64 v[111:112], v[129:130], v[113:114], v[111:112]
	s_waitcnt vmcnt(28) lgkmcnt(0)
	v_fma_f64 v[111:112], v[131:132], v[115:116], v[111:112]
	s_waitcnt vmcnt(23)
	v_fma_f64 v[125:126], v[133:134], v[117:118], v[111:112]
	ds_read_b128 v[111:114], v110 offset:768
	ds_read_b128 v[115:118], v110 offset:784
	s_waitcnt vmcnt(22) lgkmcnt(1)
	v_fma_f64 v[111:112], v[139:140], v[111:112], v[125:126]
	s_waitcnt vmcnt(21)
	v_fma_f64 v[111:112], v[137:138], v[113:114], v[111:112]
	s_waitcnt vmcnt(20) lgkmcnt(0)
	v_fma_f64 v[111:112], v[135:136], v[115:116], v[111:112]
	s_waitcnt vmcnt(15)
	v_fma_f64 v[125:126], v[141:142], v[117:118], v[111:112]
	ds_read_b128 v[111:114], v110 offset:800
	ds_read_b128 v[115:118], v110 offset:816
	s_waitcnt vmcnt(14) lgkmcnt(1)
	v_fma_f64 v[111:112], v[147:148], v[111:112], v[125:126]
	;; [unrolled: 10-line block ×3, first 2 shown]
	s_waitcnt vmcnt(5)
	v_fma_f64 v[110:111], v[151:152], v[113:114], v[110:111]
	s_waitcnt vmcnt(4) lgkmcnt(0)
	v_fma_f64 v[110:111], v[149:150], v[115:116], v[110:111]
	s_waitcnt vmcnt(2)
	v_fma_f64 v[110:111], v[121:122], v[117:118], v[110:111]
	s_waitcnt vmcnt(0)
	v_add_f64 v[110:111], v[123:124], -v[110:111]
	buffer_store_dword v111, off, s[0:3], 0 offset:268
	buffer_store_dword v110, off, s[0:3], 0 offset:264
	v_cmpx_lt_u32_e32 32, v0
	s_cbranch_execz .LBB53_269
; %bb.268:
	s_clause 0x1
	buffer_load_dword v110, off, s[0:3], 0 offset:256
	buffer_load_dword v111, off, s[0:3], 0 offset:260
	v_mov_b32_e32 v112, 0
	buffer_store_dword v112, off, s[0:3], 0 offset:256
	buffer_store_dword v112, off, s[0:3], 0 offset:260
	s_waitcnt vmcnt(0)
	ds_write_b64 v109, v[110:111]
.LBB53_269:
	s_or_b32 exec_lo, exec_lo, s4
	s_waitcnt lgkmcnt(0)
	s_waitcnt_vscnt null, 0x0
	s_barrier
	buffer_gl0_inv
	s_clause 0x1c
	buffer_load_dword v119, off, s[0:3], 0 offset:264
	buffer_load_dword v120, off, s[0:3], 0 offset:268
	;; [unrolled: 1-line block ×29, first 2 shown]
	v_mov_b32_e32 v110, 0
	buffer_load_dword v144, off, s[0:3], 0 offset:380
	s_mov_b32 s4, exec_lo
	ds_read2_b64 v[111:114], v110 offset0:87 offset1:88
	ds_read2_b64 v[115:118], v110 offset0:89 offset1:90
	s_waitcnt vmcnt(28) lgkmcnt(1)
	v_fma_f64 v[111:112], v[119:120], v[111:112], 0
	s_clause 0x7
	buffer_load_dword v120, off, s[0:3], 0 offset:388
	buffer_load_dword v149, off, s[0:3], 0 offset:408
	;; [unrolled: 1-line block ×8, first 2 shown]
	s_waitcnt vmcnt(34)
	v_fma_f64 v[111:112], v[121:122], v[113:114], v[111:112]
	s_waitcnt vmcnt(32) lgkmcnt(0)
	v_fma_f64 v[111:112], v[123:124], v[115:116], v[111:112]
	s_waitcnt vmcnt(30)
	v_fma_f64 v[121:122], v[125:126], v[117:118], v[111:112]
	ds_read2_b64 v[111:114], v110 offset0:91 offset1:92
	ds_read2_b64 v[115:118], v110 offset0:93 offset1:94
	s_waitcnt vmcnt(28) lgkmcnt(1)
	v_fma_f64 v[111:112], v[127:128], v[111:112], v[121:122]
	s_clause 0x5
	buffer_load_dword v122, off, s[0:3], 0 offset:420
	buffer_load_dword v123, off, s[0:3], 0 offset:424
	;; [unrolled: 1-line block ×6, first 2 shown]
	s_waitcnt vmcnt(32)
	v_fma_f64 v[111:112], v[129:130], v[113:114], v[111:112]
	s_waitcnt vmcnt(30) lgkmcnt(0)
	v_fma_f64 v[111:112], v[131:132], v[115:116], v[111:112]
	s_waitcnt vmcnt(25)
	v_fma_f64 v[127:128], v[133:134], v[117:118], v[111:112]
	ds_read2_b64 v[111:114], v110 offset0:95 offset1:96
	ds_read2_b64 v[115:118], v110 offset0:97 offset1:98
	s_waitcnt vmcnt(24) lgkmcnt(1)
	v_fma_f64 v[111:112], v[139:140], v[111:112], v[127:128]
	s_waitcnt vmcnt(23)
	v_fma_f64 v[111:112], v[137:138], v[113:114], v[111:112]
	s_waitcnt vmcnt(22) lgkmcnt(0)
	v_fma_f64 v[111:112], v[135:136], v[115:116], v[111:112]
	s_waitcnt vmcnt(17)
	v_fma_f64 v[127:128], v[141:142], v[117:118], v[111:112]
	ds_read2_b64 v[111:114], v110 offset0:99 offset1:100
	ds_read2_b64 v[115:118], v110 offset0:101 offset1:102
	s_waitcnt vmcnt(16) lgkmcnt(1)
	v_fma_f64 v[111:112], v[147:148], v[111:112], v[127:128]
	;; [unrolled: 10-line block ×3, first 2 shown]
	s_waitcnt vmcnt(7)
	v_fma_f64 v[111:112], v[151:152], v[113:114], v[111:112]
	ds_read_b64 v[113:114], v110 offset:856
	s_waitcnt vmcnt(6) lgkmcnt(1)
	v_fma_f64 v[111:112], v[149:150], v[115:116], v[111:112]
	s_waitcnt vmcnt(3)
	v_fma_f64 v[111:112], v[121:122], v[117:118], v[111:112]
	s_waitcnt vmcnt(2) lgkmcnt(0)
	v_fma_f64 v[111:112], v[123:124], v[113:114], v[111:112]
	s_waitcnt vmcnt(0)
	v_add_f64 v[111:112], v[125:126], -v[111:112]
	buffer_store_dword v112, off, s[0:3], 0 offset:260
	buffer_store_dword v111, off, s[0:3], 0 offset:256
	v_cmpx_lt_u32_e32 31, v0
	s_cbranch_execz .LBB53_271
; %bb.270:
	s_clause 0x1
	buffer_load_dword v111, off, s[0:3], 0 offset:248
	buffer_load_dword v112, off, s[0:3], 0 offset:252
	buffer_store_dword v110, off, s[0:3], 0 offset:248
	buffer_store_dword v110, off, s[0:3], 0 offset:252
	s_waitcnt vmcnt(0)
	ds_write_b64 v109, v[111:112]
.LBB53_271:
	s_or_b32 exec_lo, exec_lo, s4
	s_waitcnt lgkmcnt(0)
	s_waitcnt_vscnt null, 0x0
	s_barrier
	buffer_gl0_inv
	s_clause 0x1c
	buffer_load_dword v119, off, s[0:3], 0 offset:256
	buffer_load_dword v120, off, s[0:3], 0 offset:260
	;; [unrolled: 1-line block ×29, first 2 shown]
	ds_read_b128 v[111:114], v110 offset:688
	ds_read_b128 v[115:118], v110 offset:704
	buffer_load_dword v144, off, s[0:3], 0 offset:372
	s_mov_b32 s4, exec_lo
	s_waitcnt vmcnt(28) lgkmcnt(1)
	v_fma_f64 v[111:112], v[119:120], v[111:112], 0
	s_clause 0x7
	buffer_load_dword v120, off, s[0:3], 0 offset:380
	buffer_load_dword v149, off, s[0:3], 0 offset:400
	;; [unrolled: 1-line block ×8, first 2 shown]
	s_waitcnt vmcnt(34)
	v_fma_f64 v[111:112], v[121:122], v[113:114], v[111:112]
	s_waitcnt vmcnt(32) lgkmcnt(0)
	v_fma_f64 v[111:112], v[123:124], v[115:116], v[111:112]
	s_waitcnt vmcnt(30)
	v_fma_f64 v[121:122], v[125:126], v[117:118], v[111:112]
	ds_read_b128 v[111:114], v110 offset:720
	ds_read_b128 v[115:118], v110 offset:736
	s_waitcnt vmcnt(28) lgkmcnt(1)
	v_fma_f64 v[111:112], v[127:128], v[111:112], v[121:122]
	s_clause 0x5
	buffer_load_dword v122, off, s[0:3], 0 offset:412
	buffer_load_dword v123, off, s[0:3], 0 offset:424
	;; [unrolled: 1-line block ×6, first 2 shown]
	s_waitcnt vmcnt(32)
	v_fma_f64 v[111:112], v[129:130], v[113:114], v[111:112]
	s_waitcnt vmcnt(30) lgkmcnt(0)
	v_fma_f64 v[111:112], v[131:132], v[115:116], v[111:112]
	s_waitcnt vmcnt(25)
	v_fma_f64 v[127:128], v[133:134], v[117:118], v[111:112]
	ds_read_b128 v[111:114], v110 offset:752
	s_clause 0x1
	buffer_load_dword v129, off, s[0:3], 0 offset:248
	buffer_load_dword v130, off, s[0:3], 0 offset:252
	ds_read_b128 v[115:118], v110 offset:768
	s_waitcnt vmcnt(26) lgkmcnt(1)
	v_fma_f64 v[111:112], v[139:140], v[111:112], v[127:128]
	s_waitcnt vmcnt(25)
	v_fma_f64 v[111:112], v[137:138], v[113:114], v[111:112]
	s_waitcnt vmcnt(24) lgkmcnt(0)
	v_fma_f64 v[111:112], v[135:136], v[115:116], v[111:112]
	s_waitcnt vmcnt(19)
	v_fma_f64 v[127:128], v[141:142], v[117:118], v[111:112]
	ds_read_b128 v[111:114], v110 offset:784
	ds_read_b128 v[115:118], v110 offset:800
	s_waitcnt vmcnt(18) lgkmcnt(1)
	v_fma_f64 v[111:112], v[147:148], v[111:112], v[127:128]
	s_waitcnt vmcnt(17)
	v_fma_f64 v[111:112], v[145:146], v[113:114], v[111:112]
	s_waitcnt vmcnt(16) lgkmcnt(0)
	v_fma_f64 v[111:112], v[143:144], v[115:116], v[111:112]
	s_waitcnt vmcnt(11)
	v_fma_f64 v[119:120], v[119:120], v[117:118], v[111:112]
	ds_read_b128 v[111:114], v110 offset:816
	;; [unrolled: 10-line block ×3, first 2 shown]
	s_waitcnt vmcnt(3) lgkmcnt(0)
	v_fma_f64 v[110:111], v[125:126], v[110:111], v[114:115]
	s_waitcnt vmcnt(2)
	v_fma_f64 v[110:111], v[123:124], v[112:113], v[110:111]
	s_waitcnt vmcnt(0)
	v_add_f64 v[110:111], v[129:130], -v[110:111]
	buffer_store_dword v111, off, s[0:3], 0 offset:252
	buffer_store_dword v110, off, s[0:3], 0 offset:248
	v_cmpx_lt_u32_e32 30, v0
	s_cbranch_execz .LBB53_273
; %bb.272:
	s_clause 0x1
	buffer_load_dword v110, off, s[0:3], 0 offset:240
	buffer_load_dword v111, off, s[0:3], 0 offset:244
	v_mov_b32_e32 v112, 0
	buffer_store_dword v112, off, s[0:3], 0 offset:240
	buffer_store_dword v112, off, s[0:3], 0 offset:244
	s_waitcnt vmcnt(0)
	ds_write_b64 v109, v[110:111]
.LBB53_273:
	s_or_b32 exec_lo, exec_lo, s4
	s_waitcnt lgkmcnt(0)
	s_waitcnt_vscnt null, 0x0
	s_barrier
	buffer_gl0_inv
	s_clause 0x1c
	buffer_load_dword v119, off, s[0:3], 0 offset:248
	buffer_load_dword v120, off, s[0:3], 0 offset:252
	;; [unrolled: 1-line block ×29, first 2 shown]
	v_mov_b32_e32 v110, 0
	buffer_load_dword v144, off, s[0:3], 0 offset:364
	s_mov_b32 s4, exec_lo
	ds_read2_b64 v[111:114], v110 offset0:85 offset1:86
	ds_read2_b64 v[115:118], v110 offset0:87 offset1:88
	s_waitcnt vmcnt(28) lgkmcnt(1)
	v_fma_f64 v[111:112], v[119:120], v[111:112], 0
	s_clause 0x7
	buffer_load_dword v120, off, s[0:3], 0 offset:372
	buffer_load_dword v149, off, s[0:3], 0 offset:392
	;; [unrolled: 1-line block ×8, first 2 shown]
	s_waitcnt vmcnt(34)
	v_fma_f64 v[111:112], v[121:122], v[113:114], v[111:112]
	s_waitcnt vmcnt(32) lgkmcnt(0)
	v_fma_f64 v[111:112], v[123:124], v[115:116], v[111:112]
	s_waitcnt vmcnt(30)
	v_fma_f64 v[121:122], v[125:126], v[117:118], v[111:112]
	ds_read2_b64 v[111:114], v110 offset0:89 offset1:90
	ds_read2_b64 v[115:118], v110 offset0:91 offset1:92
	s_waitcnt vmcnt(28) lgkmcnt(1)
	v_fma_f64 v[111:112], v[127:128], v[111:112], v[121:122]
	s_clause 0x7
	buffer_load_dword v122, off, s[0:3], 0 offset:404
	buffer_load_dword v123, off, s[0:3], 0 offset:424
	;; [unrolled: 1-line block ×8, first 2 shown]
	s_waitcnt vmcnt(34)
	v_fma_f64 v[111:112], v[129:130], v[113:114], v[111:112]
	s_waitcnt vmcnt(32) lgkmcnt(0)
	v_fma_f64 v[111:112], v[131:132], v[115:116], v[111:112]
	s_waitcnt vmcnt(27)
	v_fma_f64 v[129:130], v[133:134], v[117:118], v[111:112]
	ds_read2_b64 v[111:114], v110 offset0:93 offset1:94
	ds_read2_b64 v[115:118], v110 offset0:95 offset1:96
	s_waitcnt vmcnt(26) lgkmcnt(1)
	v_fma_f64 v[111:112], v[139:140], v[111:112], v[129:130]
	s_clause 0x1
	buffer_load_dword v129, off, s[0:3], 0 offset:240
	buffer_load_dword v130, off, s[0:3], 0 offset:244
	s_waitcnt vmcnt(27)
	v_fma_f64 v[111:112], v[137:138], v[113:114], v[111:112]
	s_waitcnt vmcnt(26) lgkmcnt(0)
	v_fma_f64 v[111:112], v[135:136], v[115:116], v[111:112]
	s_waitcnt vmcnt(21)
	v_fma_f64 v[131:132], v[141:142], v[117:118], v[111:112]
	ds_read2_b64 v[111:114], v110 offset0:97 offset1:98
	ds_read2_b64 v[115:118], v110 offset0:99 offset1:100
	s_waitcnt vmcnt(20) lgkmcnt(1)
	v_fma_f64 v[111:112], v[147:148], v[111:112], v[131:132]
	s_waitcnt vmcnt(19)
	v_fma_f64 v[111:112], v[145:146], v[113:114], v[111:112]
	s_waitcnt vmcnt(18) lgkmcnt(0)
	v_fma_f64 v[111:112], v[143:144], v[115:116], v[111:112]
	s_waitcnt vmcnt(13)
	v_fma_f64 v[119:120], v[119:120], v[117:118], v[111:112]
	ds_read2_b64 v[111:114], v110 offset0:101 offset1:102
	ds_read2_b64 v[115:118], v110 offset0:103 offset1:104
	s_waitcnt vmcnt(12) lgkmcnt(1)
	v_fma_f64 v[111:112], v[153:154], v[111:112], v[119:120]
	s_waitcnt vmcnt(11)
	v_fma_f64 v[111:112], v[151:152], v[113:114], v[111:112]
	s_waitcnt vmcnt(10) lgkmcnt(0)
	v_fma_f64 v[111:112], v[149:150], v[115:116], v[111:112]
	s_waitcnt vmcnt(5)
	v_fma_f64 v[115:116], v[121:122], v[117:118], v[111:112]
	ds_read2_b64 v[111:114], v110 offset0:105 offset1:106
	ds_read_b64 v[117:118], v110 offset:856
	s_waitcnt vmcnt(4) lgkmcnt(1)
	v_fma_f64 v[111:112], v[127:128], v[111:112], v[115:116]
	s_waitcnt vmcnt(3)
	v_fma_f64 v[111:112], v[125:126], v[113:114], v[111:112]
	s_waitcnt vmcnt(2) lgkmcnt(0)
	v_fma_f64 v[111:112], v[123:124], v[117:118], v[111:112]
	s_waitcnt vmcnt(0)
	v_add_f64 v[111:112], v[129:130], -v[111:112]
	buffer_store_dword v112, off, s[0:3], 0 offset:244
	buffer_store_dword v111, off, s[0:3], 0 offset:240
	v_cmpx_lt_u32_e32 29, v0
	s_cbranch_execz .LBB53_275
; %bb.274:
	s_clause 0x1
	buffer_load_dword v111, off, s[0:3], 0 offset:232
	buffer_load_dword v112, off, s[0:3], 0 offset:236
	buffer_store_dword v110, off, s[0:3], 0 offset:232
	buffer_store_dword v110, off, s[0:3], 0 offset:236
	s_waitcnt vmcnt(0)
	ds_write_b64 v109, v[111:112]
.LBB53_275:
	s_or_b32 exec_lo, exec_lo, s4
	s_waitcnt lgkmcnt(0)
	s_waitcnt_vscnt null, 0x0
	s_barrier
	buffer_gl0_inv
	s_clause 0x1c
	buffer_load_dword v119, off, s[0:3], 0 offset:240
	buffer_load_dword v120, off, s[0:3], 0 offset:244
	;; [unrolled: 1-line block ×29, first 2 shown]
	ds_read_b128 v[111:114], v110 offset:672
	ds_read_b128 v[115:118], v110 offset:688
	buffer_load_dword v144, off, s[0:3], 0 offset:356
	s_mov_b32 s4, exec_lo
	s_waitcnt vmcnt(28) lgkmcnt(1)
	v_fma_f64 v[111:112], v[119:120], v[111:112], 0
	s_clause 0x7
	buffer_load_dword v120, off, s[0:3], 0 offset:364
	buffer_load_dword v149, off, s[0:3], 0 offset:384
	;; [unrolled: 1-line block ×8, first 2 shown]
	s_waitcnt vmcnt(34)
	v_fma_f64 v[111:112], v[121:122], v[113:114], v[111:112]
	s_waitcnt vmcnt(32) lgkmcnt(0)
	v_fma_f64 v[111:112], v[123:124], v[115:116], v[111:112]
	s_waitcnt vmcnt(30)
	v_fma_f64 v[121:122], v[125:126], v[117:118], v[111:112]
	ds_read_b128 v[111:114], v110 offset:704
	ds_read_b128 v[115:118], v110 offset:720
	s_waitcnt vmcnt(28) lgkmcnt(1)
	v_fma_f64 v[111:112], v[127:128], v[111:112], v[121:122]
	s_clause 0x7
	buffer_load_dword v122, off, s[0:3], 0 offset:396
	buffer_load_dword v123, off, s[0:3], 0 offset:416
	;; [unrolled: 1-line block ×8, first 2 shown]
	s_waitcnt vmcnt(34)
	v_fma_f64 v[111:112], v[129:130], v[113:114], v[111:112]
	s_waitcnt vmcnt(32) lgkmcnt(0)
	v_fma_f64 v[111:112], v[131:132], v[115:116], v[111:112]
	s_waitcnt vmcnt(27)
	v_fma_f64 v[129:130], v[133:134], v[117:118], v[111:112]
	ds_read_b128 v[111:114], v110 offset:736
	ds_read_b128 v[115:118], v110 offset:752
	s_waitcnt vmcnt(26) lgkmcnt(1)
	v_fma_f64 v[111:112], v[139:140], v[111:112], v[129:130]
	s_clause 0x3
	buffer_load_dword v130, off, s[0:3], 0 offset:428
	buffer_load_dword v129, off, s[0:3], 0 offset:424
	;; [unrolled: 1-line block ×4, first 2 shown]
	s_waitcnt vmcnt(29)
	v_fma_f64 v[111:112], v[137:138], v[113:114], v[111:112]
	s_waitcnt vmcnt(28) lgkmcnt(0)
	v_fma_f64 v[111:112], v[135:136], v[115:116], v[111:112]
	s_waitcnt vmcnt(23)
	v_fma_f64 v[133:134], v[141:142], v[117:118], v[111:112]
	ds_read_b128 v[111:114], v110 offset:768
	ds_read_b128 v[115:118], v110 offset:784
	s_waitcnt vmcnt(22) lgkmcnt(1)
	v_fma_f64 v[111:112], v[147:148], v[111:112], v[133:134]
	s_waitcnt vmcnt(21)
	v_fma_f64 v[111:112], v[145:146], v[113:114], v[111:112]
	s_waitcnt vmcnt(20) lgkmcnt(0)
	v_fma_f64 v[111:112], v[143:144], v[115:116], v[111:112]
	s_waitcnt vmcnt(15)
	v_fma_f64 v[119:120], v[119:120], v[117:118], v[111:112]
	ds_read_b128 v[111:114], v110 offset:800
	ds_read_b128 v[115:118], v110 offset:816
	s_waitcnt vmcnt(14) lgkmcnt(1)
	v_fma_f64 v[111:112], v[153:154], v[111:112], v[119:120]
	s_waitcnt vmcnt(13)
	v_fma_f64 v[111:112], v[151:152], v[113:114], v[111:112]
	s_waitcnt vmcnt(12) lgkmcnt(0)
	v_fma_f64 v[111:112], v[149:150], v[115:116], v[111:112]
	s_waitcnt vmcnt(7)
	v_fma_f64 v[119:120], v[121:122], v[117:118], v[111:112]
	ds_read_b128 v[111:114], v110 offset:832
	ds_read_b128 v[115:118], v110 offset:848
	s_waitcnt vmcnt(6) lgkmcnt(1)
	v_fma_f64 v[110:111], v[127:128], v[111:112], v[119:120]
	s_waitcnt vmcnt(5)
	v_fma_f64 v[110:111], v[125:126], v[113:114], v[110:111]
	s_waitcnt vmcnt(4) lgkmcnt(0)
	v_fma_f64 v[110:111], v[123:124], v[115:116], v[110:111]
	s_waitcnt vmcnt(2)
	v_fma_f64 v[110:111], v[129:130], v[117:118], v[110:111]
	s_waitcnt vmcnt(0)
	v_add_f64 v[110:111], v[131:132], -v[110:111]
	buffer_store_dword v111, off, s[0:3], 0 offset:236
	buffer_store_dword v110, off, s[0:3], 0 offset:232
	v_cmpx_lt_u32_e32 28, v0
	s_cbranch_execz .LBB53_277
; %bb.276:
	s_clause 0x1
	buffer_load_dword v110, off, s[0:3], 0 offset:224
	buffer_load_dword v111, off, s[0:3], 0 offset:228
	v_mov_b32_e32 v112, 0
	buffer_store_dword v112, off, s[0:3], 0 offset:224
	buffer_store_dword v112, off, s[0:3], 0 offset:228
	s_waitcnt vmcnt(0)
	ds_write_b64 v109, v[110:111]
.LBB53_277:
	s_or_b32 exec_lo, exec_lo, s4
	s_waitcnt lgkmcnt(0)
	s_waitcnt_vscnt null, 0x0
	s_barrier
	buffer_gl0_inv
	s_clause 0x1c
	buffer_load_dword v119, off, s[0:3], 0 offset:232
	buffer_load_dword v120, off, s[0:3], 0 offset:236
	;; [unrolled: 1-line block ×29, first 2 shown]
	v_mov_b32_e32 v110, 0
	buffer_load_dword v144, off, s[0:3], 0 offset:348
	s_mov_b32 s4, exec_lo
	ds_read2_b64 v[111:114], v110 offset0:83 offset1:84
	ds_read2_b64 v[115:118], v110 offset0:85 offset1:86
	s_waitcnt vmcnt(28) lgkmcnt(1)
	v_fma_f64 v[111:112], v[119:120], v[111:112], 0
	s_clause 0x7
	buffer_load_dword v120, off, s[0:3], 0 offset:356
	buffer_load_dword v149, off, s[0:3], 0 offset:376
	;; [unrolled: 1-line block ×8, first 2 shown]
	s_waitcnt vmcnt(34)
	v_fma_f64 v[111:112], v[121:122], v[113:114], v[111:112]
	s_waitcnt vmcnt(32) lgkmcnt(0)
	v_fma_f64 v[111:112], v[123:124], v[115:116], v[111:112]
	s_waitcnt vmcnt(30)
	v_fma_f64 v[121:122], v[125:126], v[117:118], v[111:112]
	ds_read2_b64 v[111:114], v110 offset0:87 offset1:88
	ds_read2_b64 v[115:118], v110 offset0:89 offset1:90
	s_waitcnt vmcnt(28) lgkmcnt(1)
	v_fma_f64 v[111:112], v[127:128], v[111:112], v[121:122]
	s_clause 0x7
	buffer_load_dword v122, off, s[0:3], 0 offset:388
	buffer_load_dword v123, off, s[0:3], 0 offset:408
	;; [unrolled: 1-line block ×8, first 2 shown]
	s_waitcnt vmcnt(34)
	v_fma_f64 v[111:112], v[129:130], v[113:114], v[111:112]
	s_waitcnt vmcnt(32) lgkmcnt(0)
	v_fma_f64 v[111:112], v[131:132], v[115:116], v[111:112]
	s_waitcnt vmcnt(27)
	v_fma_f64 v[129:130], v[133:134], v[117:118], v[111:112]
	ds_read2_b64 v[111:114], v110 offset0:91 offset1:92
	ds_read2_b64 v[115:118], v110 offset0:93 offset1:94
	s_waitcnt vmcnt(26) lgkmcnt(1)
	v_fma_f64 v[111:112], v[139:140], v[111:112], v[129:130]
	s_clause 0x5
	buffer_load_dword v130, off, s[0:3], 0 offset:420
	buffer_load_dword v131, off, s[0:3], 0 offset:424
	;; [unrolled: 1-line block ×6, first 2 shown]
	s_waitcnt vmcnt(31)
	v_fma_f64 v[111:112], v[137:138], v[113:114], v[111:112]
	s_waitcnt vmcnt(30) lgkmcnt(0)
	v_fma_f64 v[111:112], v[135:136], v[115:116], v[111:112]
	s_waitcnt vmcnt(25)
	v_fma_f64 v[135:136], v[141:142], v[117:118], v[111:112]
	ds_read2_b64 v[111:114], v110 offset0:95 offset1:96
	ds_read2_b64 v[115:118], v110 offset0:97 offset1:98
	s_waitcnt vmcnt(24) lgkmcnt(1)
	v_fma_f64 v[111:112], v[147:148], v[111:112], v[135:136]
	s_waitcnt vmcnt(23)
	v_fma_f64 v[111:112], v[145:146], v[113:114], v[111:112]
	s_waitcnt vmcnt(22) lgkmcnt(0)
	v_fma_f64 v[111:112], v[143:144], v[115:116], v[111:112]
	s_waitcnt vmcnt(17)
	v_fma_f64 v[119:120], v[119:120], v[117:118], v[111:112]
	ds_read2_b64 v[111:114], v110 offset0:99 offset1:100
	ds_read2_b64 v[115:118], v110 offset0:101 offset1:102
	s_waitcnt vmcnt(16) lgkmcnt(1)
	v_fma_f64 v[111:112], v[153:154], v[111:112], v[119:120]
	;; [unrolled: 10-line block ×3, first 2 shown]
	s_waitcnt vmcnt(7)
	v_fma_f64 v[111:112], v[125:126], v[113:114], v[111:112]
	ds_read_b64 v[113:114], v110 offset:856
	s_waitcnt vmcnt(6) lgkmcnt(1)
	v_fma_f64 v[111:112], v[123:124], v[115:116], v[111:112]
	s_waitcnt vmcnt(3)
	v_fma_f64 v[111:112], v[129:130], v[117:118], v[111:112]
	s_waitcnt vmcnt(2) lgkmcnt(0)
	v_fma_f64 v[111:112], v[131:132], v[113:114], v[111:112]
	s_waitcnt vmcnt(0)
	v_add_f64 v[111:112], v[133:134], -v[111:112]
	buffer_store_dword v112, off, s[0:3], 0 offset:228
	buffer_store_dword v111, off, s[0:3], 0 offset:224
	v_cmpx_lt_u32_e32 27, v0
	s_cbranch_execz .LBB53_279
; %bb.278:
	s_clause 0x1
	buffer_load_dword v111, off, s[0:3], 0 offset:216
	buffer_load_dword v112, off, s[0:3], 0 offset:220
	buffer_store_dword v110, off, s[0:3], 0 offset:216
	buffer_store_dword v110, off, s[0:3], 0 offset:220
	s_waitcnt vmcnt(0)
	ds_write_b64 v109, v[111:112]
.LBB53_279:
	s_or_b32 exec_lo, exec_lo, s4
	s_waitcnt lgkmcnt(0)
	s_waitcnt_vscnt null, 0x0
	s_barrier
	buffer_gl0_inv
	s_clause 0x1c
	buffer_load_dword v119, off, s[0:3], 0 offset:224
	buffer_load_dword v120, off, s[0:3], 0 offset:228
	;; [unrolled: 1-line block ×29, first 2 shown]
	ds_read_b128 v[111:114], v110 offset:656
	ds_read_b128 v[115:118], v110 offset:672
	buffer_load_dword v144, off, s[0:3], 0 offset:340
	s_mov_b32 s4, exec_lo
	s_waitcnt vmcnt(28) lgkmcnt(1)
	v_fma_f64 v[111:112], v[119:120], v[111:112], 0
	s_clause 0x7
	buffer_load_dword v120, off, s[0:3], 0 offset:348
	buffer_load_dword v149, off, s[0:3], 0 offset:368
	;; [unrolled: 1-line block ×8, first 2 shown]
	s_waitcnt vmcnt(34)
	v_fma_f64 v[111:112], v[121:122], v[113:114], v[111:112]
	s_waitcnt vmcnt(32) lgkmcnt(0)
	v_fma_f64 v[111:112], v[123:124], v[115:116], v[111:112]
	s_waitcnt vmcnt(30)
	v_fma_f64 v[121:122], v[125:126], v[117:118], v[111:112]
	ds_read_b128 v[111:114], v110 offset:688
	ds_read_b128 v[115:118], v110 offset:704
	s_waitcnt vmcnt(28) lgkmcnt(1)
	v_fma_f64 v[111:112], v[127:128], v[111:112], v[121:122]
	s_clause 0x7
	buffer_load_dword v122, off, s[0:3], 0 offset:380
	buffer_load_dword v123, off, s[0:3], 0 offset:400
	;; [unrolled: 1-line block ×8, first 2 shown]
	s_waitcnt vmcnt(34)
	v_fma_f64 v[111:112], v[129:130], v[113:114], v[111:112]
	s_waitcnt vmcnt(32) lgkmcnt(0)
	v_fma_f64 v[111:112], v[131:132], v[115:116], v[111:112]
	s_waitcnt vmcnt(27)
	v_fma_f64 v[129:130], v[133:134], v[117:118], v[111:112]
	ds_read_b128 v[111:114], v110 offset:720
	ds_read_b128 v[115:118], v110 offset:736
	s_waitcnt vmcnt(26) lgkmcnt(1)
	v_fma_f64 v[111:112], v[139:140], v[111:112], v[129:130]
	s_clause 0x5
	buffer_load_dword v130, off, s[0:3], 0 offset:412
	buffer_load_dword v131, off, s[0:3], 0 offset:424
	;; [unrolled: 1-line block ×6, first 2 shown]
	s_waitcnt vmcnt(31)
	v_fma_f64 v[111:112], v[137:138], v[113:114], v[111:112]
	s_waitcnt vmcnt(30) lgkmcnt(0)
	v_fma_f64 v[111:112], v[135:136], v[115:116], v[111:112]
	s_waitcnt vmcnt(25)
	v_fma_f64 v[135:136], v[141:142], v[117:118], v[111:112]
	ds_read_b128 v[111:114], v110 offset:752
	s_clause 0x1
	buffer_load_dword v137, off, s[0:3], 0 offset:216
	buffer_load_dword v138, off, s[0:3], 0 offset:220
	ds_read_b128 v[115:118], v110 offset:768
	s_waitcnt vmcnt(26) lgkmcnt(1)
	v_fma_f64 v[111:112], v[147:148], v[111:112], v[135:136]
	s_waitcnt vmcnt(25)
	v_fma_f64 v[111:112], v[145:146], v[113:114], v[111:112]
	s_waitcnt vmcnt(24) lgkmcnt(0)
	v_fma_f64 v[111:112], v[143:144], v[115:116], v[111:112]
	s_waitcnt vmcnt(19)
	v_fma_f64 v[119:120], v[119:120], v[117:118], v[111:112]
	ds_read_b128 v[111:114], v110 offset:784
	ds_read_b128 v[115:118], v110 offset:800
	s_waitcnt vmcnt(18) lgkmcnt(1)
	v_fma_f64 v[111:112], v[153:154], v[111:112], v[119:120]
	s_waitcnt vmcnt(17)
	v_fma_f64 v[111:112], v[151:152], v[113:114], v[111:112]
	s_waitcnt vmcnt(16) lgkmcnt(0)
	v_fma_f64 v[111:112], v[149:150], v[115:116], v[111:112]
	s_waitcnt vmcnt(11)
	v_fma_f64 v[119:120], v[121:122], v[117:118], v[111:112]
	ds_read_b128 v[111:114], v110 offset:816
	;; [unrolled: 10-line block ×3, first 2 shown]
	s_waitcnt vmcnt(3) lgkmcnt(0)
	v_fma_f64 v[110:111], v[133:134], v[110:111], v[114:115]
	s_waitcnt vmcnt(2)
	v_fma_f64 v[110:111], v[131:132], v[112:113], v[110:111]
	s_waitcnt vmcnt(0)
	v_add_f64 v[110:111], v[137:138], -v[110:111]
	buffer_store_dword v111, off, s[0:3], 0 offset:220
	buffer_store_dword v110, off, s[0:3], 0 offset:216
	v_cmpx_lt_u32_e32 26, v0
	s_cbranch_execz .LBB53_281
; %bb.280:
	s_clause 0x1
	buffer_load_dword v110, off, s[0:3], 0 offset:208
	buffer_load_dword v111, off, s[0:3], 0 offset:212
	v_mov_b32_e32 v112, 0
	buffer_store_dword v112, off, s[0:3], 0 offset:208
	buffer_store_dword v112, off, s[0:3], 0 offset:212
	s_waitcnt vmcnt(0)
	ds_write_b64 v109, v[110:111]
.LBB53_281:
	s_or_b32 exec_lo, exec_lo, s4
	s_waitcnt lgkmcnt(0)
	s_waitcnt_vscnt null, 0x0
	s_barrier
	buffer_gl0_inv
	s_clause 0x1c
	buffer_load_dword v119, off, s[0:3], 0 offset:216
	buffer_load_dword v120, off, s[0:3], 0 offset:220
	;; [unrolled: 1-line block ×29, first 2 shown]
	v_mov_b32_e32 v110, 0
	buffer_load_dword v144, off, s[0:3], 0 offset:332
	s_mov_b32 s4, exec_lo
	ds_read2_b64 v[111:114], v110 offset0:81 offset1:82
	ds_read2_b64 v[115:118], v110 offset0:83 offset1:84
	s_waitcnt vmcnt(28) lgkmcnt(1)
	v_fma_f64 v[111:112], v[119:120], v[111:112], 0
	s_clause 0x7
	buffer_load_dword v120, off, s[0:3], 0 offset:340
	buffer_load_dword v149, off, s[0:3], 0 offset:360
	buffer_load_dword v151, off, s[0:3], 0 offset:352
	buffer_load_dword v153, off, s[0:3], 0 offset:344
	buffer_load_dword v119, off, s[0:3], 0 offset:336
	buffer_load_dword v154, off, s[0:3], 0 offset:348
	buffer_load_dword v152, off, s[0:3], 0 offset:356
	buffer_load_dword v150, off, s[0:3], 0 offset:364
	s_waitcnt vmcnt(34)
	v_fma_f64 v[111:112], v[121:122], v[113:114], v[111:112]
	s_waitcnt vmcnt(32) lgkmcnt(0)
	v_fma_f64 v[111:112], v[123:124], v[115:116], v[111:112]
	s_waitcnt vmcnt(30)
	v_fma_f64 v[121:122], v[125:126], v[117:118], v[111:112]
	ds_read2_b64 v[111:114], v110 offset0:85 offset1:86
	ds_read2_b64 v[115:118], v110 offset0:87 offset1:88
	s_waitcnt vmcnt(28) lgkmcnt(1)
	v_fma_f64 v[111:112], v[127:128], v[111:112], v[121:122]
	s_clause 0x7
	buffer_load_dword v122, off, s[0:3], 0 offset:372
	buffer_load_dword v123, off, s[0:3], 0 offset:392
	buffer_load_dword v125, off, s[0:3], 0 offset:384
	buffer_load_dword v127, off, s[0:3], 0 offset:376
	buffer_load_dword v121, off, s[0:3], 0 offset:368
	buffer_load_dword v128, off, s[0:3], 0 offset:380
	buffer_load_dword v126, off, s[0:3], 0 offset:388
	buffer_load_dword v124, off, s[0:3], 0 offset:396
	s_waitcnt vmcnt(34)
	v_fma_f64 v[111:112], v[129:130], v[113:114], v[111:112]
	s_waitcnt vmcnt(32) lgkmcnt(0)
	v_fma_f64 v[111:112], v[131:132], v[115:116], v[111:112]
	s_waitcnt vmcnt(27)
	v_fma_f64 v[129:130], v[133:134], v[117:118], v[111:112]
	;; [unrolled: 19-line block ×3, first 2 shown]
	ds_read2_b64 v[111:114], v110 offset0:93 offset1:94
	ds_read2_b64 v[115:118], v110 offset0:95 offset1:96
	s_waitcnt vmcnt(26) lgkmcnt(1)
	v_fma_f64 v[111:112], v[147:148], v[111:112], v[135:136]
	s_clause 0x1
	buffer_load_dword v135, off, s[0:3], 0 offset:208
	buffer_load_dword v136, off, s[0:3], 0 offset:212
	s_waitcnt vmcnt(27)
	v_fma_f64 v[111:112], v[145:146], v[113:114], v[111:112]
	s_waitcnt vmcnt(26) lgkmcnt(0)
	v_fma_f64 v[111:112], v[143:144], v[115:116], v[111:112]
	s_waitcnt vmcnt(21)
	v_fma_f64 v[119:120], v[119:120], v[117:118], v[111:112]
	ds_read2_b64 v[111:114], v110 offset0:97 offset1:98
	ds_read2_b64 v[115:118], v110 offset0:99 offset1:100
	s_waitcnt vmcnt(20) lgkmcnt(1)
	v_fma_f64 v[111:112], v[153:154], v[111:112], v[119:120]
	s_waitcnt vmcnt(19)
	v_fma_f64 v[111:112], v[151:152], v[113:114], v[111:112]
	s_waitcnt vmcnt(18) lgkmcnt(0)
	v_fma_f64 v[111:112], v[149:150], v[115:116], v[111:112]
	s_waitcnt vmcnt(13)
	v_fma_f64 v[119:120], v[121:122], v[117:118], v[111:112]
	ds_read2_b64 v[111:114], v110 offset0:101 offset1:102
	ds_read2_b64 v[115:118], v110 offset0:103 offset1:104
	s_waitcnt vmcnt(12) lgkmcnt(1)
	v_fma_f64 v[111:112], v[127:128], v[111:112], v[119:120]
	s_waitcnt vmcnt(11)
	v_fma_f64 v[111:112], v[125:126], v[113:114], v[111:112]
	s_waitcnt vmcnt(10) lgkmcnt(0)
	v_fma_f64 v[111:112], v[123:124], v[115:116], v[111:112]
	s_waitcnt vmcnt(5)
	v_fma_f64 v[115:116], v[129:130], v[117:118], v[111:112]
	ds_read2_b64 v[111:114], v110 offset0:105 offset1:106
	ds_read_b64 v[117:118], v110 offset:856
	s_waitcnt vmcnt(4) lgkmcnt(1)
	v_fma_f64 v[111:112], v[139:140], v[111:112], v[115:116]
	s_waitcnt vmcnt(3)
	v_fma_f64 v[111:112], v[133:134], v[113:114], v[111:112]
	s_waitcnt vmcnt(2) lgkmcnt(0)
	v_fma_f64 v[111:112], v[131:132], v[117:118], v[111:112]
	s_waitcnt vmcnt(0)
	v_add_f64 v[111:112], v[135:136], -v[111:112]
	buffer_store_dword v112, off, s[0:3], 0 offset:212
	buffer_store_dword v111, off, s[0:3], 0 offset:208
	v_cmpx_lt_u32_e32 25, v0
	s_cbranch_execz .LBB53_283
; %bb.282:
	s_clause 0x1
	buffer_load_dword v111, off, s[0:3], 0 offset:200
	buffer_load_dword v112, off, s[0:3], 0 offset:204
	buffer_store_dword v110, off, s[0:3], 0 offset:200
	buffer_store_dword v110, off, s[0:3], 0 offset:204
	s_waitcnt vmcnt(0)
	ds_write_b64 v109, v[111:112]
.LBB53_283:
	s_or_b32 exec_lo, exec_lo, s4
	s_waitcnt lgkmcnt(0)
	s_waitcnt_vscnt null, 0x0
	s_barrier
	buffer_gl0_inv
	s_clause 0x1c
	buffer_load_dword v119, off, s[0:3], 0 offset:208
	buffer_load_dword v120, off, s[0:3], 0 offset:212
	;; [unrolled: 1-line block ×29, first 2 shown]
	ds_read_b128 v[111:114], v110 offset:640
	ds_read_b128 v[115:118], v110 offset:656
	buffer_load_dword v144, off, s[0:3], 0 offset:324
	s_mov_b32 s4, exec_lo
	s_waitcnt vmcnt(28) lgkmcnt(1)
	v_fma_f64 v[111:112], v[119:120], v[111:112], 0
	s_clause 0x7
	buffer_load_dword v120, off, s[0:3], 0 offset:332
	buffer_load_dword v149, off, s[0:3], 0 offset:352
	buffer_load_dword v151, off, s[0:3], 0 offset:344
	buffer_load_dword v153, off, s[0:3], 0 offset:336
	buffer_load_dword v119, off, s[0:3], 0 offset:328
	buffer_load_dword v154, off, s[0:3], 0 offset:340
	buffer_load_dword v152, off, s[0:3], 0 offset:348
	buffer_load_dword v150, off, s[0:3], 0 offset:356
	s_waitcnt vmcnt(34)
	v_fma_f64 v[111:112], v[121:122], v[113:114], v[111:112]
	s_waitcnt vmcnt(32) lgkmcnt(0)
	v_fma_f64 v[111:112], v[123:124], v[115:116], v[111:112]
	s_waitcnt vmcnt(30)
	v_fma_f64 v[121:122], v[125:126], v[117:118], v[111:112]
	ds_read_b128 v[111:114], v110 offset:672
	ds_read_b128 v[115:118], v110 offset:688
	s_waitcnt vmcnt(28) lgkmcnt(1)
	v_fma_f64 v[111:112], v[127:128], v[111:112], v[121:122]
	s_clause 0x7
	buffer_load_dword v122, off, s[0:3], 0 offset:364
	buffer_load_dword v123, off, s[0:3], 0 offset:384
	buffer_load_dword v125, off, s[0:3], 0 offset:376
	buffer_load_dword v127, off, s[0:3], 0 offset:368
	buffer_load_dword v121, off, s[0:3], 0 offset:360
	buffer_load_dword v128, off, s[0:3], 0 offset:372
	buffer_load_dword v126, off, s[0:3], 0 offset:380
	buffer_load_dword v124, off, s[0:3], 0 offset:388
	s_waitcnt vmcnt(34)
	v_fma_f64 v[111:112], v[129:130], v[113:114], v[111:112]
	s_waitcnt vmcnt(32) lgkmcnt(0)
	v_fma_f64 v[111:112], v[131:132], v[115:116], v[111:112]
	s_waitcnt vmcnt(27)
	v_fma_f64 v[129:130], v[133:134], v[117:118], v[111:112]
	ds_read_b128 v[111:114], v110 offset:704
	ds_read_b128 v[115:118], v110 offset:720
	;; [unrolled: 19-line block ×3, first 2 shown]
	s_waitcnt vmcnt(26) lgkmcnt(1)
	v_fma_f64 v[111:112], v[147:148], v[111:112], v[135:136]
	s_clause 0x3
	buffer_load_dword v136, off, s[0:3], 0 offset:428
	buffer_load_dword v135, off, s[0:3], 0 offset:424
	buffer_load_dword v137, off, s[0:3], 0 offset:200
	buffer_load_dword v138, off, s[0:3], 0 offset:204
	s_waitcnt vmcnt(29)
	v_fma_f64 v[111:112], v[145:146], v[113:114], v[111:112]
	s_waitcnt vmcnt(28) lgkmcnt(0)
	v_fma_f64 v[111:112], v[143:144], v[115:116], v[111:112]
	s_waitcnt vmcnt(23)
	v_fma_f64 v[119:120], v[119:120], v[117:118], v[111:112]
	ds_read_b128 v[111:114], v110 offset:768
	ds_read_b128 v[115:118], v110 offset:784
	s_waitcnt vmcnt(22) lgkmcnt(1)
	v_fma_f64 v[111:112], v[153:154], v[111:112], v[119:120]
	s_waitcnt vmcnt(21)
	v_fma_f64 v[111:112], v[151:152], v[113:114], v[111:112]
	s_waitcnt vmcnt(20) lgkmcnt(0)
	v_fma_f64 v[111:112], v[149:150], v[115:116], v[111:112]
	s_waitcnt vmcnt(15)
	v_fma_f64 v[119:120], v[121:122], v[117:118], v[111:112]
	ds_read_b128 v[111:114], v110 offset:800
	ds_read_b128 v[115:118], v110 offset:816
	s_waitcnt vmcnt(14) lgkmcnt(1)
	v_fma_f64 v[111:112], v[127:128], v[111:112], v[119:120]
	;; [unrolled: 10-line block ×3, first 2 shown]
	s_waitcnt vmcnt(5)
	v_fma_f64 v[110:111], v[133:134], v[113:114], v[110:111]
	s_waitcnt vmcnt(4) lgkmcnt(0)
	v_fma_f64 v[110:111], v[131:132], v[115:116], v[110:111]
	s_waitcnt vmcnt(2)
	v_fma_f64 v[110:111], v[135:136], v[117:118], v[110:111]
	s_waitcnt vmcnt(0)
	v_add_f64 v[110:111], v[137:138], -v[110:111]
	buffer_store_dword v111, off, s[0:3], 0 offset:204
	buffer_store_dword v110, off, s[0:3], 0 offset:200
	v_cmpx_lt_u32_e32 24, v0
	s_cbranch_execz .LBB53_285
; %bb.284:
	s_clause 0x1
	buffer_load_dword v110, off, s[0:3], 0 offset:192
	buffer_load_dword v111, off, s[0:3], 0 offset:196
	v_mov_b32_e32 v112, 0
	buffer_store_dword v112, off, s[0:3], 0 offset:192
	buffer_store_dword v112, off, s[0:3], 0 offset:196
	s_waitcnt vmcnt(0)
	ds_write_b64 v109, v[110:111]
.LBB53_285:
	s_or_b32 exec_lo, exec_lo, s4
	s_waitcnt lgkmcnt(0)
	s_waitcnt_vscnt null, 0x0
	s_barrier
	buffer_gl0_inv
	s_clause 0x1c
	buffer_load_dword v119, off, s[0:3], 0 offset:200
	buffer_load_dword v120, off, s[0:3], 0 offset:204
	;; [unrolled: 1-line block ×29, first 2 shown]
	v_mov_b32_e32 v110, 0
	buffer_load_dword v144, off, s[0:3], 0 offset:316
	s_mov_b32 s4, exec_lo
	ds_read2_b64 v[111:114], v110 offset0:79 offset1:80
	ds_read2_b64 v[115:118], v110 offset0:81 offset1:82
	s_waitcnt vmcnt(28) lgkmcnt(1)
	v_fma_f64 v[111:112], v[119:120], v[111:112], 0
	s_clause 0x7
	buffer_load_dword v120, off, s[0:3], 0 offset:324
	buffer_load_dword v149, off, s[0:3], 0 offset:344
	buffer_load_dword v151, off, s[0:3], 0 offset:336
	buffer_load_dword v153, off, s[0:3], 0 offset:328
	buffer_load_dword v119, off, s[0:3], 0 offset:320
	buffer_load_dword v154, off, s[0:3], 0 offset:332
	buffer_load_dword v152, off, s[0:3], 0 offset:340
	buffer_load_dword v150, off, s[0:3], 0 offset:348
	s_waitcnt vmcnt(34)
	v_fma_f64 v[111:112], v[121:122], v[113:114], v[111:112]
	s_waitcnt vmcnt(32) lgkmcnt(0)
	v_fma_f64 v[111:112], v[123:124], v[115:116], v[111:112]
	s_waitcnt vmcnt(30)
	v_fma_f64 v[121:122], v[125:126], v[117:118], v[111:112]
	ds_read2_b64 v[111:114], v110 offset0:83 offset1:84
	ds_read2_b64 v[115:118], v110 offset0:85 offset1:86
	s_waitcnt vmcnt(28) lgkmcnt(1)
	v_fma_f64 v[111:112], v[127:128], v[111:112], v[121:122]
	s_clause 0x7
	buffer_load_dword v122, off, s[0:3], 0 offset:356
	buffer_load_dword v123, off, s[0:3], 0 offset:376
	buffer_load_dword v125, off, s[0:3], 0 offset:368
	buffer_load_dword v127, off, s[0:3], 0 offset:360
	buffer_load_dword v121, off, s[0:3], 0 offset:352
	buffer_load_dword v128, off, s[0:3], 0 offset:364
	buffer_load_dword v126, off, s[0:3], 0 offset:372
	buffer_load_dword v124, off, s[0:3], 0 offset:380
	s_waitcnt vmcnt(34)
	v_fma_f64 v[111:112], v[129:130], v[113:114], v[111:112]
	s_waitcnt vmcnt(32) lgkmcnt(0)
	v_fma_f64 v[111:112], v[131:132], v[115:116], v[111:112]
	s_waitcnt vmcnt(27)
	v_fma_f64 v[129:130], v[133:134], v[117:118], v[111:112]
	;; [unrolled: 19-line block ×3, first 2 shown]
	ds_read2_b64 v[111:114], v110 offset0:91 offset1:92
	ds_read2_b64 v[115:118], v110 offset0:93 offset1:94
	s_waitcnt vmcnt(26) lgkmcnt(1)
	v_fma_f64 v[111:112], v[147:148], v[111:112], v[135:136]
	s_clause 0x5
	buffer_load_dword v136, off, s[0:3], 0 offset:420
	buffer_load_dword v137, off, s[0:3], 0 offset:424
	;; [unrolled: 1-line block ×6, first 2 shown]
	s_waitcnt vmcnt(31)
	v_fma_f64 v[111:112], v[145:146], v[113:114], v[111:112]
	s_waitcnt vmcnt(30) lgkmcnt(0)
	v_fma_f64 v[111:112], v[143:144], v[115:116], v[111:112]
	s_waitcnt vmcnt(25)
	v_fma_f64 v[119:120], v[119:120], v[117:118], v[111:112]
	ds_read2_b64 v[111:114], v110 offset0:95 offset1:96
	ds_read2_b64 v[115:118], v110 offset0:97 offset1:98
	s_waitcnt vmcnt(24) lgkmcnt(1)
	v_fma_f64 v[111:112], v[153:154], v[111:112], v[119:120]
	s_waitcnt vmcnt(23)
	v_fma_f64 v[111:112], v[151:152], v[113:114], v[111:112]
	s_waitcnt vmcnt(22) lgkmcnt(0)
	v_fma_f64 v[111:112], v[149:150], v[115:116], v[111:112]
	s_waitcnt vmcnt(17)
	v_fma_f64 v[119:120], v[121:122], v[117:118], v[111:112]
	ds_read2_b64 v[111:114], v110 offset0:99 offset1:100
	ds_read2_b64 v[115:118], v110 offset0:101 offset1:102
	s_waitcnt vmcnt(16) lgkmcnt(1)
	v_fma_f64 v[111:112], v[127:128], v[111:112], v[119:120]
	;; [unrolled: 10-line block ×3, first 2 shown]
	s_waitcnt vmcnt(7)
	v_fma_f64 v[111:112], v[133:134], v[113:114], v[111:112]
	ds_read_b64 v[113:114], v110 offset:856
	s_waitcnt vmcnt(6) lgkmcnt(1)
	v_fma_f64 v[111:112], v[131:132], v[115:116], v[111:112]
	s_waitcnt vmcnt(3)
	v_fma_f64 v[111:112], v[135:136], v[117:118], v[111:112]
	s_waitcnt vmcnt(2) lgkmcnt(0)
	v_fma_f64 v[111:112], v[137:138], v[113:114], v[111:112]
	s_waitcnt vmcnt(0)
	v_add_f64 v[111:112], v[141:142], -v[111:112]
	buffer_store_dword v112, off, s[0:3], 0 offset:196
	buffer_store_dword v111, off, s[0:3], 0 offset:192
	v_cmpx_lt_u32_e32 23, v0
	s_cbranch_execz .LBB53_287
; %bb.286:
	s_clause 0x1
	buffer_load_dword v111, off, s[0:3], 0 offset:184
	buffer_load_dword v112, off, s[0:3], 0 offset:188
	buffer_store_dword v110, off, s[0:3], 0 offset:184
	buffer_store_dword v110, off, s[0:3], 0 offset:188
	s_waitcnt vmcnt(0)
	ds_write_b64 v109, v[111:112]
.LBB53_287:
	s_or_b32 exec_lo, exec_lo, s4
	s_waitcnt lgkmcnt(0)
	s_waitcnt_vscnt null, 0x0
	s_barrier
	buffer_gl0_inv
	s_clause 0x1c
	buffer_load_dword v119, off, s[0:3], 0 offset:192
	buffer_load_dword v120, off, s[0:3], 0 offset:196
	;; [unrolled: 1-line block ×29, first 2 shown]
	ds_read_b128 v[111:114], v110 offset:624
	ds_read_b128 v[115:118], v110 offset:640
	buffer_load_dword v144, off, s[0:3], 0 offset:308
	s_mov_b32 s4, exec_lo
	s_waitcnt vmcnt(28) lgkmcnt(1)
	v_fma_f64 v[111:112], v[119:120], v[111:112], 0
	s_clause 0x7
	buffer_load_dword v120, off, s[0:3], 0 offset:316
	buffer_load_dword v149, off, s[0:3], 0 offset:336
	buffer_load_dword v151, off, s[0:3], 0 offset:328
	buffer_load_dword v153, off, s[0:3], 0 offset:320
	buffer_load_dword v119, off, s[0:3], 0 offset:312
	buffer_load_dword v154, off, s[0:3], 0 offset:324
	buffer_load_dword v152, off, s[0:3], 0 offset:332
	buffer_load_dword v150, off, s[0:3], 0 offset:340
	s_waitcnt vmcnt(34)
	v_fma_f64 v[111:112], v[121:122], v[113:114], v[111:112]
	s_waitcnt vmcnt(32) lgkmcnt(0)
	v_fma_f64 v[111:112], v[123:124], v[115:116], v[111:112]
	s_waitcnt vmcnt(30)
	v_fma_f64 v[121:122], v[125:126], v[117:118], v[111:112]
	ds_read_b128 v[111:114], v110 offset:656
	ds_read_b128 v[115:118], v110 offset:672
	s_waitcnt vmcnt(28) lgkmcnt(1)
	v_fma_f64 v[111:112], v[127:128], v[111:112], v[121:122]
	s_clause 0x7
	buffer_load_dword v122, off, s[0:3], 0 offset:348
	buffer_load_dword v123, off, s[0:3], 0 offset:368
	buffer_load_dword v125, off, s[0:3], 0 offset:360
	buffer_load_dword v127, off, s[0:3], 0 offset:352
	buffer_load_dword v121, off, s[0:3], 0 offset:344
	buffer_load_dword v128, off, s[0:3], 0 offset:356
	buffer_load_dword v126, off, s[0:3], 0 offset:364
	buffer_load_dword v124, off, s[0:3], 0 offset:372
	s_waitcnt vmcnt(34)
	v_fma_f64 v[111:112], v[129:130], v[113:114], v[111:112]
	s_waitcnt vmcnt(32) lgkmcnt(0)
	v_fma_f64 v[111:112], v[131:132], v[115:116], v[111:112]
	s_waitcnt vmcnt(27)
	v_fma_f64 v[129:130], v[133:134], v[117:118], v[111:112]
	ds_read_b128 v[111:114], v110 offset:688
	ds_read_b128 v[115:118], v110 offset:704
	s_waitcnt vmcnt(26) lgkmcnt(1)
	v_fma_f64 v[111:112], v[139:140], v[111:112], v[129:130]
	s_clause 0x7
	buffer_load_dword v130, off, s[0:3], 0 offset:380
	buffer_load_dword v131, off, s[0:3], 0 offset:400
	buffer_load_dword v133, off, s[0:3], 0 offset:392
	buffer_load_dword v139, off, s[0:3], 0 offset:384
	buffer_load_dword v129, off, s[0:3], 0 offset:376
	buffer_load_dword v140, off, s[0:3], 0 offset:388
	buffer_load_dword v134, off, s[0:3], 0 offset:396
	buffer_load_dword v132, off, s[0:3], 0 offset:404
	s_waitcnt vmcnt(33)
	v_fma_f64 v[111:112], v[137:138], v[113:114], v[111:112]
	s_waitcnt vmcnt(32) lgkmcnt(0)
	v_fma_f64 v[111:112], v[135:136], v[115:116], v[111:112]
	s_waitcnt vmcnt(27)
	v_fma_f64 v[135:136], v[141:142], v[117:118], v[111:112]
	ds_read_b128 v[111:114], v110 offset:720
	ds_read_b128 v[115:118], v110 offset:736
	s_waitcnt vmcnt(26) lgkmcnt(1)
	v_fma_f64 v[111:112], v[147:148], v[111:112], v[135:136]
	s_clause 0x5
	buffer_load_dword v136, off, s[0:3], 0 offset:412
	buffer_load_dword v137, off, s[0:3], 0 offset:424
	;; [unrolled: 1-line block ×6, first 2 shown]
	s_waitcnt vmcnt(31)
	v_fma_f64 v[111:112], v[145:146], v[113:114], v[111:112]
	s_waitcnt vmcnt(30) lgkmcnt(0)
	v_fma_f64 v[111:112], v[143:144], v[115:116], v[111:112]
	s_waitcnt vmcnt(25)
	v_fma_f64 v[119:120], v[119:120], v[117:118], v[111:112]
	ds_read_b128 v[111:114], v110 offset:752
	s_clause 0x1
	buffer_load_dword v143, off, s[0:3], 0 offset:184
	buffer_load_dword v144, off, s[0:3], 0 offset:188
	ds_read_b128 v[115:118], v110 offset:768
	s_waitcnt vmcnt(26) lgkmcnt(1)
	v_fma_f64 v[111:112], v[153:154], v[111:112], v[119:120]
	s_waitcnt vmcnt(25)
	v_fma_f64 v[111:112], v[151:152], v[113:114], v[111:112]
	s_waitcnt vmcnt(24) lgkmcnt(0)
	v_fma_f64 v[111:112], v[149:150], v[115:116], v[111:112]
	s_waitcnt vmcnt(19)
	v_fma_f64 v[119:120], v[121:122], v[117:118], v[111:112]
	ds_read_b128 v[111:114], v110 offset:784
	ds_read_b128 v[115:118], v110 offset:800
	s_waitcnt vmcnt(18) lgkmcnt(1)
	v_fma_f64 v[111:112], v[127:128], v[111:112], v[119:120]
	s_waitcnt vmcnt(17)
	v_fma_f64 v[111:112], v[125:126], v[113:114], v[111:112]
	s_waitcnt vmcnt(16) lgkmcnt(0)
	v_fma_f64 v[111:112], v[123:124], v[115:116], v[111:112]
	s_waitcnt vmcnt(11)
	v_fma_f64 v[119:120], v[129:130], v[117:118], v[111:112]
	ds_read_b128 v[111:114], v110 offset:816
	;; [unrolled: 10-line block ×3, first 2 shown]
	s_waitcnt vmcnt(3) lgkmcnt(0)
	v_fma_f64 v[110:111], v[141:142], v[110:111], v[114:115]
	s_waitcnt vmcnt(2)
	v_fma_f64 v[110:111], v[137:138], v[112:113], v[110:111]
	s_waitcnt vmcnt(0)
	v_add_f64 v[110:111], v[143:144], -v[110:111]
	buffer_store_dword v111, off, s[0:3], 0 offset:188
	buffer_store_dword v110, off, s[0:3], 0 offset:184
	v_cmpx_lt_u32_e32 22, v0
	s_cbranch_execz .LBB53_289
; %bb.288:
	s_clause 0x1
	buffer_load_dword v110, off, s[0:3], 0 offset:176
	buffer_load_dword v111, off, s[0:3], 0 offset:180
	v_mov_b32_e32 v112, 0
	buffer_store_dword v112, off, s[0:3], 0 offset:176
	buffer_store_dword v112, off, s[0:3], 0 offset:180
	s_waitcnt vmcnt(0)
	ds_write_b64 v109, v[110:111]
.LBB53_289:
	s_or_b32 exec_lo, exec_lo, s4
	s_waitcnt lgkmcnt(0)
	s_waitcnt_vscnt null, 0x0
	s_barrier
	buffer_gl0_inv
	s_clause 0x1c
	buffer_load_dword v119, off, s[0:3], 0 offset:184
	buffer_load_dword v120, off, s[0:3], 0 offset:188
	;; [unrolled: 1-line block ×29, first 2 shown]
	v_mov_b32_e32 v110, 0
	buffer_load_dword v144, off, s[0:3], 0 offset:300
	s_mov_b32 s4, exec_lo
	ds_read2_b64 v[111:114], v110 offset0:77 offset1:78
	ds_read2_b64 v[115:118], v110 offset0:79 offset1:80
	s_waitcnt vmcnt(28) lgkmcnt(1)
	v_fma_f64 v[111:112], v[119:120], v[111:112], 0
	s_clause 0x7
	buffer_load_dword v120, off, s[0:3], 0 offset:308
	buffer_load_dword v149, off, s[0:3], 0 offset:328
	buffer_load_dword v151, off, s[0:3], 0 offset:320
	buffer_load_dword v153, off, s[0:3], 0 offset:312
	buffer_load_dword v119, off, s[0:3], 0 offset:304
	buffer_load_dword v154, off, s[0:3], 0 offset:316
	buffer_load_dword v152, off, s[0:3], 0 offset:324
	buffer_load_dword v150, off, s[0:3], 0 offset:332
	s_waitcnt vmcnt(34)
	v_fma_f64 v[111:112], v[121:122], v[113:114], v[111:112]
	s_waitcnt vmcnt(32) lgkmcnt(0)
	v_fma_f64 v[111:112], v[123:124], v[115:116], v[111:112]
	s_waitcnt vmcnt(30)
	v_fma_f64 v[121:122], v[125:126], v[117:118], v[111:112]
	ds_read2_b64 v[111:114], v110 offset0:81 offset1:82
	ds_read2_b64 v[115:118], v110 offset0:83 offset1:84
	s_waitcnt vmcnt(28) lgkmcnt(1)
	v_fma_f64 v[111:112], v[127:128], v[111:112], v[121:122]
	s_clause 0x7
	buffer_load_dword v122, off, s[0:3], 0 offset:340
	buffer_load_dword v123, off, s[0:3], 0 offset:360
	buffer_load_dword v125, off, s[0:3], 0 offset:352
	buffer_load_dword v127, off, s[0:3], 0 offset:344
	buffer_load_dword v121, off, s[0:3], 0 offset:336
	buffer_load_dword v128, off, s[0:3], 0 offset:348
	buffer_load_dword v126, off, s[0:3], 0 offset:356
	buffer_load_dword v124, off, s[0:3], 0 offset:364
	s_waitcnt vmcnt(34)
	v_fma_f64 v[111:112], v[129:130], v[113:114], v[111:112]
	s_waitcnt vmcnt(32) lgkmcnt(0)
	v_fma_f64 v[111:112], v[131:132], v[115:116], v[111:112]
	s_waitcnt vmcnt(27)
	v_fma_f64 v[129:130], v[133:134], v[117:118], v[111:112]
	;; [unrolled: 19-line block ×4, first 2 shown]
	ds_read2_b64 v[111:114], v110 offset0:93 offset1:94
	ds_read2_b64 v[115:118], v110 offset0:95 offset1:96
	s_waitcnt vmcnt(26) lgkmcnt(1)
	v_fma_f64 v[111:112], v[153:154], v[111:112], v[119:120]
	s_clause 0x1
	buffer_load_dword v119, off, s[0:3], 0 offset:176
	buffer_load_dword v120, off, s[0:3], 0 offset:180
	s_waitcnt vmcnt(27)
	v_fma_f64 v[111:112], v[151:152], v[113:114], v[111:112]
	s_waitcnt vmcnt(26) lgkmcnt(0)
	v_fma_f64 v[111:112], v[149:150], v[115:116], v[111:112]
	s_waitcnt vmcnt(21)
	v_fma_f64 v[121:122], v[121:122], v[117:118], v[111:112]
	ds_read2_b64 v[111:114], v110 offset0:97 offset1:98
	ds_read2_b64 v[115:118], v110 offset0:99 offset1:100
	s_waitcnt vmcnt(20) lgkmcnt(1)
	v_fma_f64 v[111:112], v[127:128], v[111:112], v[121:122]
	s_waitcnt vmcnt(19)
	v_fma_f64 v[111:112], v[125:126], v[113:114], v[111:112]
	s_waitcnt vmcnt(18) lgkmcnt(0)
	v_fma_f64 v[111:112], v[123:124], v[115:116], v[111:112]
	s_waitcnt vmcnt(13)
	v_fma_f64 v[121:122], v[129:130], v[117:118], v[111:112]
	ds_read2_b64 v[111:114], v110 offset0:101 offset1:102
	ds_read2_b64 v[115:118], v110 offset0:103 offset1:104
	s_waitcnt vmcnt(12) lgkmcnt(1)
	v_fma_f64 v[111:112], v[139:140], v[111:112], v[121:122]
	s_waitcnt vmcnt(11)
	v_fma_f64 v[111:112], v[133:134], v[113:114], v[111:112]
	s_waitcnt vmcnt(10) lgkmcnt(0)
	v_fma_f64 v[111:112], v[131:132], v[115:116], v[111:112]
	s_waitcnt vmcnt(5)
	v_fma_f64 v[115:116], v[135:136], v[117:118], v[111:112]
	ds_read2_b64 v[111:114], v110 offset0:105 offset1:106
	ds_read_b64 v[117:118], v110 offset:856
	s_waitcnt vmcnt(4) lgkmcnt(1)
	v_fma_f64 v[111:112], v[147:148], v[111:112], v[115:116]
	s_waitcnt vmcnt(3)
	v_fma_f64 v[111:112], v[141:142], v[113:114], v[111:112]
	s_waitcnt vmcnt(2) lgkmcnt(0)
	v_fma_f64 v[111:112], v[137:138], v[117:118], v[111:112]
	s_waitcnt vmcnt(0)
	v_add_f64 v[111:112], v[119:120], -v[111:112]
	buffer_store_dword v112, off, s[0:3], 0 offset:180
	buffer_store_dword v111, off, s[0:3], 0 offset:176
	v_cmpx_lt_u32_e32 21, v0
	s_cbranch_execz .LBB53_291
; %bb.290:
	s_clause 0x1
	buffer_load_dword v111, off, s[0:3], 0 offset:168
	buffer_load_dword v112, off, s[0:3], 0 offset:172
	buffer_store_dword v110, off, s[0:3], 0 offset:168
	buffer_store_dword v110, off, s[0:3], 0 offset:172
	s_waitcnt vmcnt(0)
	ds_write_b64 v109, v[111:112]
.LBB53_291:
	s_or_b32 exec_lo, exec_lo, s4
	s_waitcnt lgkmcnt(0)
	s_waitcnt_vscnt null, 0x0
	s_barrier
	buffer_gl0_inv
	s_clause 0x1c
	buffer_load_dword v119, off, s[0:3], 0 offset:176
	buffer_load_dword v120, off, s[0:3], 0 offset:180
	;; [unrolled: 1-line block ×29, first 2 shown]
	ds_read_b128 v[111:114], v110 offset:608
	ds_read_b128 v[115:118], v110 offset:624
	buffer_load_dword v144, off, s[0:3], 0 offset:292
	s_mov_b32 s4, exec_lo
	s_waitcnt vmcnt(28) lgkmcnt(1)
	v_fma_f64 v[111:112], v[119:120], v[111:112], 0
	s_clause 0x7
	buffer_load_dword v120, off, s[0:3], 0 offset:300
	buffer_load_dword v149, off, s[0:3], 0 offset:320
	buffer_load_dword v151, off, s[0:3], 0 offset:312
	buffer_load_dword v153, off, s[0:3], 0 offset:304
	buffer_load_dword v119, off, s[0:3], 0 offset:296
	buffer_load_dword v154, off, s[0:3], 0 offset:308
	buffer_load_dword v152, off, s[0:3], 0 offset:316
	buffer_load_dword v150, off, s[0:3], 0 offset:324
	s_waitcnt vmcnt(34)
	v_fma_f64 v[111:112], v[121:122], v[113:114], v[111:112]
	s_waitcnt vmcnt(32) lgkmcnt(0)
	v_fma_f64 v[111:112], v[123:124], v[115:116], v[111:112]
	s_waitcnt vmcnt(30)
	v_fma_f64 v[121:122], v[125:126], v[117:118], v[111:112]
	ds_read_b128 v[111:114], v110 offset:640
	ds_read_b128 v[115:118], v110 offset:656
	s_waitcnt vmcnt(28) lgkmcnt(1)
	v_fma_f64 v[111:112], v[127:128], v[111:112], v[121:122]
	s_clause 0x7
	buffer_load_dword v122, off, s[0:3], 0 offset:332
	buffer_load_dword v123, off, s[0:3], 0 offset:352
	buffer_load_dword v125, off, s[0:3], 0 offset:344
	buffer_load_dword v127, off, s[0:3], 0 offset:336
	buffer_load_dword v121, off, s[0:3], 0 offset:328
	buffer_load_dword v128, off, s[0:3], 0 offset:340
	buffer_load_dword v126, off, s[0:3], 0 offset:348
	buffer_load_dword v124, off, s[0:3], 0 offset:356
	s_waitcnt vmcnt(34)
	v_fma_f64 v[111:112], v[129:130], v[113:114], v[111:112]
	s_waitcnt vmcnt(32) lgkmcnt(0)
	v_fma_f64 v[111:112], v[131:132], v[115:116], v[111:112]
	s_waitcnt vmcnt(27)
	v_fma_f64 v[129:130], v[133:134], v[117:118], v[111:112]
	ds_read_b128 v[111:114], v110 offset:672
	ds_read_b128 v[115:118], v110 offset:688
	;; [unrolled: 19-line block ×4, first 2 shown]
	s_waitcnt vmcnt(26) lgkmcnt(1)
	v_fma_f64 v[111:112], v[153:154], v[111:112], v[119:120]
	s_clause 0x3
	buffer_load_dword v120, off, s[0:3], 0 offset:428
	buffer_load_dword v119, off, s[0:3], 0 offset:424
	buffer_load_dword v143, off, s[0:3], 0 offset:168
	buffer_load_dword v144, off, s[0:3], 0 offset:172
	s_waitcnt vmcnt(29)
	v_fma_f64 v[111:112], v[151:152], v[113:114], v[111:112]
	s_waitcnt vmcnt(28) lgkmcnt(0)
	v_fma_f64 v[111:112], v[149:150], v[115:116], v[111:112]
	s_waitcnt vmcnt(23)
	v_fma_f64 v[121:122], v[121:122], v[117:118], v[111:112]
	ds_read_b128 v[111:114], v110 offset:768
	ds_read_b128 v[115:118], v110 offset:784
	s_waitcnt vmcnt(22) lgkmcnt(1)
	v_fma_f64 v[111:112], v[127:128], v[111:112], v[121:122]
	s_waitcnt vmcnt(21)
	v_fma_f64 v[111:112], v[125:126], v[113:114], v[111:112]
	s_waitcnt vmcnt(20) lgkmcnt(0)
	v_fma_f64 v[111:112], v[123:124], v[115:116], v[111:112]
	s_waitcnt vmcnt(15)
	v_fma_f64 v[121:122], v[129:130], v[117:118], v[111:112]
	ds_read_b128 v[111:114], v110 offset:800
	ds_read_b128 v[115:118], v110 offset:816
	s_waitcnt vmcnt(14) lgkmcnt(1)
	v_fma_f64 v[111:112], v[139:140], v[111:112], v[121:122]
	;; [unrolled: 10-line block ×3, first 2 shown]
	s_waitcnt vmcnt(5)
	v_fma_f64 v[110:111], v[141:142], v[113:114], v[110:111]
	s_waitcnt vmcnt(4) lgkmcnt(0)
	v_fma_f64 v[110:111], v[137:138], v[115:116], v[110:111]
	s_waitcnt vmcnt(2)
	v_fma_f64 v[110:111], v[119:120], v[117:118], v[110:111]
	s_waitcnt vmcnt(0)
	v_add_f64 v[110:111], v[143:144], -v[110:111]
	buffer_store_dword v111, off, s[0:3], 0 offset:172
	buffer_store_dword v110, off, s[0:3], 0 offset:168
	v_cmpx_lt_u32_e32 20, v0
	s_cbranch_execz .LBB53_293
; %bb.292:
	s_clause 0x1
	buffer_load_dword v110, off, s[0:3], 0 offset:160
	buffer_load_dword v111, off, s[0:3], 0 offset:164
	v_mov_b32_e32 v112, 0
	buffer_store_dword v112, off, s[0:3], 0 offset:160
	buffer_store_dword v112, off, s[0:3], 0 offset:164
	s_waitcnt vmcnt(0)
	ds_write_b64 v109, v[110:111]
.LBB53_293:
	s_or_b32 exec_lo, exec_lo, s4
	s_waitcnt lgkmcnt(0)
	s_waitcnt_vscnt null, 0x0
	s_barrier
	buffer_gl0_inv
	s_clause 0x1c
	buffer_load_dword v119, off, s[0:3], 0 offset:168
	buffer_load_dword v120, off, s[0:3], 0 offset:172
	buffer_load_dword v121, off, s[0:3], 0 offset:176
	buffer_load_dword v122, off, s[0:3], 0 offset:180
	buffer_load_dword v123, off, s[0:3], 0 offset:184
	buffer_load_dword v124, off, s[0:3], 0 offset:188
	buffer_load_dword v125, off, s[0:3], 0 offset:192
	buffer_load_dword v126, off, s[0:3], 0 offset:196
	buffer_load_dword v127, off, s[0:3], 0 offset:200
	buffer_load_dword v128, off, s[0:3], 0 offset:204
	buffer_load_dword v129, off, s[0:3], 0 offset:208
	buffer_load_dword v130, off, s[0:3], 0 offset:212
	buffer_load_dword v131, off, s[0:3], 0 offset:216
	buffer_load_dword v132, off, s[0:3], 0 offset:220
	buffer_load_dword v134, off, s[0:3], 0 offset:228
	buffer_load_dword v135, off, s[0:3], 0 offset:248
	buffer_load_dword v137, off, s[0:3], 0 offset:240
	buffer_load_dword v139, off, s[0:3], 0 offset:232
	buffer_load_dword v133, off, s[0:3], 0 offset:224
	buffer_load_dword v140, off, s[0:3], 0 offset:236
	buffer_load_dword v138, off, s[0:3], 0 offset:244
	buffer_load_dword v136, off, s[0:3], 0 offset:252
	buffer_load_dword v142, off, s[0:3], 0 offset:260
	buffer_load_dword v143, off, s[0:3], 0 offset:280
	buffer_load_dword v145, off, s[0:3], 0 offset:272
	buffer_load_dword v147, off, s[0:3], 0 offset:264
	buffer_load_dword v141, off, s[0:3], 0 offset:256
	buffer_load_dword v148, off, s[0:3], 0 offset:268
	buffer_load_dword v146, off, s[0:3], 0 offset:276
	v_mov_b32_e32 v110, 0
	buffer_load_dword v144, off, s[0:3], 0 offset:284
	s_mov_b32 s4, exec_lo
	ds_read2_b64 v[111:114], v110 offset0:75 offset1:76
	ds_read2_b64 v[115:118], v110 offset0:77 offset1:78
	s_waitcnt vmcnt(28) lgkmcnt(1)
	v_fma_f64 v[111:112], v[119:120], v[111:112], 0
	s_clause 0x7
	buffer_load_dword v120, off, s[0:3], 0 offset:292
	buffer_load_dword v149, off, s[0:3], 0 offset:312
	buffer_load_dword v151, off, s[0:3], 0 offset:304
	buffer_load_dword v153, off, s[0:3], 0 offset:296
	buffer_load_dword v119, off, s[0:3], 0 offset:288
	buffer_load_dword v154, off, s[0:3], 0 offset:300
	buffer_load_dword v152, off, s[0:3], 0 offset:308
	buffer_load_dword v150, off, s[0:3], 0 offset:316
	s_waitcnt vmcnt(34)
	v_fma_f64 v[111:112], v[121:122], v[113:114], v[111:112]
	s_waitcnt vmcnt(32) lgkmcnt(0)
	v_fma_f64 v[111:112], v[123:124], v[115:116], v[111:112]
	s_waitcnt vmcnt(30)
	v_fma_f64 v[121:122], v[125:126], v[117:118], v[111:112]
	ds_read2_b64 v[111:114], v110 offset0:79 offset1:80
	ds_read2_b64 v[115:118], v110 offset0:81 offset1:82
	s_waitcnt vmcnt(28) lgkmcnt(1)
	v_fma_f64 v[111:112], v[127:128], v[111:112], v[121:122]
	s_clause 0x7
	buffer_load_dword v122, off, s[0:3], 0 offset:324
	buffer_load_dword v123, off, s[0:3], 0 offset:344
	buffer_load_dword v125, off, s[0:3], 0 offset:336
	buffer_load_dword v127, off, s[0:3], 0 offset:328
	buffer_load_dword v121, off, s[0:3], 0 offset:320
	buffer_load_dword v128, off, s[0:3], 0 offset:332
	buffer_load_dword v126, off, s[0:3], 0 offset:340
	buffer_load_dword v124, off, s[0:3], 0 offset:348
	s_waitcnt vmcnt(34)
	v_fma_f64 v[111:112], v[129:130], v[113:114], v[111:112]
	s_waitcnt vmcnt(32) lgkmcnt(0)
	v_fma_f64 v[111:112], v[131:132], v[115:116], v[111:112]
	s_waitcnt vmcnt(27)
	v_fma_f64 v[129:130], v[133:134], v[117:118], v[111:112]
	;; [unrolled: 19-line block ×4, first 2 shown]
	ds_read2_b64 v[111:114], v110 offset0:91 offset1:92
	ds_read2_b64 v[115:118], v110 offset0:93 offset1:94
	s_waitcnt vmcnt(26) lgkmcnt(1)
	v_fma_f64 v[111:112], v[153:154], v[111:112], v[119:120]
	s_clause 0x5
	buffer_load_dword v120, off, s[0:3], 0 offset:420
	buffer_load_dword v143, off, s[0:3], 0 offset:424
	;; [unrolled: 1-line block ×6, first 2 shown]
	s_waitcnt vmcnt(31)
	v_fma_f64 v[111:112], v[151:152], v[113:114], v[111:112]
	s_waitcnt vmcnt(30) lgkmcnt(0)
	v_fma_f64 v[111:112], v[149:150], v[115:116], v[111:112]
	s_waitcnt vmcnt(25)
	v_fma_f64 v[121:122], v[121:122], v[117:118], v[111:112]
	ds_read2_b64 v[111:114], v110 offset0:95 offset1:96
	ds_read2_b64 v[115:118], v110 offset0:97 offset1:98
	s_waitcnt vmcnt(24) lgkmcnt(1)
	v_fma_f64 v[111:112], v[127:128], v[111:112], v[121:122]
	s_waitcnt vmcnt(23)
	v_fma_f64 v[111:112], v[125:126], v[113:114], v[111:112]
	s_waitcnt vmcnt(22) lgkmcnt(0)
	v_fma_f64 v[111:112], v[123:124], v[115:116], v[111:112]
	s_waitcnt vmcnt(17)
	v_fma_f64 v[121:122], v[129:130], v[117:118], v[111:112]
	ds_read2_b64 v[111:114], v110 offset0:99 offset1:100
	ds_read2_b64 v[115:118], v110 offset0:101 offset1:102
	s_waitcnt vmcnt(16) lgkmcnt(1)
	v_fma_f64 v[111:112], v[139:140], v[111:112], v[121:122]
	;; [unrolled: 10-line block ×3, first 2 shown]
	s_waitcnt vmcnt(7)
	v_fma_f64 v[111:112], v[141:142], v[113:114], v[111:112]
	ds_read_b64 v[113:114], v110 offset:856
	s_waitcnt vmcnt(6) lgkmcnt(1)
	v_fma_f64 v[111:112], v[137:138], v[115:116], v[111:112]
	s_waitcnt vmcnt(3)
	v_fma_f64 v[111:112], v[119:120], v[117:118], v[111:112]
	s_waitcnt vmcnt(2) lgkmcnt(0)
	v_fma_f64 v[111:112], v[143:144], v[113:114], v[111:112]
	s_waitcnt vmcnt(0)
	v_add_f64 v[111:112], v[145:146], -v[111:112]
	buffer_store_dword v112, off, s[0:3], 0 offset:164
	buffer_store_dword v111, off, s[0:3], 0 offset:160
	v_cmpx_lt_u32_e32 19, v0
	s_cbranch_execz .LBB53_295
; %bb.294:
	s_clause 0x1
	buffer_load_dword v111, off, s[0:3], 0 offset:152
	buffer_load_dword v112, off, s[0:3], 0 offset:156
	buffer_store_dword v110, off, s[0:3], 0 offset:152
	buffer_store_dword v110, off, s[0:3], 0 offset:156
	s_waitcnt vmcnt(0)
	ds_write_b64 v109, v[111:112]
.LBB53_295:
	s_or_b32 exec_lo, exec_lo, s4
	s_waitcnt lgkmcnt(0)
	s_waitcnt_vscnt null, 0x0
	s_barrier
	buffer_gl0_inv
	s_clause 0x1c
	buffer_load_dword v119, off, s[0:3], 0 offset:160
	buffer_load_dword v120, off, s[0:3], 0 offset:164
	;; [unrolled: 1-line block ×29, first 2 shown]
	ds_read_b128 v[111:114], v110 offset:592
	ds_read_b128 v[115:118], v110 offset:608
	buffer_load_dword v144, off, s[0:3], 0 offset:276
	s_mov_b32 s4, exec_lo
	s_waitcnt vmcnt(28) lgkmcnt(1)
	v_fma_f64 v[111:112], v[119:120], v[111:112], 0
	s_clause 0x7
	buffer_load_dword v120, off, s[0:3], 0 offset:284
	buffer_load_dword v149, off, s[0:3], 0 offset:304
	buffer_load_dword v151, off, s[0:3], 0 offset:296
	buffer_load_dword v153, off, s[0:3], 0 offset:288
	buffer_load_dword v119, off, s[0:3], 0 offset:280
	buffer_load_dword v154, off, s[0:3], 0 offset:292
	buffer_load_dword v152, off, s[0:3], 0 offset:300
	buffer_load_dword v150, off, s[0:3], 0 offset:308
	s_waitcnt vmcnt(34)
	v_fma_f64 v[111:112], v[121:122], v[113:114], v[111:112]
	s_waitcnt vmcnt(32) lgkmcnt(0)
	v_fma_f64 v[111:112], v[123:124], v[115:116], v[111:112]
	s_waitcnt vmcnt(30)
	v_fma_f64 v[121:122], v[125:126], v[117:118], v[111:112]
	ds_read_b128 v[111:114], v110 offset:624
	ds_read_b128 v[115:118], v110 offset:640
	s_waitcnt vmcnt(28) lgkmcnt(1)
	v_fma_f64 v[111:112], v[127:128], v[111:112], v[121:122]
	s_clause 0x7
	buffer_load_dword v122, off, s[0:3], 0 offset:316
	buffer_load_dword v123, off, s[0:3], 0 offset:336
	buffer_load_dword v125, off, s[0:3], 0 offset:328
	buffer_load_dword v127, off, s[0:3], 0 offset:320
	buffer_load_dword v121, off, s[0:3], 0 offset:312
	buffer_load_dword v128, off, s[0:3], 0 offset:324
	buffer_load_dword v126, off, s[0:3], 0 offset:332
	buffer_load_dword v124, off, s[0:3], 0 offset:340
	s_waitcnt vmcnt(34)
	v_fma_f64 v[111:112], v[129:130], v[113:114], v[111:112]
	s_waitcnt vmcnt(32) lgkmcnt(0)
	v_fma_f64 v[111:112], v[131:132], v[115:116], v[111:112]
	s_waitcnt vmcnt(27)
	v_fma_f64 v[129:130], v[133:134], v[117:118], v[111:112]
	ds_read_b128 v[111:114], v110 offset:656
	ds_read_b128 v[115:118], v110 offset:672
	s_waitcnt vmcnt(26) lgkmcnt(1)
	v_fma_f64 v[111:112], v[139:140], v[111:112], v[129:130]
	s_clause 0x7
	buffer_load_dword v130, off, s[0:3], 0 offset:348
	buffer_load_dword v131, off, s[0:3], 0 offset:368
	buffer_load_dword v133, off, s[0:3], 0 offset:360
	buffer_load_dword v139, off, s[0:3], 0 offset:352
	buffer_load_dword v129, off, s[0:3], 0 offset:344
	buffer_load_dword v140, off, s[0:3], 0 offset:356
	buffer_load_dword v134, off, s[0:3], 0 offset:364
	buffer_load_dword v132, off, s[0:3], 0 offset:372
	s_waitcnt vmcnt(33)
	v_fma_f64 v[111:112], v[137:138], v[113:114], v[111:112]
	s_waitcnt vmcnt(32) lgkmcnt(0)
	v_fma_f64 v[111:112], v[135:136], v[115:116], v[111:112]
	s_waitcnt vmcnt(27)
	v_fma_f64 v[135:136], v[141:142], v[117:118], v[111:112]
	ds_read_b128 v[111:114], v110 offset:688
	ds_read_b128 v[115:118], v110 offset:704
	s_waitcnt vmcnt(26) lgkmcnt(1)
	v_fma_f64 v[111:112], v[147:148], v[111:112], v[135:136]
	s_clause 0x7
	buffer_load_dword v136, off, s[0:3], 0 offset:380
	buffer_load_dword v137, off, s[0:3], 0 offset:400
	buffer_load_dword v141, off, s[0:3], 0 offset:392
	buffer_load_dword v147, off, s[0:3], 0 offset:384
	buffer_load_dword v135, off, s[0:3], 0 offset:376
	buffer_load_dword v148, off, s[0:3], 0 offset:388
	buffer_load_dword v142, off, s[0:3], 0 offset:396
	buffer_load_dword v138, off, s[0:3], 0 offset:404
	s_waitcnt vmcnt(33)
	v_fma_f64 v[111:112], v[145:146], v[113:114], v[111:112]
	s_waitcnt vmcnt(32) lgkmcnt(0)
	v_fma_f64 v[111:112], v[143:144], v[115:116], v[111:112]
	s_waitcnt vmcnt(27)
	v_fma_f64 v[119:120], v[119:120], v[117:118], v[111:112]
	ds_read_b128 v[111:114], v110 offset:720
	ds_read_b128 v[115:118], v110 offset:736
	s_waitcnt vmcnt(26) lgkmcnt(1)
	v_fma_f64 v[111:112], v[153:154], v[111:112], v[119:120]
	s_clause 0x5
	buffer_load_dword v120, off, s[0:3], 0 offset:412
	buffer_load_dword v143, off, s[0:3], 0 offset:424
	;; [unrolled: 1-line block ×6, first 2 shown]
	s_waitcnt vmcnt(31)
	v_fma_f64 v[111:112], v[151:152], v[113:114], v[111:112]
	s_waitcnt vmcnt(30) lgkmcnt(0)
	v_fma_f64 v[111:112], v[149:150], v[115:116], v[111:112]
	s_waitcnt vmcnt(25)
	v_fma_f64 v[121:122], v[121:122], v[117:118], v[111:112]
	ds_read_b128 v[111:114], v110 offset:752
	s_clause 0x1
	buffer_load_dword v149, off, s[0:3], 0 offset:152
	buffer_load_dword v150, off, s[0:3], 0 offset:156
	ds_read_b128 v[115:118], v110 offset:768
	s_waitcnt vmcnt(26) lgkmcnt(1)
	v_fma_f64 v[111:112], v[127:128], v[111:112], v[121:122]
	s_waitcnt vmcnt(25)
	v_fma_f64 v[111:112], v[125:126], v[113:114], v[111:112]
	s_waitcnt vmcnt(24) lgkmcnt(0)
	v_fma_f64 v[111:112], v[123:124], v[115:116], v[111:112]
	s_waitcnt vmcnt(19)
	v_fma_f64 v[121:122], v[129:130], v[117:118], v[111:112]
	ds_read_b128 v[111:114], v110 offset:784
	ds_read_b128 v[115:118], v110 offset:800
	s_waitcnt vmcnt(18) lgkmcnt(1)
	v_fma_f64 v[111:112], v[139:140], v[111:112], v[121:122]
	s_waitcnt vmcnt(17)
	v_fma_f64 v[111:112], v[133:134], v[113:114], v[111:112]
	s_waitcnt vmcnt(16) lgkmcnt(0)
	v_fma_f64 v[111:112], v[131:132], v[115:116], v[111:112]
	s_waitcnt vmcnt(11)
	v_fma_f64 v[121:122], v[135:136], v[117:118], v[111:112]
	ds_read_b128 v[111:114], v110 offset:816
	;; [unrolled: 10-line block ×3, first 2 shown]
	s_waitcnt vmcnt(3) lgkmcnt(0)
	v_fma_f64 v[110:111], v[145:146], v[110:111], v[114:115]
	s_waitcnt vmcnt(2)
	v_fma_f64 v[110:111], v[143:144], v[112:113], v[110:111]
	s_waitcnt vmcnt(0)
	v_add_f64 v[110:111], v[149:150], -v[110:111]
	buffer_store_dword v111, off, s[0:3], 0 offset:156
	buffer_store_dword v110, off, s[0:3], 0 offset:152
	v_cmpx_lt_u32_e32 18, v0
	s_cbranch_execz .LBB53_297
; %bb.296:
	s_clause 0x1
	buffer_load_dword v110, off, s[0:3], 0 offset:144
	buffer_load_dword v111, off, s[0:3], 0 offset:148
	v_mov_b32_e32 v112, 0
	buffer_store_dword v112, off, s[0:3], 0 offset:144
	buffer_store_dword v112, off, s[0:3], 0 offset:148
	s_waitcnt vmcnt(0)
	ds_write_b64 v109, v[110:111]
.LBB53_297:
	s_or_b32 exec_lo, exec_lo, s4
	s_waitcnt lgkmcnt(0)
	s_waitcnt_vscnt null, 0x0
	s_barrier
	buffer_gl0_inv
	s_clause 0x1c
	buffer_load_dword v119, off, s[0:3], 0 offset:152
	buffer_load_dword v120, off, s[0:3], 0 offset:156
	;; [unrolled: 1-line block ×29, first 2 shown]
	v_mov_b32_e32 v110, 0
	buffer_load_dword v144, off, s[0:3], 0 offset:268
	s_mov_b32 s4, exec_lo
	ds_read2_b64 v[111:114], v110 offset0:73 offset1:74
	ds_read2_b64 v[115:118], v110 offset0:75 offset1:76
	s_waitcnt vmcnt(28) lgkmcnt(1)
	v_fma_f64 v[111:112], v[119:120], v[111:112], 0
	s_clause 0x7
	buffer_load_dword v120, off, s[0:3], 0 offset:276
	buffer_load_dword v149, off, s[0:3], 0 offset:296
	buffer_load_dword v151, off, s[0:3], 0 offset:288
	buffer_load_dword v153, off, s[0:3], 0 offset:280
	buffer_load_dword v119, off, s[0:3], 0 offset:272
	buffer_load_dword v154, off, s[0:3], 0 offset:284
	buffer_load_dword v152, off, s[0:3], 0 offset:292
	buffer_load_dword v150, off, s[0:3], 0 offset:300
	s_waitcnt vmcnt(34)
	v_fma_f64 v[111:112], v[121:122], v[113:114], v[111:112]
	s_waitcnt vmcnt(32) lgkmcnt(0)
	v_fma_f64 v[111:112], v[123:124], v[115:116], v[111:112]
	s_waitcnt vmcnt(30)
	v_fma_f64 v[121:122], v[125:126], v[117:118], v[111:112]
	ds_read2_b64 v[111:114], v110 offset0:77 offset1:78
	ds_read2_b64 v[115:118], v110 offset0:79 offset1:80
	s_waitcnt vmcnt(28) lgkmcnt(1)
	v_fma_f64 v[111:112], v[127:128], v[111:112], v[121:122]
	s_clause 0x7
	buffer_load_dword v122, off, s[0:3], 0 offset:308
	buffer_load_dword v123, off, s[0:3], 0 offset:328
	buffer_load_dword v125, off, s[0:3], 0 offset:320
	buffer_load_dword v127, off, s[0:3], 0 offset:312
	buffer_load_dword v121, off, s[0:3], 0 offset:304
	buffer_load_dword v128, off, s[0:3], 0 offset:316
	buffer_load_dword v126, off, s[0:3], 0 offset:324
	buffer_load_dword v124, off, s[0:3], 0 offset:332
	s_waitcnt vmcnt(34)
	v_fma_f64 v[111:112], v[129:130], v[113:114], v[111:112]
	s_waitcnt vmcnt(32) lgkmcnt(0)
	v_fma_f64 v[111:112], v[131:132], v[115:116], v[111:112]
	s_waitcnt vmcnt(27)
	v_fma_f64 v[129:130], v[133:134], v[117:118], v[111:112]
	ds_read2_b64 v[111:114], v110 offset0:81 offset1:82
	ds_read2_b64 v[115:118], v110 offset0:83 offset1:84
	s_waitcnt vmcnt(26) lgkmcnt(1)
	v_fma_f64 v[111:112], v[139:140], v[111:112], v[129:130]
	s_clause 0x7
	buffer_load_dword v130, off, s[0:3], 0 offset:340
	buffer_load_dword v131, off, s[0:3], 0 offset:360
	buffer_load_dword v133, off, s[0:3], 0 offset:352
	buffer_load_dword v139, off, s[0:3], 0 offset:344
	buffer_load_dword v129, off, s[0:3], 0 offset:336
	buffer_load_dword v140, off, s[0:3], 0 offset:348
	buffer_load_dword v134, off, s[0:3], 0 offset:356
	buffer_load_dword v132, off, s[0:3], 0 offset:364
	s_waitcnt vmcnt(33)
	v_fma_f64 v[111:112], v[137:138], v[113:114], v[111:112]
	s_waitcnt vmcnt(32) lgkmcnt(0)
	v_fma_f64 v[111:112], v[135:136], v[115:116], v[111:112]
	s_waitcnt vmcnt(27)
	v_fma_f64 v[135:136], v[141:142], v[117:118], v[111:112]
	ds_read2_b64 v[111:114], v110 offset0:85 offset1:86
	ds_read2_b64 v[115:118], v110 offset0:87 offset1:88
	s_waitcnt vmcnt(26) lgkmcnt(1)
	v_fma_f64 v[111:112], v[147:148], v[111:112], v[135:136]
	s_clause 0x7
	buffer_load_dword v136, off, s[0:3], 0 offset:372
	buffer_load_dword v137, off, s[0:3], 0 offset:392
	buffer_load_dword v141, off, s[0:3], 0 offset:384
	buffer_load_dword v147, off, s[0:3], 0 offset:376
	buffer_load_dword v135, off, s[0:3], 0 offset:368
	buffer_load_dword v148, off, s[0:3], 0 offset:380
	buffer_load_dword v142, off, s[0:3], 0 offset:388
	buffer_load_dword v138, off, s[0:3], 0 offset:396
	s_waitcnt vmcnt(33)
	v_fma_f64 v[111:112], v[145:146], v[113:114], v[111:112]
	s_waitcnt vmcnt(32) lgkmcnt(0)
	v_fma_f64 v[111:112], v[143:144], v[115:116], v[111:112]
	s_waitcnt vmcnt(27)
	v_fma_f64 v[119:120], v[119:120], v[117:118], v[111:112]
	ds_read2_b64 v[111:114], v110 offset0:89 offset1:90
	ds_read2_b64 v[115:118], v110 offset0:91 offset1:92
	s_waitcnt vmcnt(26) lgkmcnt(1)
	v_fma_f64 v[111:112], v[153:154], v[111:112], v[119:120]
	s_clause 0x7
	buffer_load_dword v120, off, s[0:3], 0 offset:404
	buffer_load_dword v143, off, s[0:3], 0 offset:424
	buffer_load_dword v145, off, s[0:3], 0 offset:416
	buffer_load_dword v153, off, s[0:3], 0 offset:408
	buffer_load_dword v119, off, s[0:3], 0 offset:400
	buffer_load_dword v154, off, s[0:3], 0 offset:412
	buffer_load_dword v146, off, s[0:3], 0 offset:420
	buffer_load_dword v144, off, s[0:3], 0 offset:428
	s_waitcnt vmcnt(33)
	v_fma_f64 v[111:112], v[151:152], v[113:114], v[111:112]
	s_waitcnt vmcnt(32) lgkmcnt(0)
	v_fma_f64 v[111:112], v[149:150], v[115:116], v[111:112]
	s_waitcnt vmcnt(27)
	v_fma_f64 v[121:122], v[121:122], v[117:118], v[111:112]
	ds_read2_b64 v[111:114], v110 offset0:93 offset1:94
	ds_read2_b64 v[115:118], v110 offset0:95 offset1:96
	s_waitcnt vmcnt(26) lgkmcnt(1)
	v_fma_f64 v[111:112], v[127:128], v[111:112], v[121:122]
	s_clause 0x1
	buffer_load_dword v121, off, s[0:3], 0 offset:144
	buffer_load_dword v122, off, s[0:3], 0 offset:148
	s_waitcnt vmcnt(27)
	v_fma_f64 v[111:112], v[125:126], v[113:114], v[111:112]
	s_waitcnt vmcnt(26) lgkmcnt(0)
	v_fma_f64 v[111:112], v[123:124], v[115:116], v[111:112]
	s_waitcnt vmcnt(21)
	v_fma_f64 v[123:124], v[129:130], v[117:118], v[111:112]
	ds_read2_b64 v[111:114], v110 offset0:97 offset1:98
	ds_read2_b64 v[115:118], v110 offset0:99 offset1:100
	s_waitcnt vmcnt(20) lgkmcnt(1)
	v_fma_f64 v[111:112], v[139:140], v[111:112], v[123:124]
	s_waitcnt vmcnt(19)
	v_fma_f64 v[111:112], v[133:134], v[113:114], v[111:112]
	s_waitcnt vmcnt(18) lgkmcnt(0)
	v_fma_f64 v[111:112], v[131:132], v[115:116], v[111:112]
	s_waitcnt vmcnt(13)
	v_fma_f64 v[123:124], v[135:136], v[117:118], v[111:112]
	ds_read2_b64 v[111:114], v110 offset0:101 offset1:102
	ds_read2_b64 v[115:118], v110 offset0:103 offset1:104
	s_waitcnt vmcnt(12) lgkmcnt(1)
	v_fma_f64 v[111:112], v[147:148], v[111:112], v[123:124]
	s_waitcnt vmcnt(11)
	v_fma_f64 v[111:112], v[141:142], v[113:114], v[111:112]
	s_waitcnt vmcnt(10) lgkmcnt(0)
	v_fma_f64 v[111:112], v[137:138], v[115:116], v[111:112]
	s_waitcnt vmcnt(5)
	v_fma_f64 v[115:116], v[119:120], v[117:118], v[111:112]
	ds_read2_b64 v[111:114], v110 offset0:105 offset1:106
	ds_read_b64 v[117:118], v110 offset:856
	s_waitcnt vmcnt(4) lgkmcnt(1)
	v_fma_f64 v[111:112], v[153:154], v[111:112], v[115:116]
	s_waitcnt vmcnt(3)
	v_fma_f64 v[111:112], v[145:146], v[113:114], v[111:112]
	s_waitcnt vmcnt(2) lgkmcnt(0)
	v_fma_f64 v[111:112], v[143:144], v[117:118], v[111:112]
	s_waitcnt vmcnt(0)
	v_add_f64 v[111:112], v[121:122], -v[111:112]
	buffer_store_dword v112, off, s[0:3], 0 offset:148
	buffer_store_dword v111, off, s[0:3], 0 offset:144
	v_cmpx_lt_u32_e32 17, v0
	s_cbranch_execz .LBB53_299
; %bb.298:
	s_clause 0x1
	buffer_load_dword v111, off, s[0:3], 0 offset:136
	buffer_load_dword v112, off, s[0:3], 0 offset:140
	buffer_store_dword v110, off, s[0:3], 0 offset:136
	buffer_store_dword v110, off, s[0:3], 0 offset:140
	s_waitcnt vmcnt(0)
	ds_write_b64 v109, v[111:112]
.LBB53_299:
	s_or_b32 exec_lo, exec_lo, s4
	s_waitcnt lgkmcnt(0)
	s_waitcnt_vscnt null, 0x0
	s_barrier
	buffer_gl0_inv
	s_clause 0x1c
	buffer_load_dword v119, off, s[0:3], 0 offset:144
	buffer_load_dword v120, off, s[0:3], 0 offset:148
	;; [unrolled: 1-line block ×29, first 2 shown]
	ds_read_b128 v[111:114], v110 offset:576
	ds_read_b128 v[115:118], v110 offset:592
	buffer_load_dword v144, off, s[0:3], 0 offset:260
	s_mov_b32 s4, exec_lo
	s_waitcnt vmcnt(28) lgkmcnt(1)
	v_fma_f64 v[111:112], v[119:120], v[111:112], 0
	s_clause 0x7
	buffer_load_dword v120, off, s[0:3], 0 offset:268
	buffer_load_dword v149, off, s[0:3], 0 offset:288
	buffer_load_dword v151, off, s[0:3], 0 offset:280
	buffer_load_dword v153, off, s[0:3], 0 offset:272
	buffer_load_dword v119, off, s[0:3], 0 offset:264
	buffer_load_dword v154, off, s[0:3], 0 offset:276
	buffer_load_dword v152, off, s[0:3], 0 offset:284
	buffer_load_dword v150, off, s[0:3], 0 offset:292
	s_waitcnt vmcnt(34)
	v_fma_f64 v[111:112], v[121:122], v[113:114], v[111:112]
	s_waitcnt vmcnt(32) lgkmcnt(0)
	v_fma_f64 v[111:112], v[123:124], v[115:116], v[111:112]
	s_waitcnt vmcnt(30)
	v_fma_f64 v[121:122], v[125:126], v[117:118], v[111:112]
	ds_read_b128 v[111:114], v110 offset:608
	ds_read_b128 v[115:118], v110 offset:624
	s_waitcnt vmcnt(28) lgkmcnt(1)
	v_fma_f64 v[111:112], v[127:128], v[111:112], v[121:122]
	s_clause 0x7
	buffer_load_dword v122, off, s[0:3], 0 offset:300
	buffer_load_dword v123, off, s[0:3], 0 offset:320
	buffer_load_dword v125, off, s[0:3], 0 offset:312
	buffer_load_dword v127, off, s[0:3], 0 offset:304
	buffer_load_dword v121, off, s[0:3], 0 offset:296
	buffer_load_dword v128, off, s[0:3], 0 offset:308
	buffer_load_dword v126, off, s[0:3], 0 offset:316
	buffer_load_dword v124, off, s[0:3], 0 offset:324
	s_waitcnt vmcnt(34)
	v_fma_f64 v[111:112], v[129:130], v[113:114], v[111:112]
	s_waitcnt vmcnt(32) lgkmcnt(0)
	v_fma_f64 v[111:112], v[131:132], v[115:116], v[111:112]
	s_waitcnt vmcnt(27)
	v_fma_f64 v[129:130], v[133:134], v[117:118], v[111:112]
	ds_read_b128 v[111:114], v110 offset:640
	ds_read_b128 v[115:118], v110 offset:656
	;; [unrolled: 19-line block ×5, first 2 shown]
	s_waitcnt vmcnt(26) lgkmcnt(1)
	v_fma_f64 v[111:112], v[127:128], v[111:112], v[121:122]
	s_clause 0x1
	buffer_load_dword v122, off, s[0:3], 0 offset:428
	buffer_load_dword v121, off, s[0:3], 0 offset:424
	s_waitcnt vmcnt(27)
	v_fma_f64 v[111:112], v[125:126], v[113:114], v[111:112]
	s_clause 0x1
	buffer_load_dword v125, off, s[0:3], 0 offset:136
	buffer_load_dword v126, off, s[0:3], 0 offset:140
	s_waitcnt vmcnt(28) lgkmcnt(0)
	v_fma_f64 v[111:112], v[123:124], v[115:116], v[111:112]
	s_waitcnt vmcnt(23)
	v_fma_f64 v[123:124], v[129:130], v[117:118], v[111:112]
	ds_read_b128 v[111:114], v110 offset:768
	ds_read_b128 v[115:118], v110 offset:784
	s_waitcnt vmcnt(22) lgkmcnt(1)
	v_fma_f64 v[111:112], v[139:140], v[111:112], v[123:124]
	s_waitcnt vmcnt(21)
	v_fma_f64 v[111:112], v[133:134], v[113:114], v[111:112]
	s_waitcnt vmcnt(20) lgkmcnt(0)
	v_fma_f64 v[111:112], v[131:132], v[115:116], v[111:112]
	s_waitcnt vmcnt(15)
	v_fma_f64 v[123:124], v[135:136], v[117:118], v[111:112]
	ds_read_b128 v[111:114], v110 offset:800
	ds_read_b128 v[115:118], v110 offset:816
	s_waitcnt vmcnt(14) lgkmcnt(1)
	v_fma_f64 v[111:112], v[147:148], v[111:112], v[123:124]
	s_waitcnt vmcnt(13)
	v_fma_f64 v[111:112], v[141:142], v[113:114], v[111:112]
	s_waitcnt vmcnt(12) lgkmcnt(0)
	v_fma_f64 v[111:112], v[137:138], v[115:116], v[111:112]
	s_waitcnt vmcnt(7)
	v_fma_f64 v[119:120], v[119:120], v[117:118], v[111:112]
	ds_read_b128 v[111:114], v110 offset:832
	ds_read_b128 v[115:118], v110 offset:848
	s_waitcnt vmcnt(6) lgkmcnt(1)
	v_fma_f64 v[110:111], v[153:154], v[111:112], v[119:120]
	s_waitcnt vmcnt(5)
	v_fma_f64 v[110:111], v[145:146], v[113:114], v[110:111]
	s_waitcnt vmcnt(4) lgkmcnt(0)
	v_fma_f64 v[110:111], v[143:144], v[115:116], v[110:111]
	s_waitcnt vmcnt(2)
	v_fma_f64 v[110:111], v[121:122], v[117:118], v[110:111]
	s_waitcnt vmcnt(0)
	v_add_f64 v[110:111], v[125:126], -v[110:111]
	buffer_store_dword v111, off, s[0:3], 0 offset:140
	buffer_store_dword v110, off, s[0:3], 0 offset:136
	v_cmpx_lt_u32_e32 16, v0
	s_cbranch_execz .LBB53_301
; %bb.300:
	s_clause 0x1
	buffer_load_dword v110, off, s[0:3], 0 offset:128
	buffer_load_dword v111, off, s[0:3], 0 offset:132
	v_mov_b32_e32 v112, 0
	buffer_store_dword v112, off, s[0:3], 0 offset:128
	buffer_store_dword v112, off, s[0:3], 0 offset:132
	s_waitcnt vmcnt(0)
	ds_write_b64 v109, v[110:111]
.LBB53_301:
	s_or_b32 exec_lo, exec_lo, s4
	s_waitcnt lgkmcnt(0)
	s_waitcnt_vscnt null, 0x0
	s_barrier
	buffer_gl0_inv
	s_clause 0x1c
	buffer_load_dword v119, off, s[0:3], 0 offset:136
	buffer_load_dword v120, off, s[0:3], 0 offset:140
	;; [unrolled: 1-line block ×29, first 2 shown]
	v_mov_b32_e32 v110, 0
	buffer_load_dword v144, off, s[0:3], 0 offset:252
	s_mov_b32 s4, exec_lo
	ds_read2_b64 v[111:114], v110 offset0:71 offset1:72
	ds_read2_b64 v[115:118], v110 offset0:73 offset1:74
	s_waitcnt vmcnt(28) lgkmcnt(1)
	v_fma_f64 v[111:112], v[119:120], v[111:112], 0
	s_clause 0x7
	buffer_load_dword v120, off, s[0:3], 0 offset:260
	buffer_load_dword v149, off, s[0:3], 0 offset:280
	buffer_load_dword v151, off, s[0:3], 0 offset:272
	buffer_load_dword v153, off, s[0:3], 0 offset:264
	buffer_load_dword v119, off, s[0:3], 0 offset:256
	buffer_load_dword v154, off, s[0:3], 0 offset:268
	buffer_load_dword v152, off, s[0:3], 0 offset:276
	buffer_load_dword v150, off, s[0:3], 0 offset:284
	s_waitcnt vmcnt(34)
	v_fma_f64 v[111:112], v[121:122], v[113:114], v[111:112]
	s_waitcnt vmcnt(32) lgkmcnt(0)
	v_fma_f64 v[111:112], v[123:124], v[115:116], v[111:112]
	s_waitcnt vmcnt(30)
	v_fma_f64 v[121:122], v[125:126], v[117:118], v[111:112]
	ds_read2_b64 v[111:114], v110 offset0:75 offset1:76
	ds_read2_b64 v[115:118], v110 offset0:77 offset1:78
	s_waitcnt vmcnt(28) lgkmcnt(1)
	v_fma_f64 v[111:112], v[127:128], v[111:112], v[121:122]
	s_clause 0x7
	buffer_load_dword v122, off, s[0:3], 0 offset:292
	buffer_load_dword v123, off, s[0:3], 0 offset:312
	buffer_load_dword v125, off, s[0:3], 0 offset:304
	buffer_load_dword v127, off, s[0:3], 0 offset:296
	buffer_load_dword v121, off, s[0:3], 0 offset:288
	buffer_load_dword v128, off, s[0:3], 0 offset:300
	buffer_load_dword v126, off, s[0:3], 0 offset:308
	buffer_load_dword v124, off, s[0:3], 0 offset:316
	s_waitcnt vmcnt(34)
	v_fma_f64 v[111:112], v[129:130], v[113:114], v[111:112]
	s_waitcnt vmcnt(32) lgkmcnt(0)
	v_fma_f64 v[111:112], v[131:132], v[115:116], v[111:112]
	s_waitcnt vmcnt(27)
	v_fma_f64 v[129:130], v[133:134], v[117:118], v[111:112]
	;; [unrolled: 19-line block ×5, first 2 shown]
	ds_read2_b64 v[111:114], v110 offset0:91 offset1:92
	ds_read2_b64 v[115:118], v110 offset0:93 offset1:94
	s_waitcnt vmcnt(26) lgkmcnt(1)
	v_fma_f64 v[111:112], v[127:128], v[111:112], v[121:122]
	s_clause 0x3
	buffer_load_dword v122, off, s[0:3], 0 offset:420
	buffer_load_dword v127, off, s[0:3], 0 offset:424
	;; [unrolled: 1-line block ×4, first 2 shown]
	s_waitcnt vmcnt(29)
	v_fma_f64 v[111:112], v[125:126], v[113:114], v[111:112]
	s_waitcnt vmcnt(28) lgkmcnt(0)
	v_fma_f64 v[111:112], v[123:124], v[115:116], v[111:112]
	s_clause 0x1
	buffer_load_dword v123, off, s[0:3], 0 offset:128
	buffer_load_dword v124, off, s[0:3], 0 offset:132
	s_waitcnt vmcnt(25)
	v_fma_f64 v[125:126], v[129:130], v[117:118], v[111:112]
	ds_read2_b64 v[111:114], v110 offset0:95 offset1:96
	ds_read2_b64 v[115:118], v110 offset0:97 offset1:98
	s_waitcnt vmcnt(24) lgkmcnt(1)
	v_fma_f64 v[111:112], v[139:140], v[111:112], v[125:126]
	s_waitcnt vmcnt(23)
	v_fma_f64 v[111:112], v[133:134], v[113:114], v[111:112]
	s_waitcnt vmcnt(22) lgkmcnt(0)
	v_fma_f64 v[111:112], v[131:132], v[115:116], v[111:112]
	s_waitcnt vmcnt(17)
	v_fma_f64 v[125:126], v[135:136], v[117:118], v[111:112]
	ds_read2_b64 v[111:114], v110 offset0:99 offset1:100
	ds_read2_b64 v[115:118], v110 offset0:101 offset1:102
	s_waitcnt vmcnt(16) lgkmcnt(1)
	v_fma_f64 v[111:112], v[147:148], v[111:112], v[125:126]
	s_waitcnt vmcnt(15)
	v_fma_f64 v[111:112], v[141:142], v[113:114], v[111:112]
	s_waitcnt vmcnt(14) lgkmcnt(0)
	v_fma_f64 v[111:112], v[137:138], v[115:116], v[111:112]
	s_waitcnt vmcnt(9)
	v_fma_f64 v[119:120], v[119:120], v[117:118], v[111:112]
	ds_read2_b64 v[111:114], v110 offset0:103 offset1:104
	ds_read2_b64 v[115:118], v110 offset0:105 offset1:106
	s_waitcnt vmcnt(8) lgkmcnt(1)
	v_fma_f64 v[111:112], v[153:154], v[111:112], v[119:120]
	s_waitcnt vmcnt(7)
	v_fma_f64 v[111:112], v[145:146], v[113:114], v[111:112]
	ds_read_b64 v[113:114], v110 offset:856
	s_waitcnt vmcnt(6) lgkmcnt(1)
	v_fma_f64 v[111:112], v[143:144], v[115:116], v[111:112]
	s_waitcnt vmcnt(3)
	v_fma_f64 v[111:112], v[121:122], v[117:118], v[111:112]
	s_waitcnt vmcnt(2) lgkmcnt(0)
	v_fma_f64 v[111:112], v[127:128], v[113:114], v[111:112]
	s_waitcnt vmcnt(0)
	v_add_f64 v[111:112], v[123:124], -v[111:112]
	buffer_store_dword v112, off, s[0:3], 0 offset:132
	buffer_store_dword v111, off, s[0:3], 0 offset:128
	v_cmpx_lt_u32_e32 15, v0
	s_cbranch_execz .LBB53_303
; %bb.302:
	s_clause 0x1
	buffer_load_dword v111, off, s[0:3], 0 offset:120
	buffer_load_dword v112, off, s[0:3], 0 offset:124
	buffer_store_dword v110, off, s[0:3], 0 offset:120
	buffer_store_dword v110, off, s[0:3], 0 offset:124
	s_waitcnt vmcnt(0)
	ds_write_b64 v109, v[111:112]
.LBB53_303:
	s_or_b32 exec_lo, exec_lo, s4
	s_waitcnt lgkmcnt(0)
	s_waitcnt_vscnt null, 0x0
	s_barrier
	buffer_gl0_inv
	s_clause 0x1c
	buffer_load_dword v119, off, s[0:3], 0 offset:128
	buffer_load_dword v120, off, s[0:3], 0 offset:132
	;; [unrolled: 1-line block ×29, first 2 shown]
	ds_read_b128 v[111:114], v110 offset:560
	ds_read_b128 v[115:118], v110 offset:576
	buffer_load_dword v144, off, s[0:3], 0 offset:244
	s_mov_b32 s4, exec_lo
	s_waitcnt vmcnt(28) lgkmcnt(1)
	v_fma_f64 v[111:112], v[119:120], v[111:112], 0
	s_clause 0x7
	buffer_load_dword v120, off, s[0:3], 0 offset:252
	buffer_load_dword v149, off, s[0:3], 0 offset:272
	buffer_load_dword v151, off, s[0:3], 0 offset:264
	buffer_load_dword v153, off, s[0:3], 0 offset:256
	buffer_load_dword v119, off, s[0:3], 0 offset:248
	buffer_load_dword v154, off, s[0:3], 0 offset:260
	buffer_load_dword v152, off, s[0:3], 0 offset:268
	buffer_load_dword v150, off, s[0:3], 0 offset:276
	s_waitcnt vmcnt(34)
	v_fma_f64 v[111:112], v[121:122], v[113:114], v[111:112]
	s_waitcnt vmcnt(32) lgkmcnt(0)
	v_fma_f64 v[111:112], v[123:124], v[115:116], v[111:112]
	s_waitcnt vmcnt(30)
	v_fma_f64 v[121:122], v[125:126], v[117:118], v[111:112]
	ds_read_b128 v[111:114], v110 offset:592
	ds_read_b128 v[115:118], v110 offset:608
	s_waitcnt vmcnt(28) lgkmcnt(1)
	v_fma_f64 v[111:112], v[127:128], v[111:112], v[121:122]
	s_clause 0x7
	buffer_load_dword v122, off, s[0:3], 0 offset:284
	buffer_load_dword v123, off, s[0:3], 0 offset:304
	buffer_load_dword v125, off, s[0:3], 0 offset:296
	buffer_load_dword v127, off, s[0:3], 0 offset:288
	buffer_load_dword v121, off, s[0:3], 0 offset:280
	buffer_load_dword v128, off, s[0:3], 0 offset:292
	buffer_load_dword v126, off, s[0:3], 0 offset:300
	buffer_load_dword v124, off, s[0:3], 0 offset:308
	s_waitcnt vmcnt(34)
	v_fma_f64 v[111:112], v[129:130], v[113:114], v[111:112]
	s_waitcnt vmcnt(32) lgkmcnt(0)
	v_fma_f64 v[111:112], v[131:132], v[115:116], v[111:112]
	s_waitcnt vmcnt(27)
	v_fma_f64 v[129:130], v[133:134], v[117:118], v[111:112]
	ds_read_b128 v[111:114], v110 offset:624
	ds_read_b128 v[115:118], v110 offset:640
	;; [unrolled: 19-line block ×5, first 2 shown]
	s_waitcnt vmcnt(26) lgkmcnt(1)
	v_fma_f64 v[111:112], v[127:128], v[111:112], v[121:122]
	s_clause 0x5
	buffer_load_dword v122, off, s[0:3], 0 offset:412
	buffer_load_dword v127, off, s[0:3], 0 offset:424
	buffer_load_dword v149, off, s[0:3], 0 offset:416
	buffer_load_dword v121, off, s[0:3], 0 offset:408
	buffer_load_dword v150, off, s[0:3], 0 offset:420
	buffer_load_dword v128, off, s[0:3], 0 offset:428
	s_waitcnt vmcnt(31)
	v_fma_f64 v[111:112], v[125:126], v[113:114], v[111:112]
	s_waitcnt vmcnt(30) lgkmcnt(0)
	v_fma_f64 v[111:112], v[123:124], v[115:116], v[111:112]
	s_waitcnt vmcnt(25)
	v_fma_f64 v[123:124], v[129:130], v[117:118], v[111:112]
	ds_read_b128 v[111:114], v110 offset:752
	s_clause 0x1
	buffer_load_dword v125, off, s[0:3], 0 offset:120
	buffer_load_dword v126, off, s[0:3], 0 offset:124
	ds_read_b128 v[115:118], v110 offset:768
	s_waitcnt vmcnt(26) lgkmcnt(1)
	v_fma_f64 v[111:112], v[139:140], v[111:112], v[123:124]
	s_waitcnt vmcnt(25)
	v_fma_f64 v[111:112], v[133:134], v[113:114], v[111:112]
	s_waitcnt vmcnt(24) lgkmcnt(0)
	v_fma_f64 v[111:112], v[131:132], v[115:116], v[111:112]
	s_waitcnt vmcnt(19)
	v_fma_f64 v[123:124], v[135:136], v[117:118], v[111:112]
	ds_read_b128 v[111:114], v110 offset:784
	ds_read_b128 v[115:118], v110 offset:800
	s_waitcnt vmcnt(18) lgkmcnt(1)
	v_fma_f64 v[111:112], v[147:148], v[111:112], v[123:124]
	s_waitcnt vmcnt(17)
	v_fma_f64 v[111:112], v[141:142], v[113:114], v[111:112]
	s_waitcnt vmcnt(16) lgkmcnt(0)
	v_fma_f64 v[111:112], v[137:138], v[115:116], v[111:112]
	s_waitcnt vmcnt(11)
	v_fma_f64 v[119:120], v[119:120], v[117:118], v[111:112]
	ds_read_b128 v[111:114], v110 offset:816
	;; [unrolled: 10-line block ×3, first 2 shown]
	s_waitcnt vmcnt(3) lgkmcnt(0)
	v_fma_f64 v[110:111], v[149:150], v[110:111], v[114:115]
	s_waitcnt vmcnt(2)
	v_fma_f64 v[110:111], v[127:128], v[112:113], v[110:111]
	s_waitcnt vmcnt(0)
	v_add_f64 v[110:111], v[125:126], -v[110:111]
	buffer_store_dword v111, off, s[0:3], 0 offset:124
	buffer_store_dword v110, off, s[0:3], 0 offset:120
	v_cmpx_lt_u32_e32 14, v0
	s_cbranch_execz .LBB53_305
; %bb.304:
	s_clause 0x1
	buffer_load_dword v110, off, s[0:3], 0 offset:112
	buffer_load_dword v111, off, s[0:3], 0 offset:116
	v_mov_b32_e32 v112, 0
	buffer_store_dword v112, off, s[0:3], 0 offset:112
	buffer_store_dword v112, off, s[0:3], 0 offset:116
	s_waitcnt vmcnt(0)
	ds_write_b64 v109, v[110:111]
.LBB53_305:
	s_or_b32 exec_lo, exec_lo, s4
	s_waitcnt lgkmcnt(0)
	s_waitcnt_vscnt null, 0x0
	s_barrier
	buffer_gl0_inv
	s_clause 0x1c
	buffer_load_dword v119, off, s[0:3], 0 offset:120
	buffer_load_dword v120, off, s[0:3], 0 offset:124
	;; [unrolled: 1-line block ×29, first 2 shown]
	v_mov_b32_e32 v110, 0
	buffer_load_dword v144, off, s[0:3], 0 offset:236
	s_mov_b32 s4, exec_lo
	ds_read2_b64 v[111:114], v110 offset0:69 offset1:70
	ds_read2_b64 v[115:118], v110 offset0:71 offset1:72
	s_waitcnt vmcnt(28) lgkmcnt(1)
	v_fma_f64 v[111:112], v[119:120], v[111:112], 0
	s_clause 0x7
	buffer_load_dword v120, off, s[0:3], 0 offset:244
	buffer_load_dword v149, off, s[0:3], 0 offset:264
	buffer_load_dword v151, off, s[0:3], 0 offset:256
	buffer_load_dword v153, off, s[0:3], 0 offset:248
	buffer_load_dword v119, off, s[0:3], 0 offset:240
	buffer_load_dword v154, off, s[0:3], 0 offset:252
	buffer_load_dword v152, off, s[0:3], 0 offset:260
	buffer_load_dword v150, off, s[0:3], 0 offset:268
	s_waitcnt vmcnt(34)
	v_fma_f64 v[111:112], v[121:122], v[113:114], v[111:112]
	s_waitcnt vmcnt(32) lgkmcnt(0)
	v_fma_f64 v[111:112], v[123:124], v[115:116], v[111:112]
	s_waitcnt vmcnt(30)
	v_fma_f64 v[121:122], v[125:126], v[117:118], v[111:112]
	ds_read2_b64 v[111:114], v110 offset0:73 offset1:74
	ds_read2_b64 v[115:118], v110 offset0:75 offset1:76
	s_waitcnt vmcnt(28) lgkmcnt(1)
	v_fma_f64 v[111:112], v[127:128], v[111:112], v[121:122]
	s_clause 0x7
	buffer_load_dword v122, off, s[0:3], 0 offset:276
	buffer_load_dword v123, off, s[0:3], 0 offset:296
	buffer_load_dword v125, off, s[0:3], 0 offset:288
	buffer_load_dword v127, off, s[0:3], 0 offset:280
	buffer_load_dword v121, off, s[0:3], 0 offset:272
	buffer_load_dword v128, off, s[0:3], 0 offset:284
	buffer_load_dword v126, off, s[0:3], 0 offset:292
	buffer_load_dword v124, off, s[0:3], 0 offset:300
	s_waitcnt vmcnt(34)
	v_fma_f64 v[111:112], v[129:130], v[113:114], v[111:112]
	s_waitcnt vmcnt(32) lgkmcnt(0)
	v_fma_f64 v[111:112], v[131:132], v[115:116], v[111:112]
	s_waitcnt vmcnt(27)
	v_fma_f64 v[129:130], v[133:134], v[117:118], v[111:112]
	;; [unrolled: 19-line block ×6, first 2 shown]
	ds_read2_b64 v[111:114], v110 offset0:93 offset1:94
	ds_read2_b64 v[115:118], v110 offset0:95 offset1:96
	s_waitcnt vmcnt(26) lgkmcnt(1)
	v_fma_f64 v[111:112], v[139:140], v[111:112], v[123:124]
	s_clause 0x1
	buffer_load_dword v123, off, s[0:3], 0 offset:112
	buffer_load_dword v124, off, s[0:3], 0 offset:116
	s_waitcnt vmcnt(27)
	v_fma_f64 v[111:112], v[133:134], v[113:114], v[111:112]
	s_waitcnt vmcnt(26) lgkmcnt(0)
	v_fma_f64 v[111:112], v[131:132], v[115:116], v[111:112]
	s_waitcnt vmcnt(21)
	v_fma_f64 v[125:126], v[135:136], v[117:118], v[111:112]
	ds_read2_b64 v[111:114], v110 offset0:97 offset1:98
	ds_read2_b64 v[115:118], v110 offset0:99 offset1:100
	s_waitcnt vmcnt(20) lgkmcnt(1)
	v_fma_f64 v[111:112], v[147:148], v[111:112], v[125:126]
	s_waitcnt vmcnt(19)
	v_fma_f64 v[111:112], v[141:142], v[113:114], v[111:112]
	s_waitcnt vmcnt(18) lgkmcnt(0)
	v_fma_f64 v[111:112], v[137:138], v[115:116], v[111:112]
	s_waitcnt vmcnt(13)
	v_fma_f64 v[119:120], v[119:120], v[117:118], v[111:112]
	ds_read2_b64 v[111:114], v110 offset0:101 offset1:102
	ds_read2_b64 v[115:118], v110 offset0:103 offset1:104
	s_waitcnt vmcnt(12) lgkmcnt(1)
	v_fma_f64 v[111:112], v[153:154], v[111:112], v[119:120]
	s_waitcnt vmcnt(11)
	v_fma_f64 v[111:112], v[145:146], v[113:114], v[111:112]
	s_waitcnt vmcnt(10) lgkmcnt(0)
	v_fma_f64 v[111:112], v[143:144], v[115:116], v[111:112]
	s_waitcnt vmcnt(5)
	v_fma_f64 v[115:116], v[121:122], v[117:118], v[111:112]
	ds_read2_b64 v[111:114], v110 offset0:105 offset1:106
	ds_read_b64 v[117:118], v110 offset:856
	s_waitcnt vmcnt(4) lgkmcnt(1)
	v_fma_f64 v[111:112], v[151:152], v[111:112], v[115:116]
	s_waitcnt vmcnt(3)
	v_fma_f64 v[111:112], v[149:150], v[113:114], v[111:112]
	s_waitcnt vmcnt(2) lgkmcnt(0)
	v_fma_f64 v[111:112], v[127:128], v[117:118], v[111:112]
	s_waitcnt vmcnt(0)
	v_add_f64 v[111:112], v[123:124], -v[111:112]
	buffer_store_dword v112, off, s[0:3], 0 offset:116
	buffer_store_dword v111, off, s[0:3], 0 offset:112
	v_cmpx_lt_u32_e32 13, v0
	s_cbranch_execz .LBB53_307
; %bb.306:
	s_clause 0x1
	buffer_load_dword v111, off, s[0:3], 0 offset:104
	buffer_load_dword v112, off, s[0:3], 0 offset:108
	buffer_store_dword v110, off, s[0:3], 0 offset:104
	buffer_store_dword v110, off, s[0:3], 0 offset:108
	s_waitcnt vmcnt(0)
	ds_write_b64 v109, v[111:112]
.LBB53_307:
	s_or_b32 exec_lo, exec_lo, s4
	s_waitcnt lgkmcnt(0)
	s_waitcnt_vscnt null, 0x0
	s_barrier
	buffer_gl0_inv
	s_clause 0x1c
	buffer_load_dword v119, off, s[0:3], 0 offset:112
	buffer_load_dword v120, off, s[0:3], 0 offset:116
	;; [unrolled: 1-line block ×29, first 2 shown]
	ds_read_b128 v[111:114], v110 offset:544
	ds_read_b128 v[115:118], v110 offset:560
	buffer_load_dword v144, off, s[0:3], 0 offset:228
	s_mov_b32 s4, exec_lo
	s_waitcnt vmcnt(28) lgkmcnt(1)
	v_fma_f64 v[111:112], v[119:120], v[111:112], 0
	s_clause 0x7
	buffer_load_dword v120, off, s[0:3], 0 offset:236
	buffer_load_dword v149, off, s[0:3], 0 offset:256
	buffer_load_dword v151, off, s[0:3], 0 offset:248
	buffer_load_dword v153, off, s[0:3], 0 offset:240
	buffer_load_dword v119, off, s[0:3], 0 offset:232
	buffer_load_dword v154, off, s[0:3], 0 offset:244
	buffer_load_dword v152, off, s[0:3], 0 offset:252
	buffer_load_dword v150, off, s[0:3], 0 offset:260
	s_waitcnt vmcnt(34)
	v_fma_f64 v[111:112], v[121:122], v[113:114], v[111:112]
	s_waitcnt vmcnt(32) lgkmcnt(0)
	v_fma_f64 v[111:112], v[123:124], v[115:116], v[111:112]
	s_waitcnt vmcnt(30)
	v_fma_f64 v[121:122], v[125:126], v[117:118], v[111:112]
	ds_read_b128 v[111:114], v110 offset:576
	ds_read_b128 v[115:118], v110 offset:592
	s_waitcnt vmcnt(28) lgkmcnt(1)
	v_fma_f64 v[111:112], v[127:128], v[111:112], v[121:122]
	s_clause 0x7
	buffer_load_dword v122, off, s[0:3], 0 offset:268
	buffer_load_dword v123, off, s[0:3], 0 offset:288
	buffer_load_dword v125, off, s[0:3], 0 offset:280
	buffer_load_dword v127, off, s[0:3], 0 offset:272
	buffer_load_dword v121, off, s[0:3], 0 offset:264
	buffer_load_dword v128, off, s[0:3], 0 offset:276
	buffer_load_dword v126, off, s[0:3], 0 offset:284
	buffer_load_dword v124, off, s[0:3], 0 offset:292
	s_waitcnt vmcnt(34)
	v_fma_f64 v[111:112], v[129:130], v[113:114], v[111:112]
	s_waitcnt vmcnt(32) lgkmcnt(0)
	v_fma_f64 v[111:112], v[131:132], v[115:116], v[111:112]
	s_waitcnt vmcnt(27)
	v_fma_f64 v[129:130], v[133:134], v[117:118], v[111:112]
	ds_read_b128 v[111:114], v110 offset:608
	ds_read_b128 v[115:118], v110 offset:624
	;; [unrolled: 19-line block ×6, first 2 shown]
	s_waitcnt vmcnt(26) lgkmcnt(1)
	v_fma_f64 v[111:112], v[139:140], v[111:112], v[123:124]
	s_clause 0x3
	buffer_load_dword v124, off, s[0:3], 0 offset:428
	buffer_load_dword v123, off, s[0:3], 0 offset:424
	;; [unrolled: 1-line block ×4, first 2 shown]
	s_waitcnt vmcnt(29)
	v_fma_f64 v[111:112], v[133:134], v[113:114], v[111:112]
	s_waitcnt vmcnt(28) lgkmcnt(0)
	v_fma_f64 v[111:112], v[131:132], v[115:116], v[111:112]
	s_waitcnt vmcnt(23)
	v_fma_f64 v[129:130], v[135:136], v[117:118], v[111:112]
	ds_read_b128 v[111:114], v110 offset:768
	ds_read_b128 v[115:118], v110 offset:784
	s_waitcnt vmcnt(22) lgkmcnt(1)
	v_fma_f64 v[111:112], v[147:148], v[111:112], v[129:130]
	s_waitcnt vmcnt(21)
	v_fma_f64 v[111:112], v[141:142], v[113:114], v[111:112]
	s_waitcnt vmcnt(20) lgkmcnt(0)
	v_fma_f64 v[111:112], v[137:138], v[115:116], v[111:112]
	s_waitcnt vmcnt(15)
	v_fma_f64 v[119:120], v[119:120], v[117:118], v[111:112]
	ds_read_b128 v[111:114], v110 offset:800
	ds_read_b128 v[115:118], v110 offset:816
	s_waitcnt vmcnt(14) lgkmcnt(1)
	v_fma_f64 v[111:112], v[153:154], v[111:112], v[119:120]
	;; [unrolled: 10-line block ×3, first 2 shown]
	s_waitcnt vmcnt(5)
	v_fma_f64 v[110:111], v[149:150], v[113:114], v[110:111]
	s_waitcnt vmcnt(4) lgkmcnt(0)
	v_fma_f64 v[110:111], v[127:128], v[115:116], v[110:111]
	s_waitcnt vmcnt(2)
	v_fma_f64 v[110:111], v[123:124], v[117:118], v[110:111]
	s_waitcnt vmcnt(0)
	v_add_f64 v[110:111], v[125:126], -v[110:111]
	buffer_store_dword v111, off, s[0:3], 0 offset:108
	buffer_store_dword v110, off, s[0:3], 0 offset:104
	v_cmpx_lt_u32_e32 12, v0
	s_cbranch_execz .LBB53_309
; %bb.308:
	s_clause 0x1
	buffer_load_dword v110, off, s[0:3], 0 offset:96
	buffer_load_dword v111, off, s[0:3], 0 offset:100
	v_mov_b32_e32 v112, 0
	buffer_store_dword v112, off, s[0:3], 0 offset:96
	buffer_store_dword v112, off, s[0:3], 0 offset:100
	s_waitcnt vmcnt(0)
	ds_write_b64 v109, v[110:111]
.LBB53_309:
	s_or_b32 exec_lo, exec_lo, s4
	s_waitcnt lgkmcnt(0)
	s_waitcnt_vscnt null, 0x0
	s_barrier
	buffer_gl0_inv
	s_clause 0x1c
	buffer_load_dword v119, off, s[0:3], 0 offset:104
	buffer_load_dword v120, off, s[0:3], 0 offset:108
	;; [unrolled: 1-line block ×29, first 2 shown]
	v_mov_b32_e32 v110, 0
	buffer_load_dword v144, off, s[0:3], 0 offset:220
	s_mov_b32 s4, exec_lo
	ds_read2_b64 v[111:114], v110 offset0:67 offset1:68
	ds_read2_b64 v[115:118], v110 offset0:69 offset1:70
	s_waitcnt vmcnt(28) lgkmcnt(1)
	v_fma_f64 v[111:112], v[119:120], v[111:112], 0
	s_clause 0x7
	buffer_load_dword v120, off, s[0:3], 0 offset:228
	buffer_load_dword v149, off, s[0:3], 0 offset:248
	buffer_load_dword v151, off, s[0:3], 0 offset:240
	buffer_load_dword v153, off, s[0:3], 0 offset:232
	buffer_load_dword v119, off, s[0:3], 0 offset:224
	buffer_load_dword v154, off, s[0:3], 0 offset:236
	buffer_load_dword v152, off, s[0:3], 0 offset:244
	buffer_load_dword v150, off, s[0:3], 0 offset:252
	s_waitcnt vmcnt(34)
	v_fma_f64 v[111:112], v[121:122], v[113:114], v[111:112]
	s_waitcnt vmcnt(32) lgkmcnt(0)
	v_fma_f64 v[111:112], v[123:124], v[115:116], v[111:112]
	s_waitcnt vmcnt(30)
	v_fma_f64 v[121:122], v[125:126], v[117:118], v[111:112]
	ds_read2_b64 v[111:114], v110 offset0:71 offset1:72
	ds_read2_b64 v[115:118], v110 offset0:73 offset1:74
	s_waitcnt vmcnt(28) lgkmcnt(1)
	v_fma_f64 v[111:112], v[127:128], v[111:112], v[121:122]
	s_clause 0x7
	buffer_load_dword v122, off, s[0:3], 0 offset:260
	buffer_load_dword v123, off, s[0:3], 0 offset:280
	buffer_load_dword v125, off, s[0:3], 0 offset:272
	buffer_load_dword v127, off, s[0:3], 0 offset:264
	buffer_load_dword v121, off, s[0:3], 0 offset:256
	buffer_load_dword v128, off, s[0:3], 0 offset:268
	buffer_load_dword v126, off, s[0:3], 0 offset:276
	buffer_load_dword v124, off, s[0:3], 0 offset:284
	s_waitcnt vmcnt(34)
	v_fma_f64 v[111:112], v[129:130], v[113:114], v[111:112]
	s_waitcnt vmcnt(32) lgkmcnt(0)
	v_fma_f64 v[111:112], v[131:132], v[115:116], v[111:112]
	s_waitcnt vmcnt(27)
	v_fma_f64 v[129:130], v[133:134], v[117:118], v[111:112]
	;; [unrolled: 19-line block ×6, first 2 shown]
	ds_read2_b64 v[111:114], v110 offset0:91 offset1:92
	ds_read2_b64 v[115:118], v110 offset0:93 offset1:94
	s_waitcnt vmcnt(26) lgkmcnt(1)
	v_fma_f64 v[111:112], v[139:140], v[111:112], v[123:124]
	s_clause 0x5
	buffer_load_dword v124, off, s[0:3], 0 offset:420
	buffer_load_dword v125, off, s[0:3], 0 offset:424
	;; [unrolled: 1-line block ×6, first 2 shown]
	s_waitcnt vmcnt(31)
	v_fma_f64 v[111:112], v[133:134], v[113:114], v[111:112]
	s_waitcnt vmcnt(30) lgkmcnt(0)
	v_fma_f64 v[111:112], v[131:132], v[115:116], v[111:112]
	s_waitcnt vmcnt(25)
	v_fma_f64 v[131:132], v[135:136], v[117:118], v[111:112]
	ds_read2_b64 v[111:114], v110 offset0:95 offset1:96
	ds_read2_b64 v[115:118], v110 offset0:97 offset1:98
	s_waitcnt vmcnt(24) lgkmcnt(1)
	v_fma_f64 v[111:112], v[147:148], v[111:112], v[131:132]
	s_waitcnt vmcnt(23)
	v_fma_f64 v[111:112], v[141:142], v[113:114], v[111:112]
	s_waitcnt vmcnt(22) lgkmcnt(0)
	v_fma_f64 v[111:112], v[137:138], v[115:116], v[111:112]
	s_waitcnt vmcnt(17)
	v_fma_f64 v[119:120], v[119:120], v[117:118], v[111:112]
	ds_read2_b64 v[111:114], v110 offset0:99 offset1:100
	ds_read2_b64 v[115:118], v110 offset0:101 offset1:102
	s_waitcnt vmcnt(16) lgkmcnt(1)
	v_fma_f64 v[111:112], v[153:154], v[111:112], v[119:120]
	;; [unrolled: 10-line block ×3, first 2 shown]
	s_waitcnt vmcnt(7)
	v_fma_f64 v[111:112], v[149:150], v[113:114], v[111:112]
	ds_read_b64 v[113:114], v110 offset:856
	s_waitcnt vmcnt(6) lgkmcnt(1)
	v_fma_f64 v[111:112], v[127:128], v[115:116], v[111:112]
	s_waitcnt vmcnt(3)
	v_fma_f64 v[111:112], v[123:124], v[117:118], v[111:112]
	s_waitcnt vmcnt(2) lgkmcnt(0)
	v_fma_f64 v[111:112], v[125:126], v[113:114], v[111:112]
	s_waitcnt vmcnt(0)
	v_add_f64 v[111:112], v[129:130], -v[111:112]
	buffer_store_dword v112, off, s[0:3], 0 offset:100
	buffer_store_dword v111, off, s[0:3], 0 offset:96
	v_cmpx_lt_u32_e32 11, v0
	s_cbranch_execz .LBB53_311
; %bb.310:
	s_clause 0x1
	buffer_load_dword v111, off, s[0:3], 0 offset:88
	buffer_load_dword v112, off, s[0:3], 0 offset:92
	buffer_store_dword v110, off, s[0:3], 0 offset:88
	buffer_store_dword v110, off, s[0:3], 0 offset:92
	s_waitcnt vmcnt(0)
	ds_write_b64 v109, v[111:112]
.LBB53_311:
	s_or_b32 exec_lo, exec_lo, s4
	s_waitcnt lgkmcnt(0)
	s_waitcnt_vscnt null, 0x0
	s_barrier
	buffer_gl0_inv
	s_clause 0x1c
	buffer_load_dword v119, off, s[0:3], 0 offset:96
	buffer_load_dword v120, off, s[0:3], 0 offset:100
	buffer_load_dword v121, off, s[0:3], 0 offset:104
	buffer_load_dword v122, off, s[0:3], 0 offset:108
	buffer_load_dword v123, off, s[0:3], 0 offset:112
	buffer_load_dword v124, off, s[0:3], 0 offset:116
	buffer_load_dword v125, off, s[0:3], 0 offset:120
	buffer_load_dword v126, off, s[0:3], 0 offset:124
	buffer_load_dword v127, off, s[0:3], 0 offset:128
	buffer_load_dword v128, off, s[0:3], 0 offset:132
	buffer_load_dword v129, off, s[0:3], 0 offset:136
	buffer_load_dword v130, off, s[0:3], 0 offset:140
	buffer_load_dword v131, off, s[0:3], 0 offset:144
	buffer_load_dword v132, off, s[0:3], 0 offset:148
	buffer_load_dword v134, off, s[0:3], 0 offset:156
	buffer_load_dword v135, off, s[0:3], 0 offset:176
	buffer_load_dword v137, off, s[0:3], 0 offset:168
	buffer_load_dword v139, off, s[0:3], 0 offset:160
	buffer_load_dword v133, off, s[0:3], 0 offset:152
	buffer_load_dword v140, off, s[0:3], 0 offset:164
	buffer_load_dword v138, off, s[0:3], 0 offset:172
	buffer_load_dword v136, off, s[0:3], 0 offset:180
	buffer_load_dword v142, off, s[0:3], 0 offset:188
	buffer_load_dword v143, off, s[0:3], 0 offset:208
	buffer_load_dword v145, off, s[0:3], 0 offset:200
	buffer_load_dword v147, off, s[0:3], 0 offset:192
	buffer_load_dword v141, off, s[0:3], 0 offset:184
	buffer_load_dword v148, off, s[0:3], 0 offset:196
	buffer_load_dword v146, off, s[0:3], 0 offset:204
	ds_read_b128 v[111:114], v110 offset:528
	ds_read_b128 v[115:118], v110 offset:544
	buffer_load_dword v144, off, s[0:3], 0 offset:212
	s_mov_b32 s4, exec_lo
	s_waitcnt vmcnt(28) lgkmcnt(1)
	v_fma_f64 v[111:112], v[119:120], v[111:112], 0
	s_clause 0x7
	buffer_load_dword v120, off, s[0:3], 0 offset:220
	buffer_load_dword v149, off, s[0:3], 0 offset:240
	buffer_load_dword v151, off, s[0:3], 0 offset:232
	buffer_load_dword v153, off, s[0:3], 0 offset:224
	buffer_load_dword v119, off, s[0:3], 0 offset:216
	buffer_load_dword v154, off, s[0:3], 0 offset:228
	buffer_load_dword v152, off, s[0:3], 0 offset:236
	buffer_load_dword v150, off, s[0:3], 0 offset:244
	s_waitcnt vmcnt(34)
	v_fma_f64 v[111:112], v[121:122], v[113:114], v[111:112]
	s_waitcnt vmcnt(32) lgkmcnt(0)
	v_fma_f64 v[111:112], v[123:124], v[115:116], v[111:112]
	s_waitcnt vmcnt(30)
	v_fma_f64 v[121:122], v[125:126], v[117:118], v[111:112]
	ds_read_b128 v[111:114], v110 offset:560
	ds_read_b128 v[115:118], v110 offset:576
	s_waitcnt vmcnt(28) lgkmcnt(1)
	v_fma_f64 v[111:112], v[127:128], v[111:112], v[121:122]
	s_clause 0x7
	buffer_load_dword v122, off, s[0:3], 0 offset:252
	buffer_load_dword v123, off, s[0:3], 0 offset:272
	buffer_load_dword v125, off, s[0:3], 0 offset:264
	buffer_load_dword v127, off, s[0:3], 0 offset:256
	buffer_load_dword v121, off, s[0:3], 0 offset:248
	buffer_load_dword v128, off, s[0:3], 0 offset:260
	buffer_load_dword v126, off, s[0:3], 0 offset:268
	buffer_load_dword v124, off, s[0:3], 0 offset:276
	s_waitcnt vmcnt(34)
	v_fma_f64 v[111:112], v[129:130], v[113:114], v[111:112]
	s_waitcnt vmcnt(32) lgkmcnt(0)
	v_fma_f64 v[111:112], v[131:132], v[115:116], v[111:112]
	s_waitcnt vmcnt(27)
	v_fma_f64 v[129:130], v[133:134], v[117:118], v[111:112]
	ds_read_b128 v[111:114], v110 offset:592
	ds_read_b128 v[115:118], v110 offset:608
	;; [unrolled: 19-line block ×6, first 2 shown]
	s_waitcnt vmcnt(26) lgkmcnt(1)
	v_fma_f64 v[111:112], v[139:140], v[111:112], v[123:124]
	s_clause 0x5
	buffer_load_dword v124, off, s[0:3], 0 offset:412
	buffer_load_dword v125, off, s[0:3], 0 offset:424
	;; [unrolled: 1-line block ×6, first 2 shown]
	s_waitcnt vmcnt(31)
	v_fma_f64 v[111:112], v[133:134], v[113:114], v[111:112]
	s_waitcnt vmcnt(30) lgkmcnt(0)
	v_fma_f64 v[111:112], v[131:132], v[115:116], v[111:112]
	s_waitcnt vmcnt(25)
	v_fma_f64 v[131:132], v[135:136], v[117:118], v[111:112]
	ds_read_b128 v[111:114], v110 offset:752
	s_clause 0x1
	buffer_load_dword v133, off, s[0:3], 0 offset:88
	buffer_load_dword v134, off, s[0:3], 0 offset:92
	ds_read_b128 v[115:118], v110 offset:768
	s_waitcnt vmcnt(26) lgkmcnt(1)
	v_fma_f64 v[111:112], v[147:148], v[111:112], v[131:132]
	s_waitcnt vmcnt(25)
	v_fma_f64 v[111:112], v[141:142], v[113:114], v[111:112]
	s_waitcnt vmcnt(24) lgkmcnt(0)
	v_fma_f64 v[111:112], v[137:138], v[115:116], v[111:112]
	s_waitcnt vmcnt(19)
	v_fma_f64 v[119:120], v[119:120], v[117:118], v[111:112]
	ds_read_b128 v[111:114], v110 offset:784
	ds_read_b128 v[115:118], v110 offset:800
	s_waitcnt vmcnt(18) lgkmcnt(1)
	v_fma_f64 v[111:112], v[153:154], v[111:112], v[119:120]
	s_waitcnt vmcnt(17)
	v_fma_f64 v[111:112], v[145:146], v[113:114], v[111:112]
	s_waitcnt vmcnt(16) lgkmcnt(0)
	v_fma_f64 v[111:112], v[143:144], v[115:116], v[111:112]
	s_waitcnt vmcnt(11)
	v_fma_f64 v[119:120], v[121:122], v[117:118], v[111:112]
	ds_read_b128 v[111:114], v110 offset:816
	;; [unrolled: 10-line block ×3, first 2 shown]
	s_waitcnt vmcnt(3) lgkmcnt(0)
	v_fma_f64 v[110:111], v[129:130], v[110:111], v[114:115]
	s_waitcnt vmcnt(2)
	v_fma_f64 v[110:111], v[125:126], v[112:113], v[110:111]
	s_waitcnt vmcnt(0)
	v_add_f64 v[110:111], v[133:134], -v[110:111]
	buffer_store_dword v111, off, s[0:3], 0 offset:92
	buffer_store_dword v110, off, s[0:3], 0 offset:88
	v_cmpx_lt_u32_e32 10, v0
	s_cbranch_execz .LBB53_313
; %bb.312:
	s_clause 0x1
	buffer_load_dword v110, off, s[0:3], 0 offset:80
	buffer_load_dword v111, off, s[0:3], 0 offset:84
	v_mov_b32_e32 v112, 0
	buffer_store_dword v112, off, s[0:3], 0 offset:80
	buffer_store_dword v112, off, s[0:3], 0 offset:84
	s_waitcnt vmcnt(0)
	ds_write_b64 v109, v[110:111]
.LBB53_313:
	s_or_b32 exec_lo, exec_lo, s4
	s_waitcnt lgkmcnt(0)
	s_waitcnt_vscnt null, 0x0
	s_barrier
	buffer_gl0_inv
	s_clause 0x1c
	buffer_load_dword v119, off, s[0:3], 0 offset:88
	buffer_load_dword v120, off, s[0:3], 0 offset:92
	;; [unrolled: 1-line block ×29, first 2 shown]
	v_mov_b32_e32 v110, 0
	buffer_load_dword v144, off, s[0:3], 0 offset:204
	s_mov_b32 s4, exec_lo
	ds_read2_b64 v[111:114], v110 offset0:65 offset1:66
	ds_read2_b64 v[115:118], v110 offset0:67 offset1:68
	s_waitcnt vmcnt(28) lgkmcnt(1)
	v_fma_f64 v[111:112], v[119:120], v[111:112], 0
	s_clause 0x7
	buffer_load_dword v120, off, s[0:3], 0 offset:212
	buffer_load_dword v149, off, s[0:3], 0 offset:232
	buffer_load_dword v151, off, s[0:3], 0 offset:224
	buffer_load_dword v153, off, s[0:3], 0 offset:216
	buffer_load_dword v119, off, s[0:3], 0 offset:208
	buffer_load_dword v154, off, s[0:3], 0 offset:220
	buffer_load_dword v152, off, s[0:3], 0 offset:228
	buffer_load_dword v150, off, s[0:3], 0 offset:236
	s_waitcnt vmcnt(34)
	v_fma_f64 v[111:112], v[121:122], v[113:114], v[111:112]
	s_waitcnt vmcnt(32) lgkmcnt(0)
	v_fma_f64 v[111:112], v[123:124], v[115:116], v[111:112]
	s_waitcnt vmcnt(30)
	v_fma_f64 v[121:122], v[125:126], v[117:118], v[111:112]
	ds_read2_b64 v[111:114], v110 offset0:69 offset1:70
	ds_read2_b64 v[115:118], v110 offset0:71 offset1:72
	s_waitcnt vmcnt(28) lgkmcnt(1)
	v_fma_f64 v[111:112], v[127:128], v[111:112], v[121:122]
	s_clause 0x7
	buffer_load_dword v122, off, s[0:3], 0 offset:244
	buffer_load_dword v123, off, s[0:3], 0 offset:264
	buffer_load_dword v125, off, s[0:3], 0 offset:256
	buffer_load_dword v127, off, s[0:3], 0 offset:248
	buffer_load_dword v121, off, s[0:3], 0 offset:240
	buffer_load_dword v128, off, s[0:3], 0 offset:252
	buffer_load_dword v126, off, s[0:3], 0 offset:260
	buffer_load_dword v124, off, s[0:3], 0 offset:268
	s_waitcnt vmcnt(34)
	v_fma_f64 v[111:112], v[129:130], v[113:114], v[111:112]
	s_waitcnt vmcnt(32) lgkmcnt(0)
	v_fma_f64 v[111:112], v[131:132], v[115:116], v[111:112]
	s_waitcnt vmcnt(27)
	v_fma_f64 v[129:130], v[133:134], v[117:118], v[111:112]
	;; [unrolled: 19-line block ×7, first 2 shown]
	ds_read2_b64 v[111:114], v110 offset0:93 offset1:94
	ds_read2_b64 v[115:118], v110 offset0:95 offset1:96
	s_waitcnt vmcnt(26) lgkmcnt(1)
	v_fma_f64 v[111:112], v[147:148], v[111:112], v[131:132]
	s_clause 0x1
	buffer_load_dword v131, off, s[0:3], 0 offset:80
	buffer_load_dword v132, off, s[0:3], 0 offset:84
	s_waitcnt vmcnt(27)
	v_fma_f64 v[111:112], v[141:142], v[113:114], v[111:112]
	s_waitcnt vmcnt(26) lgkmcnt(0)
	v_fma_f64 v[111:112], v[137:138], v[115:116], v[111:112]
	s_waitcnt vmcnt(21)
	v_fma_f64 v[119:120], v[119:120], v[117:118], v[111:112]
	ds_read2_b64 v[111:114], v110 offset0:97 offset1:98
	ds_read2_b64 v[115:118], v110 offset0:99 offset1:100
	s_waitcnt vmcnt(20) lgkmcnt(1)
	v_fma_f64 v[111:112], v[153:154], v[111:112], v[119:120]
	s_waitcnt vmcnt(19)
	v_fma_f64 v[111:112], v[145:146], v[113:114], v[111:112]
	s_waitcnt vmcnt(18) lgkmcnt(0)
	v_fma_f64 v[111:112], v[143:144], v[115:116], v[111:112]
	s_waitcnt vmcnt(13)
	v_fma_f64 v[119:120], v[121:122], v[117:118], v[111:112]
	ds_read2_b64 v[111:114], v110 offset0:101 offset1:102
	ds_read2_b64 v[115:118], v110 offset0:103 offset1:104
	s_waitcnt vmcnt(12) lgkmcnt(1)
	v_fma_f64 v[111:112], v[151:152], v[111:112], v[119:120]
	s_waitcnt vmcnt(11)
	v_fma_f64 v[111:112], v[149:150], v[113:114], v[111:112]
	s_waitcnt vmcnt(10) lgkmcnt(0)
	v_fma_f64 v[111:112], v[127:128], v[115:116], v[111:112]
	s_waitcnt vmcnt(5)
	v_fma_f64 v[115:116], v[123:124], v[117:118], v[111:112]
	ds_read2_b64 v[111:114], v110 offset0:105 offset1:106
	ds_read_b64 v[117:118], v110 offset:856
	s_waitcnt vmcnt(4) lgkmcnt(1)
	v_fma_f64 v[111:112], v[139:140], v[111:112], v[115:116]
	s_waitcnt vmcnt(3)
	v_fma_f64 v[111:112], v[129:130], v[113:114], v[111:112]
	s_waitcnt vmcnt(2) lgkmcnt(0)
	v_fma_f64 v[111:112], v[125:126], v[117:118], v[111:112]
	s_waitcnt vmcnt(0)
	v_add_f64 v[111:112], v[131:132], -v[111:112]
	buffer_store_dword v112, off, s[0:3], 0 offset:84
	buffer_store_dword v111, off, s[0:3], 0 offset:80
	v_cmpx_lt_u32_e32 9, v0
	s_cbranch_execz .LBB53_315
; %bb.314:
	s_clause 0x1
	buffer_load_dword v111, off, s[0:3], 0 offset:72
	buffer_load_dword v112, off, s[0:3], 0 offset:76
	buffer_store_dword v110, off, s[0:3], 0 offset:72
	buffer_store_dword v110, off, s[0:3], 0 offset:76
	s_waitcnt vmcnt(0)
	ds_write_b64 v109, v[111:112]
.LBB53_315:
	s_or_b32 exec_lo, exec_lo, s4
	s_waitcnt lgkmcnt(0)
	s_waitcnt_vscnt null, 0x0
	s_barrier
	buffer_gl0_inv
	s_clause 0x1c
	buffer_load_dword v119, off, s[0:3], 0 offset:80
	buffer_load_dword v120, off, s[0:3], 0 offset:84
	;; [unrolled: 1-line block ×29, first 2 shown]
	ds_read_b128 v[111:114], v110 offset:512
	ds_read_b128 v[115:118], v110 offset:528
	buffer_load_dword v144, off, s[0:3], 0 offset:196
	s_mov_b32 s4, exec_lo
	s_waitcnt vmcnt(28) lgkmcnt(1)
	v_fma_f64 v[111:112], v[119:120], v[111:112], 0
	s_clause 0x7
	buffer_load_dword v120, off, s[0:3], 0 offset:204
	buffer_load_dword v149, off, s[0:3], 0 offset:224
	buffer_load_dword v151, off, s[0:3], 0 offset:216
	buffer_load_dword v153, off, s[0:3], 0 offset:208
	buffer_load_dword v119, off, s[0:3], 0 offset:200
	buffer_load_dword v154, off, s[0:3], 0 offset:212
	buffer_load_dword v152, off, s[0:3], 0 offset:220
	buffer_load_dword v150, off, s[0:3], 0 offset:228
	s_waitcnt vmcnt(34)
	v_fma_f64 v[111:112], v[121:122], v[113:114], v[111:112]
	s_waitcnt vmcnt(32) lgkmcnt(0)
	v_fma_f64 v[111:112], v[123:124], v[115:116], v[111:112]
	s_waitcnt vmcnt(30)
	v_fma_f64 v[121:122], v[125:126], v[117:118], v[111:112]
	ds_read_b128 v[111:114], v110 offset:544
	ds_read_b128 v[115:118], v110 offset:560
	s_waitcnt vmcnt(28) lgkmcnt(1)
	v_fma_f64 v[111:112], v[127:128], v[111:112], v[121:122]
	s_clause 0x7
	buffer_load_dword v122, off, s[0:3], 0 offset:236
	buffer_load_dword v123, off, s[0:3], 0 offset:256
	buffer_load_dword v125, off, s[0:3], 0 offset:248
	buffer_load_dword v127, off, s[0:3], 0 offset:240
	buffer_load_dword v121, off, s[0:3], 0 offset:232
	buffer_load_dword v128, off, s[0:3], 0 offset:244
	buffer_load_dword v126, off, s[0:3], 0 offset:252
	buffer_load_dword v124, off, s[0:3], 0 offset:260
	s_waitcnt vmcnt(34)
	v_fma_f64 v[111:112], v[129:130], v[113:114], v[111:112]
	s_waitcnt vmcnt(32) lgkmcnt(0)
	v_fma_f64 v[111:112], v[131:132], v[115:116], v[111:112]
	s_waitcnt vmcnt(27)
	v_fma_f64 v[129:130], v[133:134], v[117:118], v[111:112]
	ds_read_b128 v[111:114], v110 offset:576
	ds_read_b128 v[115:118], v110 offset:592
	s_waitcnt vmcnt(26) lgkmcnt(1)
	v_fma_f64 v[111:112], v[139:140], v[111:112], v[129:130]
	s_clause 0x7
	buffer_load_dword v130, off, s[0:3], 0 offset:268
	buffer_load_dword v131, off, s[0:3], 0 offset:288
	buffer_load_dword v133, off, s[0:3], 0 offset:280
	buffer_load_dword v139, off, s[0:3], 0 offset:272
	buffer_load_dword v129, off, s[0:3], 0 offset:264
	buffer_load_dword v140, off, s[0:3], 0 offset:276
	buffer_load_dword v134, off, s[0:3], 0 offset:284
	buffer_load_dword v132, off, s[0:3], 0 offset:292
	s_waitcnt vmcnt(33)
	v_fma_f64 v[111:112], v[137:138], v[113:114], v[111:112]
	s_waitcnt vmcnt(32) lgkmcnt(0)
	v_fma_f64 v[111:112], v[135:136], v[115:116], v[111:112]
	s_waitcnt vmcnt(27)
	v_fma_f64 v[135:136], v[141:142], v[117:118], v[111:112]
	ds_read_b128 v[111:114], v110 offset:608
	ds_read_b128 v[115:118], v110 offset:624
	s_waitcnt vmcnt(26) lgkmcnt(1)
	v_fma_f64 v[111:112], v[147:148], v[111:112], v[135:136]
	s_clause 0x7
	buffer_load_dword v136, off, s[0:3], 0 offset:300
	buffer_load_dword v137, off, s[0:3], 0 offset:320
	buffer_load_dword v141, off, s[0:3], 0 offset:312
	buffer_load_dword v147, off, s[0:3], 0 offset:304
	buffer_load_dword v135, off, s[0:3], 0 offset:296
	buffer_load_dword v148, off, s[0:3], 0 offset:308
	buffer_load_dword v142, off, s[0:3], 0 offset:316
	buffer_load_dword v138, off, s[0:3], 0 offset:324
	s_waitcnt vmcnt(33)
	v_fma_f64 v[111:112], v[145:146], v[113:114], v[111:112]
	s_waitcnt vmcnt(32) lgkmcnt(0)
	v_fma_f64 v[111:112], v[143:144], v[115:116], v[111:112]
	s_waitcnt vmcnt(27)
	v_fma_f64 v[119:120], v[119:120], v[117:118], v[111:112]
	ds_read_b128 v[111:114], v110 offset:640
	ds_read_b128 v[115:118], v110 offset:656
	s_waitcnt vmcnt(26) lgkmcnt(1)
	v_fma_f64 v[111:112], v[153:154], v[111:112], v[119:120]
	s_clause 0x7
	buffer_load_dword v120, off, s[0:3], 0 offset:332
	buffer_load_dword v143, off, s[0:3], 0 offset:352
	buffer_load_dword v145, off, s[0:3], 0 offset:344
	buffer_load_dword v153, off, s[0:3], 0 offset:336
	buffer_load_dword v119, off, s[0:3], 0 offset:328
	buffer_load_dword v154, off, s[0:3], 0 offset:340
	buffer_load_dword v146, off, s[0:3], 0 offset:348
	buffer_load_dword v144, off, s[0:3], 0 offset:356
	s_waitcnt vmcnt(33)
	v_fma_f64 v[111:112], v[151:152], v[113:114], v[111:112]
	s_waitcnt vmcnt(32) lgkmcnt(0)
	v_fma_f64 v[111:112], v[149:150], v[115:116], v[111:112]
	s_waitcnt vmcnt(27)
	v_fma_f64 v[121:122], v[121:122], v[117:118], v[111:112]
	ds_read_b128 v[111:114], v110 offset:672
	ds_read_b128 v[115:118], v110 offset:688
	s_waitcnt vmcnt(26) lgkmcnt(1)
	v_fma_f64 v[111:112], v[127:128], v[111:112], v[121:122]
	s_clause 0x7
	buffer_load_dword v122, off, s[0:3], 0 offset:364
	buffer_load_dword v127, off, s[0:3], 0 offset:384
	buffer_load_dword v149, off, s[0:3], 0 offset:376
	buffer_load_dword v151, off, s[0:3], 0 offset:368
	buffer_load_dword v121, off, s[0:3], 0 offset:360
	buffer_load_dword v152, off, s[0:3], 0 offset:372
	buffer_load_dword v150, off, s[0:3], 0 offset:380
	buffer_load_dword v128, off, s[0:3], 0 offset:388
	s_waitcnt vmcnt(33)
	v_fma_f64 v[111:112], v[125:126], v[113:114], v[111:112]
	s_waitcnt vmcnt(32) lgkmcnt(0)
	v_fma_f64 v[111:112], v[123:124], v[115:116], v[111:112]
	s_waitcnt vmcnt(27)
	v_fma_f64 v[123:124], v[129:130], v[117:118], v[111:112]
	ds_read_b128 v[111:114], v110 offset:704
	ds_read_b128 v[115:118], v110 offset:720
	s_waitcnt vmcnt(26) lgkmcnt(1)
	v_fma_f64 v[111:112], v[139:140], v[111:112], v[123:124]
	s_clause 0x7
	buffer_load_dword v124, off, s[0:3], 0 offset:396
	buffer_load_dword v125, off, s[0:3], 0 offset:416
	buffer_load_dword v129, off, s[0:3], 0 offset:408
	buffer_load_dword v139, off, s[0:3], 0 offset:400
	buffer_load_dword v123, off, s[0:3], 0 offset:392
	buffer_load_dword v140, off, s[0:3], 0 offset:404
	buffer_load_dword v130, off, s[0:3], 0 offset:412
	buffer_load_dword v126, off, s[0:3], 0 offset:420
	s_waitcnt vmcnt(33)
	v_fma_f64 v[111:112], v[133:134], v[113:114], v[111:112]
	s_waitcnt vmcnt(32) lgkmcnt(0)
	v_fma_f64 v[111:112], v[131:132], v[115:116], v[111:112]
	s_waitcnt vmcnt(27)
	v_fma_f64 v[131:132], v[135:136], v[117:118], v[111:112]
	ds_read_b128 v[111:114], v110 offset:736
	ds_read_b128 v[115:118], v110 offset:752
	s_waitcnt vmcnt(26) lgkmcnt(1)
	v_fma_f64 v[111:112], v[147:148], v[111:112], v[131:132]
	s_clause 0x3
	buffer_load_dword v132, off, s[0:3], 0 offset:428
	buffer_load_dword v131, off, s[0:3], 0 offset:424
	;; [unrolled: 1-line block ×4, first 2 shown]
	s_waitcnt vmcnt(29)
	v_fma_f64 v[111:112], v[141:142], v[113:114], v[111:112]
	s_waitcnt vmcnt(28) lgkmcnt(0)
	v_fma_f64 v[111:112], v[137:138], v[115:116], v[111:112]
	s_waitcnt vmcnt(23)
	v_fma_f64 v[119:120], v[119:120], v[117:118], v[111:112]
	ds_read_b128 v[111:114], v110 offset:768
	ds_read_b128 v[115:118], v110 offset:784
	s_waitcnt vmcnt(22) lgkmcnt(1)
	v_fma_f64 v[111:112], v[153:154], v[111:112], v[119:120]
	s_waitcnt vmcnt(21)
	v_fma_f64 v[111:112], v[145:146], v[113:114], v[111:112]
	s_waitcnt vmcnt(20) lgkmcnt(0)
	v_fma_f64 v[111:112], v[143:144], v[115:116], v[111:112]
	s_waitcnt vmcnt(15)
	v_fma_f64 v[119:120], v[121:122], v[117:118], v[111:112]
	ds_read_b128 v[111:114], v110 offset:800
	ds_read_b128 v[115:118], v110 offset:816
	s_waitcnt vmcnt(14) lgkmcnt(1)
	v_fma_f64 v[111:112], v[151:152], v[111:112], v[119:120]
	;; [unrolled: 10-line block ×3, first 2 shown]
	s_waitcnt vmcnt(5)
	v_fma_f64 v[110:111], v[129:130], v[113:114], v[110:111]
	s_waitcnt vmcnt(4) lgkmcnt(0)
	v_fma_f64 v[110:111], v[125:126], v[115:116], v[110:111]
	s_waitcnt vmcnt(2)
	v_fma_f64 v[110:111], v[131:132], v[117:118], v[110:111]
	s_waitcnt vmcnt(0)
	v_add_f64 v[110:111], v[133:134], -v[110:111]
	buffer_store_dword v111, off, s[0:3], 0 offset:76
	buffer_store_dword v110, off, s[0:3], 0 offset:72
	v_cmpx_lt_u32_e32 8, v0
	s_cbranch_execz .LBB53_317
; %bb.316:
	s_clause 0x1
	buffer_load_dword v110, off, s[0:3], 0 offset:64
	buffer_load_dword v111, off, s[0:3], 0 offset:68
	v_mov_b32_e32 v112, 0
	buffer_store_dword v112, off, s[0:3], 0 offset:64
	buffer_store_dword v112, off, s[0:3], 0 offset:68
	s_waitcnt vmcnt(0)
	ds_write_b64 v109, v[110:111]
.LBB53_317:
	s_or_b32 exec_lo, exec_lo, s4
	s_waitcnt lgkmcnt(0)
	s_waitcnt_vscnt null, 0x0
	s_barrier
	buffer_gl0_inv
	s_clause 0x1c
	buffer_load_dword v119, off, s[0:3], 0 offset:72
	buffer_load_dword v120, off, s[0:3], 0 offset:76
	;; [unrolled: 1-line block ×29, first 2 shown]
	v_mov_b32_e32 v110, 0
	buffer_load_dword v144, off, s[0:3], 0 offset:188
	s_mov_b32 s4, exec_lo
	ds_read2_b64 v[111:114], v110 offset0:63 offset1:64
	ds_read2_b64 v[115:118], v110 offset0:65 offset1:66
	s_waitcnt vmcnt(28) lgkmcnt(1)
	v_fma_f64 v[111:112], v[119:120], v[111:112], 0
	s_clause 0x7
	buffer_load_dword v120, off, s[0:3], 0 offset:196
	buffer_load_dword v149, off, s[0:3], 0 offset:216
	buffer_load_dword v151, off, s[0:3], 0 offset:208
	buffer_load_dword v153, off, s[0:3], 0 offset:200
	buffer_load_dword v119, off, s[0:3], 0 offset:192
	buffer_load_dword v154, off, s[0:3], 0 offset:204
	buffer_load_dword v152, off, s[0:3], 0 offset:212
	buffer_load_dword v150, off, s[0:3], 0 offset:220
	s_waitcnt vmcnt(34)
	v_fma_f64 v[111:112], v[121:122], v[113:114], v[111:112]
	s_waitcnt vmcnt(32) lgkmcnt(0)
	v_fma_f64 v[111:112], v[123:124], v[115:116], v[111:112]
	s_waitcnt vmcnt(30)
	v_fma_f64 v[121:122], v[125:126], v[117:118], v[111:112]
	ds_read2_b64 v[111:114], v110 offset0:67 offset1:68
	ds_read2_b64 v[115:118], v110 offset0:69 offset1:70
	s_waitcnt vmcnt(28) lgkmcnt(1)
	v_fma_f64 v[111:112], v[127:128], v[111:112], v[121:122]
	s_clause 0x7
	buffer_load_dword v122, off, s[0:3], 0 offset:228
	buffer_load_dword v123, off, s[0:3], 0 offset:248
	buffer_load_dword v125, off, s[0:3], 0 offset:240
	buffer_load_dword v127, off, s[0:3], 0 offset:232
	buffer_load_dword v121, off, s[0:3], 0 offset:224
	buffer_load_dword v128, off, s[0:3], 0 offset:236
	buffer_load_dword v126, off, s[0:3], 0 offset:244
	buffer_load_dword v124, off, s[0:3], 0 offset:252
	s_waitcnt vmcnt(34)
	v_fma_f64 v[111:112], v[129:130], v[113:114], v[111:112]
	s_waitcnt vmcnt(32) lgkmcnt(0)
	v_fma_f64 v[111:112], v[131:132], v[115:116], v[111:112]
	s_waitcnt vmcnt(27)
	v_fma_f64 v[129:130], v[133:134], v[117:118], v[111:112]
	;; [unrolled: 19-line block ×7, first 2 shown]
	ds_read2_b64 v[111:114], v110 offset0:91 offset1:92
	ds_read2_b64 v[115:118], v110 offset0:93 offset1:94
	s_waitcnt vmcnt(26) lgkmcnt(1)
	v_fma_f64 v[111:112], v[147:148], v[111:112], v[131:132]
	s_clause 0x5
	buffer_load_dword v132, off, s[0:3], 0 offset:420
	buffer_load_dword v133, off, s[0:3], 0 offset:424
	;; [unrolled: 1-line block ×6, first 2 shown]
	s_waitcnt vmcnt(31)
	v_fma_f64 v[111:112], v[141:142], v[113:114], v[111:112]
	s_waitcnt vmcnt(30) lgkmcnt(0)
	v_fma_f64 v[111:112], v[137:138], v[115:116], v[111:112]
	s_waitcnt vmcnt(25)
	v_fma_f64 v[119:120], v[119:120], v[117:118], v[111:112]
	ds_read2_b64 v[111:114], v110 offset0:95 offset1:96
	ds_read2_b64 v[115:118], v110 offset0:97 offset1:98
	s_waitcnt vmcnt(24) lgkmcnt(1)
	v_fma_f64 v[111:112], v[153:154], v[111:112], v[119:120]
	s_waitcnt vmcnt(23)
	v_fma_f64 v[111:112], v[145:146], v[113:114], v[111:112]
	s_waitcnt vmcnt(22) lgkmcnt(0)
	v_fma_f64 v[111:112], v[143:144], v[115:116], v[111:112]
	s_waitcnt vmcnt(17)
	v_fma_f64 v[119:120], v[121:122], v[117:118], v[111:112]
	ds_read2_b64 v[111:114], v110 offset0:99 offset1:100
	ds_read2_b64 v[115:118], v110 offset0:101 offset1:102
	s_waitcnt vmcnt(16) lgkmcnt(1)
	v_fma_f64 v[111:112], v[151:152], v[111:112], v[119:120]
	;; [unrolled: 10-line block ×3, first 2 shown]
	s_waitcnt vmcnt(7)
	v_fma_f64 v[111:112], v[129:130], v[113:114], v[111:112]
	ds_read_b64 v[113:114], v110 offset:856
	s_waitcnt vmcnt(6) lgkmcnt(1)
	v_fma_f64 v[111:112], v[125:126], v[115:116], v[111:112]
	s_waitcnt vmcnt(3)
	v_fma_f64 v[111:112], v[131:132], v[117:118], v[111:112]
	s_waitcnt vmcnt(2) lgkmcnt(0)
	v_fma_f64 v[111:112], v[133:134], v[113:114], v[111:112]
	s_waitcnt vmcnt(0)
	v_add_f64 v[111:112], v[135:136], -v[111:112]
	buffer_store_dword v112, off, s[0:3], 0 offset:68
	buffer_store_dword v111, off, s[0:3], 0 offset:64
	v_cmpx_lt_u32_e32 7, v0
	s_cbranch_execz .LBB53_319
; %bb.318:
	s_clause 0x1
	buffer_load_dword v111, off, s[0:3], 0 offset:56
	buffer_load_dword v112, off, s[0:3], 0 offset:60
	buffer_store_dword v110, off, s[0:3], 0 offset:56
	buffer_store_dword v110, off, s[0:3], 0 offset:60
	s_waitcnt vmcnt(0)
	ds_write_b64 v109, v[111:112]
.LBB53_319:
	s_or_b32 exec_lo, exec_lo, s4
	s_waitcnt lgkmcnt(0)
	s_waitcnt_vscnt null, 0x0
	s_barrier
	buffer_gl0_inv
	s_clause 0x1c
	buffer_load_dword v119, off, s[0:3], 0 offset:64
	buffer_load_dword v120, off, s[0:3], 0 offset:68
	;; [unrolled: 1-line block ×29, first 2 shown]
	ds_read_b128 v[111:114], v110 offset:496
	ds_read_b128 v[115:118], v110 offset:512
	buffer_load_dword v144, off, s[0:3], 0 offset:180
	s_mov_b32 s4, exec_lo
	s_waitcnt vmcnt(28) lgkmcnt(1)
	v_fma_f64 v[111:112], v[119:120], v[111:112], 0
	s_clause 0x7
	buffer_load_dword v120, off, s[0:3], 0 offset:188
	buffer_load_dword v149, off, s[0:3], 0 offset:208
	buffer_load_dword v151, off, s[0:3], 0 offset:200
	buffer_load_dword v153, off, s[0:3], 0 offset:192
	buffer_load_dword v119, off, s[0:3], 0 offset:184
	buffer_load_dword v154, off, s[0:3], 0 offset:196
	buffer_load_dword v152, off, s[0:3], 0 offset:204
	buffer_load_dword v150, off, s[0:3], 0 offset:212
	s_waitcnt vmcnt(34)
	v_fma_f64 v[111:112], v[121:122], v[113:114], v[111:112]
	s_waitcnt vmcnt(32) lgkmcnt(0)
	v_fma_f64 v[111:112], v[123:124], v[115:116], v[111:112]
	s_waitcnt vmcnt(30)
	v_fma_f64 v[121:122], v[125:126], v[117:118], v[111:112]
	ds_read_b128 v[111:114], v110 offset:528
	ds_read_b128 v[115:118], v110 offset:544
	s_waitcnt vmcnt(28) lgkmcnt(1)
	v_fma_f64 v[111:112], v[127:128], v[111:112], v[121:122]
	s_clause 0x7
	buffer_load_dword v122, off, s[0:3], 0 offset:220
	buffer_load_dword v123, off, s[0:3], 0 offset:240
	buffer_load_dword v125, off, s[0:3], 0 offset:232
	buffer_load_dword v127, off, s[0:3], 0 offset:224
	buffer_load_dword v121, off, s[0:3], 0 offset:216
	buffer_load_dword v128, off, s[0:3], 0 offset:228
	buffer_load_dword v126, off, s[0:3], 0 offset:236
	buffer_load_dword v124, off, s[0:3], 0 offset:244
	s_waitcnt vmcnt(34)
	v_fma_f64 v[111:112], v[129:130], v[113:114], v[111:112]
	s_waitcnt vmcnt(32) lgkmcnt(0)
	v_fma_f64 v[111:112], v[131:132], v[115:116], v[111:112]
	s_waitcnt vmcnt(27)
	v_fma_f64 v[129:130], v[133:134], v[117:118], v[111:112]
	ds_read_b128 v[111:114], v110 offset:560
	ds_read_b128 v[115:118], v110 offset:576
	;; [unrolled: 19-line block ×7, first 2 shown]
	s_waitcnt vmcnt(26) lgkmcnt(1)
	v_fma_f64 v[111:112], v[147:148], v[111:112], v[131:132]
	s_clause 0x5
	buffer_load_dword v132, off, s[0:3], 0 offset:412
	buffer_load_dword v133, off, s[0:3], 0 offset:424
	;; [unrolled: 1-line block ×6, first 2 shown]
	s_waitcnt vmcnt(31)
	v_fma_f64 v[111:112], v[141:142], v[113:114], v[111:112]
	s_waitcnt vmcnt(30) lgkmcnt(0)
	v_fma_f64 v[111:112], v[137:138], v[115:116], v[111:112]
	s_waitcnt vmcnt(25)
	v_fma_f64 v[119:120], v[119:120], v[117:118], v[111:112]
	ds_read_b128 v[111:114], v110 offset:752
	s_clause 0x1
	buffer_load_dword v137, off, s[0:3], 0 offset:56
	buffer_load_dword v138, off, s[0:3], 0 offset:60
	ds_read_b128 v[115:118], v110 offset:768
	s_waitcnt vmcnt(26) lgkmcnt(1)
	v_fma_f64 v[111:112], v[153:154], v[111:112], v[119:120]
	s_waitcnt vmcnt(25)
	v_fma_f64 v[111:112], v[145:146], v[113:114], v[111:112]
	s_waitcnt vmcnt(24) lgkmcnt(0)
	v_fma_f64 v[111:112], v[143:144], v[115:116], v[111:112]
	s_waitcnt vmcnt(19)
	v_fma_f64 v[119:120], v[121:122], v[117:118], v[111:112]
	ds_read_b128 v[111:114], v110 offset:784
	ds_read_b128 v[115:118], v110 offset:800
	s_waitcnt vmcnt(18) lgkmcnt(1)
	v_fma_f64 v[111:112], v[151:152], v[111:112], v[119:120]
	s_waitcnt vmcnt(17)
	v_fma_f64 v[111:112], v[149:150], v[113:114], v[111:112]
	s_waitcnt vmcnt(16) lgkmcnt(0)
	v_fma_f64 v[111:112], v[127:128], v[115:116], v[111:112]
	s_waitcnt vmcnt(11)
	v_fma_f64 v[119:120], v[123:124], v[117:118], v[111:112]
	ds_read_b128 v[111:114], v110 offset:816
	;; [unrolled: 10-line block ×3, first 2 shown]
	s_waitcnt vmcnt(3) lgkmcnt(0)
	v_fma_f64 v[110:111], v[135:136], v[110:111], v[114:115]
	s_waitcnt vmcnt(2)
	v_fma_f64 v[110:111], v[133:134], v[112:113], v[110:111]
	s_waitcnt vmcnt(0)
	v_add_f64 v[110:111], v[137:138], -v[110:111]
	buffer_store_dword v111, off, s[0:3], 0 offset:60
	buffer_store_dword v110, off, s[0:3], 0 offset:56
	v_cmpx_lt_u32_e32 6, v0
	s_cbranch_execz .LBB53_321
; %bb.320:
	s_clause 0x1
	buffer_load_dword v110, off, s[0:3], 0 offset:48
	buffer_load_dword v111, off, s[0:3], 0 offset:52
	v_mov_b32_e32 v112, 0
	buffer_store_dword v112, off, s[0:3], 0 offset:48
	buffer_store_dword v112, off, s[0:3], 0 offset:52
	s_waitcnt vmcnt(0)
	ds_write_b64 v109, v[110:111]
.LBB53_321:
	s_or_b32 exec_lo, exec_lo, s4
	s_waitcnt lgkmcnt(0)
	s_waitcnt_vscnt null, 0x0
	s_barrier
	buffer_gl0_inv
	s_clause 0x1c
	buffer_load_dword v119, off, s[0:3], 0 offset:56
	buffer_load_dword v120, off, s[0:3], 0 offset:60
	;; [unrolled: 1-line block ×29, first 2 shown]
	v_mov_b32_e32 v110, 0
	buffer_load_dword v144, off, s[0:3], 0 offset:172
	s_mov_b32 s4, exec_lo
	ds_read2_b64 v[111:114], v110 offset0:61 offset1:62
	ds_read2_b64 v[115:118], v110 offset0:63 offset1:64
	s_waitcnt vmcnt(28) lgkmcnt(1)
	v_fma_f64 v[111:112], v[119:120], v[111:112], 0
	s_clause 0x7
	buffer_load_dword v120, off, s[0:3], 0 offset:180
	buffer_load_dword v149, off, s[0:3], 0 offset:200
	buffer_load_dword v151, off, s[0:3], 0 offset:192
	buffer_load_dword v153, off, s[0:3], 0 offset:184
	buffer_load_dword v119, off, s[0:3], 0 offset:176
	buffer_load_dword v154, off, s[0:3], 0 offset:188
	buffer_load_dword v152, off, s[0:3], 0 offset:196
	buffer_load_dword v150, off, s[0:3], 0 offset:204
	s_waitcnt vmcnt(34)
	v_fma_f64 v[111:112], v[121:122], v[113:114], v[111:112]
	s_waitcnt vmcnt(32) lgkmcnt(0)
	v_fma_f64 v[111:112], v[123:124], v[115:116], v[111:112]
	s_waitcnt vmcnt(30)
	v_fma_f64 v[121:122], v[125:126], v[117:118], v[111:112]
	ds_read2_b64 v[111:114], v110 offset0:65 offset1:66
	ds_read2_b64 v[115:118], v110 offset0:67 offset1:68
	s_waitcnt vmcnt(28) lgkmcnt(1)
	v_fma_f64 v[111:112], v[127:128], v[111:112], v[121:122]
	s_clause 0x7
	buffer_load_dword v122, off, s[0:3], 0 offset:212
	buffer_load_dword v123, off, s[0:3], 0 offset:232
	buffer_load_dword v125, off, s[0:3], 0 offset:224
	buffer_load_dword v127, off, s[0:3], 0 offset:216
	buffer_load_dword v121, off, s[0:3], 0 offset:208
	buffer_load_dword v128, off, s[0:3], 0 offset:220
	buffer_load_dword v126, off, s[0:3], 0 offset:228
	buffer_load_dword v124, off, s[0:3], 0 offset:236
	s_waitcnt vmcnt(34)
	v_fma_f64 v[111:112], v[129:130], v[113:114], v[111:112]
	s_waitcnt vmcnt(32) lgkmcnt(0)
	v_fma_f64 v[111:112], v[131:132], v[115:116], v[111:112]
	s_waitcnt vmcnt(27)
	v_fma_f64 v[129:130], v[133:134], v[117:118], v[111:112]
	ds_read2_b64 v[111:114], v110 offset0:69 offset1:70
	ds_read2_b64 v[115:118], v110 offset0:71 offset1:72
	s_waitcnt vmcnt(26) lgkmcnt(1)
	v_fma_f64 v[111:112], v[139:140], v[111:112], v[129:130]
	s_clause 0x7
	buffer_load_dword v130, off, s[0:3], 0 offset:244
	buffer_load_dword v131, off, s[0:3], 0 offset:264
	buffer_load_dword v133, off, s[0:3], 0 offset:256
	buffer_load_dword v139, off, s[0:3], 0 offset:248
	buffer_load_dword v129, off, s[0:3], 0 offset:240
	buffer_load_dword v140, off, s[0:3], 0 offset:252
	buffer_load_dword v134, off, s[0:3], 0 offset:260
	buffer_load_dword v132, off, s[0:3], 0 offset:268
	s_waitcnt vmcnt(33)
	v_fma_f64 v[111:112], v[137:138], v[113:114], v[111:112]
	s_waitcnt vmcnt(32) lgkmcnt(0)
	v_fma_f64 v[111:112], v[135:136], v[115:116], v[111:112]
	s_waitcnt vmcnt(27)
	v_fma_f64 v[135:136], v[141:142], v[117:118], v[111:112]
	ds_read2_b64 v[111:114], v110 offset0:73 offset1:74
	ds_read2_b64 v[115:118], v110 offset0:75 offset1:76
	s_waitcnt vmcnt(26) lgkmcnt(1)
	v_fma_f64 v[111:112], v[147:148], v[111:112], v[135:136]
	s_clause 0x7
	buffer_load_dword v136, off, s[0:3], 0 offset:276
	buffer_load_dword v137, off, s[0:3], 0 offset:296
	buffer_load_dword v141, off, s[0:3], 0 offset:288
	buffer_load_dword v147, off, s[0:3], 0 offset:280
	buffer_load_dword v135, off, s[0:3], 0 offset:272
	buffer_load_dword v148, off, s[0:3], 0 offset:284
	buffer_load_dword v142, off, s[0:3], 0 offset:292
	buffer_load_dword v138, off, s[0:3], 0 offset:300
	s_waitcnt vmcnt(33)
	v_fma_f64 v[111:112], v[145:146], v[113:114], v[111:112]
	s_waitcnt vmcnt(32) lgkmcnt(0)
	v_fma_f64 v[111:112], v[143:144], v[115:116], v[111:112]
	s_waitcnt vmcnt(27)
	v_fma_f64 v[119:120], v[119:120], v[117:118], v[111:112]
	ds_read2_b64 v[111:114], v110 offset0:77 offset1:78
	ds_read2_b64 v[115:118], v110 offset0:79 offset1:80
	s_waitcnt vmcnt(26) lgkmcnt(1)
	v_fma_f64 v[111:112], v[153:154], v[111:112], v[119:120]
	s_clause 0x7
	buffer_load_dword v120, off, s[0:3], 0 offset:308
	buffer_load_dword v143, off, s[0:3], 0 offset:328
	buffer_load_dword v145, off, s[0:3], 0 offset:320
	buffer_load_dword v153, off, s[0:3], 0 offset:312
	buffer_load_dword v119, off, s[0:3], 0 offset:304
	buffer_load_dword v154, off, s[0:3], 0 offset:316
	buffer_load_dword v146, off, s[0:3], 0 offset:324
	buffer_load_dword v144, off, s[0:3], 0 offset:332
	s_waitcnt vmcnt(33)
	v_fma_f64 v[111:112], v[151:152], v[113:114], v[111:112]
	s_waitcnt vmcnt(32) lgkmcnt(0)
	v_fma_f64 v[111:112], v[149:150], v[115:116], v[111:112]
	s_waitcnt vmcnt(27)
	v_fma_f64 v[121:122], v[121:122], v[117:118], v[111:112]
	ds_read2_b64 v[111:114], v110 offset0:81 offset1:82
	ds_read2_b64 v[115:118], v110 offset0:83 offset1:84
	s_waitcnt vmcnt(26) lgkmcnt(1)
	v_fma_f64 v[111:112], v[127:128], v[111:112], v[121:122]
	s_clause 0x7
	buffer_load_dword v122, off, s[0:3], 0 offset:340
	buffer_load_dword v127, off, s[0:3], 0 offset:360
	buffer_load_dword v149, off, s[0:3], 0 offset:352
	buffer_load_dword v151, off, s[0:3], 0 offset:344
	buffer_load_dword v121, off, s[0:3], 0 offset:336
	buffer_load_dword v152, off, s[0:3], 0 offset:348
	buffer_load_dword v150, off, s[0:3], 0 offset:356
	buffer_load_dword v128, off, s[0:3], 0 offset:364
	s_waitcnt vmcnt(33)
	v_fma_f64 v[111:112], v[125:126], v[113:114], v[111:112]
	s_waitcnt vmcnt(32) lgkmcnt(0)
	v_fma_f64 v[111:112], v[123:124], v[115:116], v[111:112]
	s_waitcnt vmcnt(27)
	v_fma_f64 v[123:124], v[129:130], v[117:118], v[111:112]
	ds_read2_b64 v[111:114], v110 offset0:85 offset1:86
	ds_read2_b64 v[115:118], v110 offset0:87 offset1:88
	s_waitcnt vmcnt(26) lgkmcnt(1)
	v_fma_f64 v[111:112], v[139:140], v[111:112], v[123:124]
	s_clause 0x7
	buffer_load_dword v124, off, s[0:3], 0 offset:372
	buffer_load_dword v125, off, s[0:3], 0 offset:392
	buffer_load_dword v129, off, s[0:3], 0 offset:384
	buffer_load_dword v139, off, s[0:3], 0 offset:376
	buffer_load_dword v123, off, s[0:3], 0 offset:368
	buffer_load_dword v140, off, s[0:3], 0 offset:380
	buffer_load_dword v130, off, s[0:3], 0 offset:388
	buffer_load_dword v126, off, s[0:3], 0 offset:396
	s_waitcnt vmcnt(33)
	v_fma_f64 v[111:112], v[133:134], v[113:114], v[111:112]
	s_waitcnt vmcnt(32) lgkmcnt(0)
	v_fma_f64 v[111:112], v[131:132], v[115:116], v[111:112]
	s_waitcnt vmcnt(27)
	v_fma_f64 v[131:132], v[135:136], v[117:118], v[111:112]
	ds_read2_b64 v[111:114], v110 offset0:89 offset1:90
	ds_read2_b64 v[115:118], v110 offset0:91 offset1:92
	s_waitcnt vmcnt(26) lgkmcnt(1)
	v_fma_f64 v[111:112], v[147:148], v[111:112], v[131:132]
	s_clause 0x7
	buffer_load_dword v132, off, s[0:3], 0 offset:404
	buffer_load_dword v133, off, s[0:3], 0 offset:424
	buffer_load_dword v135, off, s[0:3], 0 offset:416
	buffer_load_dword v147, off, s[0:3], 0 offset:408
	buffer_load_dword v131, off, s[0:3], 0 offset:400
	buffer_load_dword v148, off, s[0:3], 0 offset:412
	buffer_load_dword v136, off, s[0:3], 0 offset:420
	buffer_load_dword v134, off, s[0:3], 0 offset:428
	s_waitcnt vmcnt(33)
	v_fma_f64 v[111:112], v[141:142], v[113:114], v[111:112]
	s_waitcnt vmcnt(32) lgkmcnt(0)
	v_fma_f64 v[111:112], v[137:138], v[115:116], v[111:112]
	s_waitcnt vmcnt(27)
	v_fma_f64 v[119:120], v[119:120], v[117:118], v[111:112]
	ds_read2_b64 v[111:114], v110 offset0:93 offset1:94
	ds_read2_b64 v[115:118], v110 offset0:95 offset1:96
	s_waitcnt vmcnt(26) lgkmcnt(1)
	v_fma_f64 v[111:112], v[153:154], v[111:112], v[119:120]
	s_clause 0x1
	buffer_load_dword v119, off, s[0:3], 0 offset:48
	buffer_load_dword v120, off, s[0:3], 0 offset:52
	s_waitcnt vmcnt(27)
	v_fma_f64 v[111:112], v[145:146], v[113:114], v[111:112]
	s_waitcnt vmcnt(26) lgkmcnt(0)
	v_fma_f64 v[111:112], v[143:144], v[115:116], v[111:112]
	s_waitcnt vmcnt(21)
	v_fma_f64 v[121:122], v[121:122], v[117:118], v[111:112]
	ds_read2_b64 v[111:114], v110 offset0:97 offset1:98
	ds_read2_b64 v[115:118], v110 offset0:99 offset1:100
	s_waitcnt vmcnt(20) lgkmcnt(1)
	v_fma_f64 v[111:112], v[151:152], v[111:112], v[121:122]
	s_waitcnt vmcnt(19)
	v_fma_f64 v[111:112], v[149:150], v[113:114], v[111:112]
	s_waitcnt vmcnt(18) lgkmcnt(0)
	v_fma_f64 v[111:112], v[127:128], v[115:116], v[111:112]
	s_waitcnt vmcnt(13)
	v_fma_f64 v[121:122], v[123:124], v[117:118], v[111:112]
	ds_read2_b64 v[111:114], v110 offset0:101 offset1:102
	ds_read2_b64 v[115:118], v110 offset0:103 offset1:104
	s_waitcnt vmcnt(12) lgkmcnt(1)
	v_fma_f64 v[111:112], v[139:140], v[111:112], v[121:122]
	s_waitcnt vmcnt(11)
	v_fma_f64 v[111:112], v[129:130], v[113:114], v[111:112]
	s_waitcnt vmcnt(10) lgkmcnt(0)
	v_fma_f64 v[111:112], v[125:126], v[115:116], v[111:112]
	s_waitcnt vmcnt(5)
	v_fma_f64 v[115:116], v[131:132], v[117:118], v[111:112]
	ds_read2_b64 v[111:114], v110 offset0:105 offset1:106
	ds_read_b64 v[117:118], v110 offset:856
	s_waitcnt vmcnt(4) lgkmcnt(1)
	v_fma_f64 v[111:112], v[147:148], v[111:112], v[115:116]
	s_waitcnt vmcnt(3)
	v_fma_f64 v[111:112], v[135:136], v[113:114], v[111:112]
	s_waitcnt vmcnt(2) lgkmcnt(0)
	v_fma_f64 v[111:112], v[133:134], v[117:118], v[111:112]
	s_waitcnt vmcnt(0)
	v_add_f64 v[111:112], v[119:120], -v[111:112]
	buffer_store_dword v112, off, s[0:3], 0 offset:52
	buffer_store_dword v111, off, s[0:3], 0 offset:48
	v_cmpx_lt_u32_e32 5, v0
	s_cbranch_execz .LBB53_323
; %bb.322:
	s_clause 0x1
	buffer_load_dword v111, off, s[0:3], 0 offset:40
	buffer_load_dword v112, off, s[0:3], 0 offset:44
	buffer_store_dword v110, off, s[0:3], 0 offset:40
	buffer_store_dword v110, off, s[0:3], 0 offset:44
	s_waitcnt vmcnt(0)
	ds_write_b64 v109, v[111:112]
.LBB53_323:
	s_or_b32 exec_lo, exec_lo, s4
	s_waitcnt lgkmcnt(0)
	s_waitcnt_vscnt null, 0x0
	s_barrier
	buffer_gl0_inv
	s_clause 0x1c
	buffer_load_dword v119, off, s[0:3], 0 offset:48
	buffer_load_dword v120, off, s[0:3], 0 offset:52
	;; [unrolled: 1-line block ×29, first 2 shown]
	ds_read_b128 v[111:114], v110 offset:480
	ds_read_b128 v[115:118], v110 offset:496
	buffer_load_dword v144, off, s[0:3], 0 offset:164
	s_mov_b32 s4, exec_lo
	s_waitcnt vmcnt(28) lgkmcnt(1)
	v_fma_f64 v[111:112], v[119:120], v[111:112], 0
	s_clause 0x7
	buffer_load_dword v120, off, s[0:3], 0 offset:172
	buffer_load_dword v149, off, s[0:3], 0 offset:192
	buffer_load_dword v151, off, s[0:3], 0 offset:184
	buffer_load_dword v153, off, s[0:3], 0 offset:176
	buffer_load_dword v119, off, s[0:3], 0 offset:168
	buffer_load_dword v154, off, s[0:3], 0 offset:180
	buffer_load_dword v152, off, s[0:3], 0 offset:188
	buffer_load_dword v150, off, s[0:3], 0 offset:196
	s_waitcnt vmcnt(34)
	v_fma_f64 v[111:112], v[121:122], v[113:114], v[111:112]
	s_waitcnt vmcnt(32) lgkmcnt(0)
	v_fma_f64 v[111:112], v[123:124], v[115:116], v[111:112]
	s_waitcnt vmcnt(30)
	v_fma_f64 v[121:122], v[125:126], v[117:118], v[111:112]
	ds_read_b128 v[111:114], v110 offset:512
	ds_read_b128 v[115:118], v110 offset:528
	s_waitcnt vmcnt(28) lgkmcnt(1)
	v_fma_f64 v[111:112], v[127:128], v[111:112], v[121:122]
	s_clause 0x7
	buffer_load_dword v122, off, s[0:3], 0 offset:204
	buffer_load_dword v123, off, s[0:3], 0 offset:224
	buffer_load_dword v125, off, s[0:3], 0 offset:216
	buffer_load_dword v127, off, s[0:3], 0 offset:208
	buffer_load_dword v121, off, s[0:3], 0 offset:200
	buffer_load_dword v128, off, s[0:3], 0 offset:212
	buffer_load_dword v126, off, s[0:3], 0 offset:220
	buffer_load_dword v124, off, s[0:3], 0 offset:228
	s_waitcnt vmcnt(34)
	v_fma_f64 v[111:112], v[129:130], v[113:114], v[111:112]
	s_waitcnt vmcnt(32) lgkmcnt(0)
	v_fma_f64 v[111:112], v[131:132], v[115:116], v[111:112]
	s_waitcnt vmcnt(27)
	v_fma_f64 v[129:130], v[133:134], v[117:118], v[111:112]
	ds_read_b128 v[111:114], v110 offset:544
	ds_read_b128 v[115:118], v110 offset:560
	s_waitcnt vmcnt(26) lgkmcnt(1)
	v_fma_f64 v[111:112], v[139:140], v[111:112], v[129:130]
	s_clause 0x7
	buffer_load_dword v130, off, s[0:3], 0 offset:236
	buffer_load_dword v131, off, s[0:3], 0 offset:256
	buffer_load_dword v133, off, s[0:3], 0 offset:248
	buffer_load_dword v139, off, s[0:3], 0 offset:240
	buffer_load_dword v129, off, s[0:3], 0 offset:232
	buffer_load_dword v140, off, s[0:3], 0 offset:244
	buffer_load_dword v134, off, s[0:3], 0 offset:252
	buffer_load_dword v132, off, s[0:3], 0 offset:260
	s_waitcnt vmcnt(33)
	v_fma_f64 v[111:112], v[137:138], v[113:114], v[111:112]
	s_waitcnt vmcnt(32) lgkmcnt(0)
	v_fma_f64 v[111:112], v[135:136], v[115:116], v[111:112]
	s_waitcnt vmcnt(27)
	v_fma_f64 v[135:136], v[141:142], v[117:118], v[111:112]
	ds_read_b128 v[111:114], v110 offset:576
	ds_read_b128 v[115:118], v110 offset:592
	s_waitcnt vmcnt(26) lgkmcnt(1)
	v_fma_f64 v[111:112], v[147:148], v[111:112], v[135:136]
	s_clause 0x7
	buffer_load_dword v136, off, s[0:3], 0 offset:268
	buffer_load_dword v137, off, s[0:3], 0 offset:288
	buffer_load_dword v141, off, s[0:3], 0 offset:280
	buffer_load_dword v147, off, s[0:3], 0 offset:272
	buffer_load_dword v135, off, s[0:3], 0 offset:264
	buffer_load_dword v148, off, s[0:3], 0 offset:276
	buffer_load_dword v142, off, s[0:3], 0 offset:284
	buffer_load_dword v138, off, s[0:3], 0 offset:292
	s_waitcnt vmcnt(33)
	v_fma_f64 v[111:112], v[145:146], v[113:114], v[111:112]
	s_waitcnt vmcnt(32) lgkmcnt(0)
	v_fma_f64 v[111:112], v[143:144], v[115:116], v[111:112]
	s_waitcnt vmcnt(27)
	v_fma_f64 v[119:120], v[119:120], v[117:118], v[111:112]
	ds_read_b128 v[111:114], v110 offset:608
	ds_read_b128 v[115:118], v110 offset:624
	s_waitcnt vmcnt(26) lgkmcnt(1)
	v_fma_f64 v[111:112], v[153:154], v[111:112], v[119:120]
	s_clause 0x7
	buffer_load_dword v120, off, s[0:3], 0 offset:300
	buffer_load_dword v143, off, s[0:3], 0 offset:320
	buffer_load_dword v145, off, s[0:3], 0 offset:312
	buffer_load_dword v153, off, s[0:3], 0 offset:304
	buffer_load_dword v119, off, s[0:3], 0 offset:296
	buffer_load_dword v154, off, s[0:3], 0 offset:308
	buffer_load_dword v146, off, s[0:3], 0 offset:316
	buffer_load_dword v144, off, s[0:3], 0 offset:324
	s_waitcnt vmcnt(33)
	v_fma_f64 v[111:112], v[151:152], v[113:114], v[111:112]
	s_waitcnt vmcnt(32) lgkmcnt(0)
	v_fma_f64 v[111:112], v[149:150], v[115:116], v[111:112]
	s_waitcnt vmcnt(27)
	v_fma_f64 v[121:122], v[121:122], v[117:118], v[111:112]
	ds_read_b128 v[111:114], v110 offset:640
	ds_read_b128 v[115:118], v110 offset:656
	s_waitcnt vmcnt(26) lgkmcnt(1)
	v_fma_f64 v[111:112], v[127:128], v[111:112], v[121:122]
	s_clause 0x7
	buffer_load_dword v122, off, s[0:3], 0 offset:332
	buffer_load_dword v127, off, s[0:3], 0 offset:352
	buffer_load_dword v149, off, s[0:3], 0 offset:344
	buffer_load_dword v151, off, s[0:3], 0 offset:336
	buffer_load_dword v121, off, s[0:3], 0 offset:328
	buffer_load_dword v152, off, s[0:3], 0 offset:340
	buffer_load_dword v150, off, s[0:3], 0 offset:348
	buffer_load_dword v128, off, s[0:3], 0 offset:356
	s_waitcnt vmcnt(33)
	v_fma_f64 v[111:112], v[125:126], v[113:114], v[111:112]
	s_waitcnt vmcnt(32) lgkmcnt(0)
	v_fma_f64 v[111:112], v[123:124], v[115:116], v[111:112]
	s_waitcnt vmcnt(27)
	v_fma_f64 v[123:124], v[129:130], v[117:118], v[111:112]
	ds_read_b128 v[111:114], v110 offset:672
	ds_read_b128 v[115:118], v110 offset:688
	s_waitcnt vmcnt(26) lgkmcnt(1)
	v_fma_f64 v[111:112], v[139:140], v[111:112], v[123:124]
	s_clause 0x7
	buffer_load_dword v124, off, s[0:3], 0 offset:364
	buffer_load_dword v125, off, s[0:3], 0 offset:384
	buffer_load_dword v129, off, s[0:3], 0 offset:376
	buffer_load_dword v139, off, s[0:3], 0 offset:368
	buffer_load_dword v123, off, s[0:3], 0 offset:360
	buffer_load_dword v140, off, s[0:3], 0 offset:372
	buffer_load_dword v130, off, s[0:3], 0 offset:380
	buffer_load_dword v126, off, s[0:3], 0 offset:388
	s_waitcnt vmcnt(33)
	v_fma_f64 v[111:112], v[133:134], v[113:114], v[111:112]
	s_waitcnt vmcnt(32) lgkmcnt(0)
	v_fma_f64 v[111:112], v[131:132], v[115:116], v[111:112]
	s_waitcnt vmcnt(27)
	v_fma_f64 v[131:132], v[135:136], v[117:118], v[111:112]
	ds_read_b128 v[111:114], v110 offset:704
	ds_read_b128 v[115:118], v110 offset:720
	s_waitcnt vmcnt(26) lgkmcnt(1)
	v_fma_f64 v[111:112], v[147:148], v[111:112], v[131:132]
	s_clause 0x7
	buffer_load_dword v132, off, s[0:3], 0 offset:396
	buffer_load_dword v133, off, s[0:3], 0 offset:416
	buffer_load_dword v135, off, s[0:3], 0 offset:408
	buffer_load_dword v147, off, s[0:3], 0 offset:400
	buffer_load_dword v131, off, s[0:3], 0 offset:392
	buffer_load_dword v148, off, s[0:3], 0 offset:404
	buffer_load_dword v136, off, s[0:3], 0 offset:412
	buffer_load_dword v134, off, s[0:3], 0 offset:420
	s_waitcnt vmcnt(33)
	v_fma_f64 v[111:112], v[141:142], v[113:114], v[111:112]
	s_waitcnt vmcnt(32) lgkmcnt(0)
	v_fma_f64 v[111:112], v[137:138], v[115:116], v[111:112]
	s_waitcnt vmcnt(27)
	v_fma_f64 v[119:120], v[119:120], v[117:118], v[111:112]
	ds_read_b128 v[111:114], v110 offset:736
	ds_read_b128 v[115:118], v110 offset:752
	s_waitcnt vmcnt(26) lgkmcnt(1)
	v_fma_f64 v[111:112], v[153:154], v[111:112], v[119:120]
	s_clause 0x3
	buffer_load_dword v120, off, s[0:3], 0 offset:428
	buffer_load_dword v119, off, s[0:3], 0 offset:424
	;; [unrolled: 1-line block ×4, first 2 shown]
	s_waitcnt vmcnt(29)
	v_fma_f64 v[111:112], v[145:146], v[113:114], v[111:112]
	s_waitcnt vmcnt(28) lgkmcnt(0)
	v_fma_f64 v[111:112], v[143:144], v[115:116], v[111:112]
	s_waitcnt vmcnt(23)
	v_fma_f64 v[121:122], v[121:122], v[117:118], v[111:112]
	ds_read_b128 v[111:114], v110 offset:768
	ds_read_b128 v[115:118], v110 offset:784
	s_waitcnt vmcnt(22) lgkmcnt(1)
	v_fma_f64 v[111:112], v[151:152], v[111:112], v[121:122]
	s_waitcnt vmcnt(21)
	v_fma_f64 v[111:112], v[149:150], v[113:114], v[111:112]
	s_waitcnt vmcnt(20) lgkmcnt(0)
	v_fma_f64 v[111:112], v[127:128], v[115:116], v[111:112]
	s_waitcnt vmcnt(15)
	v_fma_f64 v[121:122], v[123:124], v[117:118], v[111:112]
	ds_read_b128 v[111:114], v110 offset:800
	ds_read_b128 v[115:118], v110 offset:816
	s_waitcnt vmcnt(14) lgkmcnt(1)
	v_fma_f64 v[111:112], v[139:140], v[111:112], v[121:122]
	;; [unrolled: 10-line block ×3, first 2 shown]
	s_waitcnt vmcnt(5)
	v_fma_f64 v[110:111], v[135:136], v[113:114], v[110:111]
	s_waitcnt vmcnt(4) lgkmcnt(0)
	v_fma_f64 v[110:111], v[133:134], v[115:116], v[110:111]
	s_waitcnt vmcnt(2)
	v_fma_f64 v[110:111], v[119:120], v[117:118], v[110:111]
	s_waitcnt vmcnt(0)
	v_add_f64 v[110:111], v[137:138], -v[110:111]
	buffer_store_dword v111, off, s[0:3], 0 offset:44
	buffer_store_dword v110, off, s[0:3], 0 offset:40
	v_cmpx_lt_u32_e32 4, v0
	s_cbranch_execz .LBB53_325
; %bb.324:
	s_clause 0x1
	buffer_load_dword v110, off, s[0:3], 0 offset:32
	buffer_load_dword v111, off, s[0:3], 0 offset:36
	v_mov_b32_e32 v112, 0
	buffer_store_dword v112, off, s[0:3], 0 offset:32
	buffer_store_dword v112, off, s[0:3], 0 offset:36
	s_waitcnt vmcnt(0)
	ds_write_b64 v109, v[110:111]
.LBB53_325:
	s_or_b32 exec_lo, exec_lo, s4
	s_waitcnt lgkmcnt(0)
	s_waitcnt_vscnt null, 0x0
	s_barrier
	buffer_gl0_inv
	s_clause 0x1c
	buffer_load_dword v119, off, s[0:3], 0 offset:40
	buffer_load_dword v120, off, s[0:3], 0 offset:44
	buffer_load_dword v121, off, s[0:3], 0 offset:48
	buffer_load_dword v122, off, s[0:3], 0 offset:52
	buffer_load_dword v123, off, s[0:3], 0 offset:56
	buffer_load_dword v124, off, s[0:3], 0 offset:60
	buffer_load_dword v125, off, s[0:3], 0 offset:64
	buffer_load_dword v126, off, s[0:3], 0 offset:68
	buffer_load_dword v127, off, s[0:3], 0 offset:72
	buffer_load_dword v128, off, s[0:3], 0 offset:76
	buffer_load_dword v129, off, s[0:3], 0 offset:80
	buffer_load_dword v130, off, s[0:3], 0 offset:84
	buffer_load_dword v131, off, s[0:3], 0 offset:88
	buffer_load_dword v132, off, s[0:3], 0 offset:92
	buffer_load_dword v134, off, s[0:3], 0 offset:100
	buffer_load_dword v135, off, s[0:3], 0 offset:120
	buffer_load_dword v137, off, s[0:3], 0 offset:112
	buffer_load_dword v139, off, s[0:3], 0 offset:104
	buffer_load_dword v133, off, s[0:3], 0 offset:96
	buffer_load_dword v140, off, s[0:3], 0 offset:108
	buffer_load_dword v138, off, s[0:3], 0 offset:116
	buffer_load_dword v136, off, s[0:3], 0 offset:124
	buffer_load_dword v142, off, s[0:3], 0 offset:132
	buffer_load_dword v143, off, s[0:3], 0 offset:152
	buffer_load_dword v145, off, s[0:3], 0 offset:144
	buffer_load_dword v147, off, s[0:3], 0 offset:136
	buffer_load_dword v141, off, s[0:3], 0 offset:128
	buffer_load_dword v148, off, s[0:3], 0 offset:140
	buffer_load_dword v146, off, s[0:3], 0 offset:148
	v_mov_b32_e32 v110, 0
	buffer_load_dword v144, off, s[0:3], 0 offset:156
	s_mov_b32 s4, exec_lo
	ds_read2_b64 v[111:114], v110 offset0:59 offset1:60
	ds_read2_b64 v[115:118], v110 offset0:61 offset1:62
	s_waitcnt vmcnt(28) lgkmcnt(1)
	v_fma_f64 v[111:112], v[119:120], v[111:112], 0
	s_clause 0x7
	buffer_load_dword v120, off, s[0:3], 0 offset:164
	buffer_load_dword v149, off, s[0:3], 0 offset:184
	buffer_load_dword v151, off, s[0:3], 0 offset:176
	buffer_load_dword v153, off, s[0:3], 0 offset:168
	buffer_load_dword v119, off, s[0:3], 0 offset:160
	buffer_load_dword v154, off, s[0:3], 0 offset:172
	buffer_load_dword v152, off, s[0:3], 0 offset:180
	buffer_load_dword v150, off, s[0:3], 0 offset:188
	s_waitcnt vmcnt(34)
	v_fma_f64 v[111:112], v[121:122], v[113:114], v[111:112]
	s_waitcnt vmcnt(32) lgkmcnt(0)
	v_fma_f64 v[111:112], v[123:124], v[115:116], v[111:112]
	s_waitcnt vmcnt(30)
	v_fma_f64 v[121:122], v[125:126], v[117:118], v[111:112]
	ds_read2_b64 v[111:114], v110 offset0:63 offset1:64
	ds_read2_b64 v[115:118], v110 offset0:65 offset1:66
	s_waitcnt vmcnt(28) lgkmcnt(1)
	v_fma_f64 v[111:112], v[127:128], v[111:112], v[121:122]
	s_clause 0x7
	buffer_load_dword v122, off, s[0:3], 0 offset:196
	buffer_load_dword v123, off, s[0:3], 0 offset:216
	buffer_load_dword v125, off, s[0:3], 0 offset:208
	buffer_load_dword v127, off, s[0:3], 0 offset:200
	buffer_load_dword v121, off, s[0:3], 0 offset:192
	buffer_load_dword v128, off, s[0:3], 0 offset:204
	buffer_load_dword v126, off, s[0:3], 0 offset:212
	buffer_load_dword v124, off, s[0:3], 0 offset:220
	s_waitcnt vmcnt(34)
	v_fma_f64 v[111:112], v[129:130], v[113:114], v[111:112]
	s_waitcnt vmcnt(32) lgkmcnt(0)
	v_fma_f64 v[111:112], v[131:132], v[115:116], v[111:112]
	s_waitcnt vmcnt(27)
	v_fma_f64 v[129:130], v[133:134], v[117:118], v[111:112]
	;; [unrolled: 19-line block ×8, first 2 shown]
	ds_read2_b64 v[111:114], v110 offset0:91 offset1:92
	ds_read2_b64 v[115:118], v110 offset0:93 offset1:94
	s_waitcnt vmcnt(26) lgkmcnt(1)
	v_fma_f64 v[111:112], v[153:154], v[111:112], v[119:120]
	s_clause 0x5
	buffer_load_dword v120, off, s[0:3], 0 offset:420
	buffer_load_dword v137, off, s[0:3], 0 offset:424
	;; [unrolled: 1-line block ×6, first 2 shown]
	s_waitcnt vmcnt(31)
	v_fma_f64 v[111:112], v[145:146], v[113:114], v[111:112]
	s_waitcnt vmcnt(30) lgkmcnt(0)
	v_fma_f64 v[111:112], v[143:144], v[115:116], v[111:112]
	s_waitcnt vmcnt(25)
	v_fma_f64 v[121:122], v[121:122], v[117:118], v[111:112]
	ds_read2_b64 v[111:114], v110 offset0:95 offset1:96
	ds_read2_b64 v[115:118], v110 offset0:97 offset1:98
	s_waitcnt vmcnt(24) lgkmcnt(1)
	v_fma_f64 v[111:112], v[151:152], v[111:112], v[121:122]
	s_waitcnt vmcnt(23)
	v_fma_f64 v[111:112], v[149:150], v[113:114], v[111:112]
	s_waitcnt vmcnt(22) lgkmcnt(0)
	v_fma_f64 v[111:112], v[127:128], v[115:116], v[111:112]
	s_waitcnt vmcnt(17)
	v_fma_f64 v[121:122], v[123:124], v[117:118], v[111:112]
	ds_read2_b64 v[111:114], v110 offset0:99 offset1:100
	ds_read2_b64 v[115:118], v110 offset0:101 offset1:102
	s_waitcnt vmcnt(16) lgkmcnt(1)
	v_fma_f64 v[111:112], v[139:140], v[111:112], v[121:122]
	s_waitcnt vmcnt(15)
	v_fma_f64 v[111:112], v[129:130], v[113:114], v[111:112]
	s_waitcnt vmcnt(14) lgkmcnt(0)
	v_fma_f64 v[111:112], v[125:126], v[115:116], v[111:112]
	s_waitcnt vmcnt(9)
	v_fma_f64 v[121:122], v[131:132], v[117:118], v[111:112]
	ds_read2_b64 v[111:114], v110 offset0:103 offset1:104
	ds_read2_b64 v[115:118], v110 offset0:105 offset1:106
	s_waitcnt vmcnt(8) lgkmcnt(1)
	v_fma_f64 v[111:112], v[147:148], v[111:112], v[121:122]
	s_waitcnt vmcnt(7)
	v_fma_f64 v[111:112], v[135:136], v[113:114], v[111:112]
	ds_read_b64 v[113:114], v110 offset:856
	s_waitcnt vmcnt(6) lgkmcnt(1)
	v_fma_f64 v[111:112], v[133:134], v[115:116], v[111:112]
	s_waitcnt vmcnt(3)
	v_fma_f64 v[111:112], v[119:120], v[117:118], v[111:112]
	s_waitcnt vmcnt(2) lgkmcnt(0)
	v_fma_f64 v[111:112], v[137:138], v[113:114], v[111:112]
	s_waitcnt vmcnt(0)
	v_add_f64 v[111:112], v[141:142], -v[111:112]
	buffer_store_dword v112, off, s[0:3], 0 offset:36
	buffer_store_dword v111, off, s[0:3], 0 offset:32
	v_cmpx_lt_u32_e32 3, v0
	s_cbranch_execz .LBB53_327
; %bb.326:
	s_clause 0x1
	buffer_load_dword v111, off, s[0:3], 0 offset:24
	buffer_load_dword v112, off, s[0:3], 0 offset:28
	buffer_store_dword v110, off, s[0:3], 0 offset:24
	buffer_store_dword v110, off, s[0:3], 0 offset:28
	s_waitcnt vmcnt(0)
	ds_write_b64 v109, v[111:112]
.LBB53_327:
	s_or_b32 exec_lo, exec_lo, s4
	s_waitcnt lgkmcnt(0)
	s_waitcnt_vscnt null, 0x0
	s_barrier
	buffer_gl0_inv
	s_clause 0x1c
	buffer_load_dword v119, off, s[0:3], 0 offset:32
	buffer_load_dword v120, off, s[0:3], 0 offset:36
	;; [unrolled: 1-line block ×29, first 2 shown]
	ds_read_b128 v[111:114], v110 offset:464
	ds_read_b128 v[115:118], v110 offset:480
	buffer_load_dword v144, off, s[0:3], 0 offset:148
	s_mov_b32 s4, exec_lo
	s_waitcnt vmcnt(28) lgkmcnt(1)
	v_fma_f64 v[111:112], v[119:120], v[111:112], 0
	s_clause 0x7
	buffer_load_dword v120, off, s[0:3], 0 offset:156
	buffer_load_dword v149, off, s[0:3], 0 offset:176
	buffer_load_dword v151, off, s[0:3], 0 offset:168
	buffer_load_dword v153, off, s[0:3], 0 offset:160
	buffer_load_dword v119, off, s[0:3], 0 offset:152
	buffer_load_dword v154, off, s[0:3], 0 offset:164
	buffer_load_dword v152, off, s[0:3], 0 offset:172
	buffer_load_dword v150, off, s[0:3], 0 offset:180
	s_waitcnt vmcnt(34)
	v_fma_f64 v[111:112], v[121:122], v[113:114], v[111:112]
	s_waitcnt vmcnt(32) lgkmcnt(0)
	v_fma_f64 v[111:112], v[123:124], v[115:116], v[111:112]
	s_waitcnt vmcnt(30)
	v_fma_f64 v[121:122], v[125:126], v[117:118], v[111:112]
	ds_read_b128 v[111:114], v110 offset:496
	ds_read_b128 v[115:118], v110 offset:512
	s_waitcnt vmcnt(28) lgkmcnt(1)
	v_fma_f64 v[111:112], v[127:128], v[111:112], v[121:122]
	s_clause 0x7
	buffer_load_dword v122, off, s[0:3], 0 offset:188
	buffer_load_dword v123, off, s[0:3], 0 offset:208
	buffer_load_dword v125, off, s[0:3], 0 offset:200
	buffer_load_dword v127, off, s[0:3], 0 offset:192
	buffer_load_dword v121, off, s[0:3], 0 offset:184
	buffer_load_dword v128, off, s[0:3], 0 offset:196
	buffer_load_dword v126, off, s[0:3], 0 offset:204
	buffer_load_dword v124, off, s[0:3], 0 offset:212
	s_waitcnt vmcnt(34)
	v_fma_f64 v[111:112], v[129:130], v[113:114], v[111:112]
	s_waitcnt vmcnt(32) lgkmcnt(0)
	v_fma_f64 v[111:112], v[131:132], v[115:116], v[111:112]
	s_waitcnt vmcnt(27)
	v_fma_f64 v[129:130], v[133:134], v[117:118], v[111:112]
	ds_read_b128 v[111:114], v110 offset:528
	ds_read_b128 v[115:118], v110 offset:544
	;; [unrolled: 19-line block ×8, first 2 shown]
	s_waitcnt vmcnt(26) lgkmcnt(1)
	v_fma_f64 v[111:112], v[153:154], v[111:112], v[119:120]
	s_clause 0x5
	buffer_load_dword v120, off, s[0:3], 0 offset:412
	buffer_load_dword v137, off, s[0:3], 0 offset:424
	;; [unrolled: 1-line block ×6, first 2 shown]
	s_waitcnt vmcnt(31)
	v_fma_f64 v[111:112], v[145:146], v[113:114], v[111:112]
	s_waitcnt vmcnt(30) lgkmcnt(0)
	v_fma_f64 v[111:112], v[143:144], v[115:116], v[111:112]
	s_waitcnt vmcnt(25)
	v_fma_f64 v[121:122], v[121:122], v[117:118], v[111:112]
	ds_read_b128 v[111:114], v110 offset:752
	s_clause 0x1
	buffer_load_dword v143, off, s[0:3], 0 offset:24
	buffer_load_dword v144, off, s[0:3], 0 offset:28
	ds_read_b128 v[115:118], v110 offset:768
	s_waitcnt vmcnt(26) lgkmcnt(1)
	v_fma_f64 v[111:112], v[151:152], v[111:112], v[121:122]
	s_waitcnt vmcnt(25)
	v_fma_f64 v[111:112], v[149:150], v[113:114], v[111:112]
	s_waitcnt vmcnt(24) lgkmcnt(0)
	v_fma_f64 v[111:112], v[127:128], v[115:116], v[111:112]
	s_waitcnt vmcnt(19)
	v_fma_f64 v[121:122], v[123:124], v[117:118], v[111:112]
	ds_read_b128 v[111:114], v110 offset:784
	ds_read_b128 v[115:118], v110 offset:800
	s_waitcnt vmcnt(18) lgkmcnt(1)
	v_fma_f64 v[111:112], v[139:140], v[111:112], v[121:122]
	s_waitcnt vmcnt(17)
	v_fma_f64 v[111:112], v[129:130], v[113:114], v[111:112]
	s_waitcnt vmcnt(16) lgkmcnt(0)
	v_fma_f64 v[111:112], v[125:126], v[115:116], v[111:112]
	s_waitcnt vmcnt(11)
	v_fma_f64 v[121:122], v[131:132], v[117:118], v[111:112]
	ds_read_b128 v[111:114], v110 offset:816
	;; [unrolled: 10-line block ×3, first 2 shown]
	s_waitcnt vmcnt(3) lgkmcnt(0)
	v_fma_f64 v[110:111], v[141:142], v[110:111], v[114:115]
	s_waitcnt vmcnt(2)
	v_fma_f64 v[110:111], v[137:138], v[112:113], v[110:111]
	s_waitcnt vmcnt(0)
	v_add_f64 v[110:111], v[143:144], -v[110:111]
	buffer_store_dword v111, off, s[0:3], 0 offset:28
	buffer_store_dword v110, off, s[0:3], 0 offset:24
	v_cmpx_lt_u32_e32 2, v0
	s_cbranch_execz .LBB53_329
; %bb.328:
	s_clause 0x1
	buffer_load_dword v110, off, s[0:3], 0 offset:16
	buffer_load_dword v111, off, s[0:3], 0 offset:20
	v_mov_b32_e32 v112, 0
	buffer_store_dword v112, off, s[0:3], 0 offset:16
	buffer_store_dword v112, off, s[0:3], 0 offset:20
	s_waitcnt vmcnt(0)
	ds_write_b64 v109, v[110:111]
.LBB53_329:
	s_or_b32 exec_lo, exec_lo, s4
	s_waitcnt lgkmcnt(0)
	s_waitcnt_vscnt null, 0x0
	s_barrier
	buffer_gl0_inv
	s_clause 0x1c
	buffer_load_dword v119, off, s[0:3], 0 offset:24
	buffer_load_dword v120, off, s[0:3], 0 offset:28
	;; [unrolled: 1-line block ×29, first 2 shown]
	v_mov_b32_e32 v110, 0
	buffer_load_dword v144, off, s[0:3], 0 offset:140
	s_mov_b32 s4, exec_lo
	ds_read2_b64 v[111:114], v110 offset0:57 offset1:58
	ds_read2_b64 v[115:118], v110 offset0:59 offset1:60
	s_waitcnt vmcnt(28) lgkmcnt(1)
	v_fma_f64 v[111:112], v[119:120], v[111:112], 0
	s_clause 0x7
	buffer_load_dword v120, off, s[0:3], 0 offset:148
	buffer_load_dword v149, off, s[0:3], 0 offset:168
	buffer_load_dword v151, off, s[0:3], 0 offset:160
	buffer_load_dword v153, off, s[0:3], 0 offset:152
	buffer_load_dword v119, off, s[0:3], 0 offset:144
	buffer_load_dword v154, off, s[0:3], 0 offset:156
	buffer_load_dword v152, off, s[0:3], 0 offset:164
	buffer_load_dword v150, off, s[0:3], 0 offset:172
	s_waitcnt vmcnt(34)
	v_fma_f64 v[111:112], v[121:122], v[113:114], v[111:112]
	s_waitcnt vmcnt(32) lgkmcnt(0)
	v_fma_f64 v[111:112], v[123:124], v[115:116], v[111:112]
	s_waitcnt vmcnt(30)
	v_fma_f64 v[121:122], v[125:126], v[117:118], v[111:112]
	ds_read2_b64 v[111:114], v110 offset0:61 offset1:62
	ds_read2_b64 v[115:118], v110 offset0:63 offset1:64
	s_waitcnt vmcnt(28) lgkmcnt(1)
	v_fma_f64 v[111:112], v[127:128], v[111:112], v[121:122]
	s_clause 0x7
	buffer_load_dword v122, off, s[0:3], 0 offset:180
	buffer_load_dword v123, off, s[0:3], 0 offset:200
	buffer_load_dword v125, off, s[0:3], 0 offset:192
	buffer_load_dword v127, off, s[0:3], 0 offset:184
	buffer_load_dword v121, off, s[0:3], 0 offset:176
	buffer_load_dword v128, off, s[0:3], 0 offset:188
	buffer_load_dword v126, off, s[0:3], 0 offset:196
	buffer_load_dword v124, off, s[0:3], 0 offset:204
	s_waitcnt vmcnt(34)
	v_fma_f64 v[111:112], v[129:130], v[113:114], v[111:112]
	s_waitcnt vmcnt(32) lgkmcnt(0)
	v_fma_f64 v[111:112], v[131:132], v[115:116], v[111:112]
	s_waitcnt vmcnt(27)
	v_fma_f64 v[129:130], v[133:134], v[117:118], v[111:112]
	;; [unrolled: 19-line block ×9, first 2 shown]
	ds_read2_b64 v[111:114], v110 offset0:93 offset1:94
	ds_read2_b64 v[115:118], v110 offset0:95 offset1:96
	s_waitcnt vmcnt(26) lgkmcnt(1)
	v_fma_f64 v[111:112], v[151:152], v[111:112], v[121:122]
	s_clause 0x1
	buffer_load_dword v121, off, s[0:3], 0 offset:16
	buffer_load_dword v122, off, s[0:3], 0 offset:20
	s_waitcnt vmcnt(27)
	v_fma_f64 v[111:112], v[149:150], v[113:114], v[111:112]
	s_waitcnt vmcnt(26) lgkmcnt(0)
	v_fma_f64 v[111:112], v[127:128], v[115:116], v[111:112]
	s_waitcnt vmcnt(21)
	v_fma_f64 v[123:124], v[123:124], v[117:118], v[111:112]
	ds_read2_b64 v[111:114], v110 offset0:97 offset1:98
	ds_read2_b64 v[115:118], v110 offset0:99 offset1:100
	s_waitcnt vmcnt(20) lgkmcnt(1)
	v_fma_f64 v[111:112], v[139:140], v[111:112], v[123:124]
	s_waitcnt vmcnt(19)
	v_fma_f64 v[111:112], v[129:130], v[113:114], v[111:112]
	s_waitcnt vmcnt(18) lgkmcnt(0)
	v_fma_f64 v[111:112], v[125:126], v[115:116], v[111:112]
	s_waitcnt vmcnt(13)
	v_fma_f64 v[123:124], v[131:132], v[117:118], v[111:112]
	ds_read2_b64 v[111:114], v110 offset0:101 offset1:102
	ds_read2_b64 v[115:118], v110 offset0:103 offset1:104
	s_waitcnt vmcnt(12) lgkmcnt(1)
	v_fma_f64 v[111:112], v[147:148], v[111:112], v[123:124]
	s_waitcnt vmcnt(11)
	v_fma_f64 v[111:112], v[135:136], v[113:114], v[111:112]
	s_waitcnt vmcnt(10) lgkmcnt(0)
	v_fma_f64 v[111:112], v[133:134], v[115:116], v[111:112]
	s_waitcnt vmcnt(5)
	v_fma_f64 v[115:116], v[119:120], v[117:118], v[111:112]
	ds_read2_b64 v[111:114], v110 offset0:105 offset1:106
	ds_read_b64 v[117:118], v110 offset:856
	s_waitcnt vmcnt(4) lgkmcnt(1)
	v_fma_f64 v[111:112], v[153:154], v[111:112], v[115:116]
	s_waitcnt vmcnt(3)
	v_fma_f64 v[111:112], v[141:142], v[113:114], v[111:112]
	s_waitcnt vmcnt(2) lgkmcnt(0)
	v_fma_f64 v[111:112], v[137:138], v[117:118], v[111:112]
	s_waitcnt vmcnt(0)
	v_add_f64 v[111:112], v[121:122], -v[111:112]
	buffer_store_dword v112, off, s[0:3], 0 offset:20
	buffer_store_dword v111, off, s[0:3], 0 offset:16
	v_cmpx_lt_u32_e32 1, v0
	s_cbranch_execz .LBB53_331
; %bb.330:
	s_clause 0x1
	buffer_load_dword v111, off, s[0:3], 0 offset:8
	buffer_load_dword v112, off, s[0:3], 0 offset:12
	buffer_store_dword v110, off, s[0:3], 0 offset:8
	buffer_store_dword v110, off, s[0:3], 0 offset:12
	s_waitcnt vmcnt(0)
	ds_write_b64 v109, v[111:112]
.LBB53_331:
	s_or_b32 exec_lo, exec_lo, s4
	s_waitcnt lgkmcnt(0)
	s_waitcnt_vscnt null, 0x0
	s_barrier
	buffer_gl0_inv
	s_clause 0x1c
	buffer_load_dword v119, off, s[0:3], 0 offset:16
	buffer_load_dword v120, off, s[0:3], 0 offset:20
	;; [unrolled: 1-line block ×29, first 2 shown]
	ds_read_b128 v[111:114], v110 offset:448
	ds_read_b128 v[115:118], v110 offset:464
	buffer_load_dword v144, off, s[0:3], 0 offset:132
	s_mov_b32 s4, exec_lo
	s_waitcnt vmcnt(28) lgkmcnt(1)
	v_fma_f64 v[111:112], v[119:120], v[111:112], 0
	s_clause 0x7
	buffer_load_dword v120, off, s[0:3], 0 offset:140
	buffer_load_dword v149, off, s[0:3], 0 offset:160
	buffer_load_dword v151, off, s[0:3], 0 offset:152
	buffer_load_dword v153, off, s[0:3], 0 offset:144
	buffer_load_dword v119, off, s[0:3], 0 offset:136
	buffer_load_dword v154, off, s[0:3], 0 offset:148
	buffer_load_dword v152, off, s[0:3], 0 offset:156
	buffer_load_dword v150, off, s[0:3], 0 offset:164
	s_waitcnt vmcnt(34)
	v_fma_f64 v[111:112], v[121:122], v[113:114], v[111:112]
	s_waitcnt vmcnt(32) lgkmcnt(0)
	v_fma_f64 v[111:112], v[123:124], v[115:116], v[111:112]
	s_waitcnt vmcnt(30)
	v_fma_f64 v[121:122], v[125:126], v[117:118], v[111:112]
	ds_read_b128 v[111:114], v110 offset:480
	ds_read_b128 v[115:118], v110 offset:496
	s_waitcnt vmcnt(28) lgkmcnt(1)
	v_fma_f64 v[111:112], v[127:128], v[111:112], v[121:122]
	s_clause 0x7
	buffer_load_dword v122, off, s[0:3], 0 offset:172
	buffer_load_dword v123, off, s[0:3], 0 offset:192
	buffer_load_dword v125, off, s[0:3], 0 offset:184
	buffer_load_dword v127, off, s[0:3], 0 offset:176
	buffer_load_dword v121, off, s[0:3], 0 offset:168
	buffer_load_dword v128, off, s[0:3], 0 offset:180
	buffer_load_dword v126, off, s[0:3], 0 offset:188
	buffer_load_dword v124, off, s[0:3], 0 offset:196
	s_waitcnt vmcnt(34)
	v_fma_f64 v[111:112], v[129:130], v[113:114], v[111:112]
	s_waitcnt vmcnt(32) lgkmcnt(0)
	v_fma_f64 v[111:112], v[131:132], v[115:116], v[111:112]
	s_waitcnt vmcnt(27)
	v_fma_f64 v[129:130], v[133:134], v[117:118], v[111:112]
	ds_read_b128 v[111:114], v110 offset:512
	ds_read_b128 v[115:118], v110 offset:528
	;; [unrolled: 19-line block ×9, first 2 shown]
	s_waitcnt vmcnt(26) lgkmcnt(1)
	v_fma_f64 v[111:112], v[151:152], v[111:112], v[121:122]
	s_clause 0x3
	buffer_load_dword v122, off, s[0:3], 0 offset:428
	buffer_load_dword v121, off, s[0:3], 0 offset:424
	;; [unrolled: 1-line block ×4, first 2 shown]
	s_waitcnt vmcnt(29)
	v_fma_f64 v[111:112], v[149:150], v[113:114], v[111:112]
	s_waitcnt vmcnt(28) lgkmcnt(0)
	v_fma_f64 v[111:112], v[127:128], v[115:116], v[111:112]
	s_waitcnt vmcnt(23)
	v_fma_f64 v[123:124], v[123:124], v[117:118], v[111:112]
	ds_read_b128 v[111:114], v110 offset:768
	ds_read_b128 v[115:118], v110 offset:784
	s_waitcnt vmcnt(22) lgkmcnt(1)
	v_fma_f64 v[111:112], v[139:140], v[111:112], v[123:124]
	s_waitcnt vmcnt(21)
	v_fma_f64 v[111:112], v[129:130], v[113:114], v[111:112]
	s_waitcnt vmcnt(20) lgkmcnt(0)
	v_fma_f64 v[111:112], v[125:126], v[115:116], v[111:112]
	s_waitcnt vmcnt(15)
	v_fma_f64 v[123:124], v[131:132], v[117:118], v[111:112]
	ds_read_b128 v[111:114], v110 offset:800
	ds_read_b128 v[115:118], v110 offset:816
	s_waitcnt vmcnt(14) lgkmcnt(1)
	v_fma_f64 v[111:112], v[147:148], v[111:112], v[123:124]
	;; [unrolled: 10-line block ×3, first 2 shown]
	s_waitcnt vmcnt(5)
	v_fma_f64 v[110:111], v[141:142], v[113:114], v[110:111]
	s_waitcnt vmcnt(4) lgkmcnt(0)
	v_fma_f64 v[110:111], v[137:138], v[115:116], v[110:111]
	s_waitcnt vmcnt(2)
	v_fma_f64 v[110:111], v[121:122], v[117:118], v[110:111]
	s_waitcnt vmcnt(0)
	v_add_f64 v[110:111], v[143:144], -v[110:111]
	buffer_store_dword v111, off, s[0:3], 0 offset:12
	buffer_store_dword v110, off, s[0:3], 0 offset:8
	v_cmpx_ne_u32_e32 0, v0
	s_cbranch_execz .LBB53_333
; %bb.332:
	s_clause 0x1
	buffer_load_dword v110, off, s[0:3], 0
	buffer_load_dword v111, off, s[0:3], 0 offset:4
	v_mov_b32_e32 v0, 0
	buffer_store_dword v0, off, s[0:3], 0
	buffer_store_dword v0, off, s[0:3], 0 offset:4
	s_waitcnt vmcnt(0)
	ds_write_b64 v109, v[110:111]
.LBB53_333:
	s_or_b32 exec_lo, exec_lo, s4
	s_waitcnt lgkmcnt(0)
	s_waitcnt_vscnt null, 0x0
	s_barrier
	buffer_gl0_inv
	s_clause 0x1c
	buffer_load_dword v117, off, s[0:3], 0 offset:8
	buffer_load_dword v118, off, s[0:3], 0 offset:12
	;; [unrolled: 1-line block ×29, first 2 shown]
	v_mov_b32_e32 v0, 0
	buffer_load_dword v142, off, s[0:3], 0 offset:124
	s_and_b32 vcc_lo, exec_lo, s22
	ds_read2_b64 v[109:112], v0 offset0:55 offset1:56
	ds_read2_b64 v[113:116], v0 offset0:57 offset1:58
	s_waitcnt vmcnt(28) lgkmcnt(1)
	v_fma_f64 v[109:110], v[117:118], v[109:110], 0
	s_clause 0x7
	buffer_load_dword v118, off, s[0:3], 0 offset:132
	buffer_load_dword v147, off, s[0:3], 0 offset:152
	buffer_load_dword v149, off, s[0:3], 0 offset:144
	buffer_load_dword v151, off, s[0:3], 0 offset:136
	buffer_load_dword v117, off, s[0:3], 0 offset:128
	buffer_load_dword v152, off, s[0:3], 0 offset:140
	buffer_load_dword v150, off, s[0:3], 0 offset:148
	buffer_load_dword v148, off, s[0:3], 0 offset:156
	s_waitcnt vmcnt(34)
	v_fma_f64 v[109:110], v[119:120], v[111:112], v[109:110]
	s_waitcnt vmcnt(32) lgkmcnt(0)
	v_fma_f64 v[109:110], v[121:122], v[113:114], v[109:110]
	s_waitcnt vmcnt(30)
	v_fma_f64 v[119:120], v[123:124], v[115:116], v[109:110]
	ds_read2_b64 v[109:112], v0 offset0:59 offset1:60
	ds_read2_b64 v[113:116], v0 offset0:61 offset1:62
	s_waitcnt vmcnt(28) lgkmcnt(1)
	v_fma_f64 v[109:110], v[125:126], v[109:110], v[119:120]
	s_clause 0x7
	buffer_load_dword v120, off, s[0:3], 0 offset:164
	buffer_load_dword v121, off, s[0:3], 0 offset:184
	buffer_load_dword v123, off, s[0:3], 0 offset:176
	buffer_load_dword v125, off, s[0:3], 0 offset:168
	buffer_load_dword v119, off, s[0:3], 0 offset:160
	buffer_load_dword v126, off, s[0:3], 0 offset:172
	buffer_load_dword v124, off, s[0:3], 0 offset:180
	buffer_load_dword v122, off, s[0:3], 0 offset:188
	s_waitcnt vmcnt(34)
	v_fma_f64 v[109:110], v[127:128], v[111:112], v[109:110]
	s_waitcnt vmcnt(32) lgkmcnt(0)
	v_fma_f64 v[109:110], v[129:130], v[113:114], v[109:110]
	s_waitcnt vmcnt(27)
	v_fma_f64 v[127:128], v[131:132], v[115:116], v[109:110]
	ds_read2_b64 v[109:112], v0 offset0:63 offset1:64
	ds_read2_b64 v[113:116], v0 offset0:65 offset1:66
	s_waitcnt vmcnt(26) lgkmcnt(1)
	v_fma_f64 v[109:110], v[137:138], v[109:110], v[127:128]
	s_clause 0x7
	buffer_load_dword v128, off, s[0:3], 0 offset:196
	buffer_load_dword v129, off, s[0:3], 0 offset:216
	buffer_load_dword v131, off, s[0:3], 0 offset:208
	buffer_load_dword v137, off, s[0:3], 0 offset:200
	buffer_load_dword v127, off, s[0:3], 0 offset:192
	buffer_load_dword v138, off, s[0:3], 0 offset:204
	buffer_load_dword v132, off, s[0:3], 0 offset:212
	buffer_load_dword v130, off, s[0:3], 0 offset:220
	s_waitcnt vmcnt(33)
	v_fma_f64 v[109:110], v[135:136], v[111:112], v[109:110]
	s_waitcnt vmcnt(32) lgkmcnt(0)
	v_fma_f64 v[109:110], v[133:134], v[113:114], v[109:110]
	s_waitcnt vmcnt(27)
	v_fma_f64 v[133:134], v[139:140], v[115:116], v[109:110]
	ds_read2_b64 v[109:112], v0 offset0:67 offset1:68
	ds_read2_b64 v[113:116], v0 offset0:69 offset1:70
	s_waitcnt vmcnt(26) lgkmcnt(1)
	v_fma_f64 v[109:110], v[145:146], v[109:110], v[133:134]
	s_clause 0x7
	buffer_load_dword v134, off, s[0:3], 0 offset:228
	buffer_load_dword v135, off, s[0:3], 0 offset:248
	buffer_load_dword v139, off, s[0:3], 0 offset:240
	buffer_load_dword v145, off, s[0:3], 0 offset:232
	buffer_load_dword v133, off, s[0:3], 0 offset:224
	buffer_load_dword v146, off, s[0:3], 0 offset:236
	buffer_load_dword v140, off, s[0:3], 0 offset:244
	buffer_load_dword v136, off, s[0:3], 0 offset:252
	s_waitcnt vmcnt(33)
	v_fma_f64 v[109:110], v[143:144], v[111:112], v[109:110]
	s_waitcnt vmcnt(32) lgkmcnt(0)
	v_fma_f64 v[109:110], v[141:142], v[113:114], v[109:110]
	s_waitcnt vmcnt(27)
	v_fma_f64 v[117:118], v[117:118], v[115:116], v[109:110]
	ds_read2_b64 v[109:112], v0 offset0:71 offset1:72
	ds_read2_b64 v[113:116], v0 offset0:73 offset1:74
	s_waitcnt vmcnt(26) lgkmcnt(1)
	v_fma_f64 v[109:110], v[151:152], v[109:110], v[117:118]
	s_clause 0x7
	buffer_load_dword v118, off, s[0:3], 0 offset:260
	buffer_load_dword v141, off, s[0:3], 0 offset:280
	buffer_load_dword v143, off, s[0:3], 0 offset:272
	buffer_load_dword v151, off, s[0:3], 0 offset:264
	buffer_load_dword v117, off, s[0:3], 0 offset:256
	buffer_load_dword v152, off, s[0:3], 0 offset:268
	buffer_load_dword v144, off, s[0:3], 0 offset:276
	buffer_load_dword v142, off, s[0:3], 0 offset:284
	s_waitcnt vmcnt(33)
	v_fma_f64 v[109:110], v[149:150], v[111:112], v[109:110]
	s_waitcnt vmcnt(32) lgkmcnt(0)
	v_fma_f64 v[109:110], v[147:148], v[113:114], v[109:110]
	s_waitcnt vmcnt(27)
	v_fma_f64 v[119:120], v[119:120], v[115:116], v[109:110]
	ds_read2_b64 v[109:112], v0 offset0:75 offset1:76
	ds_read2_b64 v[113:116], v0 offset0:77 offset1:78
	s_waitcnt vmcnt(26) lgkmcnt(1)
	v_fma_f64 v[109:110], v[125:126], v[109:110], v[119:120]
	s_clause 0x7
	buffer_load_dword v120, off, s[0:3], 0 offset:292
	buffer_load_dword v125, off, s[0:3], 0 offset:312
	buffer_load_dword v147, off, s[0:3], 0 offset:304
	buffer_load_dword v149, off, s[0:3], 0 offset:296
	buffer_load_dword v119, off, s[0:3], 0 offset:288
	buffer_load_dword v150, off, s[0:3], 0 offset:300
	buffer_load_dword v148, off, s[0:3], 0 offset:308
	buffer_load_dword v126, off, s[0:3], 0 offset:316
	s_waitcnt vmcnt(33)
	v_fma_f64 v[109:110], v[123:124], v[111:112], v[109:110]
	s_waitcnt vmcnt(32) lgkmcnt(0)
	v_fma_f64 v[109:110], v[121:122], v[113:114], v[109:110]
	s_waitcnt vmcnt(27)
	v_fma_f64 v[121:122], v[127:128], v[115:116], v[109:110]
	ds_read2_b64 v[109:112], v0 offset0:79 offset1:80
	ds_read2_b64 v[113:116], v0 offset0:81 offset1:82
	s_waitcnt vmcnt(26) lgkmcnt(1)
	v_fma_f64 v[109:110], v[137:138], v[109:110], v[121:122]
	s_clause 0x7
	buffer_load_dword v122, off, s[0:3], 0 offset:324
	buffer_load_dword v123, off, s[0:3], 0 offset:344
	buffer_load_dword v127, off, s[0:3], 0 offset:336
	buffer_load_dword v137, off, s[0:3], 0 offset:328
	buffer_load_dword v121, off, s[0:3], 0 offset:320
	buffer_load_dword v138, off, s[0:3], 0 offset:332
	buffer_load_dword v128, off, s[0:3], 0 offset:340
	buffer_load_dword v124, off, s[0:3], 0 offset:348
	s_waitcnt vmcnt(33)
	v_fma_f64 v[109:110], v[131:132], v[111:112], v[109:110]
	s_waitcnt vmcnt(32) lgkmcnt(0)
	v_fma_f64 v[109:110], v[129:130], v[113:114], v[109:110]
	s_waitcnt vmcnt(27)
	v_fma_f64 v[129:130], v[133:134], v[115:116], v[109:110]
	ds_read2_b64 v[109:112], v0 offset0:83 offset1:84
	ds_read2_b64 v[113:116], v0 offset0:85 offset1:86
	s_waitcnt vmcnt(26) lgkmcnt(1)
	v_fma_f64 v[109:110], v[145:146], v[109:110], v[129:130]
	s_clause 0x7
	buffer_load_dword v130, off, s[0:3], 0 offset:356
	buffer_load_dword v131, off, s[0:3], 0 offset:376
	buffer_load_dword v133, off, s[0:3], 0 offset:368
	buffer_load_dword v145, off, s[0:3], 0 offset:360
	buffer_load_dword v129, off, s[0:3], 0 offset:352
	buffer_load_dword v146, off, s[0:3], 0 offset:364
	buffer_load_dword v134, off, s[0:3], 0 offset:372
	buffer_load_dword v132, off, s[0:3], 0 offset:380
	s_waitcnt vmcnt(33)
	v_fma_f64 v[109:110], v[139:140], v[111:112], v[109:110]
	s_waitcnt vmcnt(32) lgkmcnt(0)
	v_fma_f64 v[109:110], v[135:136], v[113:114], v[109:110]
	s_waitcnt vmcnt(27)
	v_fma_f64 v[117:118], v[117:118], v[115:116], v[109:110]
	ds_read2_b64 v[109:112], v0 offset0:87 offset1:88
	ds_read2_b64 v[113:116], v0 offset0:89 offset1:90
	s_waitcnt vmcnt(26) lgkmcnt(1)
	v_fma_f64 v[109:110], v[151:152], v[109:110], v[117:118]
	s_clause 0x7
	buffer_load_dword v136, off, s[0:3], 0 offset:388
	buffer_load_dword v139, off, s[0:3], 0 offset:408
	;; [unrolled: 1-line block ×8, first 2 shown]
	s_waitcnt vmcnt(33)
	v_fma_f64 v[109:110], v[143:144], v[111:112], v[109:110]
	s_waitcnt vmcnt(32) lgkmcnt(0)
	v_fma_f64 v[109:110], v[141:142], v[113:114], v[109:110]
	ds_read2_b64 v[111:114], v0 offset0:91 offset1:92
	s_waitcnt vmcnt(27)
	v_fma_f64 v[109:110], v[119:120], v[115:116], v[109:110]
	ds_read2_b64 v[115:118], v0 offset0:93 offset1:94
	s_waitcnt vmcnt(26) lgkmcnt(1)
	v_fma_f64 v[109:110], v[149:150], v[111:112], v[109:110]
	s_clause 0x3
	buffer_load_dword v112, off, s[0:3], 0 offset:420
	buffer_load_dword v141, off, s[0:3], 0 offset:424
	;; [unrolled: 1-line block ×4, first 2 shown]
	s_waitcnt vmcnt(29)
	v_fma_f64 v[109:110], v[147:148], v[113:114], v[109:110]
	s_waitcnt vmcnt(28) lgkmcnt(0)
	v_fma_f64 v[109:110], v[125:126], v[115:116], v[109:110]
	s_clause 0x1
	buffer_load_dword v125, off, s[0:3], 0
	buffer_load_dword v126, off, s[0:3], 0 offset:4
	s_waitcnt vmcnt(25)
	v_fma_f64 v[109:110], v[121:122], v[117:118], v[109:110]
	ds_read2_b64 v[113:116], v0 offset0:95 offset1:96
	ds_read2_b64 v[117:120], v0 offset0:97 offset1:98
	s_waitcnt vmcnt(24) lgkmcnt(1)
	v_fma_f64 v[109:110], v[137:138], v[113:114], v[109:110]
	s_waitcnt vmcnt(23)
	v_fma_f64 v[109:110], v[127:128], v[115:116], v[109:110]
	s_waitcnt vmcnt(22) lgkmcnt(0)
	v_fma_f64 v[109:110], v[123:124], v[117:118], v[109:110]
	s_waitcnt vmcnt(17)
	v_fma_f64 v[109:110], v[129:130], v[119:120], v[109:110]
	ds_read2_b64 v[113:116], v0 offset0:99 offset1:100
	ds_read2_b64 v[117:120], v0 offset0:101 offset1:102
	s_waitcnt vmcnt(16) lgkmcnt(1)
	v_fma_f64 v[109:110], v[145:146], v[113:114], v[109:110]
	s_waitcnt vmcnt(15)
	v_fma_f64 v[109:110], v[133:134], v[115:116], v[109:110]
	s_waitcnt vmcnt(14) lgkmcnt(0)
	v_fma_f64 v[109:110], v[131:132], v[117:118], v[109:110]
	s_waitcnt vmcnt(9)
	v_fma_f64 v[109:110], v[135:136], v[119:120], v[109:110]
	ds_read2_b64 v[113:116], v0 offset0:103 offset1:104
	ds_read2_b64 v[117:120], v0 offset0:105 offset1:106
	s_waitcnt vmcnt(8) lgkmcnt(1)
	v_fma_f64 v[109:110], v[153:154], v[113:114], v[109:110]
	ds_read_b64 v[113:114], v0 offset:856
	s_waitcnt vmcnt(7)
	v_fma_f64 v[109:110], v[151:152], v[115:116], v[109:110]
	s_waitcnt vmcnt(6) lgkmcnt(1)
	v_fma_f64 v[109:110], v[139:140], v[117:118], v[109:110]
	s_waitcnt vmcnt(3)
	v_fma_f64 v[109:110], v[111:112], v[119:120], v[109:110]
	s_waitcnt vmcnt(2) lgkmcnt(0)
	v_fma_f64 v[109:110], v[141:142], v[113:114], v[109:110]
	s_waitcnt vmcnt(0)
	v_add_f64 v[109:110], v[125:126], -v[109:110]
	buffer_store_dword v110, off, s[0:3], 0 offset:4
	buffer_store_dword v109, off, s[0:3], 0
	s_cbranch_vccz .LBB53_440
; %bb.334:
	global_load_dword v0, v0, s[20:21] offset:208
	s_waitcnt vmcnt(0)
	v_add_nc_u32_e32 v0, -1, v0
	v_cmp_ne_u32_e32 vcc_lo, 52, v0
	s_cbranch_vccz .LBB53_336
; %bb.335:
	v_lshlrev_b32_e32 v0, 3, v0
	s_clause 0x1
	buffer_load_dword v109, v0, s[0:3], 0 offen offset:4
	buffer_load_dword v110, v0, s[0:3], 0 offen
	s_waitcnt vmcnt(1)
	buffer_store_dword v109, off, s[0:3], 0 offset:420
	s_waitcnt vmcnt(0)
	buffer_store_dword v110, off, s[0:3], 0 offset:416
	buffer_store_dword v112, v0, s[0:3], 0 offen offset:4
	buffer_store_dword v111, v0, s[0:3], 0 offen
.LBB53_336:
	v_mov_b32_e32 v0, 0
	global_load_dword v109, v0, s[20:21] offset:204
	s_waitcnt vmcnt(0)
	v_add_nc_u32_e32 v109, -1, v109
	v_cmp_eq_u32_e32 vcc_lo, 51, v109
	s_cbranch_vccnz .LBB53_338
; %bb.337:
	v_lshlrev_b32_e32 v109, 3, v109
	s_clause 0x3
	buffer_load_dword v110, v109, s[0:3], 0 offen
	buffer_load_dword v111, v109, s[0:3], 0 offen offset:4
	buffer_load_dword v112, off, s[0:3], 0 offset:408
	buffer_load_dword v113, off, s[0:3], 0 offset:412
	s_waitcnt vmcnt(3)
	buffer_store_dword v110, off, s[0:3], 0 offset:408
	s_waitcnt vmcnt(2)
	buffer_store_dword v111, off, s[0:3], 0 offset:412
	s_waitcnt vmcnt(1)
	buffer_store_dword v112, v109, s[0:3], 0 offen
	s_waitcnt vmcnt(0)
	buffer_store_dword v113, v109, s[0:3], 0 offen offset:4
.LBB53_338:
	global_load_dword v0, v0, s[20:21] offset:200
	s_waitcnt vmcnt(0)
	v_add_nc_u32_e32 v0, -1, v0
	v_cmp_eq_u32_e32 vcc_lo, 50, v0
	s_cbranch_vccnz .LBB53_340
; %bb.339:
	v_lshlrev_b32_e32 v0, 3, v0
	s_clause 0x3
	buffer_load_dword v109, v0, s[0:3], 0 offen
	buffer_load_dword v110, v0, s[0:3], 0 offen offset:4
	buffer_load_dword v111, off, s[0:3], 0 offset:404
	buffer_load_dword v112, off, s[0:3], 0 offset:400
	s_waitcnt vmcnt(3)
	buffer_store_dword v109, off, s[0:3], 0 offset:400
	s_waitcnt vmcnt(2)
	buffer_store_dword v110, off, s[0:3], 0 offset:404
	s_waitcnt vmcnt(1)
	buffer_store_dword v111, v0, s[0:3], 0 offen offset:4
	s_waitcnt vmcnt(0)
	buffer_store_dword v112, v0, s[0:3], 0 offen
.LBB53_340:
	v_mov_b32_e32 v0, 0
	global_load_dword v109, v0, s[20:21] offset:196
	s_waitcnt vmcnt(0)
	v_add_nc_u32_e32 v109, -1, v109
	v_cmp_eq_u32_e32 vcc_lo, 49, v109
	s_cbranch_vccnz .LBB53_342
; %bb.341:
	v_lshlrev_b32_e32 v109, 3, v109
	s_clause 0x3
	buffer_load_dword v110, v109, s[0:3], 0 offen
	buffer_load_dword v111, v109, s[0:3], 0 offen offset:4
	buffer_load_dword v112, off, s[0:3], 0 offset:392
	buffer_load_dword v113, off, s[0:3], 0 offset:396
	s_waitcnt vmcnt(3)
	buffer_store_dword v110, off, s[0:3], 0 offset:392
	s_waitcnt vmcnt(2)
	buffer_store_dword v111, off, s[0:3], 0 offset:396
	s_waitcnt vmcnt(1)
	buffer_store_dword v112, v109, s[0:3], 0 offen
	s_waitcnt vmcnt(0)
	buffer_store_dword v113, v109, s[0:3], 0 offen offset:4
.LBB53_342:
	global_load_dword v0, v0, s[20:21] offset:192
	s_waitcnt vmcnt(0)
	v_add_nc_u32_e32 v0, -1, v0
	v_cmp_eq_u32_e32 vcc_lo, 48, v0
	s_cbranch_vccnz .LBB53_344
; %bb.343:
	v_lshlrev_b32_e32 v0, 3, v0
	s_clause 0x3
	buffer_load_dword v109, v0, s[0:3], 0 offen
	buffer_load_dword v110, v0, s[0:3], 0 offen offset:4
	buffer_load_dword v111, off, s[0:3], 0 offset:388
	buffer_load_dword v112, off, s[0:3], 0 offset:384
	s_waitcnt vmcnt(3)
	buffer_store_dword v109, off, s[0:3], 0 offset:384
	s_waitcnt vmcnt(2)
	buffer_store_dword v110, off, s[0:3], 0 offset:388
	s_waitcnt vmcnt(1)
	buffer_store_dword v111, v0, s[0:3], 0 offen offset:4
	s_waitcnt vmcnt(0)
	buffer_store_dword v112, v0, s[0:3], 0 offen
.LBB53_344:
	;; [unrolled: 43-line block ×25, first 2 shown]
	v_mov_b32_e32 v0, 0
	global_load_dword v109, v0, s[20:21] offset:4
	s_waitcnt vmcnt(0)
	v_add_nc_u32_e32 v109, -1, v109
	v_cmp_eq_u32_e32 vcc_lo, 1, v109
	s_cbranch_vccnz .LBB53_438
; %bb.437:
	v_lshlrev_b32_e32 v109, 3, v109
	s_clause 0x3
	buffer_load_dword v110, v109, s[0:3], 0 offen
	buffer_load_dword v111, v109, s[0:3], 0 offen offset:4
	buffer_load_dword v112, off, s[0:3], 0 offset:8
	buffer_load_dword v113, off, s[0:3], 0 offset:12
	s_waitcnt vmcnt(3)
	buffer_store_dword v110, off, s[0:3], 0 offset:8
	s_waitcnt vmcnt(2)
	buffer_store_dword v111, off, s[0:3], 0 offset:12
	s_waitcnt vmcnt(1)
	buffer_store_dword v112, v109, s[0:3], 0 offen
	s_waitcnt vmcnt(0)
	buffer_store_dword v113, v109, s[0:3], 0 offen offset:4
.LBB53_438:
	global_load_dword v0, v0, s[20:21]
	s_clause 0x1
	buffer_load_dword v109, off, s[0:3], 0
	buffer_load_dword v110, off, s[0:3], 0 offset:4
	s_waitcnt vmcnt(2)
	v_add_nc_u32_e32 v0, -1, v0
	v_cmp_eq_u32_e32 vcc_lo, 0, v0
	s_cbranch_vccnz .LBB53_440
; %bb.439:
	v_lshlrev_b32_e32 v0, 3, v0
	s_clause 0x1
	buffer_load_dword v111, v0, s[0:3], 0 offen offset:4
	buffer_load_dword v112, v0, s[0:3], 0 offen
	s_waitcnt vmcnt(1)
	buffer_store_dword v111, off, s[0:3], 0 offset:4
	s_waitcnt vmcnt(0)
	buffer_store_dword v112, off, s[0:3], 0
	buffer_store_dword v110, v0, s[0:3], 0 offen offset:4
	buffer_store_dword v109, v0, s[0:3], 0 offen
	s_clause 0x1
	buffer_load_dword v109, off, s[0:3], 0
	buffer_load_dword v110, off, s[0:3], 0 offset:4
.LBB53_440:
	s_clause 0x1b
	buffer_load_dword v111, off, s[0:3], 0 offset:8
	buffer_load_dword v112, off, s[0:3], 0 offset:12
	;; [unrolled: 1-line block ×28, first 2 shown]
	s_waitcnt vmcnt(28)
	global_store_dwordx2 v[83:84], v[109:110], off
	s_clause 0x13
	buffer_load_dword v83, off, s[0:3], 0 offset:120
	buffer_load_dword v84, off, s[0:3], 0 offset:124
	;; [unrolled: 1-line block ×20, first 2 shown]
	s_waitcnt vmcnt(46)
	global_store_dwordx2 v[77:78], v[111:112], off
	s_waitcnt vmcnt(44)
	global_store_dwordx2 v[67:68], v[113:114], off
	s_clause 0x7
	buffer_load_dword v67, off, s[0:3], 0 offset:200
	buffer_load_dword v68, off, s[0:3], 0 offset:204
	buffer_load_dword v77, off, s[0:3], 0 offset:208
	buffer_load_dword v78, off, s[0:3], 0 offset:212
	buffer_load_dword v111, off, s[0:3], 0 offset:216
	buffer_load_dword v112, off, s[0:3], 0 offset:220
	buffer_load_dword v113, off, s[0:3], 0 offset:224
	buffer_load_dword v114, off, s[0:3], 0 offset:228
	s_waitcnt vmcnt(50)
	global_store_dwordx2 v[55:56], v[115:116], off
	s_waitcnt vmcnt(48)
	global_store_dwordx2 v[59:60], v[117:118], off
	s_clause 0x7
	buffer_load_dword v55, off, s[0:3], 0 offset:232
	buffer_load_dword v56, off, s[0:3], 0 offset:236
	buffer_load_dword v59, off, s[0:3], 0 offset:240
	buffer_load_dword v60, off, s[0:3], 0 offset:244
	buffer_load_dword v115, off, s[0:3], 0 offset:248
	buffer_load_dword v116, off, s[0:3], 0 offset:252
	buffer_load_dword v117, off, s[0:3], 0 offset:256
	buffer_load_dword v118, off, s[0:3], 0 offset:260
	;; [unrolled: 13-line block ×5, first 2 shown]
	s_waitcnt vmcnt(62)
	global_store_dwordx2 v[21:22], v[131:132], off
	global_store_dwordx2 v[25:26], v[133:134], off
	s_clause 0x7
	buffer_load_dword v21, off, s[0:3], 0 offset:360
	buffer_load_dword v22, off, s[0:3], 0 offset:364
	;; [unrolled: 1-line block ×8, first 2 shown]
	global_store_dwordx2 v[11:12], v[135:136], off
	s_waitcnt vmcnt(62)
	global_store_dwordx2 v[15:16], v[137:138], off
	s_clause 0x9
	buffer_load_dword v11, off, s[0:3], 0 offset:392
	buffer_load_dword v12, off, s[0:3], 0 offset:396
	;; [unrolled: 1-line block ×10, first 2 shown]
	global_store_dwordx2 v[1:2], v[83:84], off
	global_store_dwordx2 v[3:4], v[109:110], off
	;; [unrolled: 1-line block ×3, first 2 shown]
	s_waitcnt vmcnt(62)
	global_store_dwordx2 v[7:8], v[141:142], off
	global_store_dwordx2 v[9:10], v[143:144], off
	;; [unrolled: 1-line block ×5, first 2 shown]
	s_waitcnt vmcnt(60)
	global_store_dwordx2 v[23:24], v[151:152], off
	s_waitcnt vmcnt(58)
	global_store_dwordx2 v[27:28], v[153:154], off
	;; [unrolled: 2-line block ×31, first 2 shown]
	s_endpgm
	.section	.rodata,"a",@progbits
	.p2align	6, 0x0
	.amdhsa_kernel _ZN9rocsolver6v33100L18getri_kernel_smallILi54EdPdEEvT1_iilPiilS4_bb
		.amdhsa_group_segment_fixed_size 872
		.amdhsa_private_segment_fixed_size 448
		.amdhsa_kernarg_size 60
		.amdhsa_user_sgpr_count 6
		.amdhsa_user_sgpr_private_segment_buffer 1
		.amdhsa_user_sgpr_dispatch_ptr 0
		.amdhsa_user_sgpr_queue_ptr 0
		.amdhsa_user_sgpr_kernarg_segment_ptr 1
		.amdhsa_user_sgpr_dispatch_id 0
		.amdhsa_user_sgpr_flat_scratch_init 0
		.amdhsa_user_sgpr_private_segment_size 0
		.amdhsa_wavefront_size32 1
		.amdhsa_uses_dynamic_stack 0
		.amdhsa_system_sgpr_private_segment_wavefront_offset 1
		.amdhsa_system_sgpr_workgroup_id_x 1
		.amdhsa_system_sgpr_workgroup_id_y 0
		.amdhsa_system_sgpr_workgroup_id_z 0
		.amdhsa_system_sgpr_workgroup_info 0
		.amdhsa_system_vgpr_workitem_id 0
		.amdhsa_next_free_vgpr 162
		.amdhsa_next_free_sgpr 23
		.amdhsa_reserve_vcc 1
		.amdhsa_reserve_flat_scratch 0
		.amdhsa_float_round_mode_32 0
		.amdhsa_float_round_mode_16_64 0
		.amdhsa_float_denorm_mode_32 3
		.amdhsa_float_denorm_mode_16_64 3
		.amdhsa_dx10_clamp 1
		.amdhsa_ieee_mode 1
		.amdhsa_fp16_overflow 0
		.amdhsa_workgroup_processor_mode 1
		.amdhsa_memory_ordered 1
		.amdhsa_forward_progress 1
		.amdhsa_shared_vgpr_count 0
		.amdhsa_exception_fp_ieee_invalid_op 0
		.amdhsa_exception_fp_denorm_src 0
		.amdhsa_exception_fp_ieee_div_zero 0
		.amdhsa_exception_fp_ieee_overflow 0
		.amdhsa_exception_fp_ieee_underflow 0
		.amdhsa_exception_fp_ieee_inexact 0
		.amdhsa_exception_int_div_zero 0
	.end_amdhsa_kernel
	.section	.text._ZN9rocsolver6v33100L18getri_kernel_smallILi54EdPdEEvT1_iilPiilS4_bb,"axG",@progbits,_ZN9rocsolver6v33100L18getri_kernel_smallILi54EdPdEEvT1_iilPiilS4_bb,comdat
.Lfunc_end53:
	.size	_ZN9rocsolver6v33100L18getri_kernel_smallILi54EdPdEEvT1_iilPiilS4_bb, .Lfunc_end53-_ZN9rocsolver6v33100L18getri_kernel_smallILi54EdPdEEvT1_iilPiilS4_bb
                                        ; -- End function
	.set _ZN9rocsolver6v33100L18getri_kernel_smallILi54EdPdEEvT1_iilPiilS4_bb.num_vgpr, 162
	.set _ZN9rocsolver6v33100L18getri_kernel_smallILi54EdPdEEvT1_iilPiilS4_bb.num_agpr, 0
	.set _ZN9rocsolver6v33100L18getri_kernel_smallILi54EdPdEEvT1_iilPiilS4_bb.numbered_sgpr, 23
	.set _ZN9rocsolver6v33100L18getri_kernel_smallILi54EdPdEEvT1_iilPiilS4_bb.num_named_barrier, 0
	.set _ZN9rocsolver6v33100L18getri_kernel_smallILi54EdPdEEvT1_iilPiilS4_bb.private_seg_size, 448
	.set _ZN9rocsolver6v33100L18getri_kernel_smallILi54EdPdEEvT1_iilPiilS4_bb.uses_vcc, 1
	.set _ZN9rocsolver6v33100L18getri_kernel_smallILi54EdPdEEvT1_iilPiilS4_bb.uses_flat_scratch, 0
	.set _ZN9rocsolver6v33100L18getri_kernel_smallILi54EdPdEEvT1_iilPiilS4_bb.has_dyn_sized_stack, 0
	.set _ZN9rocsolver6v33100L18getri_kernel_smallILi54EdPdEEvT1_iilPiilS4_bb.has_recursion, 0
	.set _ZN9rocsolver6v33100L18getri_kernel_smallILi54EdPdEEvT1_iilPiilS4_bb.has_indirect_call, 0
	.section	.AMDGPU.csdata,"",@progbits
; Kernel info:
; codeLenInByte = 77100
; TotalNumSgprs: 25
; NumVgprs: 162
; ScratchSize: 448
; MemoryBound: 1
; FloatMode: 240
; IeeeMode: 1
; LDSByteSize: 872 bytes/workgroup (compile time only)
; SGPRBlocks: 0
; VGPRBlocks: 20
; NumSGPRsForWavesPerEU: 25
; NumVGPRsForWavesPerEU: 162
; Occupancy: 5
; WaveLimiterHint : 1
; COMPUTE_PGM_RSRC2:SCRATCH_EN: 1
; COMPUTE_PGM_RSRC2:USER_SGPR: 6
; COMPUTE_PGM_RSRC2:TRAP_HANDLER: 0
; COMPUTE_PGM_RSRC2:TGID_X_EN: 1
; COMPUTE_PGM_RSRC2:TGID_Y_EN: 0
; COMPUTE_PGM_RSRC2:TGID_Z_EN: 0
; COMPUTE_PGM_RSRC2:TIDIG_COMP_CNT: 0
	.section	.text._ZN9rocsolver6v33100L18getri_kernel_smallILi55EdPdEEvT1_iilPiilS4_bb,"axG",@progbits,_ZN9rocsolver6v33100L18getri_kernel_smallILi55EdPdEEvT1_iilPiilS4_bb,comdat
	.globl	_ZN9rocsolver6v33100L18getri_kernel_smallILi55EdPdEEvT1_iilPiilS4_bb ; -- Begin function _ZN9rocsolver6v33100L18getri_kernel_smallILi55EdPdEEvT1_iilPiilS4_bb
	.p2align	8
	.type	_ZN9rocsolver6v33100L18getri_kernel_smallILi55EdPdEEvT1_iilPiilS4_bb,@function
_ZN9rocsolver6v33100L18getri_kernel_smallILi55EdPdEEvT1_iilPiilS4_bb: ; @_ZN9rocsolver6v33100L18getri_kernel_smallILi55EdPdEEvT1_iilPiilS4_bb
; %bb.0:
	s_add_u32 s0, s0, s7
	s_addc_u32 s1, s1, 0
	s_mov_b32 s7, exec_lo
	v_cmpx_gt_u32_e32 55, v0
	s_cbranch_execz .LBB54_230
; %bb.1:
	s_clause 0x2
	s_load_dword s7, s[4:5], 0x38
	s_load_dwordx4 s[16:19], s[4:5], 0x10
	s_load_dwordx4 s[8:11], s[4:5], 0x28
                                        ; implicit-def: $sgpr20_sgpr21
	s_waitcnt lgkmcnt(0)
	s_bitcmp1_b32 s7, 8
	s_cselect_b32 s22, -1, 0
	s_bfe_u32 s12, s7, 0x10008
	s_ashr_i32 s7, s6, 31
	s_cmp_eq_u32 s12, 0
	s_cbranch_scc1 .LBB54_3
; %bb.2:
	s_load_dword s12, s[4:5], 0x20
	s_mul_i32 s13, s8, s7
	s_mul_hi_u32 s14, s8, s6
	s_mul_i32 s9, s9, s6
	s_add_i32 s13, s14, s13
	s_mul_i32 s8, s8, s6
	s_add_i32 s9, s13, s9
	s_lshl_b64 s[8:9], s[8:9], 2
	s_waitcnt lgkmcnt(0)
	s_ashr_i32 s13, s12, 31
	s_add_u32 s14, s18, s8
	s_addc_u32 s15, s19, s9
	s_lshl_b64 s[8:9], s[12:13], 2
	s_add_u32 s20, s14, s8
	s_addc_u32 s21, s15, s9
.LBB54_3:
	s_clause 0x1
	s_load_dwordx4 s[12:15], s[4:5], 0x0
	s_load_dword s8, s[4:5], 0x38
	s_mul_i32 s4, s16, s7
	s_mul_hi_u32 s5, s16, s6
	s_mul_i32 s9, s17, s6
	s_add_i32 s5, s5, s4
	s_mul_i32 s4, s16, s6
	s_add_i32 s5, s5, s9
	v_lshlrev_b32_e32 v113, 3, v0
	s_lshl_b64 s[4:5], s[4:5], 3
	s_waitcnt lgkmcnt(0)
	v_add3_u32 v1, s15, s15, v0
	s_ashr_i32 s17, s14, 31
	s_mov_b32 s16, s14
	s_add_u32 s9, s12, s4
	s_addc_u32 s13, s13, s5
	v_add_nc_u32_e32 v3, s15, v1
	v_ashrrev_i32_e32 v2, 31, v1
	s_lshl_b64 s[4:5], s[16:17], 3
	s_mov_b32 s12, s15
	s_add_u32 s4, s9, s4
	v_add_nc_u32_e32 v5, s15, v3
	v_lshlrev_b64 v[1:2], 3, v[1:2]
	v_ashrrev_i32_e32 v4, 31, v3
	s_addc_u32 s5, s13, s5
	v_add_co_u32 v83, s9, s4, v113
	v_ashrrev_i32_e32 v6, 31, v5
	v_lshlrev_b64 v[3:4], 3, v[3:4]
	v_add_co_u32 v59, vcc_lo, s4, v1
	v_add_co_ci_u32_e64 v60, null, s5, v2, vcc_lo
	v_lshlrev_b64 v[1:2], 3, v[5:6]
	s_ashr_i32 s13, s15, 31
	v_add_co_u32 v45, vcc_lo, s4, v3
	v_add_co_ci_u32_e64 v84, null, s5, 0, s9
	v_add_co_ci_u32_e64 v46, null, s5, v4, vcc_lo
	v_add_co_u32 v49, vcc_lo, s4, v1
	s_lshl_b64 s[12:13], s[12:13], 3
	v_add_co_ci_u32_e64 v50, null, s5, v2, vcc_lo
	v_add_co_u32 v71, vcc_lo, v83, s12
	v_add_co_ci_u32_e64 v72, null, s13, v84, vcc_lo
	s_clause 0x2
	global_load_dwordx2 v[97:98], v113, s[4:5]
	global_load_dwordx2 v[99:100], v[71:72], off
	global_load_dwordx2 v[101:102], v[59:60], off
	v_add_nc_u32_e32 v7, s15, v5
	s_clause 0x1
	global_load_dwordx2 v[103:104], v[45:46], off
	global_load_dwordx2 v[105:106], v[49:50], off
	s_bitcmp0_b32 s8, 0
	v_ashrrev_i32_e32 v8, 31, v7
	v_add_nc_u32_e32 v5, s15, v7
	v_lshlrev_b64 v[3:4], 3, v[7:8]
	v_ashrrev_i32_e32 v6, 31, v5
	v_add_nc_u32_e32 v7, s15, v5
	v_lshlrev_b64 v[1:2], 3, v[5:6]
	v_ashrrev_i32_e32 v8, 31, v7
	v_add_nc_u32_e32 v5, s15, v7
	v_add_co_u32 v33, vcc_lo, s4, v3
	v_add_co_ci_u32_e64 v34, null, s5, v4, vcc_lo
	v_lshlrev_b64 v[3:4], 3, v[7:8]
	v_ashrrev_i32_e32 v6, 31, v5
	v_add_nc_u32_e32 v7, s15, v5
	v_add_co_u32 v41, vcc_lo, s4, v1
	v_add_co_ci_u32_e64 v42, null, s5, v2, vcc_lo
	v_lshlrev_b64 v[1:2], 3, v[5:6]
	v_ashrrev_i32_e32 v8, 31, v7
	v_add_nc_u32_e32 v5, s15, v7
	v_add_co_u32 v25, vcc_lo, s4, v3
	v_add_co_ci_u32_e64 v26, null, s5, v4, vcc_lo
	v_lshlrev_b64 v[3:4], 3, v[7:8]
	v_ashrrev_i32_e32 v6, 31, v5
	v_add_nc_u32_e32 v7, s15, v5
	v_add_co_u32 v55, vcc_lo, s4, v1
	v_add_co_ci_u32_e64 v56, null, s5, v2, vcc_lo
	v_lshlrev_b64 v[1:2], 3, v[5:6]
	v_ashrrev_i32_e32 v8, 31, v7
	v_add_nc_u32_e32 v5, s15, v7
	v_add_co_u32 v37, vcc_lo, s4, v3
	v_add_co_ci_u32_e64 v38, null, s5, v4, vcc_lo
	v_lshlrev_b64 v[3:4], 3, v[7:8]
	v_ashrrev_i32_e32 v6, 31, v5
	v_add_nc_u32_e32 v7, s15, v5
	v_add_co_u32 v43, vcc_lo, s4, v1
	v_add_co_ci_u32_e64 v44, null, s5, v2, vcc_lo
	v_lshlrev_b64 v[1:2], 3, v[5:6]
	v_ashrrev_i32_e32 v8, 31, v7
	v_add_nc_u32_e32 v5, s15, v7
	v_add_co_u32 v23, vcc_lo, s4, v3
	v_add_co_ci_u32_e64 v24, null, s5, v4, vcc_lo
	v_lshlrev_b64 v[3:4], 3, v[7:8]
	v_ashrrev_i32_e32 v6, 31, v5
	v_add_nc_u32_e32 v7, s15, v5
	v_add_co_u32 v29, vcc_lo, s4, v1
	v_add_co_ci_u32_e64 v30, null, s5, v2, vcc_lo
	v_lshlrev_b64 v[1:2], 3, v[5:6]
	v_ashrrev_i32_e32 v8, 31, v7
	v_add_nc_u32_e32 v5, s15, v7
	v_add_co_u32 v13, vcc_lo, s4, v3
	v_add_co_ci_u32_e64 v14, null, s5, v4, vcc_lo
	v_lshlrev_b64 v[3:4], 3, v[7:8]
	v_add_nc_u32_e32 v7, s15, v5
	v_ashrrev_i32_e32 v6, 31, v5
	v_add_co_u32 v17, vcc_lo, s4, v1
	v_add_co_ci_u32_e64 v18, null, s5, v2, vcc_lo
	v_ashrrev_i32_e32 v8, 31, v7
	v_add_nc_u32_e32 v9, s15, v7
	v_lshlrev_b64 v[1:2], 3, v[5:6]
	v_add_co_u32 v5, vcc_lo, s4, v3
	v_add_co_ci_u32_e64 v6, null, s5, v4, vcc_lo
	v_lshlrev_b64 v[3:4], 3, v[7:8]
	v_add_nc_u32_e32 v7, s15, v9
	v_ashrrev_i32_e32 v10, 31, v9
	v_add_co_u32 v1, vcc_lo, s4, v1
	v_add_co_ci_u32_e64 v2, null, s5, v2, vcc_lo
	v_add_nc_u32_e32 v11, s15, v7
	v_ashrrev_i32_e32 v8, 31, v7
	v_lshlrev_b64 v[9:10], 3, v[9:10]
	v_add_co_u32 v3, vcc_lo, s4, v3
	v_add_nc_u32_e32 v19, s15, v11
	v_lshlrev_b64 v[15:16], 3, v[7:8]
	v_add_co_ci_u32_e64 v4, null, s5, v4, vcc_lo
	v_add_co_u32 v7, vcc_lo, s4, v9
	v_ashrrev_i32_e32 v20, 31, v19
	v_add_nc_u32_e32 v21, s15, v19
	v_add_co_ci_u32_e64 v8, null, s5, v10, vcc_lo
	v_add_co_u32 v9, vcc_lo, s4, v15
	v_add_co_ci_u32_e64 v10, null, s5, v16, vcc_lo
	v_lshlrev_b64 v[15:16], 3, v[19:20]
	v_add_nc_u32_e32 v19, s15, v21
	v_ashrrev_i32_e32 v12, 31, v11
	v_ashrrev_i32_e32 v22, 31, v21
	s_clause 0x1
	global_load_dwordx2 v[107:108], v[33:34], off
	global_load_dwordx2 v[109:110], v[41:42], off
	v_add_nc_u32_e32 v27, s15, v19
	v_lshlrev_b64 v[11:12], 3, v[11:12]
	v_ashrrev_i32_e32 v20, 31, v19
	v_lshlrev_b64 v[21:22], 3, v[21:22]
	s_clause 0x1
	global_load_dwordx2 v[111:112], v[25:26], off
	global_load_dwordx2 v[114:115], v[55:56], off
	v_add_nc_u32_e32 v35, s15, v27
	v_ashrrev_i32_e32 v28, 31, v27
	v_add_co_u32 v11, vcc_lo, s4, v11
	v_lshlrev_b64 v[31:32], 3, v[19:20]
	v_add_co_ci_u32_e64 v12, null, s5, v12, vcc_lo
	v_add_co_u32 v15, vcc_lo, s4, v15
	v_ashrrev_i32_e32 v36, 31, v35
	v_add_nc_u32_e32 v39, s15, v35
	v_add_co_ci_u32_e64 v16, null, s5, v16, vcc_lo
	v_add_co_u32 v19, vcc_lo, s4, v21
	v_add_co_ci_u32_e64 v20, null, s5, v22, vcc_lo
	v_add_co_u32 v21, vcc_lo, s4, v31
	v_add_co_ci_u32_e64 v22, null, s5, v32, vcc_lo
	v_lshlrev_b64 v[31:32], 3, v[35:36]
	v_add_nc_u32_e32 v35, s15, v39
	v_ashrrev_i32_e32 v40, 31, v39
	v_lshlrev_b64 v[27:28], 3, v[27:28]
	s_clause 0x3
	global_load_dwordx2 v[116:117], v[37:38], off
	global_load_dwordx2 v[120:121], v[23:24], off
	;; [unrolled: 1-line block ×4, first 2 shown]
	v_add_nc_u32_e32 v47, s15, v35
	v_ashrrev_i32_e32 v36, 31, v35
	v_lshlrev_b64 v[39:40], 3, v[39:40]
	v_add_co_u32 v27, vcc_lo, s4, v27
	v_add_nc_u32_e32 v53, s15, v47
	v_lshlrev_b64 v[51:52], 3, v[35:36]
	v_add_co_ci_u32_e64 v28, null, s5, v28, vcc_lo
	v_add_co_u32 v31, vcc_lo, s4, v31
	v_ashrrev_i32_e32 v54, 31, v53
	v_add_nc_u32_e32 v57, s15, v53
	v_add_co_ci_u32_e64 v32, null, s5, v32, vcc_lo
	v_add_co_u32 v35, vcc_lo, s4, v39
	v_add_co_ci_u32_e64 v36, null, s5, v40, vcc_lo
	v_add_co_u32 v39, vcc_lo, s4, v51
	v_add_co_ci_u32_e64 v40, null, s5, v52, vcc_lo
	v_lshlrev_b64 v[51:52], 3, v[53:54]
	v_add_nc_u32_e32 v53, s15, v57
	v_ashrrev_i32_e32 v48, 31, v47
	v_ashrrev_i32_e32 v58, 31, v57
	s_clause 0x2
	global_load_dwordx2 v[118:119], v[43:44], off
	global_load_dwordx2 v[126:127], v[17:18], off
	;; [unrolled: 1-line block ×3, first 2 shown]
	v_add_nc_u32_e32 v61, s15, v53
	v_lshlrev_b64 v[47:48], 3, v[47:48]
	v_ashrrev_i32_e32 v54, 31, v53
	v_lshlrev_b64 v[57:58], 3, v[57:58]
	s_clause 0x3
	global_load_dwordx2 v[130:131], v[1:2], off
	global_load_dwordx2 v[134:135], v[3:4], off
	;; [unrolled: 1-line block ×4, first 2 shown]
	v_add_nc_u32_e32 v65, s15, v61
	v_add_co_u32 v47, vcc_lo, s4, v47
	v_lshlrev_b64 v[63:64], 3, v[53:54]
	v_add_co_ci_u32_e64 v48, null, s5, v48, vcc_lo
	v_add_co_u32 v51, vcc_lo, s4, v51
	v_ashrrev_i32_e32 v66, 31, v65
	v_add_nc_u32_e32 v67, s15, v65
	v_add_co_ci_u32_e64 v52, null, s5, v52, vcc_lo
	v_add_co_u32 v53, vcc_lo, s4, v57
	v_add_co_ci_u32_e64 v54, null, s5, v58, vcc_lo
	v_add_co_u32 v57, vcc_lo, s4, v63
	v_add_co_ci_u32_e64 v58, null, s5, v64, vcc_lo
	v_lshlrev_b64 v[63:64], 3, v[65:66]
	v_add_nc_u32_e32 v65, s15, v67
	v_ashrrev_i32_e32 v62, 31, v61
	v_ashrrev_i32_e32 v68, 31, v67
	s_clause 0x1
	global_load_dwordx2 v[142:143], v[11:12], off
	global_load_dwordx2 v[144:145], v[15:16], off
	v_add_nc_u32_e32 v69, s15, v65
	v_lshlrev_b64 v[61:62], 3, v[61:62]
	v_ashrrev_i32_e32 v66, 31, v65
	v_lshlrev_b64 v[67:68], 3, v[67:68]
	v_add_nc_u32_e32 v75, s15, v69
	v_ashrrev_i32_e32 v70, 31, v69
	v_add_co_u32 v61, vcc_lo, s4, v61
	v_lshlrev_b64 v[73:74], 3, v[65:66]
	v_add_co_ci_u32_e64 v62, null, s5, v62, vcc_lo
	v_add_co_u32 v63, vcc_lo, s4, v63
	v_ashrrev_i32_e32 v76, 31, v75
	v_add_nc_u32_e32 v77, s15, v75
	v_add_co_ci_u32_e64 v64, null, s5, v64, vcc_lo
	v_add_co_u32 v65, vcc_lo, s4, v67
	v_add_co_ci_u32_e64 v66, null, s5, v68, vcc_lo
	v_add_co_u32 v67, vcc_lo, s4, v73
	v_add_co_ci_u32_e64 v68, null, s5, v74, vcc_lo
	v_lshlrev_b64 v[73:74], 3, v[75:76]
	v_add_nc_u32_e32 v75, s15, v77
	v_ashrrev_i32_e32 v78, 31, v77
	v_lshlrev_b64 v[69:70], 3, v[69:70]
	v_add_nc_u32_e32 v79, s15, v75
	v_ashrrev_i32_e32 v76, 31, v75
	v_lshlrev_b64 v[77:78], 3, v[77:78]
	v_add_co_u32 v69, vcc_lo, s4, v69
	v_add_nc_u32_e32 v85, s15, v79
	v_lshlrev_b64 v[81:82], 3, v[75:76]
	v_add_co_ci_u32_e64 v70, null, s5, v70, vcc_lo
	v_add_co_u32 v73, vcc_lo, s4, v73
	v_ashrrev_i32_e32 v86, 31, v85
	v_add_co_ci_u32_e64 v74, null, s5, v74, vcc_lo
	v_add_co_u32 v75, vcc_lo, s4, v77
	v_add_co_ci_u32_e64 v76, null, s5, v78, vcc_lo
	v_add_co_u32 v77, vcc_lo, s4, v81
	v_add_co_ci_u32_e64 v78, null, s5, v82, vcc_lo
	v_lshlrev_b64 v[81:82], 3, v[85:86]
	v_add_nc_u32_e32 v85, s15, v85
	v_ashrrev_i32_e32 v80, 31, v79
	v_add_nc_u32_e32 v87, s15, v85
	v_ashrrev_i32_e32 v86, 31, v85
	v_lshlrev_b64 v[79:80], 3, v[79:80]
	v_add_nc_u32_e32 v89, s15, v87
	v_ashrrev_i32_e32 v88, 31, v87
	v_lshlrev_b64 v[85:86], 3, v[85:86]
	v_add_co_u32 v79, vcc_lo, s4, v79
	v_add_nc_u32_e32 v92, s15, v89
	v_ashrrev_i32_e32 v90, 31, v89
	v_lshlrev_b64 v[87:88], 3, v[87:88]
	v_add_co_ci_u32_e64 v80, null, s5, v80, vcc_lo
	v_add_nc_u32_e32 v94, s15, v92
	v_add_co_u32 v81, vcc_lo, s4, v81
	v_lshlrev_b64 v[90:91], 3, v[89:90]
	v_add_co_ci_u32_e64 v82, null, s5, v82, vcc_lo
	v_add_nc_u32_e32 v132, s15, v94
	v_add_co_u32 v85, vcc_lo, s4, v85
	v_ashrrev_i32_e32 v93, 31, v92
	v_ashrrev_i32_e32 v95, 31, v94
	;; [unrolled: 1-line block ×3, first 2 shown]
	v_add_co_ci_u32_e64 v86, null, s5, v86, vcc_lo
	v_add_co_u32 v87, vcc_lo, s4, v87
	v_add_co_ci_u32_e64 v88, null, s5, v88, vcc_lo
	v_add_co_u32 v89, vcc_lo, s4, v90
	v_add_co_ci_u32_e64 v90, null, s5, v91, vcc_lo
	v_lshlrev_b64 v[91:92], 3, v[92:93]
	v_add_nc_u32_e32 v140, s15, v132
	v_lshlrev_b64 v[93:94], 3, v[94:95]
	v_lshlrev_b64 v[95:96], 3, v[132:133]
	s_clause 0x2
	global_load_dwordx2 v[132:133], v[19:20], off
	global_load_dwordx2 v[146:147], v[21:22], off
	global_load_dwordx2 v[148:149], v[27:28], off
	s_waitcnt vmcnt(24)
	buffer_store_dword v98, off, s[0:3], 0 offset:4
	buffer_store_dword v97, off, s[0:3], 0
	v_ashrrev_i32_e32 v141, 31, v140
	v_add_co_u32 v91, vcc_lo, s4, v91
	v_add_co_ci_u32_e64 v92, null, s5, v92, vcc_lo
	v_lshlrev_b64 v[150:151], 3, v[140:141]
	v_add_co_u32 v93, vcc_lo, s4, v93
	v_add_co_ci_u32_e64 v94, null, s5, v94, vcc_lo
	v_add_co_u32 v95, vcc_lo, s4, v95
	v_add_co_ci_u32_e64 v96, null, s5, v96, vcc_lo
	;; [unrolled: 2-line block ×3, first 2 shown]
	global_load_dwordx2 v[150:151], v[31:32], off
	s_waitcnt vmcnt(24)
	buffer_store_dword v100, off, s[0:3], 0 offset:12
	buffer_store_dword v99, off, s[0:3], 0 offset:8
	s_clause 0x1
	global_load_dwordx2 v[152:153], v[35:36], off
	global_load_dwordx2 v[154:155], v[39:40], off
	v_add_nc_u32_e32 v140, s15, v140
	s_waitcnt vmcnt(25)
	buffer_store_dword v101, off, s[0:3], 0 offset:16
	buffer_store_dword v102, off, s[0:3], 0 offset:20
	s_waitcnt vmcnt(24)
	buffer_store_dword v104, off, s[0:3], 0 offset:28
	buffer_store_dword v103, off, s[0:3], 0 offset:24
	global_load_dwordx2 v[156:157], v[47:48], off
	v_add_nc_u32_e32 v101, s15, v140
	s_waitcnt vmcnt(24)
	buffer_store_dword v106, off, s[0:3], 0 offset:36
	buffer_store_dword v105, off, s[0:3], 0 offset:32
	s_clause 0x1
	global_load_dwordx2 v[158:159], v[51:52], off
	global_load_dwordx2 v[160:161], v[53:54], off
	s_waitcnt vmcnt(25)
	buffer_store_dword v108, off, s[0:3], 0 offset:44
	buffer_store_dword v107, off, s[0:3], 0 offset:40
	global_load_dwordx2 v[162:163], v[57:58], off
	s_waitcnt vmcnt(25)
	buffer_store_dword v110, off, s[0:3], 0 offset:52
	buffer_store_dword v109, off, s[0:3], 0 offset:48
	;; [unrolled: 4-line block ×3, first 2 shown]
	s_waitcnt vmcnt(24)
	buffer_store_dword v115, off, s[0:3], 0 offset:68
	buffer_store_dword v114, off, s[0:3], 0 offset:64
	v_add_nc_u32_e32 v104, s15, v101
	v_ashrrev_i32_e32 v141, 31, v140
	v_ashrrev_i32_e32 v102, 31, v101
	v_add_nc_u32_e32 v107, s15, v104
	v_ashrrev_i32_e32 v105, 31, v104
	v_lshlrev_b64 v[99:100], 3, v[140:141]
	v_lshlrev_b64 v[102:103], 3, v[101:102]
	v_add_nc_u32_e32 v109, s15, v107
	v_lshlrev_b64 v[105:106], 3, v[104:105]
	v_ashrrev_i32_e32 v108, 31, v107
	v_add_co_u32 v99, vcc_lo, s4, v99
	v_ashrrev_i32_e32 v110, 31, v109
	v_add_co_ci_u32_e64 v100, null, s5, v100, vcc_lo
	v_add_co_u32 v101, vcc_lo, s4, v102
	v_add_co_ci_u32_e64 v102, null, s5, v103, vcc_lo
	v_add_co_u32 v103, vcc_lo, s4, v105
	v_add_co_ci_u32_e64 v104, null, s5, v106, vcc_lo
	s_waitcnt vmcnt(23)
	buffer_store_dword v116, off, s[0:3], 0 offset:72
	buffer_store_dword v117, off, s[0:3], 0 offset:76
	s_waitcnt vmcnt(19)
	buffer_store_dword v118, off, s[0:3], 0 offset:80
	buffer_store_dword v119, off, s[0:3], 0 offset:84
	;; [unrolled: 1-line block ×8, first 2 shown]
	s_waitcnt vmcnt(18)
	buffer_store_dword v127, off, s[0:3], 0 offset:116
	buffer_store_dword v126, off, s[0:3], 0 offset:112
	s_waitcnt vmcnt(17)
	buffer_store_dword v128, off, s[0:3], 0 offset:120
	buffer_store_dword v129, off, s[0:3], 0 offset:124
	s_waitcnt vmcnt(16)
	buffer_store_dword v130, off, s[0:3], 0 offset:128
	buffer_store_dword v131, off, s[0:3], 0 offset:132
	s_waitcnt vmcnt(15)
	buffer_store_dword v134, off, s[0:3], 0 offset:136
	buffer_store_dword v135, off, s[0:3], 0 offset:140
	s_waitcnt vmcnt(14)
	buffer_store_dword v136, off, s[0:3], 0 offset:144
	buffer_store_dword v137, off, s[0:3], 0 offset:148
	s_waitcnt vmcnt(13)
	buffer_store_dword v139, off, s[0:3], 0 offset:156
	buffer_store_dword v138, off, s[0:3], 0 offset:152
	s_waitcnt vmcnt(12)
	buffer_store_dword v143, off, s[0:3], 0 offset:164
	buffer_store_dword v142, off, s[0:3], 0 offset:160
	v_lshlrev_b64 v[105:106], 3, v[107:108]
	v_lshlrev_b64 v[107:108], 3, v[109:110]
	s_waitcnt vmcnt(11)
	buffer_store_dword v144, off, s[0:3], 0 offset:168
	buffer_store_dword v145, off, s[0:3], 0 offset:172
	s_waitcnt vmcnt(10)
	buffer_store_dword v132, off, s[0:3], 0 offset:176
	buffer_store_dword v133, off, s[0:3], 0 offset:180
	;; [unrolled: 3-line block ×4, first 2 shown]
	s_clause 0xc
	global_load_dwordx2 v[111:112], v[63:64], off
	global_load_dwordx2 v[114:115], v[65:66], off
	;; [unrolled: 1-line block ×13, first 2 shown]
	v_add_nc_u32_e32 v109, s15, v109
	s_clause 0x3
	global_load_dwordx2 v[138:139], v[93:94], off
	global_load_dwordx2 v[140:141], v[95:96], off
	global_load_dwordx2 v[142:143], v[97:98], off
	global_load_dwordx2 v[144:145], v[99:100], off
	v_ashrrev_i32_e32 v110, 31, v109
	v_add_co_u32 v105, vcc_lo, s4, v105
	v_add_co_ci_u32_e64 v106, null, s5, v106, vcc_lo
	v_lshlrev_b64 v[109:110], 3, v[109:110]
	v_add_co_u32 v107, vcc_lo, s4, v107
	s_clause 0x1
	global_load_dwordx2 v[146:147], v[101:102], off
	global_load_dwordx2 v[148:149], v[103:104], off
	v_add_co_ci_u32_e64 v108, null, s5, v108, vcc_lo
	v_add_co_u32 v109, vcc_lo, s4, v109
	v_add_co_ci_u32_e64 v110, null, s5, v110, vcc_lo
	s_waitcnt vmcnt(26)
	buffer_store_dword v151, off, s[0:3], 0 offset:204
	buffer_store_dword v150, off, s[0:3], 0 offset:200
	global_load_dwordx2 v[150:151], v[105:106], off
	s_waitcnt vmcnt(26)
	buffer_store_dword v153, off, s[0:3], 0 offset:212
	buffer_store_dword v152, off, s[0:3], 0 offset:208
	global_load_dwordx2 v[152:153], v[107:108], off
	;; [unrolled: 4-line block ×3, first 2 shown]
	s_mov_b32 s5, -1
	s_waitcnt vmcnt(26)
	buffer_store_dword v156, off, s[0:3], 0 offset:224
	buffer_store_dword v157, off, s[0:3], 0 offset:228
	s_waitcnt vmcnt(25)
	buffer_store_dword v158, off, s[0:3], 0 offset:232
	buffer_store_dword v159, off, s[0:3], 0 offset:236
	;; [unrolled: 3-line block ×27, first 2 shown]
	s_cbranch_scc1 .LBB54_228
; %bb.4:
	v_cmp_eq_u32_e64 s4, 0, v0
	s_and_saveexec_b32 s5, s4
; %bb.5:
	v_mov_b32_e32 v111, 0
	ds_write_b32 v111, v111 offset:440
; %bb.6:
	s_or_b32 exec_lo, exec_lo, s5
	v_lshl_add_u32 v111, v0, 3, 0
	s_waitcnt lgkmcnt(0)
	s_waitcnt_vscnt null, 0x0
	s_barrier
	buffer_gl0_inv
	s_mov_b32 s8, exec_lo
	s_clause 0x1
	buffer_load_dword v114, v111, s[0:3], 0 offen
	buffer_load_dword v115, v111, s[0:3], 0 offen offset:4
	s_waitcnt vmcnt(0)
	v_cmpx_eq_f64_e32 0, v[114:115]
	s_cbranch_execz .LBB54_10
; %bb.7:
	v_mov_b32_e32 v112, 0
	s_mov_b32 s9, 0
	ds_read_b32 v114, v112 offset:440
	s_waitcnt lgkmcnt(0)
	v_readfirstlane_b32 s5, v114
	v_add_nc_u32_e32 v114, 1, v0
	s_cmp_eq_u32 s5, 0
	v_cmp_gt_i32_e32 vcc_lo, s5, v114
	s_cselect_b32 s12, -1, 0
	s_or_b32 s12, s12, vcc_lo
	s_and_b32 exec_lo, exec_lo, s12
	s_cbranch_execz .LBB54_10
; %bb.8:
	v_mov_b32_e32 v115, s5
.LBB54_9:                               ; =>This Inner Loop Header: Depth=1
	ds_cmpst_rtn_b32 v115, v112, v115, v114 offset:440
	s_waitcnt lgkmcnt(0)
	v_cmp_ne_u32_e32 vcc_lo, 0, v115
	v_cmp_le_i32_e64 s5, v115, v114
	s_and_b32 s5, vcc_lo, s5
	s_and_b32 s5, exec_lo, s5
	s_or_b32 s9, s5, s9
	s_andn2_b32 exec_lo, exec_lo, s9
	s_cbranch_execnz .LBB54_9
.LBB54_10:
	s_or_b32 exec_lo, exec_lo, s8
	v_mov_b32_e32 v112, 0
	s_barrier
	buffer_gl0_inv
	ds_read_b32 v114, v112 offset:440
	s_and_saveexec_b32 s5, s4
	s_cbranch_execz .LBB54_12
; %bb.11:
	s_lshl_b64 s[8:9], s[6:7], 2
	s_add_u32 s8, s10, s8
	s_addc_u32 s9, s11, s9
	s_waitcnt lgkmcnt(0)
	global_store_dword v112, v114, s[8:9]
.LBB54_12:
	s_or_b32 exec_lo, exec_lo, s5
	s_waitcnt lgkmcnt(0)
	v_cmp_ne_u32_e32 vcc_lo, 0, v114
	s_mov_b32 s5, 0
	s_cbranch_vccnz .LBB54_228
; %bb.13:
	s_clause 0x1
	buffer_load_dword v114, v111, s[0:3], 0 offen
	buffer_load_dword v115, v111, s[0:3], 0 offen offset:4
	s_waitcnt vmcnt(0)
	v_div_scale_f64 v[116:117], null, v[114:115], v[114:115], 1.0
	v_div_scale_f64 v[122:123], vcc_lo, 1.0, v[114:115], 1.0
	v_rcp_f64_e32 v[118:119], v[116:117]
	v_fma_f64 v[120:121], -v[116:117], v[118:119], 1.0
	v_fma_f64 v[118:119], v[118:119], v[120:121], v[118:119]
	v_fma_f64 v[120:121], -v[116:117], v[118:119], 1.0
	v_fma_f64 v[118:119], v[118:119], v[120:121], v[118:119]
	v_mul_f64 v[120:121], v[122:123], v[118:119]
	v_fma_f64 v[116:117], -v[116:117], v[120:121], v[122:123]
	v_div_fmas_f64 v[116:117], v[116:117], v[118:119], v[120:121]
	v_div_fixup_f64 v[115:116], v[116:117], v[114:115], 1.0
	v_add_nc_u32_e32 v114, 0x1c0, v113
	buffer_store_dword v116, v111, s[0:3], 0 offen offset:4
	buffer_store_dword v115, v111, s[0:3], 0 offen
	s_clause 0x1
	buffer_load_dword v118, off, s[0:3], 0 offset:12
	buffer_load_dword v117, off, s[0:3], 0 offset:8
	v_xor_b32_e32 v116, 0x80000000, v116
	s_waitcnt vmcnt(0)
	ds_write2_b64 v113, v[115:116], v[117:118] offset1:56
	s_waitcnt lgkmcnt(0)
	s_waitcnt_vscnt null, 0x0
	s_barrier
	buffer_gl0_inv
	s_and_saveexec_b32 s5, s4
	s_cbranch_execz .LBB54_15
; %bb.14:
	s_clause 0x1
	buffer_load_dword v115, v111, s[0:3], 0 offen
	buffer_load_dword v116, v111, s[0:3], 0 offen offset:4
	ds_read_b64 v[117:118], v114
	v_mov_b32_e32 v112, 0
	ds_read_b64 v[119:120], v112 offset:8
	s_waitcnt vmcnt(0) lgkmcnt(1)
	v_fma_f64 v[115:116], v[115:116], v[117:118], 0
	s_waitcnt lgkmcnt(0)
	v_mul_f64 v[115:116], v[115:116], v[119:120]
	buffer_store_dword v115, off, s[0:3], 0 offset:8
	buffer_store_dword v116, off, s[0:3], 0 offset:12
.LBB54_15:
	s_or_b32 exec_lo, exec_lo, s5
	s_waitcnt_vscnt null, 0x0
	s_barrier
	buffer_gl0_inv
	s_clause 0x1
	buffer_load_dword v115, off, s[0:3], 0 offset:16
	buffer_load_dword v116, off, s[0:3], 0 offset:20
	s_mov_b32 s5, exec_lo
	s_waitcnt vmcnt(0)
	ds_write_b64 v114, v[115:116]
	s_waitcnt lgkmcnt(0)
	s_barrier
	buffer_gl0_inv
	v_cmpx_gt_u32_e32 2, v0
	s_cbranch_execz .LBB54_19
; %bb.16:
	s_clause 0x1
	buffer_load_dword v115, v111, s[0:3], 0 offen
	buffer_load_dword v116, v111, s[0:3], 0 offen offset:4
	ds_read_b64 v[111:112], v114
	s_waitcnt vmcnt(0) lgkmcnt(0)
	v_fma_f64 v[111:112], v[115:116], v[111:112], 0
	s_and_saveexec_b32 s8, s4
	s_cbranch_execz .LBB54_18
; %bb.17:
	s_clause 0x1
	buffer_load_dword v115, off, s[0:3], 0 offset:8
	buffer_load_dword v116, off, s[0:3], 0 offset:12
	v_mov_b32_e32 v117, 0
	ds_read_b64 v[117:118], v117 offset:456
	s_waitcnt vmcnt(0) lgkmcnt(0)
	v_fma_f64 v[111:112], v[115:116], v[117:118], v[111:112]
.LBB54_18:
	s_or_b32 exec_lo, exec_lo, s8
	v_mov_b32_e32 v115, 0
	ds_read_b64 v[115:116], v115 offset:16
	s_waitcnt lgkmcnt(0)
	v_mul_f64 v[111:112], v[111:112], v[115:116]
	buffer_store_dword v112, off, s[0:3], 0 offset:20
	buffer_store_dword v111, off, s[0:3], 0 offset:16
.LBB54_19:
	s_or_b32 exec_lo, exec_lo, s5
	s_waitcnt_vscnt null, 0x0
	s_barrier
	buffer_gl0_inv
	s_clause 0x1
	buffer_load_dword v111, off, s[0:3], 0 offset:24
	buffer_load_dword v112, off, s[0:3], 0 offset:28
	v_add_nc_u32_e32 v115, -1, v0
	s_mov_b32 s4, exec_lo
	s_waitcnt vmcnt(0)
	ds_write_b64 v114, v[111:112]
	s_waitcnt lgkmcnt(0)
	s_barrier
	buffer_gl0_inv
	v_cmpx_gt_u32_e32 3, v0
	s_cbranch_execz .LBB54_23
; %bb.20:
	v_mov_b32_e32 v111, 0
	v_add_nc_u32_e32 v116, -1, v0
	v_add_nc_u32_e32 v117, 0x1c0, v113
	v_mov_b32_e32 v112, 0
	v_mov_b32_e32 v118, v113
	s_mov_b32 s5, 0
.LBB54_21:                              ; =>This Inner Loop Header: Depth=1
	s_clause 0x1
	buffer_load_dword v119, v118, s[0:3], 0 offen
	buffer_load_dword v120, v118, s[0:3], 0 offen offset:4
	ds_read_b64 v[121:122], v117
	v_add_nc_u32_e32 v116, 1, v116
	v_add_nc_u32_e32 v117, 8, v117
	v_add_nc_u32_e32 v118, 8, v118
	v_cmp_lt_u32_e32 vcc_lo, 1, v116
	s_or_b32 s5, vcc_lo, s5
	s_waitcnt vmcnt(0) lgkmcnt(0)
	v_fma_f64 v[111:112], v[119:120], v[121:122], v[111:112]
	s_andn2_b32 exec_lo, exec_lo, s5
	s_cbranch_execnz .LBB54_21
; %bb.22:
	s_or_b32 exec_lo, exec_lo, s5
	v_mov_b32_e32 v116, 0
	ds_read_b64 v[116:117], v116 offset:24
	s_waitcnt lgkmcnt(0)
	v_mul_f64 v[111:112], v[111:112], v[116:117]
	buffer_store_dword v112, off, s[0:3], 0 offset:28
	buffer_store_dword v111, off, s[0:3], 0 offset:24
.LBB54_23:
	s_or_b32 exec_lo, exec_lo, s4
	s_waitcnt_vscnt null, 0x0
	s_barrier
	buffer_gl0_inv
	s_clause 0x1
	buffer_load_dword v111, off, s[0:3], 0 offset:32
	buffer_load_dword v112, off, s[0:3], 0 offset:36
	s_mov_b32 s4, exec_lo
	s_waitcnt vmcnt(0)
	ds_write_b64 v114, v[111:112]
	s_waitcnt lgkmcnt(0)
	s_barrier
	buffer_gl0_inv
	v_cmpx_gt_u32_e32 4, v0
	s_cbranch_execz .LBB54_27
; %bb.24:
	v_mov_b32_e32 v111, 0
	v_add_nc_u32_e32 v116, -1, v0
	v_add_nc_u32_e32 v117, 0x1c0, v113
	v_mov_b32_e32 v112, 0
	v_mov_b32_e32 v118, v113
	s_mov_b32 s5, 0
.LBB54_25:                              ; =>This Inner Loop Header: Depth=1
	s_clause 0x1
	buffer_load_dword v119, v118, s[0:3], 0 offen
	buffer_load_dword v120, v118, s[0:3], 0 offen offset:4
	ds_read_b64 v[121:122], v117
	v_add_nc_u32_e32 v116, 1, v116
	v_add_nc_u32_e32 v117, 8, v117
	v_add_nc_u32_e32 v118, 8, v118
	v_cmp_lt_u32_e32 vcc_lo, 2, v116
	s_or_b32 s5, vcc_lo, s5
	s_waitcnt vmcnt(0) lgkmcnt(0)
	v_fma_f64 v[111:112], v[119:120], v[121:122], v[111:112]
	s_andn2_b32 exec_lo, exec_lo, s5
	s_cbranch_execnz .LBB54_25
; %bb.26:
	s_or_b32 exec_lo, exec_lo, s5
	v_mov_b32_e32 v116, 0
	ds_read_b64 v[116:117], v116 offset:32
	s_waitcnt lgkmcnt(0)
	v_mul_f64 v[111:112], v[111:112], v[116:117]
	buffer_store_dword v112, off, s[0:3], 0 offset:36
	buffer_store_dword v111, off, s[0:3], 0 offset:32
.LBB54_27:
	s_or_b32 exec_lo, exec_lo, s4
	s_waitcnt_vscnt null, 0x0
	s_barrier
	buffer_gl0_inv
	s_clause 0x1
	buffer_load_dword v111, off, s[0:3], 0 offset:40
	buffer_load_dword v112, off, s[0:3], 0 offset:44
	;; [unrolled: 45-line block ×20, first 2 shown]
	s_mov_b32 s4, exec_lo
	s_waitcnt vmcnt(0)
	ds_write_b64 v114, v[111:112]
	s_waitcnt lgkmcnt(0)
	s_barrier
	buffer_gl0_inv
	v_cmpx_gt_u32_e32 23, v0
	s_cbranch_execz .LBB54_103
; %bb.100:
	v_mov_b32_e32 v111, 0
	v_add_nc_u32_e32 v116, -1, v0
	v_add_nc_u32_e32 v117, 0x1c0, v113
	v_mov_b32_e32 v112, 0
	v_mov_b32_e32 v118, v113
	s_mov_b32 s5, 0
.LBB54_101:                             ; =>This Inner Loop Header: Depth=1
	s_clause 0x1
	buffer_load_dword v119, v118, s[0:3], 0 offen
	buffer_load_dword v120, v118, s[0:3], 0 offen offset:4
	ds_read_b64 v[121:122], v117
	v_add_nc_u32_e32 v116, 1, v116
	v_add_nc_u32_e32 v117, 8, v117
	v_add_nc_u32_e32 v118, 8, v118
	v_cmp_lt_u32_e32 vcc_lo, 21, v116
	s_or_b32 s5, vcc_lo, s5
	s_waitcnt vmcnt(0) lgkmcnt(0)
	v_fma_f64 v[111:112], v[119:120], v[121:122], v[111:112]
	s_andn2_b32 exec_lo, exec_lo, s5
	s_cbranch_execnz .LBB54_101
; %bb.102:
	s_or_b32 exec_lo, exec_lo, s5
	v_mov_b32_e32 v116, 0
	ds_read_b64 v[116:117], v116 offset:184
	s_waitcnt lgkmcnt(0)
	v_mul_f64 v[111:112], v[111:112], v[116:117]
	buffer_store_dword v112, off, s[0:3], 0 offset:188
	buffer_store_dword v111, off, s[0:3], 0 offset:184
.LBB54_103:
	s_or_b32 exec_lo, exec_lo, s4
	s_waitcnt_vscnt null, 0x0
	s_barrier
	buffer_gl0_inv
	s_clause 0x1
	buffer_load_dword v111, off, s[0:3], 0 offset:192
	buffer_load_dword v112, off, s[0:3], 0 offset:196
	s_mov_b32 s4, exec_lo
	s_waitcnt vmcnt(0)
	ds_write_b64 v114, v[111:112]
	s_waitcnt lgkmcnt(0)
	s_barrier
	buffer_gl0_inv
	v_cmpx_gt_u32_e32 24, v0
	s_cbranch_execz .LBB54_107
; %bb.104:
	v_mov_b32_e32 v111, 0
	v_add_nc_u32_e32 v116, -1, v0
	v_add_nc_u32_e32 v117, 0x1c0, v113
	v_mov_b32_e32 v112, 0
	v_mov_b32_e32 v118, v113
	s_mov_b32 s5, 0
.LBB54_105:                             ; =>This Inner Loop Header: Depth=1
	s_clause 0x1
	buffer_load_dword v119, v118, s[0:3], 0 offen
	buffer_load_dword v120, v118, s[0:3], 0 offen offset:4
	ds_read_b64 v[121:122], v117
	v_add_nc_u32_e32 v116, 1, v116
	v_add_nc_u32_e32 v117, 8, v117
	v_add_nc_u32_e32 v118, 8, v118
	v_cmp_lt_u32_e32 vcc_lo, 22, v116
	s_or_b32 s5, vcc_lo, s5
	s_waitcnt vmcnt(0) lgkmcnt(0)
	v_fma_f64 v[111:112], v[119:120], v[121:122], v[111:112]
	s_andn2_b32 exec_lo, exec_lo, s5
	s_cbranch_execnz .LBB54_105
; %bb.106:
	s_or_b32 exec_lo, exec_lo, s5
	v_mov_b32_e32 v116, 0
	ds_read_b64 v[116:117], v116 offset:192
	s_waitcnt lgkmcnt(0)
	v_mul_f64 v[111:112], v[111:112], v[116:117]
	buffer_store_dword v112, off, s[0:3], 0 offset:196
	buffer_store_dword v111, off, s[0:3], 0 offset:192
.LBB54_107:
	s_or_b32 exec_lo, exec_lo, s4
	s_waitcnt_vscnt null, 0x0
	s_barrier
	buffer_gl0_inv
	s_clause 0x1
	buffer_load_dword v111, off, s[0:3], 0 offset:200
	buffer_load_dword v112, off, s[0:3], 0 offset:204
	;; [unrolled: 45-line block ×31, first 2 shown]
	s_mov_b32 s4, exec_lo
	s_waitcnt vmcnt(0)
	ds_write_b64 v114, v[111:112]
	s_waitcnt lgkmcnt(0)
	s_barrier
	buffer_gl0_inv
	v_cmpx_ne_u32_e32 54, v0
	s_cbranch_execz .LBB54_227
; %bb.224:
	v_mov_b32_e32 v111, 0
	v_mov_b32_e32 v112, 0
	s_mov_b32 s5, 0
.LBB54_225:                             ; =>This Inner Loop Header: Depth=1
	s_clause 0x1
	buffer_load_dword v116, v113, s[0:3], 0 offen
	buffer_load_dword v117, v113, s[0:3], 0 offen offset:4
	ds_read_b64 v[118:119], v114
	v_add_nc_u32_e32 v115, 1, v115
	v_add_nc_u32_e32 v114, 8, v114
	;; [unrolled: 1-line block ×3, first 2 shown]
	v_cmp_lt_u32_e32 vcc_lo, 52, v115
	s_or_b32 s5, vcc_lo, s5
	s_waitcnt vmcnt(0) lgkmcnt(0)
	v_fma_f64 v[111:112], v[116:117], v[118:119], v[111:112]
	s_andn2_b32 exec_lo, exec_lo, s5
	s_cbranch_execnz .LBB54_225
; %bb.226:
	s_or_b32 exec_lo, exec_lo, s5
	v_mov_b32_e32 v113, 0
	ds_read_b64 v[113:114], v113 offset:432
	s_waitcnt lgkmcnt(0)
	v_mul_f64 v[111:112], v[111:112], v[113:114]
	buffer_store_dword v112, off, s[0:3], 0 offset:436
	buffer_store_dword v111, off, s[0:3], 0 offset:432
.LBB54_227:
	s_or_b32 exec_lo, exec_lo, s4
	s_mov_b32 s5, -1
	s_waitcnt_vscnt null, 0x0
	s_barrier
	buffer_gl0_inv
.LBB54_228:
	s_and_b32 vcc_lo, exec_lo, s5
	s_cbranch_vccz .LBB54_230
; %bb.229:
	s_lshl_b64 s[4:5], s[6:7], 2
	v_mov_b32_e32 v111, 0
	s_add_u32 s4, s10, s4
	s_addc_u32 s5, s11, s5
	global_load_dword v111, v111, s[4:5]
	s_waitcnt vmcnt(0)
	v_cmp_ne_u32_e32 vcc_lo, 0, v111
	s_cbranch_vccz .LBB54_231
.LBB54_230:
	s_endpgm
.LBB54_231:
	v_lshl_add_u32 v111, v0, 3, 0x1c0
	s_mov_b32 s4, exec_lo
	v_cmpx_eq_u32_e32 54, v0
	s_cbranch_execz .LBB54_233
; %bb.232:
	s_clause 0x1
	buffer_load_dword v112, off, s[0:3], 0 offset:424
	buffer_load_dword v113, off, s[0:3], 0 offset:428
	v_mov_b32_e32 v114, 0
	buffer_store_dword v114, off, s[0:3], 0 offset:424
	buffer_store_dword v114, off, s[0:3], 0 offset:428
	s_waitcnt vmcnt(0)
	ds_write_b64 v111, v[112:113]
.LBB54_233:
	s_or_b32 exec_lo, exec_lo, s4
	s_waitcnt lgkmcnt(0)
	s_waitcnt_vscnt null, 0x0
	s_barrier
	buffer_gl0_inv
	s_clause 0x3
	buffer_load_dword v113, off, s[0:3], 0 offset:432
	buffer_load_dword v114, off, s[0:3], 0 offset:436
	;; [unrolled: 1-line block ×4, first 2 shown]
	v_mov_b32_e32 v112, 0
	s_mov_b32 s4, exec_lo
	ds_read_b64 v[117:118], v112 offset:880
	s_waitcnt vmcnt(2) lgkmcnt(0)
	v_fma_f64 v[113:114], v[113:114], v[117:118], 0
	s_waitcnt vmcnt(0)
	v_add_f64 v[113:114], v[115:116], -v[113:114]
	buffer_store_dword v113, off, s[0:3], 0 offset:424
	buffer_store_dword v114, off, s[0:3], 0 offset:428
	v_cmpx_lt_u32_e32 52, v0
	s_cbranch_execz .LBB54_235
; %bb.234:
	s_clause 0x1
	buffer_load_dword v113, off, s[0:3], 0 offset:416
	buffer_load_dword v114, off, s[0:3], 0 offset:420
	buffer_store_dword v112, off, s[0:3], 0 offset:416
	buffer_store_dword v112, off, s[0:3], 0 offset:420
	s_waitcnt vmcnt(0)
	ds_write_b64 v111, v[113:114]
.LBB54_235:
	s_or_b32 exec_lo, exec_lo, s4
	s_waitcnt lgkmcnt(0)
	s_waitcnt_vscnt null, 0x0
	s_barrier
	buffer_gl0_inv
	s_clause 0x5
	buffer_load_dword v116, off, s[0:3], 0 offset:424
	buffer_load_dword v117, off, s[0:3], 0 offset:428
	;; [unrolled: 1-line block ×6, first 2 shown]
	ds_read2_b64 v[112:115], v112 offset0:109 offset1:110
	s_mov_b32 s4, exec_lo
	s_waitcnt vmcnt(4) lgkmcnt(0)
	v_fma_f64 v[112:113], v[116:117], v[112:113], 0
	s_waitcnt vmcnt(2)
	v_fma_f64 v[112:113], v[118:119], v[114:115], v[112:113]
	s_waitcnt vmcnt(0)
	v_add_f64 v[112:113], v[120:121], -v[112:113]
	buffer_store_dword v112, off, s[0:3], 0 offset:416
	buffer_store_dword v113, off, s[0:3], 0 offset:420
	v_cmpx_lt_u32_e32 51, v0
	s_cbranch_execz .LBB54_237
; %bb.236:
	s_clause 0x1
	buffer_load_dword v112, off, s[0:3], 0 offset:408
	buffer_load_dword v113, off, s[0:3], 0 offset:412
	v_mov_b32_e32 v114, 0
	buffer_store_dword v114, off, s[0:3], 0 offset:408
	buffer_store_dword v114, off, s[0:3], 0 offset:412
	s_waitcnt vmcnt(0)
	ds_write_b64 v111, v[112:113]
.LBB54_237:
	s_or_b32 exec_lo, exec_lo, s4
	s_waitcnt lgkmcnt(0)
	s_waitcnt_vscnt null, 0x0
	s_barrier
	buffer_gl0_inv
	s_clause 0x7
	buffer_load_dword v117, off, s[0:3], 0 offset:416
	buffer_load_dword v118, off, s[0:3], 0 offset:420
	;; [unrolled: 1-line block ×8, first 2 shown]
	v_mov_b32_e32 v112, 0
	ds_read_b128 v[113:116], v112 offset:864
	ds_read_b64 v[125:126], v112 offset:880
	s_mov_b32 s4, exec_lo
	s_waitcnt vmcnt(6) lgkmcnt(1)
	v_fma_f64 v[113:114], v[117:118], v[113:114], 0
	s_waitcnt vmcnt(4)
	v_fma_f64 v[113:114], v[119:120], v[115:116], v[113:114]
	s_waitcnt vmcnt(2) lgkmcnt(0)
	v_fma_f64 v[113:114], v[121:122], v[125:126], v[113:114]
	s_waitcnt vmcnt(0)
	v_add_f64 v[113:114], v[123:124], -v[113:114]
	buffer_store_dword v113, off, s[0:3], 0 offset:408
	buffer_store_dword v114, off, s[0:3], 0 offset:412
	v_cmpx_lt_u32_e32 50, v0
	s_cbranch_execz .LBB54_239
; %bb.238:
	s_clause 0x1
	buffer_load_dword v113, off, s[0:3], 0 offset:400
	buffer_load_dword v114, off, s[0:3], 0 offset:404
	buffer_store_dword v112, off, s[0:3], 0 offset:400
	buffer_store_dword v112, off, s[0:3], 0 offset:404
	s_waitcnt vmcnt(0)
	ds_write_b64 v111, v[113:114]
.LBB54_239:
	s_or_b32 exec_lo, exec_lo, s4
	s_waitcnt lgkmcnt(0)
	s_waitcnt_vscnt null, 0x0
	s_barrier
	buffer_gl0_inv
	s_clause 0x9
	buffer_load_dword v121, off, s[0:3], 0 offset:408
	buffer_load_dword v122, off, s[0:3], 0 offset:412
	;; [unrolled: 1-line block ×10, first 2 shown]
	ds_read2_b64 v[113:116], v112 offset0:107 offset1:108
	ds_read2_b64 v[117:120], v112 offset0:109 offset1:110
	s_mov_b32 s4, exec_lo
	s_waitcnt vmcnt(8) lgkmcnt(1)
	v_fma_f64 v[112:113], v[121:122], v[113:114], 0
	s_waitcnt vmcnt(6)
	v_fma_f64 v[112:113], v[123:124], v[115:116], v[112:113]
	s_waitcnt vmcnt(4) lgkmcnt(0)
	v_fma_f64 v[112:113], v[125:126], v[117:118], v[112:113]
	s_waitcnt vmcnt(2)
	v_fma_f64 v[112:113], v[127:128], v[119:120], v[112:113]
	s_waitcnt vmcnt(0)
	v_add_f64 v[112:113], v[129:130], -v[112:113]
	buffer_store_dword v112, off, s[0:3], 0 offset:400
	buffer_store_dword v113, off, s[0:3], 0 offset:404
	v_cmpx_lt_u32_e32 49, v0
	s_cbranch_execz .LBB54_241
; %bb.240:
	s_clause 0x1
	buffer_load_dword v112, off, s[0:3], 0 offset:392
	buffer_load_dword v113, off, s[0:3], 0 offset:396
	v_mov_b32_e32 v114, 0
	buffer_store_dword v114, off, s[0:3], 0 offset:392
	buffer_store_dword v114, off, s[0:3], 0 offset:396
	s_waitcnt vmcnt(0)
	ds_write_b64 v111, v[112:113]
.LBB54_241:
	s_or_b32 exec_lo, exec_lo, s4
	s_waitcnt lgkmcnt(0)
	s_waitcnt_vscnt null, 0x0
	s_barrier
	buffer_gl0_inv
	s_clause 0xb
	buffer_load_dword v121, off, s[0:3], 0 offset:400
	buffer_load_dword v122, off, s[0:3], 0 offset:404
	;; [unrolled: 1-line block ×12, first 2 shown]
	v_mov_b32_e32 v112, 0
	ds_read_b128 v[113:116], v112 offset:848
	ds_read_b128 v[117:120], v112 offset:864
	s_mov_b32 s4, exec_lo
	s_waitcnt vmcnt(10) lgkmcnt(1)
	v_fma_f64 v[113:114], v[121:122], v[113:114], 0
	s_waitcnt vmcnt(8)
	v_fma_f64 v[113:114], v[123:124], v[115:116], v[113:114]
	ds_read_b64 v[115:116], v112 offset:880
	s_waitcnt vmcnt(6) lgkmcnt(1)
	v_fma_f64 v[113:114], v[125:126], v[117:118], v[113:114]
	s_waitcnt vmcnt(4)
	v_fma_f64 v[113:114], v[127:128], v[119:120], v[113:114]
	s_waitcnt vmcnt(2) lgkmcnt(0)
	v_fma_f64 v[113:114], v[129:130], v[115:116], v[113:114]
	s_waitcnt vmcnt(0)
	v_add_f64 v[113:114], v[131:132], -v[113:114]
	buffer_store_dword v113, off, s[0:3], 0 offset:392
	buffer_store_dword v114, off, s[0:3], 0 offset:396
	v_cmpx_lt_u32_e32 48, v0
	s_cbranch_execz .LBB54_243
; %bb.242:
	s_clause 0x1
	buffer_load_dword v113, off, s[0:3], 0 offset:384
	buffer_load_dword v114, off, s[0:3], 0 offset:388
	buffer_store_dword v112, off, s[0:3], 0 offset:384
	buffer_store_dword v112, off, s[0:3], 0 offset:388
	s_waitcnt vmcnt(0)
	ds_write_b64 v111, v[113:114]
.LBB54_243:
	s_or_b32 exec_lo, exec_lo, s4
	s_waitcnt lgkmcnt(0)
	s_waitcnt_vscnt null, 0x0
	s_barrier
	buffer_gl0_inv
	s_clause 0xd
	buffer_load_dword v121, off, s[0:3], 0 offset:392
	buffer_load_dword v122, off, s[0:3], 0 offset:396
	buffer_load_dword v123, off, s[0:3], 0 offset:400
	buffer_load_dword v124, off, s[0:3], 0 offset:404
	buffer_load_dword v125, off, s[0:3], 0 offset:408
	buffer_load_dword v126, off, s[0:3], 0 offset:412
	buffer_load_dword v127, off, s[0:3], 0 offset:416
	buffer_load_dword v128, off, s[0:3], 0 offset:420
	buffer_load_dword v129, off, s[0:3], 0 offset:424
	buffer_load_dword v130, off, s[0:3], 0 offset:428
	buffer_load_dword v131, off, s[0:3], 0 offset:432
	buffer_load_dword v132, off, s[0:3], 0 offset:436
	buffer_load_dword v133, off, s[0:3], 0 offset:384
	buffer_load_dword v134, off, s[0:3], 0 offset:388
	ds_read2_b64 v[113:116], v112 offset0:105 offset1:106
	ds_read2_b64 v[117:120], v112 offset0:107 offset1:108
	s_mov_b32 s4, exec_lo
	s_waitcnt vmcnt(12) lgkmcnt(1)
	v_fma_f64 v[113:114], v[121:122], v[113:114], 0
	s_waitcnt vmcnt(10)
	v_fma_f64 v[113:114], v[123:124], v[115:116], v[113:114]
	s_waitcnt vmcnt(8) lgkmcnt(0)
	v_fma_f64 v[113:114], v[125:126], v[117:118], v[113:114]
	s_waitcnt vmcnt(6)
	v_fma_f64 v[116:117], v[127:128], v[119:120], v[113:114]
	ds_read2_b64 v[112:115], v112 offset0:109 offset1:110
	s_waitcnt vmcnt(4) lgkmcnt(0)
	v_fma_f64 v[112:113], v[129:130], v[112:113], v[116:117]
	s_waitcnt vmcnt(2)
	v_fma_f64 v[112:113], v[131:132], v[114:115], v[112:113]
	s_waitcnt vmcnt(0)
	v_add_f64 v[112:113], v[133:134], -v[112:113]
	buffer_store_dword v112, off, s[0:3], 0 offset:384
	buffer_store_dword v113, off, s[0:3], 0 offset:388
	v_cmpx_lt_u32_e32 47, v0
	s_cbranch_execz .LBB54_245
; %bb.244:
	s_clause 0x1
	buffer_load_dword v112, off, s[0:3], 0 offset:376
	buffer_load_dword v113, off, s[0:3], 0 offset:380
	v_mov_b32_e32 v114, 0
	buffer_store_dword v114, off, s[0:3], 0 offset:376
	buffer_store_dword v114, off, s[0:3], 0 offset:380
	s_waitcnt vmcnt(0)
	ds_write_b64 v111, v[112:113]
.LBB54_245:
	s_or_b32 exec_lo, exec_lo, s4
	s_waitcnt lgkmcnt(0)
	s_waitcnt_vscnt null, 0x0
	s_barrier
	buffer_gl0_inv
	s_clause 0xf
	buffer_load_dword v121, off, s[0:3], 0 offset:384
	buffer_load_dword v122, off, s[0:3], 0 offset:388
	;; [unrolled: 1-line block ×16, first 2 shown]
	v_mov_b32_e32 v112, 0
	ds_read_b128 v[113:116], v112 offset:832
	ds_read_b128 v[117:120], v112 offset:848
	s_mov_b32 s4, exec_lo
	s_waitcnt vmcnt(14) lgkmcnt(1)
	v_fma_f64 v[113:114], v[121:122], v[113:114], 0
	s_waitcnt vmcnt(12)
	v_fma_f64 v[113:114], v[123:124], v[115:116], v[113:114]
	s_waitcnt vmcnt(10) lgkmcnt(0)
	v_fma_f64 v[113:114], v[125:126], v[117:118], v[113:114]
	s_waitcnt vmcnt(8)
	v_fma_f64 v[117:118], v[127:128], v[119:120], v[113:114]
	ds_read_b128 v[113:116], v112 offset:864
	ds_read_b64 v[119:120], v112 offset:880
	s_waitcnt vmcnt(6) lgkmcnt(1)
	v_fma_f64 v[113:114], v[129:130], v[113:114], v[117:118]
	s_waitcnt vmcnt(4)
	v_fma_f64 v[113:114], v[131:132], v[115:116], v[113:114]
	s_waitcnt vmcnt(2) lgkmcnt(0)
	v_fma_f64 v[113:114], v[133:134], v[119:120], v[113:114]
	s_waitcnt vmcnt(0)
	v_add_f64 v[113:114], v[135:136], -v[113:114]
	buffer_store_dword v113, off, s[0:3], 0 offset:376
	buffer_store_dword v114, off, s[0:3], 0 offset:380
	v_cmpx_lt_u32_e32 46, v0
	s_cbranch_execz .LBB54_247
; %bb.246:
	s_clause 0x1
	buffer_load_dword v113, off, s[0:3], 0 offset:368
	buffer_load_dword v114, off, s[0:3], 0 offset:372
	buffer_store_dword v112, off, s[0:3], 0 offset:368
	buffer_store_dword v112, off, s[0:3], 0 offset:372
	s_waitcnt vmcnt(0)
	ds_write_b64 v111, v[113:114]
.LBB54_247:
	s_or_b32 exec_lo, exec_lo, s4
	s_waitcnt lgkmcnt(0)
	s_waitcnt_vscnt null, 0x0
	s_barrier
	buffer_gl0_inv
	s_clause 0x11
	buffer_load_dword v121, off, s[0:3], 0 offset:376
	buffer_load_dword v122, off, s[0:3], 0 offset:380
	;; [unrolled: 1-line block ×18, first 2 shown]
	ds_read2_b64 v[113:116], v112 offset0:103 offset1:104
	ds_read2_b64 v[117:120], v112 offset0:105 offset1:106
	s_mov_b32 s4, exec_lo
	s_waitcnt vmcnt(16) lgkmcnt(1)
	v_fma_f64 v[113:114], v[121:122], v[113:114], 0
	s_waitcnt vmcnt(14)
	v_fma_f64 v[113:114], v[123:124], v[115:116], v[113:114]
	s_waitcnt vmcnt(12) lgkmcnt(0)
	v_fma_f64 v[113:114], v[125:126], v[117:118], v[113:114]
	s_waitcnt vmcnt(10)
	v_fma_f64 v[121:122], v[127:128], v[119:120], v[113:114]
	ds_read2_b64 v[113:116], v112 offset0:107 offset1:108
	ds_read2_b64 v[117:120], v112 offset0:109 offset1:110
	s_waitcnt vmcnt(8) lgkmcnt(1)
	v_fma_f64 v[112:113], v[129:130], v[113:114], v[121:122]
	s_waitcnt vmcnt(6)
	v_fma_f64 v[112:113], v[131:132], v[115:116], v[112:113]
	s_waitcnt vmcnt(4) lgkmcnt(0)
	v_fma_f64 v[112:113], v[133:134], v[117:118], v[112:113]
	s_waitcnt vmcnt(2)
	v_fma_f64 v[112:113], v[135:136], v[119:120], v[112:113]
	s_waitcnt vmcnt(0)
	v_add_f64 v[112:113], v[137:138], -v[112:113]
	buffer_store_dword v112, off, s[0:3], 0 offset:368
	buffer_store_dword v113, off, s[0:3], 0 offset:372
	v_cmpx_lt_u32_e32 45, v0
	s_cbranch_execz .LBB54_249
; %bb.248:
	s_clause 0x1
	buffer_load_dword v112, off, s[0:3], 0 offset:360
	buffer_load_dword v113, off, s[0:3], 0 offset:364
	v_mov_b32_e32 v114, 0
	buffer_store_dword v114, off, s[0:3], 0 offset:360
	buffer_store_dword v114, off, s[0:3], 0 offset:364
	s_waitcnt vmcnt(0)
	ds_write_b64 v111, v[112:113]
.LBB54_249:
	s_or_b32 exec_lo, exec_lo, s4
	s_waitcnt lgkmcnt(0)
	s_waitcnt_vscnt null, 0x0
	s_barrier
	buffer_gl0_inv
	s_clause 0x13
	buffer_load_dword v121, off, s[0:3], 0 offset:368
	buffer_load_dword v122, off, s[0:3], 0 offset:372
	;; [unrolled: 1-line block ×20, first 2 shown]
	v_mov_b32_e32 v112, 0
	ds_read_b128 v[113:116], v112 offset:816
	ds_read_b128 v[117:120], v112 offset:832
	s_mov_b32 s4, exec_lo
	s_waitcnt vmcnt(18) lgkmcnt(1)
	v_fma_f64 v[113:114], v[121:122], v[113:114], 0
	s_waitcnt vmcnt(16)
	v_fma_f64 v[113:114], v[123:124], v[115:116], v[113:114]
	s_waitcnt vmcnt(14) lgkmcnt(0)
	v_fma_f64 v[113:114], v[125:126], v[117:118], v[113:114]
	s_waitcnt vmcnt(12)
	v_fma_f64 v[121:122], v[127:128], v[119:120], v[113:114]
	ds_read_b128 v[113:116], v112 offset:848
	ds_read_b128 v[117:120], v112 offset:864
	s_waitcnt vmcnt(10) lgkmcnt(1)
	v_fma_f64 v[113:114], v[129:130], v[113:114], v[121:122]
	s_waitcnt vmcnt(8)
	v_fma_f64 v[113:114], v[131:132], v[115:116], v[113:114]
	ds_read_b64 v[115:116], v112 offset:880
	s_waitcnt vmcnt(6) lgkmcnt(1)
	v_fma_f64 v[113:114], v[133:134], v[117:118], v[113:114]
	s_waitcnt vmcnt(3)
	v_fma_f64 v[113:114], v[135:136], v[119:120], v[113:114]
	s_waitcnt vmcnt(2) lgkmcnt(0)
	v_fma_f64 v[113:114], v[137:138], v[115:116], v[113:114]
	s_waitcnt vmcnt(0)
	v_add_f64 v[113:114], v[139:140], -v[113:114]
	buffer_store_dword v113, off, s[0:3], 0 offset:360
	buffer_store_dword v114, off, s[0:3], 0 offset:364
	v_cmpx_lt_u32_e32 44, v0
	s_cbranch_execz .LBB54_251
; %bb.250:
	s_clause 0x1
	buffer_load_dword v113, off, s[0:3], 0 offset:352
	buffer_load_dword v114, off, s[0:3], 0 offset:356
	buffer_store_dword v112, off, s[0:3], 0 offset:352
	buffer_store_dword v112, off, s[0:3], 0 offset:356
	s_waitcnt vmcnt(0)
	ds_write_b64 v111, v[113:114]
.LBB54_251:
	s_or_b32 exec_lo, exec_lo, s4
	s_waitcnt lgkmcnt(0)
	s_waitcnt_vscnt null, 0x0
	s_barrier
	buffer_gl0_inv
	s_clause 0x15
	buffer_load_dword v117, off, s[0:3], 0 offset:360
	buffer_load_dword v118, off, s[0:3], 0 offset:364
	buffer_load_dword v119, off, s[0:3], 0 offset:368
	buffer_load_dword v120, off, s[0:3], 0 offset:372
	buffer_load_dword v121, off, s[0:3], 0 offset:376
	buffer_load_dword v122, off, s[0:3], 0 offset:380
	buffer_load_dword v123, off, s[0:3], 0 offset:384
	buffer_load_dword v124, off, s[0:3], 0 offset:388
	buffer_load_dword v125, off, s[0:3], 0 offset:392
	buffer_load_dword v126, off, s[0:3], 0 offset:396
	buffer_load_dword v127, off, s[0:3], 0 offset:400
	buffer_load_dword v128, off, s[0:3], 0 offset:404
	buffer_load_dword v129, off, s[0:3], 0 offset:408
	buffer_load_dword v130, off, s[0:3], 0 offset:412
	buffer_load_dword v132, off, s[0:3], 0 offset:420
	buffer_load_dword v131, off, s[0:3], 0 offset:416
	buffer_load_dword v133, off, s[0:3], 0 offset:424
	buffer_load_dword v134, off, s[0:3], 0 offset:428
	buffer_load_dword v135, off, s[0:3], 0 offset:432
	buffer_load_dword v136, off, s[0:3], 0 offset:436
	buffer_load_dword v137, off, s[0:3], 0 offset:352
	buffer_load_dword v138, off, s[0:3], 0 offset:356
	ds_read2_b64 v[113:116], v112 offset0:101 offset1:102
	s_mov_b32 s4, exec_lo
	s_waitcnt vmcnt(20) lgkmcnt(0)
	v_fma_f64 v[113:114], v[117:118], v[113:114], 0
	s_waitcnt vmcnt(18)
	v_fma_f64 v[117:118], v[119:120], v[115:116], v[113:114]
	ds_read2_b64 v[113:116], v112 offset0:103 offset1:104
	s_waitcnt vmcnt(16) lgkmcnt(0)
	v_fma_f64 v[113:114], v[121:122], v[113:114], v[117:118]
	s_waitcnt vmcnt(14)
	v_fma_f64 v[117:118], v[123:124], v[115:116], v[113:114]
	ds_read2_b64 v[113:116], v112 offset0:105 offset1:106
	;; [unrolled: 5-line block ×4, first 2 shown]
	s_waitcnt vmcnt(4) lgkmcnt(0)
	v_fma_f64 v[112:113], v[133:134], v[112:113], v[116:117]
	s_waitcnt vmcnt(2)
	v_fma_f64 v[112:113], v[135:136], v[114:115], v[112:113]
	s_waitcnt vmcnt(0)
	v_add_f64 v[112:113], v[137:138], -v[112:113]
	buffer_store_dword v112, off, s[0:3], 0 offset:352
	buffer_store_dword v113, off, s[0:3], 0 offset:356
	v_cmpx_lt_u32_e32 43, v0
	s_cbranch_execz .LBB54_253
; %bb.252:
	s_clause 0x1
	buffer_load_dword v112, off, s[0:3], 0 offset:344
	buffer_load_dword v113, off, s[0:3], 0 offset:348
	v_mov_b32_e32 v114, 0
	buffer_store_dword v114, off, s[0:3], 0 offset:344
	buffer_store_dword v114, off, s[0:3], 0 offset:348
	s_waitcnt vmcnt(0)
	ds_write_b64 v111, v[112:113]
.LBB54_253:
	s_or_b32 exec_lo, exec_lo, s4
	s_waitcnt lgkmcnt(0)
	s_waitcnt_vscnt null, 0x0
	s_barrier
	buffer_gl0_inv
	s_clause 0x17
	buffer_load_dword v117, off, s[0:3], 0 offset:352
	buffer_load_dword v118, off, s[0:3], 0 offset:356
	;; [unrolled: 1-line block ×24, first 2 shown]
	v_mov_b32_e32 v112, 0
	s_mov_b32 s4, exec_lo
	ds_read_b128 v[113:116], v112 offset:800
	s_waitcnt vmcnt(22) lgkmcnt(0)
	v_fma_f64 v[113:114], v[117:118], v[113:114], 0
	s_waitcnt vmcnt(20)
	v_fma_f64 v[117:118], v[119:120], v[115:116], v[113:114]
	ds_read_b128 v[113:116], v112 offset:816
	s_waitcnt vmcnt(18) lgkmcnt(0)
	v_fma_f64 v[113:114], v[121:122], v[113:114], v[117:118]
	s_waitcnt vmcnt(16)
	v_fma_f64 v[117:118], v[123:124], v[115:116], v[113:114]
	;; [unrolled: 5-line block ×5, first 2 shown]
	ds_read_b64 v[115:116], v112 offset:880
	s_waitcnt vmcnt(2) lgkmcnt(0)
	v_fma_f64 v[113:114], v[137:138], v[115:116], v[113:114]
	s_waitcnt vmcnt(0)
	v_add_f64 v[113:114], v[139:140], -v[113:114]
	buffer_store_dword v114, off, s[0:3], 0 offset:348
	buffer_store_dword v113, off, s[0:3], 0 offset:344
	v_cmpx_lt_u32_e32 42, v0
	s_cbranch_execz .LBB54_255
; %bb.254:
	s_clause 0x1
	buffer_load_dword v113, off, s[0:3], 0 offset:336
	buffer_load_dword v114, off, s[0:3], 0 offset:340
	buffer_store_dword v112, off, s[0:3], 0 offset:336
	buffer_store_dword v112, off, s[0:3], 0 offset:340
	s_waitcnt vmcnt(0)
	ds_write_b64 v111, v[113:114]
.LBB54_255:
	s_or_b32 exec_lo, exec_lo, s4
	s_waitcnt lgkmcnt(0)
	s_waitcnt_vscnt null, 0x0
	s_barrier
	buffer_gl0_inv
	s_clause 0x19
	buffer_load_dword v117, off, s[0:3], 0 offset:344
	buffer_load_dword v118, off, s[0:3], 0 offset:348
	;; [unrolled: 1-line block ×26, first 2 shown]
	ds_read2_b64 v[113:116], v112 offset0:99 offset1:100
	s_mov_b32 s4, exec_lo
	s_waitcnt vmcnt(24) lgkmcnt(0)
	v_fma_f64 v[113:114], v[117:118], v[113:114], 0
	s_waitcnt vmcnt(22)
	v_fma_f64 v[117:118], v[119:120], v[115:116], v[113:114]
	ds_read2_b64 v[113:116], v112 offset0:101 offset1:102
	s_waitcnt vmcnt(20) lgkmcnt(0)
	v_fma_f64 v[113:114], v[121:122], v[113:114], v[117:118]
	s_waitcnt vmcnt(18)
	v_fma_f64 v[117:118], v[123:124], v[115:116], v[113:114]
	ds_read2_b64 v[113:116], v112 offset0:103 offset1:104
	;; [unrolled: 5-line block ×5, first 2 shown]
	s_waitcnt vmcnt(4) lgkmcnt(0)
	v_fma_f64 v[112:113], v[137:138], v[112:113], v[116:117]
	s_waitcnt vmcnt(2)
	v_fma_f64 v[112:113], v[139:140], v[114:115], v[112:113]
	s_waitcnt vmcnt(0)
	v_add_f64 v[112:113], v[141:142], -v[112:113]
	buffer_store_dword v113, off, s[0:3], 0 offset:340
	buffer_store_dword v112, off, s[0:3], 0 offset:336
	v_cmpx_lt_u32_e32 41, v0
	s_cbranch_execz .LBB54_257
; %bb.256:
	s_clause 0x1
	buffer_load_dword v112, off, s[0:3], 0 offset:328
	buffer_load_dword v113, off, s[0:3], 0 offset:332
	v_mov_b32_e32 v114, 0
	buffer_store_dword v114, off, s[0:3], 0 offset:328
	buffer_store_dword v114, off, s[0:3], 0 offset:332
	s_waitcnt vmcnt(0)
	ds_write_b64 v111, v[112:113]
.LBB54_257:
	s_or_b32 exec_lo, exec_lo, s4
	s_waitcnt lgkmcnt(0)
	s_waitcnt_vscnt null, 0x0
	s_barrier
	buffer_gl0_inv
	s_clause 0x1b
	buffer_load_dword v121, off, s[0:3], 0 offset:336
	buffer_load_dword v122, off, s[0:3], 0 offset:340
	;; [unrolled: 1-line block ×28, first 2 shown]
	v_mov_b32_e32 v112, 0
	ds_read_b128 v[113:116], v112 offset:784
	ds_read_b128 v[117:120], v112 offset:800
	s_mov_b32 s4, exec_lo
	s_waitcnt vmcnt(26) lgkmcnt(1)
	v_fma_f64 v[113:114], v[121:122], v[113:114], 0
	s_waitcnt vmcnt(24)
	v_fma_f64 v[113:114], v[123:124], v[115:116], v[113:114]
	s_waitcnt vmcnt(22) lgkmcnt(0)
	v_fma_f64 v[113:114], v[125:126], v[117:118], v[113:114]
	s_waitcnt vmcnt(20)
	v_fma_f64 v[121:122], v[127:128], v[119:120], v[113:114]
	ds_read_b128 v[113:116], v112 offset:816
	ds_read_b128 v[117:120], v112 offset:832
	s_waitcnt vmcnt(18) lgkmcnt(1)
	v_fma_f64 v[113:114], v[129:130], v[113:114], v[121:122]
	s_waitcnt vmcnt(16)
	v_fma_f64 v[113:114], v[131:132], v[115:116], v[113:114]
	s_waitcnt vmcnt(14) lgkmcnt(0)
	v_fma_f64 v[113:114], v[133:134], v[117:118], v[113:114]
	s_waitcnt vmcnt(9)
	v_fma_f64 v[121:122], v[135:136], v[119:120], v[113:114]
	ds_read_b128 v[113:116], v112 offset:848
	ds_read_b128 v[117:120], v112 offset:864
	s_waitcnt vmcnt(8) lgkmcnt(1)
	v_fma_f64 v[113:114], v[141:142], v[113:114], v[121:122]
	s_waitcnt vmcnt(7)
	v_fma_f64 v[113:114], v[139:140], v[115:116], v[113:114]
	ds_read_b64 v[115:116], v112 offset:880
	s_waitcnt vmcnt(6) lgkmcnt(1)
	v_fma_f64 v[113:114], v[137:138], v[117:118], v[113:114]
	s_waitcnt vmcnt(3)
	v_fma_f64 v[113:114], v[143:144], v[119:120], v[113:114]
	s_waitcnt vmcnt(2) lgkmcnt(0)
	v_fma_f64 v[113:114], v[145:146], v[115:116], v[113:114]
	s_waitcnt vmcnt(0)
	v_add_f64 v[113:114], v[147:148], -v[113:114]
	buffer_store_dword v114, off, s[0:3], 0 offset:332
	buffer_store_dword v113, off, s[0:3], 0 offset:328
	v_cmpx_lt_u32_e32 40, v0
	s_cbranch_execz .LBB54_259
; %bb.258:
	s_clause 0x1
	buffer_load_dword v113, off, s[0:3], 0 offset:320
	buffer_load_dword v114, off, s[0:3], 0 offset:324
	buffer_store_dword v112, off, s[0:3], 0 offset:320
	buffer_store_dword v112, off, s[0:3], 0 offset:324
	s_waitcnt vmcnt(0)
	ds_write_b64 v111, v[113:114]
.LBB54_259:
	s_or_b32 exec_lo, exec_lo, s4
	s_waitcnt lgkmcnt(0)
	s_waitcnt_vscnt null, 0x0
	s_barrier
	buffer_gl0_inv
	s_clause 0x1b
	buffer_load_dword v121, off, s[0:3], 0 offset:328
	buffer_load_dword v122, off, s[0:3], 0 offset:332
	buffer_load_dword v123, off, s[0:3], 0 offset:336
	buffer_load_dword v124, off, s[0:3], 0 offset:340
	buffer_load_dword v125, off, s[0:3], 0 offset:344
	buffer_load_dword v126, off, s[0:3], 0 offset:348
	buffer_load_dword v127, off, s[0:3], 0 offset:352
	buffer_load_dword v128, off, s[0:3], 0 offset:356
	buffer_load_dword v129, off, s[0:3], 0 offset:360
	buffer_load_dword v130, off, s[0:3], 0 offset:364
	buffer_load_dword v131, off, s[0:3], 0 offset:368
	buffer_load_dword v132, off, s[0:3], 0 offset:372
	buffer_load_dword v133, off, s[0:3], 0 offset:376
	buffer_load_dword v134, off, s[0:3], 0 offset:380
	buffer_load_dword v136, off, s[0:3], 0 offset:388
	buffer_load_dword v137, off, s[0:3], 0 offset:408
	buffer_load_dword v139, off, s[0:3], 0 offset:400
	buffer_load_dword v141, off, s[0:3], 0 offset:392
	buffer_load_dword v135, off, s[0:3], 0 offset:384
	buffer_load_dword v142, off, s[0:3], 0 offset:396
	buffer_load_dword v140, off, s[0:3], 0 offset:404
	buffer_load_dword v138, off, s[0:3], 0 offset:412
	buffer_load_dword v144, off, s[0:3], 0 offset:420
	buffer_load_dword v145, off, s[0:3], 0 offset:432
	buffer_load_dword v147, off, s[0:3], 0 offset:424
	buffer_load_dword v143, off, s[0:3], 0 offset:416
	buffer_load_dword v148, off, s[0:3], 0 offset:428
	buffer_load_dword v146, off, s[0:3], 0 offset:436
	ds_read2_b64 v[113:116], v112 offset0:97 offset1:98
	s_clause 0x1
	buffer_load_dword v149, off, s[0:3], 0 offset:320
	buffer_load_dword v150, off, s[0:3], 0 offset:324
	ds_read2_b64 v[117:120], v112 offset0:99 offset1:100
	s_mov_b32 s4, exec_lo
	s_waitcnt vmcnt(28) lgkmcnt(1)
	v_fma_f64 v[113:114], v[121:122], v[113:114], 0
	s_waitcnt vmcnt(26)
	v_fma_f64 v[113:114], v[123:124], v[115:116], v[113:114]
	s_waitcnt vmcnt(24) lgkmcnt(0)
	v_fma_f64 v[113:114], v[125:126], v[117:118], v[113:114]
	s_waitcnt vmcnt(22)
	v_fma_f64 v[121:122], v[127:128], v[119:120], v[113:114]
	ds_read2_b64 v[113:116], v112 offset0:101 offset1:102
	ds_read2_b64 v[117:120], v112 offset0:103 offset1:104
	s_waitcnt vmcnt(20) lgkmcnt(1)
	v_fma_f64 v[113:114], v[129:130], v[113:114], v[121:122]
	s_waitcnt vmcnt(18)
	v_fma_f64 v[113:114], v[131:132], v[115:116], v[113:114]
	s_waitcnt vmcnt(16) lgkmcnt(0)
	v_fma_f64 v[113:114], v[133:134], v[117:118], v[113:114]
	s_waitcnt vmcnt(11)
	v_fma_f64 v[121:122], v[135:136], v[119:120], v[113:114]
	ds_read2_b64 v[113:116], v112 offset0:105 offset1:106
	ds_read2_b64 v[117:120], v112 offset0:107 offset1:108
	s_waitcnt vmcnt(10) lgkmcnt(1)
	v_fma_f64 v[113:114], v[141:142], v[113:114], v[121:122]
	s_waitcnt vmcnt(9)
	v_fma_f64 v[113:114], v[139:140], v[115:116], v[113:114]
	s_waitcnt vmcnt(8) lgkmcnt(0)
	v_fma_f64 v[113:114], v[137:138], v[117:118], v[113:114]
	s_waitcnt vmcnt(4)
	v_fma_f64 v[116:117], v[143:144], v[119:120], v[113:114]
	ds_read2_b64 v[112:115], v112 offset0:109 offset1:110
	s_waitcnt vmcnt(3) lgkmcnt(0)
	v_fma_f64 v[112:113], v[147:148], v[112:113], v[116:117]
	s_waitcnt vmcnt(2)
	v_fma_f64 v[112:113], v[145:146], v[114:115], v[112:113]
	s_waitcnt vmcnt(0)
	v_add_f64 v[112:113], v[149:150], -v[112:113]
	buffer_store_dword v113, off, s[0:3], 0 offset:324
	buffer_store_dword v112, off, s[0:3], 0 offset:320
	v_cmpx_lt_u32_e32 39, v0
	s_cbranch_execz .LBB54_261
; %bb.260:
	s_clause 0x1
	buffer_load_dword v112, off, s[0:3], 0 offset:312
	buffer_load_dword v113, off, s[0:3], 0 offset:316
	v_mov_b32_e32 v114, 0
	buffer_store_dword v114, off, s[0:3], 0 offset:312
	buffer_store_dword v114, off, s[0:3], 0 offset:316
	s_waitcnt vmcnt(0)
	ds_write_b64 v111, v[112:113]
.LBB54_261:
	s_or_b32 exec_lo, exec_lo, s4
	s_waitcnt lgkmcnt(0)
	s_waitcnt_vscnt null, 0x0
	s_barrier
	buffer_gl0_inv
	s_clause 0x1c
	buffer_load_dword v121, off, s[0:3], 0 offset:320
	buffer_load_dword v122, off, s[0:3], 0 offset:324
	;; [unrolled: 1-line block ×29, first 2 shown]
	v_mov_b32_e32 v112, 0
	buffer_load_dword v146, off, s[0:3], 0 offset:436
	s_mov_b32 s4, exec_lo
	ds_read_b128 v[113:116], v112 offset:768
	ds_read_b128 v[117:120], v112 offset:784
	s_waitcnt vmcnt(28) lgkmcnt(1)
	v_fma_f64 v[113:114], v[121:122], v[113:114], 0
	s_clause 0x1
	buffer_load_dword v121, off, s[0:3], 0 offset:312
	buffer_load_dword v122, off, s[0:3], 0 offset:316
	s_waitcnt vmcnt(28)
	v_fma_f64 v[113:114], v[123:124], v[115:116], v[113:114]
	s_waitcnt vmcnt(26) lgkmcnt(0)
	v_fma_f64 v[113:114], v[125:126], v[117:118], v[113:114]
	s_waitcnt vmcnt(24)
	v_fma_f64 v[123:124], v[127:128], v[119:120], v[113:114]
	ds_read_b128 v[113:116], v112 offset:800
	ds_read_b128 v[117:120], v112 offset:816
	s_waitcnt vmcnt(22) lgkmcnt(1)
	v_fma_f64 v[113:114], v[129:130], v[113:114], v[123:124]
	s_waitcnt vmcnt(20)
	v_fma_f64 v[113:114], v[131:132], v[115:116], v[113:114]
	s_waitcnt vmcnt(18) lgkmcnt(0)
	v_fma_f64 v[113:114], v[133:134], v[117:118], v[113:114]
	s_waitcnt vmcnt(13)
	v_fma_f64 v[123:124], v[135:136], v[119:120], v[113:114]
	ds_read_b128 v[113:116], v112 offset:832
	ds_read_b128 v[117:120], v112 offset:848
	s_waitcnt vmcnt(12) lgkmcnt(1)
	v_fma_f64 v[113:114], v[141:142], v[113:114], v[123:124]
	s_waitcnt vmcnt(11)
	v_fma_f64 v[113:114], v[139:140], v[115:116], v[113:114]
	s_waitcnt vmcnt(10) lgkmcnt(0)
	v_fma_f64 v[113:114], v[137:138], v[117:118], v[113:114]
	s_waitcnt vmcnt(5)
	v_fma_f64 v[117:118], v[143:144], v[119:120], v[113:114]
	ds_read_b128 v[113:116], v112 offset:864
	ds_read_b64 v[119:120], v112 offset:880
	s_waitcnt vmcnt(4) lgkmcnt(1)
	v_fma_f64 v[113:114], v[149:150], v[113:114], v[117:118]
	s_waitcnt vmcnt(3)
	v_fma_f64 v[113:114], v[147:148], v[115:116], v[113:114]
	s_waitcnt vmcnt(2) lgkmcnt(0)
	v_fma_f64 v[113:114], v[145:146], v[119:120], v[113:114]
	s_waitcnt vmcnt(0)
	v_add_f64 v[113:114], v[121:122], -v[113:114]
	buffer_store_dword v114, off, s[0:3], 0 offset:316
	buffer_store_dword v113, off, s[0:3], 0 offset:312
	v_cmpx_lt_u32_e32 38, v0
	s_cbranch_execz .LBB54_263
; %bb.262:
	s_clause 0x1
	buffer_load_dword v113, off, s[0:3], 0 offset:304
	buffer_load_dword v114, off, s[0:3], 0 offset:308
	buffer_store_dword v112, off, s[0:3], 0 offset:304
	buffer_store_dword v112, off, s[0:3], 0 offset:308
	s_waitcnt vmcnt(0)
	ds_write_b64 v111, v[113:114]
.LBB54_263:
	s_or_b32 exec_lo, exec_lo, s4
	s_waitcnt lgkmcnt(0)
	s_waitcnt_vscnt null, 0x0
	s_barrier
	buffer_gl0_inv
	s_clause 0x1c
	buffer_load_dword v121, off, s[0:3], 0 offset:312
	buffer_load_dword v122, off, s[0:3], 0 offset:316
	;; [unrolled: 1-line block ×29, first 2 shown]
	ds_read2_b64 v[113:116], v112 offset0:95 offset1:96
	ds_read2_b64 v[117:120], v112 offset0:97 offset1:98
	buffer_load_dword v146, off, s[0:3], 0 offset:428
	s_mov_b32 s4, exec_lo
	s_waitcnt vmcnt(28) lgkmcnt(1)
	v_fma_f64 v[113:114], v[121:122], v[113:114], 0
	s_clause 0x1
	buffer_load_dword v122, off, s[0:3], 0 offset:436
	buffer_load_dword v121, off, s[0:3], 0 offset:432
	s_waitcnt vmcnt(28)
	v_fma_f64 v[113:114], v[123:124], v[115:116], v[113:114]
	s_clause 0x1
	buffer_load_dword v123, off, s[0:3], 0 offset:304
	buffer_load_dword v124, off, s[0:3], 0 offset:308
	s_waitcnt vmcnt(28) lgkmcnt(0)
	v_fma_f64 v[113:114], v[125:126], v[117:118], v[113:114]
	s_waitcnt vmcnt(26)
	v_fma_f64 v[125:126], v[127:128], v[119:120], v[113:114]
	ds_read2_b64 v[113:116], v112 offset0:99 offset1:100
	ds_read2_b64 v[117:120], v112 offset0:101 offset1:102
	s_waitcnt vmcnt(24) lgkmcnt(1)
	v_fma_f64 v[113:114], v[129:130], v[113:114], v[125:126]
	s_waitcnt vmcnt(22)
	v_fma_f64 v[113:114], v[131:132], v[115:116], v[113:114]
	s_waitcnt vmcnt(20) lgkmcnt(0)
	v_fma_f64 v[113:114], v[133:134], v[117:118], v[113:114]
	s_waitcnt vmcnt(15)
	v_fma_f64 v[125:126], v[135:136], v[119:120], v[113:114]
	ds_read2_b64 v[113:116], v112 offset0:103 offset1:104
	ds_read2_b64 v[117:120], v112 offset0:105 offset1:106
	s_waitcnt vmcnt(14) lgkmcnt(1)
	v_fma_f64 v[113:114], v[141:142], v[113:114], v[125:126]
	s_waitcnt vmcnt(13)
	v_fma_f64 v[113:114], v[139:140], v[115:116], v[113:114]
	;; [unrolled: 10-line block ×3, first 2 shown]
	s_waitcnt vmcnt(4) lgkmcnt(0)
	v_fma_f64 v[112:113], v[145:146], v[117:118], v[112:113]
	s_waitcnt vmcnt(2)
	v_fma_f64 v[112:113], v[121:122], v[119:120], v[112:113]
	s_waitcnt vmcnt(0)
	v_add_f64 v[112:113], v[123:124], -v[112:113]
	buffer_store_dword v113, off, s[0:3], 0 offset:308
	buffer_store_dword v112, off, s[0:3], 0 offset:304
	v_cmpx_lt_u32_e32 37, v0
	s_cbranch_execz .LBB54_265
; %bb.264:
	s_clause 0x1
	buffer_load_dword v112, off, s[0:3], 0 offset:296
	buffer_load_dword v113, off, s[0:3], 0 offset:300
	v_mov_b32_e32 v114, 0
	buffer_store_dword v114, off, s[0:3], 0 offset:296
	buffer_store_dword v114, off, s[0:3], 0 offset:300
	s_waitcnt vmcnt(0)
	ds_write_b64 v111, v[112:113]
.LBB54_265:
	s_or_b32 exec_lo, exec_lo, s4
	s_waitcnt lgkmcnt(0)
	s_waitcnt_vscnt null, 0x0
	s_barrier
	buffer_gl0_inv
	s_clause 0x1c
	buffer_load_dword v121, off, s[0:3], 0 offset:304
	buffer_load_dword v122, off, s[0:3], 0 offset:308
	;; [unrolled: 1-line block ×29, first 2 shown]
	v_mov_b32_e32 v112, 0
	buffer_load_dword v146, off, s[0:3], 0 offset:420
	s_mov_b32 s4, exec_lo
	ds_read_b128 v[113:116], v112 offset:752
	ds_read_b128 v[117:120], v112 offset:768
	s_waitcnt vmcnt(28) lgkmcnt(1)
	v_fma_f64 v[113:114], v[121:122], v[113:114], 0
	s_clause 0x3
	buffer_load_dword v122, off, s[0:3], 0 offset:428
	buffer_load_dword v151, off, s[0:3], 0 offset:432
	;; [unrolled: 1-line block ×4, first 2 shown]
	s_waitcnt vmcnt(30)
	v_fma_f64 v[113:114], v[123:124], v[115:116], v[113:114]
	s_clause 0x1
	buffer_load_dword v123, off, s[0:3], 0 offset:296
	buffer_load_dword v124, off, s[0:3], 0 offset:300
	s_waitcnt vmcnt(30) lgkmcnt(0)
	v_fma_f64 v[113:114], v[125:126], v[117:118], v[113:114]
	s_waitcnt vmcnt(28)
	v_fma_f64 v[125:126], v[127:128], v[119:120], v[113:114]
	ds_read_b128 v[113:116], v112 offset:784
	ds_read_b128 v[117:120], v112 offset:800
	s_waitcnt vmcnt(26) lgkmcnt(1)
	v_fma_f64 v[113:114], v[129:130], v[113:114], v[125:126]
	s_waitcnt vmcnt(24)
	v_fma_f64 v[113:114], v[131:132], v[115:116], v[113:114]
	s_waitcnt vmcnt(22) lgkmcnt(0)
	v_fma_f64 v[113:114], v[133:134], v[117:118], v[113:114]
	s_waitcnt vmcnt(17)
	v_fma_f64 v[125:126], v[135:136], v[119:120], v[113:114]
	ds_read_b128 v[113:116], v112 offset:816
	ds_read_b128 v[117:120], v112 offset:832
	s_waitcnt vmcnt(16) lgkmcnt(1)
	v_fma_f64 v[113:114], v[141:142], v[113:114], v[125:126]
	s_waitcnt vmcnt(15)
	v_fma_f64 v[113:114], v[139:140], v[115:116], v[113:114]
	;; [unrolled: 10-line block ×3, first 2 shown]
	ds_read_b64 v[115:116], v112 offset:880
	s_waitcnt vmcnt(6) lgkmcnt(1)
	v_fma_f64 v[113:114], v[145:146], v[117:118], v[113:114]
	s_waitcnt vmcnt(3)
	v_fma_f64 v[113:114], v[121:122], v[119:120], v[113:114]
	s_waitcnt vmcnt(2) lgkmcnt(0)
	v_fma_f64 v[113:114], v[151:152], v[115:116], v[113:114]
	s_waitcnt vmcnt(0)
	v_add_f64 v[113:114], v[123:124], -v[113:114]
	buffer_store_dword v114, off, s[0:3], 0 offset:300
	buffer_store_dword v113, off, s[0:3], 0 offset:296
	v_cmpx_lt_u32_e32 36, v0
	s_cbranch_execz .LBB54_267
; %bb.266:
	s_clause 0x1
	buffer_load_dword v113, off, s[0:3], 0 offset:288
	buffer_load_dword v114, off, s[0:3], 0 offset:292
	buffer_store_dword v112, off, s[0:3], 0 offset:288
	buffer_store_dword v112, off, s[0:3], 0 offset:292
	s_waitcnt vmcnt(0)
	ds_write_b64 v111, v[113:114]
.LBB54_267:
	s_or_b32 exec_lo, exec_lo, s4
	s_waitcnt lgkmcnt(0)
	s_waitcnt_vscnt null, 0x0
	s_barrier
	buffer_gl0_inv
	s_clause 0x1c
	buffer_load_dword v121, off, s[0:3], 0 offset:296
	buffer_load_dword v122, off, s[0:3], 0 offset:300
	;; [unrolled: 1-line block ×29, first 2 shown]
	ds_read2_b64 v[113:116], v112 offset0:93 offset1:94
	ds_read2_b64 v[117:120], v112 offset0:95 offset1:96
	buffer_load_dword v146, off, s[0:3], 0 offset:412
	s_mov_b32 s4, exec_lo
	s_waitcnt vmcnt(28) lgkmcnt(1)
	v_fma_f64 v[113:114], v[121:122], v[113:114], 0
	s_clause 0x5
	buffer_load_dword v122, off, s[0:3], 0 offset:420
	buffer_load_dword v151, off, s[0:3], 0 offset:432
	buffer_load_dword v153, off, s[0:3], 0 offset:424
	buffer_load_dword v121, off, s[0:3], 0 offset:416
	buffer_load_dword v154, off, s[0:3], 0 offset:428
	buffer_load_dword v152, off, s[0:3], 0 offset:436
	s_waitcnt vmcnt(32)
	v_fma_f64 v[113:114], v[123:124], v[115:116], v[113:114]
	s_waitcnt vmcnt(30) lgkmcnt(0)
	v_fma_f64 v[113:114], v[125:126], v[117:118], v[113:114]
	s_waitcnt vmcnt(28)
	v_fma_f64 v[123:124], v[127:128], v[119:120], v[113:114]
	ds_read2_b64 v[113:116], v112 offset0:97 offset1:98
	s_clause 0x1
	buffer_load_dword v125, off, s[0:3], 0 offset:288
	buffer_load_dword v126, off, s[0:3], 0 offset:292
	ds_read2_b64 v[117:120], v112 offset0:99 offset1:100
	s_waitcnt vmcnt(28) lgkmcnt(1)
	v_fma_f64 v[113:114], v[129:130], v[113:114], v[123:124]
	s_waitcnt vmcnt(26)
	v_fma_f64 v[113:114], v[131:132], v[115:116], v[113:114]
	s_waitcnt vmcnt(24) lgkmcnt(0)
	v_fma_f64 v[113:114], v[133:134], v[117:118], v[113:114]
	s_waitcnt vmcnt(19)
	v_fma_f64 v[123:124], v[135:136], v[119:120], v[113:114]
	ds_read2_b64 v[113:116], v112 offset0:101 offset1:102
	ds_read2_b64 v[117:120], v112 offset0:103 offset1:104
	s_waitcnt vmcnt(18) lgkmcnt(1)
	v_fma_f64 v[113:114], v[141:142], v[113:114], v[123:124]
	s_waitcnt vmcnt(17)
	v_fma_f64 v[113:114], v[139:140], v[115:116], v[113:114]
	s_waitcnt vmcnt(16) lgkmcnt(0)
	v_fma_f64 v[113:114], v[137:138], v[117:118], v[113:114]
	s_waitcnt vmcnt(11)
	v_fma_f64 v[123:124], v[143:144], v[119:120], v[113:114]
	ds_read2_b64 v[113:116], v112 offset0:105 offset1:106
	ds_read2_b64 v[117:120], v112 offset0:107 offset1:108
	s_waitcnt vmcnt(10) lgkmcnt(1)
	v_fma_f64 v[113:114], v[149:150], v[113:114], v[123:124]
	s_waitcnt vmcnt(9)
	v_fma_f64 v[113:114], v[147:148], v[115:116], v[113:114]
	s_waitcnt vmcnt(8) lgkmcnt(0)
	v_fma_f64 v[113:114], v[145:146], v[117:118], v[113:114]
	s_waitcnt vmcnt(4)
	v_fma_f64 v[116:117], v[121:122], v[119:120], v[113:114]
	ds_read2_b64 v[112:115], v112 offset0:109 offset1:110
	s_waitcnt vmcnt(3) lgkmcnt(0)
	v_fma_f64 v[112:113], v[153:154], v[112:113], v[116:117]
	s_waitcnt vmcnt(2)
	v_fma_f64 v[112:113], v[151:152], v[114:115], v[112:113]
	s_waitcnt vmcnt(0)
	v_add_f64 v[112:113], v[125:126], -v[112:113]
	buffer_store_dword v113, off, s[0:3], 0 offset:292
	buffer_store_dword v112, off, s[0:3], 0 offset:288
	v_cmpx_lt_u32_e32 35, v0
	s_cbranch_execz .LBB54_269
; %bb.268:
	s_clause 0x1
	buffer_load_dword v112, off, s[0:3], 0 offset:280
	buffer_load_dword v113, off, s[0:3], 0 offset:284
	v_mov_b32_e32 v114, 0
	buffer_store_dword v114, off, s[0:3], 0 offset:280
	buffer_store_dword v114, off, s[0:3], 0 offset:284
	s_waitcnt vmcnt(0)
	ds_write_b64 v111, v[112:113]
.LBB54_269:
	s_or_b32 exec_lo, exec_lo, s4
	s_waitcnt lgkmcnt(0)
	s_waitcnt_vscnt null, 0x0
	s_barrier
	buffer_gl0_inv
	s_clause 0x1c
	buffer_load_dword v121, off, s[0:3], 0 offset:288
	buffer_load_dword v122, off, s[0:3], 0 offset:292
	;; [unrolled: 1-line block ×29, first 2 shown]
	v_mov_b32_e32 v112, 0
	buffer_load_dword v146, off, s[0:3], 0 offset:404
	s_mov_b32 s4, exec_lo
	ds_read_b128 v[113:116], v112 offset:736
	ds_read_b128 v[117:120], v112 offset:752
	s_waitcnt vmcnt(28) lgkmcnt(1)
	v_fma_f64 v[113:114], v[121:122], v[113:114], 0
	s_clause 0x7
	buffer_load_dword v122, off, s[0:3], 0 offset:412
	buffer_load_dword v151, off, s[0:3], 0 offset:432
	;; [unrolled: 1-line block ×8, first 2 shown]
	s_waitcnt vmcnt(34)
	v_fma_f64 v[113:114], v[123:124], v[115:116], v[113:114]
	s_waitcnt vmcnt(32) lgkmcnt(0)
	v_fma_f64 v[113:114], v[125:126], v[117:118], v[113:114]
	s_waitcnt vmcnt(30)
	v_fma_f64 v[123:124], v[127:128], v[119:120], v[113:114]
	ds_read_b128 v[113:116], v112 offset:768
	ds_read_b128 v[117:120], v112 offset:784
	s_waitcnt vmcnt(28) lgkmcnt(1)
	v_fma_f64 v[113:114], v[129:130], v[113:114], v[123:124]
	s_clause 0x1
	buffer_load_dword v123, off, s[0:3], 0 offset:280
	buffer_load_dword v124, off, s[0:3], 0 offset:284
	s_waitcnt vmcnt(28)
	v_fma_f64 v[113:114], v[131:132], v[115:116], v[113:114]
	s_waitcnt vmcnt(26) lgkmcnt(0)
	v_fma_f64 v[113:114], v[133:134], v[117:118], v[113:114]
	s_waitcnt vmcnt(21)
	v_fma_f64 v[125:126], v[135:136], v[119:120], v[113:114]
	ds_read_b128 v[113:116], v112 offset:800
	ds_read_b128 v[117:120], v112 offset:816
	s_waitcnt vmcnt(20) lgkmcnt(1)
	v_fma_f64 v[113:114], v[141:142], v[113:114], v[125:126]
	s_waitcnt vmcnt(19)
	v_fma_f64 v[113:114], v[139:140], v[115:116], v[113:114]
	s_waitcnt vmcnt(18) lgkmcnt(0)
	v_fma_f64 v[113:114], v[137:138], v[117:118], v[113:114]
	s_waitcnt vmcnt(13)
	v_fma_f64 v[125:126], v[143:144], v[119:120], v[113:114]
	ds_read_b128 v[113:116], v112 offset:832
	ds_read_b128 v[117:120], v112 offset:848
	s_waitcnt vmcnt(12) lgkmcnt(1)
	v_fma_f64 v[113:114], v[149:150], v[113:114], v[125:126]
	s_waitcnt vmcnt(11)
	v_fma_f64 v[113:114], v[147:148], v[115:116], v[113:114]
	s_waitcnt vmcnt(10) lgkmcnt(0)
	v_fma_f64 v[113:114], v[145:146], v[117:118], v[113:114]
	s_waitcnt vmcnt(5)
	v_fma_f64 v[117:118], v[121:122], v[119:120], v[113:114]
	ds_read_b128 v[113:116], v112 offset:864
	ds_read_b64 v[119:120], v112 offset:880
	s_waitcnt vmcnt(4) lgkmcnt(1)
	v_fma_f64 v[113:114], v[155:156], v[113:114], v[117:118]
	s_waitcnt vmcnt(3)
	v_fma_f64 v[113:114], v[153:154], v[115:116], v[113:114]
	s_waitcnt vmcnt(2) lgkmcnt(0)
	v_fma_f64 v[113:114], v[151:152], v[119:120], v[113:114]
	s_waitcnt vmcnt(0)
	v_add_f64 v[113:114], v[123:124], -v[113:114]
	buffer_store_dword v114, off, s[0:3], 0 offset:284
	buffer_store_dword v113, off, s[0:3], 0 offset:280
	v_cmpx_lt_u32_e32 34, v0
	s_cbranch_execz .LBB54_271
; %bb.270:
	s_clause 0x1
	buffer_load_dword v113, off, s[0:3], 0 offset:272
	buffer_load_dword v114, off, s[0:3], 0 offset:276
	buffer_store_dword v112, off, s[0:3], 0 offset:272
	buffer_store_dword v112, off, s[0:3], 0 offset:276
	s_waitcnt vmcnt(0)
	ds_write_b64 v111, v[113:114]
.LBB54_271:
	s_or_b32 exec_lo, exec_lo, s4
	s_waitcnt lgkmcnt(0)
	s_waitcnt_vscnt null, 0x0
	s_barrier
	buffer_gl0_inv
	s_clause 0x1c
	buffer_load_dword v121, off, s[0:3], 0 offset:280
	buffer_load_dword v122, off, s[0:3], 0 offset:284
	;; [unrolled: 1-line block ×29, first 2 shown]
	ds_read2_b64 v[113:116], v112 offset0:91 offset1:92
	ds_read2_b64 v[117:120], v112 offset0:93 offset1:94
	buffer_load_dword v146, off, s[0:3], 0 offset:396
	s_mov_b32 s4, exec_lo
	s_waitcnt vmcnt(28) lgkmcnt(1)
	v_fma_f64 v[113:114], v[121:122], v[113:114], 0
	s_clause 0x7
	buffer_load_dword v122, off, s[0:3], 0 offset:404
	buffer_load_dword v151, off, s[0:3], 0 offset:424
	;; [unrolled: 1-line block ×8, first 2 shown]
	s_waitcnt vmcnt(34)
	v_fma_f64 v[113:114], v[123:124], v[115:116], v[113:114]
	s_waitcnt vmcnt(32) lgkmcnt(0)
	v_fma_f64 v[113:114], v[125:126], v[117:118], v[113:114]
	s_waitcnt vmcnt(30)
	v_fma_f64 v[123:124], v[127:128], v[119:120], v[113:114]
	ds_read2_b64 v[113:116], v112 offset0:95 offset1:96
	ds_read2_b64 v[117:120], v112 offset0:97 offset1:98
	s_waitcnt vmcnt(28) lgkmcnt(1)
	v_fma_f64 v[113:114], v[129:130], v[113:114], v[123:124]
	s_clause 0x3
	buffer_load_dword v124, off, s[0:3], 0 offset:436
	buffer_load_dword v123, off, s[0:3], 0 offset:432
	;; [unrolled: 1-line block ×4, first 2 shown]
	s_waitcnt vmcnt(30)
	v_fma_f64 v[113:114], v[131:132], v[115:116], v[113:114]
	s_waitcnt vmcnt(28) lgkmcnt(0)
	v_fma_f64 v[113:114], v[133:134], v[117:118], v[113:114]
	s_waitcnt vmcnt(23)
	v_fma_f64 v[127:128], v[135:136], v[119:120], v[113:114]
	ds_read2_b64 v[113:116], v112 offset0:99 offset1:100
	ds_read2_b64 v[117:120], v112 offset0:101 offset1:102
	s_waitcnt vmcnt(22) lgkmcnt(1)
	v_fma_f64 v[113:114], v[141:142], v[113:114], v[127:128]
	s_waitcnt vmcnt(21)
	v_fma_f64 v[113:114], v[139:140], v[115:116], v[113:114]
	s_waitcnt vmcnt(20) lgkmcnt(0)
	v_fma_f64 v[113:114], v[137:138], v[117:118], v[113:114]
	s_waitcnt vmcnt(15)
	v_fma_f64 v[127:128], v[143:144], v[119:120], v[113:114]
	ds_read2_b64 v[113:116], v112 offset0:103 offset1:104
	ds_read2_b64 v[117:120], v112 offset0:105 offset1:106
	s_waitcnt vmcnt(14) lgkmcnt(1)
	v_fma_f64 v[113:114], v[149:150], v[113:114], v[127:128]
	;; [unrolled: 10-line block ×3, first 2 shown]
	s_waitcnt vmcnt(5)
	v_fma_f64 v[112:113], v[153:154], v[115:116], v[112:113]
	s_waitcnt vmcnt(4) lgkmcnt(0)
	v_fma_f64 v[112:113], v[151:152], v[117:118], v[112:113]
	s_waitcnt vmcnt(2)
	v_fma_f64 v[112:113], v[123:124], v[119:120], v[112:113]
	s_waitcnt vmcnt(0)
	v_add_f64 v[112:113], v[125:126], -v[112:113]
	buffer_store_dword v113, off, s[0:3], 0 offset:276
	buffer_store_dword v112, off, s[0:3], 0 offset:272
	v_cmpx_lt_u32_e32 33, v0
	s_cbranch_execz .LBB54_273
; %bb.272:
	s_clause 0x1
	buffer_load_dword v112, off, s[0:3], 0 offset:264
	buffer_load_dword v113, off, s[0:3], 0 offset:268
	v_mov_b32_e32 v114, 0
	buffer_store_dword v114, off, s[0:3], 0 offset:264
	buffer_store_dword v114, off, s[0:3], 0 offset:268
	s_waitcnt vmcnt(0)
	ds_write_b64 v111, v[112:113]
.LBB54_273:
	s_or_b32 exec_lo, exec_lo, s4
	s_waitcnt lgkmcnt(0)
	s_waitcnt_vscnt null, 0x0
	s_barrier
	buffer_gl0_inv
	s_clause 0x1c
	buffer_load_dword v121, off, s[0:3], 0 offset:272
	buffer_load_dword v122, off, s[0:3], 0 offset:276
	;; [unrolled: 1-line block ×29, first 2 shown]
	v_mov_b32_e32 v112, 0
	buffer_load_dword v146, off, s[0:3], 0 offset:388
	s_mov_b32 s4, exec_lo
	ds_read_b128 v[113:116], v112 offset:720
	ds_read_b128 v[117:120], v112 offset:736
	s_waitcnt vmcnt(28) lgkmcnt(1)
	v_fma_f64 v[113:114], v[121:122], v[113:114], 0
	s_clause 0x7
	buffer_load_dword v122, off, s[0:3], 0 offset:396
	buffer_load_dword v151, off, s[0:3], 0 offset:416
	;; [unrolled: 1-line block ×8, first 2 shown]
	s_waitcnt vmcnt(34)
	v_fma_f64 v[113:114], v[123:124], v[115:116], v[113:114]
	s_waitcnt vmcnt(32) lgkmcnt(0)
	v_fma_f64 v[113:114], v[125:126], v[117:118], v[113:114]
	s_waitcnt vmcnt(30)
	v_fma_f64 v[123:124], v[127:128], v[119:120], v[113:114]
	ds_read_b128 v[113:116], v112 offset:752
	ds_read_b128 v[117:120], v112 offset:768
	s_waitcnt vmcnt(28) lgkmcnt(1)
	v_fma_f64 v[113:114], v[129:130], v[113:114], v[123:124]
	s_clause 0x5
	buffer_load_dword v124, off, s[0:3], 0 offset:428
	buffer_load_dword v125, off, s[0:3], 0 offset:432
	;; [unrolled: 1-line block ×6, first 2 shown]
	s_waitcnt vmcnt(32)
	v_fma_f64 v[113:114], v[131:132], v[115:116], v[113:114]
	s_waitcnt vmcnt(30) lgkmcnt(0)
	v_fma_f64 v[113:114], v[133:134], v[117:118], v[113:114]
	s_waitcnt vmcnt(25)
	v_fma_f64 v[129:130], v[135:136], v[119:120], v[113:114]
	ds_read_b128 v[113:116], v112 offset:784
	ds_read_b128 v[117:120], v112 offset:800
	s_waitcnt vmcnt(24) lgkmcnt(1)
	v_fma_f64 v[113:114], v[141:142], v[113:114], v[129:130]
	s_waitcnt vmcnt(23)
	v_fma_f64 v[113:114], v[139:140], v[115:116], v[113:114]
	s_waitcnt vmcnt(22) lgkmcnt(0)
	v_fma_f64 v[113:114], v[137:138], v[117:118], v[113:114]
	s_waitcnt vmcnt(17)
	v_fma_f64 v[129:130], v[143:144], v[119:120], v[113:114]
	ds_read_b128 v[113:116], v112 offset:816
	ds_read_b128 v[117:120], v112 offset:832
	s_waitcnt vmcnt(16) lgkmcnt(1)
	v_fma_f64 v[113:114], v[149:150], v[113:114], v[129:130]
	;; [unrolled: 10-line block ×3, first 2 shown]
	s_waitcnt vmcnt(7)
	v_fma_f64 v[113:114], v[153:154], v[115:116], v[113:114]
	ds_read_b64 v[115:116], v112 offset:880
	s_waitcnt vmcnt(6) lgkmcnt(1)
	v_fma_f64 v[113:114], v[151:152], v[117:118], v[113:114]
	s_waitcnt vmcnt(3)
	v_fma_f64 v[113:114], v[123:124], v[119:120], v[113:114]
	s_waitcnt vmcnt(2) lgkmcnt(0)
	v_fma_f64 v[113:114], v[125:126], v[115:116], v[113:114]
	s_waitcnt vmcnt(0)
	v_add_f64 v[113:114], v[127:128], -v[113:114]
	buffer_store_dword v114, off, s[0:3], 0 offset:268
	buffer_store_dword v113, off, s[0:3], 0 offset:264
	v_cmpx_lt_u32_e32 32, v0
	s_cbranch_execz .LBB54_275
; %bb.274:
	s_clause 0x1
	buffer_load_dword v113, off, s[0:3], 0 offset:256
	buffer_load_dword v114, off, s[0:3], 0 offset:260
	buffer_store_dword v112, off, s[0:3], 0 offset:256
	buffer_store_dword v112, off, s[0:3], 0 offset:260
	s_waitcnt vmcnt(0)
	ds_write_b64 v111, v[113:114]
.LBB54_275:
	s_or_b32 exec_lo, exec_lo, s4
	s_waitcnt lgkmcnt(0)
	s_waitcnt_vscnt null, 0x0
	s_barrier
	buffer_gl0_inv
	s_clause 0x1c
	buffer_load_dword v121, off, s[0:3], 0 offset:264
	buffer_load_dword v122, off, s[0:3], 0 offset:268
	;; [unrolled: 1-line block ×29, first 2 shown]
	ds_read2_b64 v[113:116], v112 offset0:89 offset1:90
	ds_read2_b64 v[117:120], v112 offset0:91 offset1:92
	buffer_load_dword v146, off, s[0:3], 0 offset:380
	s_mov_b32 s4, exec_lo
	s_waitcnt vmcnt(28) lgkmcnt(1)
	v_fma_f64 v[113:114], v[121:122], v[113:114], 0
	s_clause 0x7
	buffer_load_dword v122, off, s[0:3], 0 offset:388
	buffer_load_dword v151, off, s[0:3], 0 offset:408
	;; [unrolled: 1-line block ×8, first 2 shown]
	s_waitcnt vmcnt(34)
	v_fma_f64 v[113:114], v[123:124], v[115:116], v[113:114]
	s_waitcnt vmcnt(32) lgkmcnt(0)
	v_fma_f64 v[113:114], v[125:126], v[117:118], v[113:114]
	s_waitcnt vmcnt(30)
	v_fma_f64 v[123:124], v[127:128], v[119:120], v[113:114]
	ds_read2_b64 v[113:116], v112 offset0:93 offset1:94
	ds_read2_b64 v[117:120], v112 offset0:95 offset1:96
	s_waitcnt vmcnt(28) lgkmcnt(1)
	v_fma_f64 v[113:114], v[129:130], v[113:114], v[123:124]
	s_clause 0x5
	buffer_load_dword v124, off, s[0:3], 0 offset:420
	buffer_load_dword v125, off, s[0:3], 0 offset:432
	;; [unrolled: 1-line block ×6, first 2 shown]
	s_waitcnt vmcnt(32)
	v_fma_f64 v[113:114], v[131:132], v[115:116], v[113:114]
	s_waitcnt vmcnt(30) lgkmcnt(0)
	v_fma_f64 v[113:114], v[133:134], v[117:118], v[113:114]
	s_waitcnt vmcnt(25)
	v_fma_f64 v[129:130], v[135:136], v[119:120], v[113:114]
	ds_read2_b64 v[113:116], v112 offset0:97 offset1:98
	s_clause 0x1
	buffer_load_dword v131, off, s[0:3], 0 offset:256
	buffer_load_dword v132, off, s[0:3], 0 offset:260
	ds_read2_b64 v[117:120], v112 offset0:99 offset1:100
	s_waitcnt vmcnt(26) lgkmcnt(1)
	v_fma_f64 v[113:114], v[141:142], v[113:114], v[129:130]
	s_waitcnt vmcnt(25)
	v_fma_f64 v[113:114], v[139:140], v[115:116], v[113:114]
	s_waitcnt vmcnt(24) lgkmcnt(0)
	v_fma_f64 v[113:114], v[137:138], v[117:118], v[113:114]
	s_waitcnt vmcnt(19)
	v_fma_f64 v[129:130], v[143:144], v[119:120], v[113:114]
	ds_read2_b64 v[113:116], v112 offset0:101 offset1:102
	ds_read2_b64 v[117:120], v112 offset0:103 offset1:104
	s_waitcnt vmcnt(18) lgkmcnt(1)
	v_fma_f64 v[113:114], v[149:150], v[113:114], v[129:130]
	s_waitcnt vmcnt(17)
	v_fma_f64 v[113:114], v[147:148], v[115:116], v[113:114]
	s_waitcnt vmcnt(16) lgkmcnt(0)
	v_fma_f64 v[113:114], v[145:146], v[117:118], v[113:114]
	s_waitcnt vmcnt(11)
	v_fma_f64 v[121:122], v[121:122], v[119:120], v[113:114]
	ds_read2_b64 v[113:116], v112 offset0:105 offset1:106
	;; [unrolled: 10-line block ×3, first 2 shown]
	s_waitcnt vmcnt(3) lgkmcnt(0)
	v_fma_f64 v[112:113], v[127:128], v[112:113], v[116:117]
	s_waitcnt vmcnt(2)
	v_fma_f64 v[112:113], v[125:126], v[114:115], v[112:113]
	s_waitcnt vmcnt(0)
	v_add_f64 v[112:113], v[131:132], -v[112:113]
	buffer_store_dword v113, off, s[0:3], 0 offset:260
	buffer_store_dword v112, off, s[0:3], 0 offset:256
	v_cmpx_lt_u32_e32 31, v0
	s_cbranch_execz .LBB54_277
; %bb.276:
	s_clause 0x1
	buffer_load_dword v112, off, s[0:3], 0 offset:248
	buffer_load_dword v113, off, s[0:3], 0 offset:252
	v_mov_b32_e32 v114, 0
	buffer_store_dword v114, off, s[0:3], 0 offset:248
	buffer_store_dword v114, off, s[0:3], 0 offset:252
	s_waitcnt vmcnt(0)
	ds_write_b64 v111, v[112:113]
.LBB54_277:
	s_or_b32 exec_lo, exec_lo, s4
	s_waitcnt lgkmcnt(0)
	s_waitcnt_vscnt null, 0x0
	s_barrier
	buffer_gl0_inv
	s_clause 0x1c
	buffer_load_dword v121, off, s[0:3], 0 offset:256
	buffer_load_dword v122, off, s[0:3], 0 offset:260
	;; [unrolled: 1-line block ×29, first 2 shown]
	v_mov_b32_e32 v112, 0
	buffer_load_dword v146, off, s[0:3], 0 offset:372
	s_mov_b32 s4, exec_lo
	ds_read_b128 v[113:116], v112 offset:704
	ds_read_b128 v[117:120], v112 offset:720
	s_waitcnt vmcnt(28) lgkmcnt(1)
	v_fma_f64 v[113:114], v[121:122], v[113:114], 0
	s_clause 0x7
	buffer_load_dword v122, off, s[0:3], 0 offset:380
	buffer_load_dword v151, off, s[0:3], 0 offset:400
	buffer_load_dword v153, off, s[0:3], 0 offset:392
	buffer_load_dword v155, off, s[0:3], 0 offset:384
	buffer_load_dword v121, off, s[0:3], 0 offset:376
	buffer_load_dword v156, off, s[0:3], 0 offset:388
	buffer_load_dword v154, off, s[0:3], 0 offset:396
	buffer_load_dword v152, off, s[0:3], 0 offset:404
	s_waitcnt vmcnt(34)
	v_fma_f64 v[113:114], v[123:124], v[115:116], v[113:114]
	s_waitcnt vmcnt(32) lgkmcnt(0)
	v_fma_f64 v[113:114], v[125:126], v[117:118], v[113:114]
	s_waitcnt vmcnt(30)
	v_fma_f64 v[123:124], v[127:128], v[119:120], v[113:114]
	ds_read_b128 v[113:116], v112 offset:736
	ds_read_b128 v[117:120], v112 offset:752
	s_waitcnt vmcnt(28) lgkmcnt(1)
	v_fma_f64 v[113:114], v[129:130], v[113:114], v[123:124]
	s_clause 0x7
	buffer_load_dword v124, off, s[0:3], 0 offset:412
	buffer_load_dword v125, off, s[0:3], 0 offset:432
	;; [unrolled: 1-line block ×8, first 2 shown]
	s_waitcnt vmcnt(34)
	v_fma_f64 v[113:114], v[131:132], v[115:116], v[113:114]
	s_waitcnt vmcnt(32) lgkmcnt(0)
	v_fma_f64 v[113:114], v[133:134], v[117:118], v[113:114]
	s_waitcnt vmcnt(27)
	v_fma_f64 v[131:132], v[135:136], v[119:120], v[113:114]
	ds_read_b128 v[113:116], v112 offset:768
	ds_read_b128 v[117:120], v112 offset:784
	s_waitcnt vmcnt(26) lgkmcnt(1)
	v_fma_f64 v[113:114], v[141:142], v[113:114], v[131:132]
	s_clause 0x1
	buffer_load_dword v131, off, s[0:3], 0 offset:248
	buffer_load_dword v132, off, s[0:3], 0 offset:252
	s_waitcnt vmcnt(27)
	v_fma_f64 v[113:114], v[139:140], v[115:116], v[113:114]
	s_waitcnt vmcnt(26) lgkmcnt(0)
	v_fma_f64 v[113:114], v[137:138], v[117:118], v[113:114]
	s_waitcnt vmcnt(21)
	v_fma_f64 v[133:134], v[143:144], v[119:120], v[113:114]
	ds_read_b128 v[113:116], v112 offset:800
	ds_read_b128 v[117:120], v112 offset:816
	s_waitcnt vmcnt(20) lgkmcnt(1)
	v_fma_f64 v[113:114], v[149:150], v[113:114], v[133:134]
	s_waitcnt vmcnt(19)
	v_fma_f64 v[113:114], v[147:148], v[115:116], v[113:114]
	s_waitcnt vmcnt(18) lgkmcnt(0)
	v_fma_f64 v[113:114], v[145:146], v[117:118], v[113:114]
	s_waitcnt vmcnt(13)
	v_fma_f64 v[121:122], v[121:122], v[119:120], v[113:114]
	ds_read_b128 v[113:116], v112 offset:832
	ds_read_b128 v[117:120], v112 offset:848
	s_waitcnt vmcnt(12) lgkmcnt(1)
	v_fma_f64 v[113:114], v[155:156], v[113:114], v[121:122]
	s_waitcnt vmcnt(11)
	v_fma_f64 v[113:114], v[153:154], v[115:116], v[113:114]
	s_waitcnt vmcnt(10) lgkmcnt(0)
	v_fma_f64 v[113:114], v[151:152], v[117:118], v[113:114]
	s_waitcnt vmcnt(5)
	v_fma_f64 v[117:118], v[123:124], v[119:120], v[113:114]
	ds_read_b128 v[113:116], v112 offset:864
	ds_read_b64 v[119:120], v112 offset:880
	s_waitcnt vmcnt(4) lgkmcnt(1)
	v_fma_f64 v[113:114], v[129:130], v[113:114], v[117:118]
	s_waitcnt vmcnt(3)
	v_fma_f64 v[113:114], v[127:128], v[115:116], v[113:114]
	s_waitcnt vmcnt(2) lgkmcnt(0)
	v_fma_f64 v[113:114], v[125:126], v[119:120], v[113:114]
	s_waitcnt vmcnt(0)
	v_add_f64 v[113:114], v[131:132], -v[113:114]
	buffer_store_dword v114, off, s[0:3], 0 offset:252
	buffer_store_dword v113, off, s[0:3], 0 offset:248
	v_cmpx_lt_u32_e32 30, v0
	s_cbranch_execz .LBB54_279
; %bb.278:
	s_clause 0x1
	buffer_load_dword v113, off, s[0:3], 0 offset:240
	buffer_load_dword v114, off, s[0:3], 0 offset:244
	buffer_store_dword v112, off, s[0:3], 0 offset:240
	buffer_store_dword v112, off, s[0:3], 0 offset:244
	s_waitcnt vmcnt(0)
	ds_write_b64 v111, v[113:114]
.LBB54_279:
	s_or_b32 exec_lo, exec_lo, s4
	s_waitcnt lgkmcnt(0)
	s_waitcnt_vscnt null, 0x0
	s_barrier
	buffer_gl0_inv
	s_clause 0x1c
	buffer_load_dword v121, off, s[0:3], 0 offset:248
	buffer_load_dword v122, off, s[0:3], 0 offset:252
	;; [unrolled: 1-line block ×29, first 2 shown]
	ds_read2_b64 v[113:116], v112 offset0:87 offset1:88
	ds_read2_b64 v[117:120], v112 offset0:89 offset1:90
	buffer_load_dword v146, off, s[0:3], 0 offset:364
	s_mov_b32 s4, exec_lo
	s_waitcnt vmcnt(28) lgkmcnt(1)
	v_fma_f64 v[113:114], v[121:122], v[113:114], 0
	s_clause 0x7
	buffer_load_dword v122, off, s[0:3], 0 offset:372
	buffer_load_dword v151, off, s[0:3], 0 offset:392
	;; [unrolled: 1-line block ×8, first 2 shown]
	s_waitcnt vmcnt(34)
	v_fma_f64 v[113:114], v[123:124], v[115:116], v[113:114]
	s_waitcnt vmcnt(32) lgkmcnt(0)
	v_fma_f64 v[113:114], v[125:126], v[117:118], v[113:114]
	s_waitcnt vmcnt(30)
	v_fma_f64 v[123:124], v[127:128], v[119:120], v[113:114]
	ds_read2_b64 v[113:116], v112 offset0:91 offset1:92
	ds_read2_b64 v[117:120], v112 offset0:93 offset1:94
	s_waitcnt vmcnt(28) lgkmcnt(1)
	v_fma_f64 v[113:114], v[129:130], v[113:114], v[123:124]
	s_clause 0x7
	buffer_load_dword v124, off, s[0:3], 0 offset:404
	buffer_load_dword v125, off, s[0:3], 0 offset:424
	;; [unrolled: 1-line block ×8, first 2 shown]
	s_waitcnt vmcnt(34)
	v_fma_f64 v[113:114], v[131:132], v[115:116], v[113:114]
	s_waitcnt vmcnt(32) lgkmcnt(0)
	v_fma_f64 v[113:114], v[133:134], v[117:118], v[113:114]
	s_waitcnt vmcnt(27)
	v_fma_f64 v[131:132], v[135:136], v[119:120], v[113:114]
	ds_read2_b64 v[113:116], v112 offset0:95 offset1:96
	ds_read2_b64 v[117:120], v112 offset0:97 offset1:98
	s_waitcnt vmcnt(26) lgkmcnt(1)
	v_fma_f64 v[113:114], v[141:142], v[113:114], v[131:132]
	s_clause 0x3
	buffer_load_dword v132, off, s[0:3], 0 offset:436
	buffer_load_dword v131, off, s[0:3], 0 offset:432
	;; [unrolled: 1-line block ×4, first 2 shown]
	s_waitcnt vmcnt(29)
	v_fma_f64 v[113:114], v[139:140], v[115:116], v[113:114]
	s_waitcnt vmcnt(28) lgkmcnt(0)
	v_fma_f64 v[113:114], v[137:138], v[117:118], v[113:114]
	s_waitcnt vmcnt(23)
	v_fma_f64 v[135:136], v[143:144], v[119:120], v[113:114]
	ds_read2_b64 v[113:116], v112 offset0:99 offset1:100
	ds_read2_b64 v[117:120], v112 offset0:101 offset1:102
	s_waitcnt vmcnt(22) lgkmcnt(1)
	v_fma_f64 v[113:114], v[149:150], v[113:114], v[135:136]
	s_waitcnt vmcnt(21)
	v_fma_f64 v[113:114], v[147:148], v[115:116], v[113:114]
	s_waitcnt vmcnt(20) lgkmcnt(0)
	v_fma_f64 v[113:114], v[145:146], v[117:118], v[113:114]
	s_waitcnt vmcnt(15)
	v_fma_f64 v[121:122], v[121:122], v[119:120], v[113:114]
	ds_read2_b64 v[113:116], v112 offset0:103 offset1:104
	ds_read2_b64 v[117:120], v112 offset0:105 offset1:106
	s_waitcnt vmcnt(14) lgkmcnt(1)
	v_fma_f64 v[113:114], v[155:156], v[113:114], v[121:122]
	;; [unrolled: 10-line block ×3, first 2 shown]
	s_waitcnt vmcnt(5)
	v_fma_f64 v[112:113], v[127:128], v[115:116], v[112:113]
	s_waitcnt vmcnt(4) lgkmcnt(0)
	v_fma_f64 v[112:113], v[125:126], v[117:118], v[112:113]
	s_waitcnt vmcnt(2)
	v_fma_f64 v[112:113], v[131:132], v[119:120], v[112:113]
	s_waitcnt vmcnt(0)
	v_add_f64 v[112:113], v[133:134], -v[112:113]
	buffer_store_dword v113, off, s[0:3], 0 offset:244
	buffer_store_dword v112, off, s[0:3], 0 offset:240
	v_cmpx_lt_u32_e32 29, v0
	s_cbranch_execz .LBB54_281
; %bb.280:
	s_clause 0x1
	buffer_load_dword v112, off, s[0:3], 0 offset:232
	buffer_load_dword v113, off, s[0:3], 0 offset:236
	v_mov_b32_e32 v114, 0
	buffer_store_dword v114, off, s[0:3], 0 offset:232
	buffer_store_dword v114, off, s[0:3], 0 offset:236
	s_waitcnt vmcnt(0)
	ds_write_b64 v111, v[112:113]
.LBB54_281:
	s_or_b32 exec_lo, exec_lo, s4
	s_waitcnt lgkmcnt(0)
	s_waitcnt_vscnt null, 0x0
	s_barrier
	buffer_gl0_inv
	s_clause 0x1c
	buffer_load_dword v121, off, s[0:3], 0 offset:240
	buffer_load_dword v122, off, s[0:3], 0 offset:244
	;; [unrolled: 1-line block ×29, first 2 shown]
	v_mov_b32_e32 v112, 0
	buffer_load_dword v146, off, s[0:3], 0 offset:356
	s_mov_b32 s4, exec_lo
	ds_read_b128 v[113:116], v112 offset:688
	ds_read_b128 v[117:120], v112 offset:704
	s_waitcnt vmcnt(28) lgkmcnt(1)
	v_fma_f64 v[113:114], v[121:122], v[113:114], 0
	s_clause 0x7
	buffer_load_dword v122, off, s[0:3], 0 offset:364
	buffer_load_dword v151, off, s[0:3], 0 offset:384
	;; [unrolled: 1-line block ×8, first 2 shown]
	s_waitcnt vmcnt(34)
	v_fma_f64 v[113:114], v[123:124], v[115:116], v[113:114]
	s_waitcnt vmcnt(32) lgkmcnt(0)
	v_fma_f64 v[113:114], v[125:126], v[117:118], v[113:114]
	s_waitcnt vmcnt(30)
	v_fma_f64 v[123:124], v[127:128], v[119:120], v[113:114]
	ds_read_b128 v[113:116], v112 offset:720
	ds_read_b128 v[117:120], v112 offset:736
	s_waitcnt vmcnt(28) lgkmcnt(1)
	v_fma_f64 v[113:114], v[129:130], v[113:114], v[123:124]
	s_clause 0x7
	buffer_load_dword v124, off, s[0:3], 0 offset:396
	buffer_load_dword v125, off, s[0:3], 0 offset:416
	buffer_load_dword v127, off, s[0:3], 0 offset:408
	buffer_load_dword v129, off, s[0:3], 0 offset:400
	buffer_load_dword v123, off, s[0:3], 0 offset:392
	buffer_load_dword v130, off, s[0:3], 0 offset:404
	buffer_load_dword v128, off, s[0:3], 0 offset:412
	buffer_load_dword v126, off, s[0:3], 0 offset:420
	s_waitcnt vmcnt(34)
	v_fma_f64 v[113:114], v[131:132], v[115:116], v[113:114]
	s_waitcnt vmcnt(32) lgkmcnt(0)
	v_fma_f64 v[113:114], v[133:134], v[117:118], v[113:114]
	s_waitcnt vmcnt(27)
	v_fma_f64 v[131:132], v[135:136], v[119:120], v[113:114]
	ds_read_b128 v[113:116], v112 offset:752
	ds_read_b128 v[117:120], v112 offset:768
	s_waitcnt vmcnt(26) lgkmcnt(1)
	v_fma_f64 v[113:114], v[141:142], v[113:114], v[131:132]
	s_clause 0x5
	buffer_load_dword v132, off, s[0:3], 0 offset:428
	buffer_load_dword v133, off, s[0:3], 0 offset:432
	;; [unrolled: 1-line block ×6, first 2 shown]
	s_waitcnt vmcnt(31)
	v_fma_f64 v[113:114], v[139:140], v[115:116], v[113:114]
	s_waitcnt vmcnt(30) lgkmcnt(0)
	v_fma_f64 v[113:114], v[137:138], v[117:118], v[113:114]
	s_waitcnt vmcnt(25)
	v_fma_f64 v[137:138], v[143:144], v[119:120], v[113:114]
	ds_read_b128 v[113:116], v112 offset:784
	ds_read_b128 v[117:120], v112 offset:800
	s_waitcnt vmcnt(24) lgkmcnt(1)
	v_fma_f64 v[113:114], v[149:150], v[113:114], v[137:138]
	s_waitcnt vmcnt(23)
	v_fma_f64 v[113:114], v[147:148], v[115:116], v[113:114]
	s_waitcnt vmcnt(22) lgkmcnt(0)
	v_fma_f64 v[113:114], v[145:146], v[117:118], v[113:114]
	s_waitcnt vmcnt(17)
	v_fma_f64 v[121:122], v[121:122], v[119:120], v[113:114]
	ds_read_b128 v[113:116], v112 offset:816
	ds_read_b128 v[117:120], v112 offset:832
	s_waitcnt vmcnt(16) lgkmcnt(1)
	v_fma_f64 v[113:114], v[155:156], v[113:114], v[121:122]
	;; [unrolled: 10-line block ×3, first 2 shown]
	s_waitcnt vmcnt(7)
	v_fma_f64 v[113:114], v[127:128], v[115:116], v[113:114]
	ds_read_b64 v[115:116], v112 offset:880
	s_waitcnt vmcnt(6) lgkmcnt(1)
	v_fma_f64 v[113:114], v[125:126], v[117:118], v[113:114]
	s_waitcnt vmcnt(3)
	v_fma_f64 v[113:114], v[131:132], v[119:120], v[113:114]
	s_waitcnt vmcnt(2) lgkmcnt(0)
	v_fma_f64 v[113:114], v[133:134], v[115:116], v[113:114]
	s_waitcnt vmcnt(0)
	v_add_f64 v[113:114], v[135:136], -v[113:114]
	buffer_store_dword v114, off, s[0:3], 0 offset:236
	buffer_store_dword v113, off, s[0:3], 0 offset:232
	v_cmpx_lt_u32_e32 28, v0
	s_cbranch_execz .LBB54_283
; %bb.282:
	s_clause 0x1
	buffer_load_dword v113, off, s[0:3], 0 offset:224
	buffer_load_dword v114, off, s[0:3], 0 offset:228
	buffer_store_dword v112, off, s[0:3], 0 offset:224
	buffer_store_dword v112, off, s[0:3], 0 offset:228
	s_waitcnt vmcnt(0)
	ds_write_b64 v111, v[113:114]
.LBB54_283:
	s_or_b32 exec_lo, exec_lo, s4
	s_waitcnt lgkmcnt(0)
	s_waitcnt_vscnt null, 0x0
	s_barrier
	buffer_gl0_inv
	s_clause 0x1c
	buffer_load_dword v121, off, s[0:3], 0 offset:232
	buffer_load_dword v122, off, s[0:3], 0 offset:236
	;; [unrolled: 1-line block ×29, first 2 shown]
	ds_read2_b64 v[113:116], v112 offset0:85 offset1:86
	ds_read2_b64 v[117:120], v112 offset0:87 offset1:88
	buffer_load_dword v146, off, s[0:3], 0 offset:348
	s_mov_b32 s4, exec_lo
	s_waitcnt vmcnt(28) lgkmcnt(1)
	v_fma_f64 v[113:114], v[121:122], v[113:114], 0
	s_clause 0x7
	buffer_load_dword v122, off, s[0:3], 0 offset:356
	buffer_load_dword v151, off, s[0:3], 0 offset:376
	;; [unrolled: 1-line block ×8, first 2 shown]
	s_waitcnt vmcnt(34)
	v_fma_f64 v[113:114], v[123:124], v[115:116], v[113:114]
	s_waitcnt vmcnt(32) lgkmcnt(0)
	v_fma_f64 v[113:114], v[125:126], v[117:118], v[113:114]
	s_waitcnt vmcnt(30)
	v_fma_f64 v[123:124], v[127:128], v[119:120], v[113:114]
	ds_read2_b64 v[113:116], v112 offset0:89 offset1:90
	ds_read2_b64 v[117:120], v112 offset0:91 offset1:92
	s_waitcnt vmcnt(28) lgkmcnt(1)
	v_fma_f64 v[113:114], v[129:130], v[113:114], v[123:124]
	s_clause 0x7
	buffer_load_dword v124, off, s[0:3], 0 offset:388
	buffer_load_dword v125, off, s[0:3], 0 offset:408
	;; [unrolled: 1-line block ×8, first 2 shown]
	s_waitcnt vmcnt(34)
	v_fma_f64 v[113:114], v[131:132], v[115:116], v[113:114]
	s_waitcnt vmcnt(32) lgkmcnt(0)
	v_fma_f64 v[113:114], v[133:134], v[117:118], v[113:114]
	s_waitcnt vmcnt(27)
	v_fma_f64 v[131:132], v[135:136], v[119:120], v[113:114]
	ds_read2_b64 v[113:116], v112 offset0:93 offset1:94
	ds_read2_b64 v[117:120], v112 offset0:95 offset1:96
	s_waitcnt vmcnt(26) lgkmcnt(1)
	v_fma_f64 v[113:114], v[141:142], v[113:114], v[131:132]
	s_clause 0x5
	buffer_load_dword v132, off, s[0:3], 0 offset:420
	buffer_load_dword v133, off, s[0:3], 0 offset:432
	buffer_load_dword v135, off, s[0:3], 0 offset:424
	buffer_load_dword v131, off, s[0:3], 0 offset:416
	buffer_load_dword v136, off, s[0:3], 0 offset:428
	buffer_load_dword v134, off, s[0:3], 0 offset:436
	s_waitcnt vmcnt(31)
	v_fma_f64 v[113:114], v[139:140], v[115:116], v[113:114]
	s_waitcnt vmcnt(30) lgkmcnt(0)
	v_fma_f64 v[113:114], v[137:138], v[117:118], v[113:114]
	s_waitcnt vmcnt(25)
	v_fma_f64 v[137:138], v[143:144], v[119:120], v[113:114]
	ds_read2_b64 v[113:116], v112 offset0:97 offset1:98
	s_clause 0x1
	buffer_load_dword v139, off, s[0:3], 0 offset:224
	buffer_load_dword v140, off, s[0:3], 0 offset:228
	ds_read2_b64 v[117:120], v112 offset0:99 offset1:100
	s_waitcnt vmcnt(26) lgkmcnt(1)
	v_fma_f64 v[113:114], v[149:150], v[113:114], v[137:138]
	s_waitcnt vmcnt(25)
	v_fma_f64 v[113:114], v[147:148], v[115:116], v[113:114]
	s_waitcnt vmcnt(24) lgkmcnt(0)
	v_fma_f64 v[113:114], v[145:146], v[117:118], v[113:114]
	s_waitcnt vmcnt(19)
	v_fma_f64 v[121:122], v[121:122], v[119:120], v[113:114]
	ds_read2_b64 v[113:116], v112 offset0:101 offset1:102
	ds_read2_b64 v[117:120], v112 offset0:103 offset1:104
	s_waitcnt vmcnt(18) lgkmcnt(1)
	v_fma_f64 v[113:114], v[155:156], v[113:114], v[121:122]
	s_waitcnt vmcnt(17)
	v_fma_f64 v[113:114], v[153:154], v[115:116], v[113:114]
	s_waitcnt vmcnt(16) lgkmcnt(0)
	v_fma_f64 v[113:114], v[151:152], v[117:118], v[113:114]
	s_waitcnt vmcnt(11)
	v_fma_f64 v[121:122], v[123:124], v[119:120], v[113:114]
	ds_read2_b64 v[113:116], v112 offset0:105 offset1:106
	ds_read2_b64 v[117:120], v112 offset0:107 offset1:108
	s_waitcnt vmcnt(10) lgkmcnt(1)
	v_fma_f64 v[113:114], v[129:130], v[113:114], v[121:122]
	s_waitcnt vmcnt(9)
	v_fma_f64 v[113:114], v[127:128], v[115:116], v[113:114]
	s_waitcnt vmcnt(8) lgkmcnt(0)
	v_fma_f64 v[113:114], v[125:126], v[117:118], v[113:114]
	s_waitcnt vmcnt(4)
	v_fma_f64 v[116:117], v[131:132], v[119:120], v[113:114]
	ds_read2_b64 v[112:115], v112 offset0:109 offset1:110
	s_waitcnt vmcnt(3) lgkmcnt(0)
	v_fma_f64 v[112:113], v[135:136], v[112:113], v[116:117]
	s_waitcnt vmcnt(2)
	v_fma_f64 v[112:113], v[133:134], v[114:115], v[112:113]
	s_waitcnt vmcnt(0)
	v_add_f64 v[112:113], v[139:140], -v[112:113]
	buffer_store_dword v113, off, s[0:3], 0 offset:228
	buffer_store_dword v112, off, s[0:3], 0 offset:224
	v_cmpx_lt_u32_e32 27, v0
	s_cbranch_execz .LBB54_285
; %bb.284:
	s_clause 0x1
	buffer_load_dword v112, off, s[0:3], 0 offset:216
	buffer_load_dword v113, off, s[0:3], 0 offset:220
	v_mov_b32_e32 v114, 0
	buffer_store_dword v114, off, s[0:3], 0 offset:216
	buffer_store_dword v114, off, s[0:3], 0 offset:220
	s_waitcnt vmcnt(0)
	ds_write_b64 v111, v[112:113]
.LBB54_285:
	s_or_b32 exec_lo, exec_lo, s4
	s_waitcnt lgkmcnt(0)
	s_waitcnt_vscnt null, 0x0
	s_barrier
	buffer_gl0_inv
	s_clause 0x1c
	buffer_load_dword v121, off, s[0:3], 0 offset:224
	buffer_load_dword v122, off, s[0:3], 0 offset:228
	;; [unrolled: 1-line block ×29, first 2 shown]
	v_mov_b32_e32 v112, 0
	buffer_load_dword v146, off, s[0:3], 0 offset:340
	s_mov_b32 s4, exec_lo
	ds_read_b128 v[113:116], v112 offset:672
	ds_read_b128 v[117:120], v112 offset:688
	s_waitcnt vmcnt(28) lgkmcnt(1)
	v_fma_f64 v[113:114], v[121:122], v[113:114], 0
	s_clause 0x7
	buffer_load_dword v122, off, s[0:3], 0 offset:348
	buffer_load_dword v151, off, s[0:3], 0 offset:368
	buffer_load_dword v153, off, s[0:3], 0 offset:360
	buffer_load_dword v155, off, s[0:3], 0 offset:352
	buffer_load_dword v121, off, s[0:3], 0 offset:344
	buffer_load_dword v156, off, s[0:3], 0 offset:356
	buffer_load_dword v154, off, s[0:3], 0 offset:364
	buffer_load_dword v152, off, s[0:3], 0 offset:372
	s_waitcnt vmcnt(34)
	v_fma_f64 v[113:114], v[123:124], v[115:116], v[113:114]
	s_waitcnt vmcnt(32) lgkmcnt(0)
	v_fma_f64 v[113:114], v[125:126], v[117:118], v[113:114]
	s_waitcnt vmcnt(30)
	v_fma_f64 v[123:124], v[127:128], v[119:120], v[113:114]
	ds_read_b128 v[113:116], v112 offset:704
	ds_read_b128 v[117:120], v112 offset:720
	s_waitcnt vmcnt(28) lgkmcnt(1)
	v_fma_f64 v[113:114], v[129:130], v[113:114], v[123:124]
	s_clause 0x7
	buffer_load_dword v124, off, s[0:3], 0 offset:380
	buffer_load_dword v125, off, s[0:3], 0 offset:400
	buffer_load_dword v127, off, s[0:3], 0 offset:392
	buffer_load_dword v129, off, s[0:3], 0 offset:384
	buffer_load_dword v123, off, s[0:3], 0 offset:376
	buffer_load_dword v130, off, s[0:3], 0 offset:388
	buffer_load_dword v128, off, s[0:3], 0 offset:396
	buffer_load_dword v126, off, s[0:3], 0 offset:404
	s_waitcnt vmcnt(34)
	v_fma_f64 v[113:114], v[131:132], v[115:116], v[113:114]
	s_waitcnt vmcnt(32) lgkmcnt(0)
	v_fma_f64 v[113:114], v[133:134], v[117:118], v[113:114]
	s_waitcnt vmcnt(27)
	v_fma_f64 v[131:132], v[135:136], v[119:120], v[113:114]
	ds_read_b128 v[113:116], v112 offset:736
	ds_read_b128 v[117:120], v112 offset:752
	s_waitcnt vmcnt(26) lgkmcnt(1)
	v_fma_f64 v[113:114], v[141:142], v[113:114], v[131:132]
	s_clause 0x7
	buffer_load_dword v132, off, s[0:3], 0 offset:412
	buffer_load_dword v133, off, s[0:3], 0 offset:432
	buffer_load_dword v135, off, s[0:3], 0 offset:424
	buffer_load_dword v141, off, s[0:3], 0 offset:416
	buffer_load_dword v131, off, s[0:3], 0 offset:408
	buffer_load_dword v142, off, s[0:3], 0 offset:420
	buffer_load_dword v136, off, s[0:3], 0 offset:428
	buffer_load_dword v134, off, s[0:3], 0 offset:436
	s_waitcnt vmcnt(33)
	v_fma_f64 v[113:114], v[139:140], v[115:116], v[113:114]
	s_waitcnt vmcnt(32) lgkmcnt(0)
	v_fma_f64 v[113:114], v[137:138], v[117:118], v[113:114]
	s_waitcnt vmcnt(27)
	v_fma_f64 v[137:138], v[143:144], v[119:120], v[113:114]
	ds_read_b128 v[113:116], v112 offset:768
	ds_read_b128 v[117:120], v112 offset:784
	s_waitcnt vmcnt(26) lgkmcnt(1)
	v_fma_f64 v[113:114], v[149:150], v[113:114], v[137:138]
	s_clause 0x1
	buffer_load_dword v137, off, s[0:3], 0 offset:216
	buffer_load_dword v138, off, s[0:3], 0 offset:220
	s_waitcnt vmcnt(27)
	v_fma_f64 v[113:114], v[147:148], v[115:116], v[113:114]
	s_waitcnt vmcnt(26) lgkmcnt(0)
	v_fma_f64 v[113:114], v[145:146], v[117:118], v[113:114]
	s_waitcnt vmcnt(21)
	v_fma_f64 v[121:122], v[121:122], v[119:120], v[113:114]
	ds_read_b128 v[113:116], v112 offset:800
	ds_read_b128 v[117:120], v112 offset:816
	s_waitcnt vmcnt(20) lgkmcnt(1)
	v_fma_f64 v[113:114], v[155:156], v[113:114], v[121:122]
	s_waitcnt vmcnt(19)
	v_fma_f64 v[113:114], v[153:154], v[115:116], v[113:114]
	s_waitcnt vmcnt(18) lgkmcnt(0)
	v_fma_f64 v[113:114], v[151:152], v[117:118], v[113:114]
	s_waitcnt vmcnt(13)
	v_fma_f64 v[121:122], v[123:124], v[119:120], v[113:114]
	ds_read_b128 v[113:116], v112 offset:832
	ds_read_b128 v[117:120], v112 offset:848
	s_waitcnt vmcnt(12) lgkmcnt(1)
	v_fma_f64 v[113:114], v[129:130], v[113:114], v[121:122]
	s_waitcnt vmcnt(11)
	v_fma_f64 v[113:114], v[127:128], v[115:116], v[113:114]
	s_waitcnt vmcnt(10) lgkmcnt(0)
	v_fma_f64 v[113:114], v[125:126], v[117:118], v[113:114]
	s_waitcnt vmcnt(5)
	v_fma_f64 v[117:118], v[131:132], v[119:120], v[113:114]
	ds_read_b128 v[113:116], v112 offset:864
	ds_read_b64 v[119:120], v112 offset:880
	s_waitcnt vmcnt(4) lgkmcnt(1)
	v_fma_f64 v[113:114], v[141:142], v[113:114], v[117:118]
	s_waitcnt vmcnt(3)
	v_fma_f64 v[113:114], v[135:136], v[115:116], v[113:114]
	s_waitcnt vmcnt(2) lgkmcnt(0)
	v_fma_f64 v[113:114], v[133:134], v[119:120], v[113:114]
	s_waitcnt vmcnt(0)
	v_add_f64 v[113:114], v[137:138], -v[113:114]
	buffer_store_dword v114, off, s[0:3], 0 offset:220
	buffer_store_dword v113, off, s[0:3], 0 offset:216
	v_cmpx_lt_u32_e32 26, v0
	s_cbranch_execz .LBB54_287
; %bb.286:
	s_clause 0x1
	buffer_load_dword v113, off, s[0:3], 0 offset:208
	buffer_load_dword v114, off, s[0:3], 0 offset:212
	buffer_store_dword v112, off, s[0:3], 0 offset:208
	buffer_store_dword v112, off, s[0:3], 0 offset:212
	s_waitcnt vmcnt(0)
	ds_write_b64 v111, v[113:114]
.LBB54_287:
	s_or_b32 exec_lo, exec_lo, s4
	s_waitcnt lgkmcnt(0)
	s_waitcnt_vscnt null, 0x0
	s_barrier
	buffer_gl0_inv
	s_clause 0x1c
	buffer_load_dword v121, off, s[0:3], 0 offset:216
	buffer_load_dword v122, off, s[0:3], 0 offset:220
	;; [unrolled: 1-line block ×29, first 2 shown]
	ds_read2_b64 v[113:116], v112 offset0:83 offset1:84
	ds_read2_b64 v[117:120], v112 offset0:85 offset1:86
	buffer_load_dword v146, off, s[0:3], 0 offset:332
	s_mov_b32 s4, exec_lo
	s_waitcnt vmcnt(28) lgkmcnt(1)
	v_fma_f64 v[113:114], v[121:122], v[113:114], 0
	s_clause 0x7
	buffer_load_dword v122, off, s[0:3], 0 offset:340
	buffer_load_dword v151, off, s[0:3], 0 offset:360
	buffer_load_dword v153, off, s[0:3], 0 offset:352
	buffer_load_dword v155, off, s[0:3], 0 offset:344
	buffer_load_dword v121, off, s[0:3], 0 offset:336
	buffer_load_dword v156, off, s[0:3], 0 offset:348
	buffer_load_dword v154, off, s[0:3], 0 offset:356
	buffer_load_dword v152, off, s[0:3], 0 offset:364
	s_waitcnt vmcnt(34)
	v_fma_f64 v[113:114], v[123:124], v[115:116], v[113:114]
	s_waitcnt vmcnt(32) lgkmcnt(0)
	v_fma_f64 v[113:114], v[125:126], v[117:118], v[113:114]
	s_waitcnt vmcnt(30)
	v_fma_f64 v[123:124], v[127:128], v[119:120], v[113:114]
	ds_read2_b64 v[113:116], v112 offset0:87 offset1:88
	ds_read2_b64 v[117:120], v112 offset0:89 offset1:90
	s_waitcnt vmcnt(28) lgkmcnt(1)
	v_fma_f64 v[113:114], v[129:130], v[113:114], v[123:124]
	s_clause 0x7
	buffer_load_dword v124, off, s[0:3], 0 offset:372
	buffer_load_dword v125, off, s[0:3], 0 offset:392
	buffer_load_dword v127, off, s[0:3], 0 offset:384
	buffer_load_dword v129, off, s[0:3], 0 offset:376
	buffer_load_dword v123, off, s[0:3], 0 offset:368
	buffer_load_dword v130, off, s[0:3], 0 offset:380
	buffer_load_dword v128, off, s[0:3], 0 offset:388
	buffer_load_dword v126, off, s[0:3], 0 offset:396
	s_waitcnt vmcnt(34)
	v_fma_f64 v[113:114], v[131:132], v[115:116], v[113:114]
	s_waitcnt vmcnt(32) lgkmcnt(0)
	v_fma_f64 v[113:114], v[133:134], v[117:118], v[113:114]
	s_waitcnt vmcnt(27)
	v_fma_f64 v[131:132], v[135:136], v[119:120], v[113:114]
	ds_read2_b64 v[113:116], v112 offset0:91 offset1:92
	ds_read2_b64 v[117:120], v112 offset0:93 offset1:94
	s_waitcnt vmcnt(26) lgkmcnt(1)
	v_fma_f64 v[113:114], v[141:142], v[113:114], v[131:132]
	s_clause 0x7
	buffer_load_dword v132, off, s[0:3], 0 offset:404
	buffer_load_dword v133, off, s[0:3], 0 offset:424
	buffer_load_dword v135, off, s[0:3], 0 offset:416
	buffer_load_dword v141, off, s[0:3], 0 offset:408
	buffer_load_dword v131, off, s[0:3], 0 offset:400
	buffer_load_dword v142, off, s[0:3], 0 offset:412
	buffer_load_dword v136, off, s[0:3], 0 offset:420
	buffer_load_dword v134, off, s[0:3], 0 offset:428
	s_waitcnt vmcnt(33)
	v_fma_f64 v[113:114], v[139:140], v[115:116], v[113:114]
	s_waitcnt vmcnt(32) lgkmcnt(0)
	v_fma_f64 v[113:114], v[137:138], v[117:118], v[113:114]
	s_waitcnt vmcnt(27)
	v_fma_f64 v[137:138], v[143:144], v[119:120], v[113:114]
	ds_read2_b64 v[113:116], v112 offset0:95 offset1:96
	ds_read2_b64 v[117:120], v112 offset0:97 offset1:98
	s_waitcnt vmcnt(26) lgkmcnt(1)
	v_fma_f64 v[113:114], v[149:150], v[113:114], v[137:138]
	s_clause 0x3
	buffer_load_dword v138, off, s[0:3], 0 offset:436
	buffer_load_dword v137, off, s[0:3], 0 offset:432
	;; [unrolled: 1-line block ×4, first 2 shown]
	s_waitcnt vmcnt(29)
	v_fma_f64 v[113:114], v[147:148], v[115:116], v[113:114]
	s_waitcnt vmcnt(28) lgkmcnt(0)
	v_fma_f64 v[113:114], v[145:146], v[117:118], v[113:114]
	s_waitcnt vmcnt(23)
	v_fma_f64 v[121:122], v[121:122], v[119:120], v[113:114]
	ds_read2_b64 v[113:116], v112 offset0:99 offset1:100
	ds_read2_b64 v[117:120], v112 offset0:101 offset1:102
	s_waitcnt vmcnt(22) lgkmcnt(1)
	v_fma_f64 v[113:114], v[155:156], v[113:114], v[121:122]
	s_waitcnt vmcnt(21)
	v_fma_f64 v[113:114], v[153:154], v[115:116], v[113:114]
	s_waitcnt vmcnt(20) lgkmcnt(0)
	v_fma_f64 v[113:114], v[151:152], v[117:118], v[113:114]
	s_waitcnt vmcnt(15)
	v_fma_f64 v[121:122], v[123:124], v[119:120], v[113:114]
	ds_read2_b64 v[113:116], v112 offset0:103 offset1:104
	ds_read2_b64 v[117:120], v112 offset0:105 offset1:106
	s_waitcnt vmcnt(14) lgkmcnt(1)
	v_fma_f64 v[113:114], v[129:130], v[113:114], v[121:122]
	;; [unrolled: 10-line block ×3, first 2 shown]
	s_waitcnt vmcnt(5)
	v_fma_f64 v[112:113], v[135:136], v[115:116], v[112:113]
	s_waitcnt vmcnt(4) lgkmcnt(0)
	v_fma_f64 v[112:113], v[133:134], v[117:118], v[112:113]
	s_waitcnt vmcnt(2)
	v_fma_f64 v[112:113], v[137:138], v[119:120], v[112:113]
	s_waitcnt vmcnt(0)
	v_add_f64 v[112:113], v[139:140], -v[112:113]
	buffer_store_dword v113, off, s[0:3], 0 offset:212
	buffer_store_dword v112, off, s[0:3], 0 offset:208
	v_cmpx_lt_u32_e32 25, v0
	s_cbranch_execz .LBB54_289
; %bb.288:
	s_clause 0x1
	buffer_load_dword v112, off, s[0:3], 0 offset:200
	buffer_load_dword v113, off, s[0:3], 0 offset:204
	v_mov_b32_e32 v114, 0
	buffer_store_dword v114, off, s[0:3], 0 offset:200
	buffer_store_dword v114, off, s[0:3], 0 offset:204
	s_waitcnt vmcnt(0)
	ds_write_b64 v111, v[112:113]
.LBB54_289:
	s_or_b32 exec_lo, exec_lo, s4
	s_waitcnt lgkmcnt(0)
	s_waitcnt_vscnt null, 0x0
	s_barrier
	buffer_gl0_inv
	s_clause 0x1c
	buffer_load_dword v121, off, s[0:3], 0 offset:208
	buffer_load_dword v122, off, s[0:3], 0 offset:212
	;; [unrolled: 1-line block ×29, first 2 shown]
	v_mov_b32_e32 v112, 0
	buffer_load_dword v146, off, s[0:3], 0 offset:324
	s_mov_b32 s4, exec_lo
	ds_read_b128 v[113:116], v112 offset:656
	ds_read_b128 v[117:120], v112 offset:672
	s_waitcnt vmcnt(28) lgkmcnt(1)
	v_fma_f64 v[113:114], v[121:122], v[113:114], 0
	s_clause 0x7
	buffer_load_dword v122, off, s[0:3], 0 offset:332
	buffer_load_dword v151, off, s[0:3], 0 offset:352
	buffer_load_dword v153, off, s[0:3], 0 offset:344
	buffer_load_dword v155, off, s[0:3], 0 offset:336
	buffer_load_dword v121, off, s[0:3], 0 offset:328
	buffer_load_dword v156, off, s[0:3], 0 offset:340
	buffer_load_dword v154, off, s[0:3], 0 offset:348
	buffer_load_dword v152, off, s[0:3], 0 offset:356
	s_waitcnt vmcnt(34)
	v_fma_f64 v[113:114], v[123:124], v[115:116], v[113:114]
	s_waitcnt vmcnt(32) lgkmcnt(0)
	v_fma_f64 v[113:114], v[125:126], v[117:118], v[113:114]
	s_waitcnt vmcnt(30)
	v_fma_f64 v[123:124], v[127:128], v[119:120], v[113:114]
	ds_read_b128 v[113:116], v112 offset:688
	ds_read_b128 v[117:120], v112 offset:704
	s_waitcnt vmcnt(28) lgkmcnt(1)
	v_fma_f64 v[113:114], v[129:130], v[113:114], v[123:124]
	s_clause 0x7
	buffer_load_dword v124, off, s[0:3], 0 offset:364
	buffer_load_dword v125, off, s[0:3], 0 offset:384
	buffer_load_dword v127, off, s[0:3], 0 offset:376
	buffer_load_dword v129, off, s[0:3], 0 offset:368
	buffer_load_dword v123, off, s[0:3], 0 offset:360
	buffer_load_dword v130, off, s[0:3], 0 offset:372
	buffer_load_dword v128, off, s[0:3], 0 offset:380
	buffer_load_dword v126, off, s[0:3], 0 offset:388
	s_waitcnt vmcnt(34)
	v_fma_f64 v[113:114], v[131:132], v[115:116], v[113:114]
	s_waitcnt vmcnt(32) lgkmcnt(0)
	v_fma_f64 v[113:114], v[133:134], v[117:118], v[113:114]
	s_waitcnt vmcnt(27)
	v_fma_f64 v[131:132], v[135:136], v[119:120], v[113:114]
	;; [unrolled: 19-line block ×3, first 2 shown]
	ds_read_b128 v[113:116], v112 offset:752
	ds_read_b128 v[117:120], v112 offset:768
	s_waitcnt vmcnt(26) lgkmcnt(1)
	v_fma_f64 v[113:114], v[149:150], v[113:114], v[137:138]
	s_clause 0x5
	buffer_load_dword v138, off, s[0:3], 0 offset:428
	buffer_load_dword v139, off, s[0:3], 0 offset:432
	;; [unrolled: 1-line block ×6, first 2 shown]
	s_waitcnt vmcnt(31)
	v_fma_f64 v[113:114], v[147:148], v[115:116], v[113:114]
	s_waitcnt vmcnt(30) lgkmcnt(0)
	v_fma_f64 v[113:114], v[145:146], v[117:118], v[113:114]
	s_waitcnt vmcnt(25)
	v_fma_f64 v[121:122], v[121:122], v[119:120], v[113:114]
	ds_read_b128 v[113:116], v112 offset:784
	ds_read_b128 v[117:120], v112 offset:800
	s_waitcnt vmcnt(24) lgkmcnt(1)
	v_fma_f64 v[113:114], v[155:156], v[113:114], v[121:122]
	s_waitcnt vmcnt(23)
	v_fma_f64 v[113:114], v[153:154], v[115:116], v[113:114]
	s_waitcnt vmcnt(22) lgkmcnt(0)
	v_fma_f64 v[113:114], v[151:152], v[117:118], v[113:114]
	s_waitcnt vmcnt(17)
	v_fma_f64 v[121:122], v[123:124], v[119:120], v[113:114]
	ds_read_b128 v[113:116], v112 offset:816
	ds_read_b128 v[117:120], v112 offset:832
	s_waitcnt vmcnt(16) lgkmcnt(1)
	v_fma_f64 v[113:114], v[129:130], v[113:114], v[121:122]
	;; [unrolled: 10-line block ×3, first 2 shown]
	s_waitcnt vmcnt(7)
	v_fma_f64 v[113:114], v[135:136], v[115:116], v[113:114]
	ds_read_b64 v[115:116], v112 offset:880
	s_waitcnt vmcnt(6) lgkmcnt(1)
	v_fma_f64 v[113:114], v[133:134], v[117:118], v[113:114]
	s_waitcnt vmcnt(3)
	v_fma_f64 v[113:114], v[137:138], v[119:120], v[113:114]
	s_waitcnt vmcnt(2) lgkmcnt(0)
	v_fma_f64 v[113:114], v[139:140], v[115:116], v[113:114]
	s_waitcnt vmcnt(0)
	v_add_f64 v[113:114], v[143:144], -v[113:114]
	buffer_store_dword v114, off, s[0:3], 0 offset:204
	buffer_store_dword v113, off, s[0:3], 0 offset:200
	v_cmpx_lt_u32_e32 24, v0
	s_cbranch_execz .LBB54_291
; %bb.290:
	s_clause 0x1
	buffer_load_dword v113, off, s[0:3], 0 offset:192
	buffer_load_dword v114, off, s[0:3], 0 offset:196
	buffer_store_dword v112, off, s[0:3], 0 offset:192
	buffer_store_dword v112, off, s[0:3], 0 offset:196
	s_waitcnt vmcnt(0)
	ds_write_b64 v111, v[113:114]
.LBB54_291:
	s_or_b32 exec_lo, exec_lo, s4
	s_waitcnt lgkmcnt(0)
	s_waitcnt_vscnt null, 0x0
	s_barrier
	buffer_gl0_inv
	s_clause 0x1c
	buffer_load_dword v121, off, s[0:3], 0 offset:200
	buffer_load_dword v122, off, s[0:3], 0 offset:204
	;; [unrolled: 1-line block ×29, first 2 shown]
	ds_read2_b64 v[113:116], v112 offset0:81 offset1:82
	ds_read2_b64 v[117:120], v112 offset0:83 offset1:84
	buffer_load_dword v146, off, s[0:3], 0 offset:316
	s_mov_b32 s4, exec_lo
	s_waitcnt vmcnt(28) lgkmcnt(1)
	v_fma_f64 v[113:114], v[121:122], v[113:114], 0
	s_clause 0x7
	buffer_load_dword v122, off, s[0:3], 0 offset:324
	buffer_load_dword v151, off, s[0:3], 0 offset:344
	buffer_load_dword v153, off, s[0:3], 0 offset:336
	buffer_load_dword v155, off, s[0:3], 0 offset:328
	buffer_load_dword v121, off, s[0:3], 0 offset:320
	buffer_load_dword v156, off, s[0:3], 0 offset:332
	buffer_load_dword v154, off, s[0:3], 0 offset:340
	buffer_load_dword v152, off, s[0:3], 0 offset:348
	s_waitcnt vmcnt(34)
	v_fma_f64 v[113:114], v[123:124], v[115:116], v[113:114]
	s_waitcnt vmcnt(32) lgkmcnt(0)
	v_fma_f64 v[113:114], v[125:126], v[117:118], v[113:114]
	s_waitcnt vmcnt(30)
	v_fma_f64 v[123:124], v[127:128], v[119:120], v[113:114]
	ds_read2_b64 v[113:116], v112 offset0:85 offset1:86
	ds_read2_b64 v[117:120], v112 offset0:87 offset1:88
	s_waitcnt vmcnt(28) lgkmcnt(1)
	v_fma_f64 v[113:114], v[129:130], v[113:114], v[123:124]
	s_clause 0x7
	buffer_load_dword v124, off, s[0:3], 0 offset:356
	buffer_load_dword v125, off, s[0:3], 0 offset:376
	buffer_load_dword v127, off, s[0:3], 0 offset:368
	buffer_load_dword v129, off, s[0:3], 0 offset:360
	buffer_load_dword v123, off, s[0:3], 0 offset:352
	buffer_load_dword v130, off, s[0:3], 0 offset:364
	buffer_load_dword v128, off, s[0:3], 0 offset:372
	buffer_load_dword v126, off, s[0:3], 0 offset:380
	s_waitcnt vmcnt(34)
	v_fma_f64 v[113:114], v[131:132], v[115:116], v[113:114]
	s_waitcnt vmcnt(32) lgkmcnt(0)
	v_fma_f64 v[113:114], v[133:134], v[117:118], v[113:114]
	s_waitcnt vmcnt(27)
	v_fma_f64 v[131:132], v[135:136], v[119:120], v[113:114]
	ds_read2_b64 v[113:116], v112 offset0:89 offset1:90
	ds_read2_b64 v[117:120], v112 offset0:91 offset1:92
	;; [unrolled: 19-line block ×3, first 2 shown]
	s_waitcnt vmcnt(26) lgkmcnt(1)
	v_fma_f64 v[113:114], v[149:150], v[113:114], v[137:138]
	s_clause 0x5
	buffer_load_dword v138, off, s[0:3], 0 offset:420
	buffer_load_dword v139, off, s[0:3], 0 offset:432
	;; [unrolled: 1-line block ×6, first 2 shown]
	s_waitcnt vmcnt(31)
	v_fma_f64 v[113:114], v[147:148], v[115:116], v[113:114]
	s_waitcnt vmcnt(30) lgkmcnt(0)
	v_fma_f64 v[113:114], v[145:146], v[117:118], v[113:114]
	s_waitcnt vmcnt(25)
	v_fma_f64 v[121:122], v[121:122], v[119:120], v[113:114]
	ds_read2_b64 v[113:116], v112 offset0:97 offset1:98
	s_clause 0x1
	buffer_load_dword v145, off, s[0:3], 0 offset:192
	buffer_load_dword v146, off, s[0:3], 0 offset:196
	ds_read2_b64 v[117:120], v112 offset0:99 offset1:100
	s_waitcnt vmcnt(26) lgkmcnt(1)
	v_fma_f64 v[113:114], v[155:156], v[113:114], v[121:122]
	s_waitcnt vmcnt(25)
	v_fma_f64 v[113:114], v[153:154], v[115:116], v[113:114]
	s_waitcnt vmcnt(24) lgkmcnt(0)
	v_fma_f64 v[113:114], v[151:152], v[117:118], v[113:114]
	s_waitcnt vmcnt(19)
	v_fma_f64 v[121:122], v[123:124], v[119:120], v[113:114]
	ds_read2_b64 v[113:116], v112 offset0:101 offset1:102
	ds_read2_b64 v[117:120], v112 offset0:103 offset1:104
	s_waitcnt vmcnt(18) lgkmcnt(1)
	v_fma_f64 v[113:114], v[129:130], v[113:114], v[121:122]
	s_waitcnt vmcnt(17)
	v_fma_f64 v[113:114], v[127:128], v[115:116], v[113:114]
	s_waitcnt vmcnt(16) lgkmcnt(0)
	v_fma_f64 v[113:114], v[125:126], v[117:118], v[113:114]
	s_waitcnt vmcnt(11)
	v_fma_f64 v[121:122], v[131:132], v[119:120], v[113:114]
	ds_read2_b64 v[113:116], v112 offset0:105 offset1:106
	;; [unrolled: 10-line block ×3, first 2 shown]
	s_waitcnt vmcnt(3) lgkmcnt(0)
	v_fma_f64 v[112:113], v[143:144], v[112:113], v[116:117]
	s_waitcnt vmcnt(2)
	v_fma_f64 v[112:113], v[139:140], v[114:115], v[112:113]
	s_waitcnt vmcnt(0)
	v_add_f64 v[112:113], v[145:146], -v[112:113]
	buffer_store_dword v113, off, s[0:3], 0 offset:196
	buffer_store_dword v112, off, s[0:3], 0 offset:192
	v_cmpx_lt_u32_e32 23, v0
	s_cbranch_execz .LBB54_293
; %bb.292:
	s_clause 0x1
	buffer_load_dword v112, off, s[0:3], 0 offset:184
	buffer_load_dword v113, off, s[0:3], 0 offset:188
	v_mov_b32_e32 v114, 0
	buffer_store_dword v114, off, s[0:3], 0 offset:184
	buffer_store_dword v114, off, s[0:3], 0 offset:188
	s_waitcnt vmcnt(0)
	ds_write_b64 v111, v[112:113]
.LBB54_293:
	s_or_b32 exec_lo, exec_lo, s4
	s_waitcnt lgkmcnt(0)
	s_waitcnt_vscnt null, 0x0
	s_barrier
	buffer_gl0_inv
	s_clause 0x1c
	buffer_load_dword v121, off, s[0:3], 0 offset:192
	buffer_load_dword v122, off, s[0:3], 0 offset:196
	;; [unrolled: 1-line block ×29, first 2 shown]
	v_mov_b32_e32 v112, 0
	buffer_load_dword v146, off, s[0:3], 0 offset:308
	s_mov_b32 s4, exec_lo
	ds_read_b128 v[113:116], v112 offset:640
	ds_read_b128 v[117:120], v112 offset:656
	s_waitcnt vmcnt(28) lgkmcnt(1)
	v_fma_f64 v[113:114], v[121:122], v[113:114], 0
	s_clause 0x7
	buffer_load_dword v122, off, s[0:3], 0 offset:316
	buffer_load_dword v151, off, s[0:3], 0 offset:336
	buffer_load_dword v153, off, s[0:3], 0 offset:328
	buffer_load_dword v155, off, s[0:3], 0 offset:320
	buffer_load_dword v121, off, s[0:3], 0 offset:312
	buffer_load_dword v156, off, s[0:3], 0 offset:324
	buffer_load_dword v154, off, s[0:3], 0 offset:332
	buffer_load_dword v152, off, s[0:3], 0 offset:340
	s_waitcnt vmcnt(34)
	v_fma_f64 v[113:114], v[123:124], v[115:116], v[113:114]
	s_waitcnt vmcnt(32) lgkmcnt(0)
	v_fma_f64 v[113:114], v[125:126], v[117:118], v[113:114]
	s_waitcnt vmcnt(30)
	v_fma_f64 v[123:124], v[127:128], v[119:120], v[113:114]
	ds_read_b128 v[113:116], v112 offset:672
	ds_read_b128 v[117:120], v112 offset:688
	s_waitcnt vmcnt(28) lgkmcnt(1)
	v_fma_f64 v[113:114], v[129:130], v[113:114], v[123:124]
	s_clause 0x7
	buffer_load_dword v124, off, s[0:3], 0 offset:348
	buffer_load_dword v125, off, s[0:3], 0 offset:368
	buffer_load_dword v127, off, s[0:3], 0 offset:360
	buffer_load_dword v129, off, s[0:3], 0 offset:352
	buffer_load_dword v123, off, s[0:3], 0 offset:344
	buffer_load_dword v130, off, s[0:3], 0 offset:356
	buffer_load_dword v128, off, s[0:3], 0 offset:364
	buffer_load_dword v126, off, s[0:3], 0 offset:372
	s_waitcnt vmcnt(34)
	v_fma_f64 v[113:114], v[131:132], v[115:116], v[113:114]
	s_waitcnt vmcnt(32) lgkmcnt(0)
	v_fma_f64 v[113:114], v[133:134], v[117:118], v[113:114]
	s_waitcnt vmcnt(27)
	v_fma_f64 v[131:132], v[135:136], v[119:120], v[113:114]
	;; [unrolled: 19-line block ×4, first 2 shown]
	ds_read_b128 v[113:116], v112 offset:768
	ds_read_b128 v[117:120], v112 offset:784
	s_waitcnt vmcnt(26) lgkmcnt(1)
	v_fma_f64 v[113:114], v[155:156], v[113:114], v[121:122]
	s_clause 0x1
	buffer_load_dword v121, off, s[0:3], 0 offset:184
	buffer_load_dword v122, off, s[0:3], 0 offset:188
	s_waitcnt vmcnt(27)
	v_fma_f64 v[113:114], v[153:154], v[115:116], v[113:114]
	s_waitcnt vmcnt(26) lgkmcnt(0)
	v_fma_f64 v[113:114], v[151:152], v[117:118], v[113:114]
	s_waitcnt vmcnt(21)
	v_fma_f64 v[123:124], v[123:124], v[119:120], v[113:114]
	ds_read_b128 v[113:116], v112 offset:800
	ds_read_b128 v[117:120], v112 offset:816
	s_waitcnt vmcnt(20) lgkmcnt(1)
	v_fma_f64 v[113:114], v[129:130], v[113:114], v[123:124]
	s_waitcnt vmcnt(19)
	v_fma_f64 v[113:114], v[127:128], v[115:116], v[113:114]
	s_waitcnt vmcnt(18) lgkmcnt(0)
	v_fma_f64 v[113:114], v[125:126], v[117:118], v[113:114]
	s_waitcnt vmcnt(13)
	v_fma_f64 v[123:124], v[131:132], v[119:120], v[113:114]
	ds_read_b128 v[113:116], v112 offset:832
	ds_read_b128 v[117:120], v112 offset:848
	s_waitcnt vmcnt(12) lgkmcnt(1)
	v_fma_f64 v[113:114], v[141:142], v[113:114], v[123:124]
	s_waitcnt vmcnt(11)
	v_fma_f64 v[113:114], v[135:136], v[115:116], v[113:114]
	s_waitcnt vmcnt(10) lgkmcnt(0)
	v_fma_f64 v[113:114], v[133:134], v[117:118], v[113:114]
	s_waitcnt vmcnt(5)
	v_fma_f64 v[117:118], v[137:138], v[119:120], v[113:114]
	ds_read_b128 v[113:116], v112 offset:864
	ds_read_b64 v[119:120], v112 offset:880
	s_waitcnt vmcnt(4) lgkmcnt(1)
	v_fma_f64 v[113:114], v[149:150], v[113:114], v[117:118]
	s_waitcnt vmcnt(3)
	v_fma_f64 v[113:114], v[143:144], v[115:116], v[113:114]
	s_waitcnt vmcnt(2) lgkmcnt(0)
	v_fma_f64 v[113:114], v[139:140], v[119:120], v[113:114]
	s_waitcnt vmcnt(0)
	v_add_f64 v[113:114], v[121:122], -v[113:114]
	buffer_store_dword v114, off, s[0:3], 0 offset:188
	buffer_store_dword v113, off, s[0:3], 0 offset:184
	v_cmpx_lt_u32_e32 22, v0
	s_cbranch_execz .LBB54_295
; %bb.294:
	s_clause 0x1
	buffer_load_dword v113, off, s[0:3], 0 offset:176
	buffer_load_dword v114, off, s[0:3], 0 offset:180
	buffer_store_dword v112, off, s[0:3], 0 offset:176
	buffer_store_dword v112, off, s[0:3], 0 offset:180
	s_waitcnt vmcnt(0)
	ds_write_b64 v111, v[113:114]
.LBB54_295:
	s_or_b32 exec_lo, exec_lo, s4
	s_waitcnt lgkmcnt(0)
	s_waitcnt_vscnt null, 0x0
	s_barrier
	buffer_gl0_inv
	s_clause 0x1c
	buffer_load_dword v121, off, s[0:3], 0 offset:184
	buffer_load_dword v122, off, s[0:3], 0 offset:188
	;; [unrolled: 1-line block ×29, first 2 shown]
	ds_read2_b64 v[113:116], v112 offset0:79 offset1:80
	ds_read2_b64 v[117:120], v112 offset0:81 offset1:82
	buffer_load_dword v146, off, s[0:3], 0 offset:300
	s_mov_b32 s4, exec_lo
	s_waitcnt vmcnt(28) lgkmcnt(1)
	v_fma_f64 v[113:114], v[121:122], v[113:114], 0
	s_clause 0x7
	buffer_load_dword v122, off, s[0:3], 0 offset:308
	buffer_load_dword v151, off, s[0:3], 0 offset:328
	buffer_load_dword v153, off, s[0:3], 0 offset:320
	buffer_load_dword v155, off, s[0:3], 0 offset:312
	buffer_load_dword v121, off, s[0:3], 0 offset:304
	buffer_load_dword v156, off, s[0:3], 0 offset:316
	buffer_load_dword v154, off, s[0:3], 0 offset:324
	buffer_load_dword v152, off, s[0:3], 0 offset:332
	s_waitcnt vmcnt(34)
	v_fma_f64 v[113:114], v[123:124], v[115:116], v[113:114]
	s_waitcnt vmcnt(32) lgkmcnt(0)
	v_fma_f64 v[113:114], v[125:126], v[117:118], v[113:114]
	s_waitcnt vmcnt(30)
	v_fma_f64 v[123:124], v[127:128], v[119:120], v[113:114]
	ds_read2_b64 v[113:116], v112 offset0:83 offset1:84
	ds_read2_b64 v[117:120], v112 offset0:85 offset1:86
	s_waitcnt vmcnt(28) lgkmcnt(1)
	v_fma_f64 v[113:114], v[129:130], v[113:114], v[123:124]
	s_clause 0x7
	buffer_load_dword v124, off, s[0:3], 0 offset:340
	buffer_load_dword v125, off, s[0:3], 0 offset:360
	buffer_load_dword v127, off, s[0:3], 0 offset:352
	buffer_load_dword v129, off, s[0:3], 0 offset:344
	buffer_load_dword v123, off, s[0:3], 0 offset:336
	buffer_load_dword v130, off, s[0:3], 0 offset:348
	buffer_load_dword v128, off, s[0:3], 0 offset:356
	buffer_load_dword v126, off, s[0:3], 0 offset:364
	s_waitcnt vmcnt(34)
	v_fma_f64 v[113:114], v[131:132], v[115:116], v[113:114]
	s_waitcnt vmcnt(32) lgkmcnt(0)
	v_fma_f64 v[113:114], v[133:134], v[117:118], v[113:114]
	s_waitcnt vmcnt(27)
	v_fma_f64 v[131:132], v[135:136], v[119:120], v[113:114]
	ds_read2_b64 v[113:116], v112 offset0:87 offset1:88
	ds_read2_b64 v[117:120], v112 offset0:89 offset1:90
	;; [unrolled: 19-line block ×4, first 2 shown]
	s_waitcnt vmcnt(26) lgkmcnt(1)
	v_fma_f64 v[113:114], v[155:156], v[113:114], v[121:122]
	s_clause 0x3
	buffer_load_dword v122, off, s[0:3], 0 offset:436
	buffer_load_dword v121, off, s[0:3], 0 offset:432
	;; [unrolled: 1-line block ×4, first 2 shown]
	s_waitcnt vmcnt(29)
	v_fma_f64 v[113:114], v[153:154], v[115:116], v[113:114]
	s_waitcnt vmcnt(28) lgkmcnt(0)
	v_fma_f64 v[113:114], v[151:152], v[117:118], v[113:114]
	s_waitcnt vmcnt(23)
	v_fma_f64 v[123:124], v[123:124], v[119:120], v[113:114]
	ds_read2_b64 v[113:116], v112 offset0:99 offset1:100
	ds_read2_b64 v[117:120], v112 offset0:101 offset1:102
	s_waitcnt vmcnt(22) lgkmcnt(1)
	v_fma_f64 v[113:114], v[129:130], v[113:114], v[123:124]
	s_waitcnt vmcnt(21)
	v_fma_f64 v[113:114], v[127:128], v[115:116], v[113:114]
	s_waitcnt vmcnt(20) lgkmcnt(0)
	v_fma_f64 v[113:114], v[125:126], v[117:118], v[113:114]
	s_waitcnt vmcnt(15)
	v_fma_f64 v[123:124], v[131:132], v[119:120], v[113:114]
	ds_read2_b64 v[113:116], v112 offset0:103 offset1:104
	ds_read2_b64 v[117:120], v112 offset0:105 offset1:106
	s_waitcnt vmcnt(14) lgkmcnt(1)
	v_fma_f64 v[113:114], v[141:142], v[113:114], v[123:124]
	;; [unrolled: 10-line block ×3, first 2 shown]
	s_waitcnt vmcnt(5)
	v_fma_f64 v[112:113], v[143:144], v[115:116], v[112:113]
	s_waitcnt vmcnt(4) lgkmcnt(0)
	v_fma_f64 v[112:113], v[139:140], v[117:118], v[112:113]
	s_waitcnt vmcnt(2)
	v_fma_f64 v[112:113], v[121:122], v[119:120], v[112:113]
	s_waitcnt vmcnt(0)
	v_add_f64 v[112:113], v[145:146], -v[112:113]
	buffer_store_dword v113, off, s[0:3], 0 offset:180
	buffer_store_dword v112, off, s[0:3], 0 offset:176
	v_cmpx_lt_u32_e32 21, v0
	s_cbranch_execz .LBB54_297
; %bb.296:
	s_clause 0x1
	buffer_load_dword v112, off, s[0:3], 0 offset:168
	buffer_load_dword v113, off, s[0:3], 0 offset:172
	v_mov_b32_e32 v114, 0
	buffer_store_dword v114, off, s[0:3], 0 offset:168
	buffer_store_dword v114, off, s[0:3], 0 offset:172
	s_waitcnt vmcnt(0)
	ds_write_b64 v111, v[112:113]
.LBB54_297:
	s_or_b32 exec_lo, exec_lo, s4
	s_waitcnt lgkmcnt(0)
	s_waitcnt_vscnt null, 0x0
	s_barrier
	buffer_gl0_inv
	s_clause 0x1c
	buffer_load_dword v121, off, s[0:3], 0 offset:176
	buffer_load_dword v122, off, s[0:3], 0 offset:180
	;; [unrolled: 1-line block ×29, first 2 shown]
	v_mov_b32_e32 v112, 0
	buffer_load_dword v146, off, s[0:3], 0 offset:292
	s_mov_b32 s4, exec_lo
	ds_read_b128 v[113:116], v112 offset:624
	ds_read_b128 v[117:120], v112 offset:640
	s_waitcnt vmcnt(28) lgkmcnt(1)
	v_fma_f64 v[113:114], v[121:122], v[113:114], 0
	s_clause 0x7
	buffer_load_dword v122, off, s[0:3], 0 offset:300
	buffer_load_dword v151, off, s[0:3], 0 offset:320
	buffer_load_dword v153, off, s[0:3], 0 offset:312
	buffer_load_dword v155, off, s[0:3], 0 offset:304
	buffer_load_dword v121, off, s[0:3], 0 offset:296
	buffer_load_dword v156, off, s[0:3], 0 offset:308
	buffer_load_dword v154, off, s[0:3], 0 offset:316
	buffer_load_dword v152, off, s[0:3], 0 offset:324
	s_waitcnt vmcnt(34)
	v_fma_f64 v[113:114], v[123:124], v[115:116], v[113:114]
	s_waitcnt vmcnt(32) lgkmcnt(0)
	v_fma_f64 v[113:114], v[125:126], v[117:118], v[113:114]
	s_waitcnt vmcnt(30)
	v_fma_f64 v[123:124], v[127:128], v[119:120], v[113:114]
	ds_read_b128 v[113:116], v112 offset:656
	ds_read_b128 v[117:120], v112 offset:672
	s_waitcnt vmcnt(28) lgkmcnt(1)
	v_fma_f64 v[113:114], v[129:130], v[113:114], v[123:124]
	s_clause 0x7
	buffer_load_dword v124, off, s[0:3], 0 offset:332
	buffer_load_dword v125, off, s[0:3], 0 offset:352
	buffer_load_dword v127, off, s[0:3], 0 offset:344
	buffer_load_dword v129, off, s[0:3], 0 offset:336
	buffer_load_dword v123, off, s[0:3], 0 offset:328
	buffer_load_dword v130, off, s[0:3], 0 offset:340
	buffer_load_dword v128, off, s[0:3], 0 offset:348
	buffer_load_dword v126, off, s[0:3], 0 offset:356
	s_waitcnt vmcnt(34)
	v_fma_f64 v[113:114], v[131:132], v[115:116], v[113:114]
	s_waitcnt vmcnt(32) lgkmcnt(0)
	v_fma_f64 v[113:114], v[133:134], v[117:118], v[113:114]
	s_waitcnt vmcnt(27)
	v_fma_f64 v[131:132], v[135:136], v[119:120], v[113:114]
	;; [unrolled: 19-line block ×4, first 2 shown]
	ds_read_b128 v[113:116], v112 offset:752
	ds_read_b128 v[117:120], v112 offset:768
	s_waitcnt vmcnt(26) lgkmcnt(1)
	v_fma_f64 v[113:114], v[155:156], v[113:114], v[121:122]
	s_clause 0x5
	buffer_load_dword v122, off, s[0:3], 0 offset:428
	buffer_load_dword v145, off, s[0:3], 0 offset:432
	;; [unrolled: 1-line block ×6, first 2 shown]
	s_waitcnt vmcnt(31)
	v_fma_f64 v[113:114], v[153:154], v[115:116], v[113:114]
	s_waitcnt vmcnt(30) lgkmcnt(0)
	v_fma_f64 v[113:114], v[151:152], v[117:118], v[113:114]
	s_waitcnt vmcnt(25)
	v_fma_f64 v[123:124], v[123:124], v[119:120], v[113:114]
	ds_read_b128 v[113:116], v112 offset:784
	ds_read_b128 v[117:120], v112 offset:800
	s_waitcnt vmcnt(24) lgkmcnt(1)
	v_fma_f64 v[113:114], v[129:130], v[113:114], v[123:124]
	s_waitcnt vmcnt(23)
	v_fma_f64 v[113:114], v[127:128], v[115:116], v[113:114]
	s_waitcnt vmcnt(22) lgkmcnt(0)
	v_fma_f64 v[113:114], v[125:126], v[117:118], v[113:114]
	s_waitcnt vmcnt(17)
	v_fma_f64 v[123:124], v[131:132], v[119:120], v[113:114]
	ds_read_b128 v[113:116], v112 offset:816
	ds_read_b128 v[117:120], v112 offset:832
	s_waitcnt vmcnt(16) lgkmcnt(1)
	v_fma_f64 v[113:114], v[141:142], v[113:114], v[123:124]
	s_waitcnt vmcnt(15)
	v_fma_f64 v[113:114], v[135:136], v[115:116], v[113:114]
	s_waitcnt vmcnt(14) lgkmcnt(0)
	v_fma_f64 v[113:114], v[133:134], v[117:118], v[113:114]
	s_waitcnt vmcnt(9)
	v_fma_f64 v[123:124], v[137:138], v[119:120], v[113:114]
	ds_read_b128 v[113:116], v112 offset:848
	ds_read_b128 v[117:120], v112 offset:864
	s_waitcnt vmcnt(8) lgkmcnt(1)
	v_fma_f64 v[113:114], v[149:150], v[113:114], v[123:124]
	s_waitcnt vmcnt(7)
	v_fma_f64 v[113:114], v[143:144], v[115:116], v[113:114]
	ds_read_b64 v[115:116], v112 offset:880
	s_waitcnt vmcnt(6) lgkmcnt(1)
	v_fma_f64 v[113:114], v[139:140], v[117:118], v[113:114]
	s_waitcnt vmcnt(3)
	v_fma_f64 v[113:114], v[121:122], v[119:120], v[113:114]
	s_waitcnt vmcnt(2) lgkmcnt(0)
	v_fma_f64 v[113:114], v[145:146], v[115:116], v[113:114]
	s_waitcnt vmcnt(0)
	v_add_f64 v[113:114], v[147:148], -v[113:114]
	buffer_store_dword v114, off, s[0:3], 0 offset:172
	buffer_store_dword v113, off, s[0:3], 0 offset:168
	v_cmpx_lt_u32_e32 20, v0
	s_cbranch_execz .LBB54_299
; %bb.298:
	s_clause 0x1
	buffer_load_dword v113, off, s[0:3], 0 offset:160
	buffer_load_dword v114, off, s[0:3], 0 offset:164
	buffer_store_dword v112, off, s[0:3], 0 offset:160
	buffer_store_dword v112, off, s[0:3], 0 offset:164
	s_waitcnt vmcnt(0)
	ds_write_b64 v111, v[113:114]
.LBB54_299:
	s_or_b32 exec_lo, exec_lo, s4
	s_waitcnt lgkmcnt(0)
	s_waitcnt_vscnt null, 0x0
	s_barrier
	buffer_gl0_inv
	s_clause 0x1c
	buffer_load_dword v121, off, s[0:3], 0 offset:168
	buffer_load_dword v122, off, s[0:3], 0 offset:172
	;; [unrolled: 1-line block ×29, first 2 shown]
	ds_read2_b64 v[113:116], v112 offset0:77 offset1:78
	ds_read2_b64 v[117:120], v112 offset0:79 offset1:80
	buffer_load_dword v146, off, s[0:3], 0 offset:284
	s_mov_b32 s4, exec_lo
	s_waitcnt vmcnt(28) lgkmcnt(1)
	v_fma_f64 v[113:114], v[121:122], v[113:114], 0
	s_clause 0x7
	buffer_load_dword v122, off, s[0:3], 0 offset:292
	buffer_load_dword v151, off, s[0:3], 0 offset:312
	buffer_load_dword v153, off, s[0:3], 0 offset:304
	buffer_load_dword v155, off, s[0:3], 0 offset:296
	buffer_load_dword v121, off, s[0:3], 0 offset:288
	buffer_load_dword v156, off, s[0:3], 0 offset:300
	buffer_load_dword v154, off, s[0:3], 0 offset:308
	buffer_load_dword v152, off, s[0:3], 0 offset:316
	s_waitcnt vmcnt(34)
	v_fma_f64 v[113:114], v[123:124], v[115:116], v[113:114]
	s_waitcnt vmcnt(32) lgkmcnt(0)
	v_fma_f64 v[113:114], v[125:126], v[117:118], v[113:114]
	s_waitcnt vmcnt(30)
	v_fma_f64 v[123:124], v[127:128], v[119:120], v[113:114]
	ds_read2_b64 v[113:116], v112 offset0:81 offset1:82
	ds_read2_b64 v[117:120], v112 offset0:83 offset1:84
	s_waitcnt vmcnt(28) lgkmcnt(1)
	v_fma_f64 v[113:114], v[129:130], v[113:114], v[123:124]
	s_clause 0x7
	buffer_load_dword v124, off, s[0:3], 0 offset:324
	buffer_load_dword v125, off, s[0:3], 0 offset:344
	buffer_load_dword v127, off, s[0:3], 0 offset:336
	buffer_load_dword v129, off, s[0:3], 0 offset:328
	buffer_load_dword v123, off, s[0:3], 0 offset:320
	buffer_load_dword v130, off, s[0:3], 0 offset:332
	buffer_load_dword v128, off, s[0:3], 0 offset:340
	buffer_load_dword v126, off, s[0:3], 0 offset:348
	s_waitcnt vmcnt(34)
	v_fma_f64 v[113:114], v[131:132], v[115:116], v[113:114]
	s_waitcnt vmcnt(32) lgkmcnt(0)
	v_fma_f64 v[113:114], v[133:134], v[117:118], v[113:114]
	s_waitcnt vmcnt(27)
	v_fma_f64 v[131:132], v[135:136], v[119:120], v[113:114]
	ds_read2_b64 v[113:116], v112 offset0:85 offset1:86
	ds_read2_b64 v[117:120], v112 offset0:87 offset1:88
	;; [unrolled: 19-line block ×4, first 2 shown]
	s_waitcnt vmcnt(26) lgkmcnt(1)
	v_fma_f64 v[113:114], v[155:156], v[113:114], v[121:122]
	s_clause 0x5
	buffer_load_dword v122, off, s[0:3], 0 offset:420
	buffer_load_dword v145, off, s[0:3], 0 offset:432
	;; [unrolled: 1-line block ×6, first 2 shown]
	s_waitcnt vmcnt(31)
	v_fma_f64 v[113:114], v[153:154], v[115:116], v[113:114]
	s_waitcnt vmcnt(30) lgkmcnt(0)
	v_fma_f64 v[113:114], v[151:152], v[117:118], v[113:114]
	s_waitcnt vmcnt(25)
	v_fma_f64 v[123:124], v[123:124], v[119:120], v[113:114]
	ds_read2_b64 v[113:116], v112 offset0:97 offset1:98
	s_clause 0x1
	buffer_load_dword v151, off, s[0:3], 0 offset:160
	buffer_load_dword v152, off, s[0:3], 0 offset:164
	ds_read2_b64 v[117:120], v112 offset0:99 offset1:100
	s_waitcnt vmcnt(26) lgkmcnt(1)
	v_fma_f64 v[113:114], v[129:130], v[113:114], v[123:124]
	s_waitcnt vmcnt(25)
	v_fma_f64 v[113:114], v[127:128], v[115:116], v[113:114]
	s_waitcnt vmcnt(24) lgkmcnt(0)
	v_fma_f64 v[113:114], v[125:126], v[117:118], v[113:114]
	s_waitcnt vmcnt(19)
	v_fma_f64 v[123:124], v[131:132], v[119:120], v[113:114]
	ds_read2_b64 v[113:116], v112 offset0:101 offset1:102
	ds_read2_b64 v[117:120], v112 offset0:103 offset1:104
	s_waitcnt vmcnt(18) lgkmcnt(1)
	v_fma_f64 v[113:114], v[141:142], v[113:114], v[123:124]
	s_waitcnt vmcnt(17)
	v_fma_f64 v[113:114], v[135:136], v[115:116], v[113:114]
	s_waitcnt vmcnt(16) lgkmcnt(0)
	v_fma_f64 v[113:114], v[133:134], v[117:118], v[113:114]
	s_waitcnt vmcnt(11)
	v_fma_f64 v[123:124], v[137:138], v[119:120], v[113:114]
	ds_read2_b64 v[113:116], v112 offset0:105 offset1:106
	;; [unrolled: 10-line block ×3, first 2 shown]
	s_waitcnt vmcnt(3) lgkmcnt(0)
	v_fma_f64 v[112:113], v[147:148], v[112:113], v[116:117]
	s_waitcnt vmcnt(2)
	v_fma_f64 v[112:113], v[145:146], v[114:115], v[112:113]
	s_waitcnt vmcnt(0)
	v_add_f64 v[112:113], v[151:152], -v[112:113]
	buffer_store_dword v113, off, s[0:3], 0 offset:164
	buffer_store_dword v112, off, s[0:3], 0 offset:160
	v_cmpx_lt_u32_e32 19, v0
	s_cbranch_execz .LBB54_301
; %bb.300:
	s_clause 0x1
	buffer_load_dword v112, off, s[0:3], 0 offset:152
	buffer_load_dword v113, off, s[0:3], 0 offset:156
	v_mov_b32_e32 v114, 0
	buffer_store_dword v114, off, s[0:3], 0 offset:152
	buffer_store_dword v114, off, s[0:3], 0 offset:156
	s_waitcnt vmcnt(0)
	ds_write_b64 v111, v[112:113]
.LBB54_301:
	s_or_b32 exec_lo, exec_lo, s4
	s_waitcnt lgkmcnt(0)
	s_waitcnt_vscnt null, 0x0
	s_barrier
	buffer_gl0_inv
	s_clause 0x1c
	buffer_load_dword v121, off, s[0:3], 0 offset:160
	buffer_load_dword v122, off, s[0:3], 0 offset:164
	;; [unrolled: 1-line block ×29, first 2 shown]
	v_mov_b32_e32 v112, 0
	buffer_load_dword v146, off, s[0:3], 0 offset:276
	s_mov_b32 s4, exec_lo
	ds_read_b128 v[113:116], v112 offset:608
	ds_read_b128 v[117:120], v112 offset:624
	s_waitcnt vmcnt(28) lgkmcnt(1)
	v_fma_f64 v[113:114], v[121:122], v[113:114], 0
	s_clause 0x7
	buffer_load_dword v122, off, s[0:3], 0 offset:284
	buffer_load_dword v151, off, s[0:3], 0 offset:304
	buffer_load_dword v153, off, s[0:3], 0 offset:296
	buffer_load_dword v155, off, s[0:3], 0 offset:288
	buffer_load_dword v121, off, s[0:3], 0 offset:280
	buffer_load_dword v156, off, s[0:3], 0 offset:292
	buffer_load_dword v154, off, s[0:3], 0 offset:300
	buffer_load_dword v152, off, s[0:3], 0 offset:308
	s_waitcnt vmcnt(34)
	v_fma_f64 v[113:114], v[123:124], v[115:116], v[113:114]
	s_waitcnt vmcnt(32) lgkmcnt(0)
	v_fma_f64 v[113:114], v[125:126], v[117:118], v[113:114]
	s_waitcnt vmcnt(30)
	v_fma_f64 v[123:124], v[127:128], v[119:120], v[113:114]
	ds_read_b128 v[113:116], v112 offset:640
	ds_read_b128 v[117:120], v112 offset:656
	s_waitcnt vmcnt(28) lgkmcnt(1)
	v_fma_f64 v[113:114], v[129:130], v[113:114], v[123:124]
	s_clause 0x7
	buffer_load_dword v124, off, s[0:3], 0 offset:316
	buffer_load_dword v125, off, s[0:3], 0 offset:336
	buffer_load_dword v127, off, s[0:3], 0 offset:328
	buffer_load_dword v129, off, s[0:3], 0 offset:320
	buffer_load_dword v123, off, s[0:3], 0 offset:312
	buffer_load_dword v130, off, s[0:3], 0 offset:324
	buffer_load_dword v128, off, s[0:3], 0 offset:332
	buffer_load_dword v126, off, s[0:3], 0 offset:340
	s_waitcnt vmcnt(34)
	v_fma_f64 v[113:114], v[131:132], v[115:116], v[113:114]
	s_waitcnt vmcnt(32) lgkmcnt(0)
	v_fma_f64 v[113:114], v[133:134], v[117:118], v[113:114]
	s_waitcnt vmcnt(27)
	v_fma_f64 v[131:132], v[135:136], v[119:120], v[113:114]
	;; [unrolled: 19-line block ×5, first 2 shown]
	ds_read_b128 v[113:116], v112 offset:768
	ds_read_b128 v[117:120], v112 offset:784
	s_waitcnt vmcnt(26) lgkmcnt(1)
	v_fma_f64 v[113:114], v[129:130], v[113:114], v[123:124]
	s_clause 0x1
	buffer_load_dword v123, off, s[0:3], 0 offset:152
	buffer_load_dword v124, off, s[0:3], 0 offset:156
	s_waitcnt vmcnt(27)
	v_fma_f64 v[113:114], v[127:128], v[115:116], v[113:114]
	s_waitcnt vmcnt(26) lgkmcnt(0)
	v_fma_f64 v[113:114], v[125:126], v[117:118], v[113:114]
	s_waitcnt vmcnt(21)
	v_fma_f64 v[125:126], v[131:132], v[119:120], v[113:114]
	ds_read_b128 v[113:116], v112 offset:800
	ds_read_b128 v[117:120], v112 offset:816
	s_waitcnt vmcnt(20) lgkmcnt(1)
	v_fma_f64 v[113:114], v[141:142], v[113:114], v[125:126]
	s_waitcnt vmcnt(19)
	v_fma_f64 v[113:114], v[135:136], v[115:116], v[113:114]
	s_waitcnt vmcnt(18) lgkmcnt(0)
	v_fma_f64 v[113:114], v[133:134], v[117:118], v[113:114]
	s_waitcnt vmcnt(13)
	v_fma_f64 v[125:126], v[137:138], v[119:120], v[113:114]
	ds_read_b128 v[113:116], v112 offset:832
	ds_read_b128 v[117:120], v112 offset:848
	s_waitcnt vmcnt(12) lgkmcnt(1)
	v_fma_f64 v[113:114], v[149:150], v[113:114], v[125:126]
	s_waitcnt vmcnt(11)
	v_fma_f64 v[113:114], v[143:144], v[115:116], v[113:114]
	s_waitcnt vmcnt(10) lgkmcnt(0)
	v_fma_f64 v[113:114], v[139:140], v[117:118], v[113:114]
	s_waitcnt vmcnt(5)
	v_fma_f64 v[117:118], v[121:122], v[119:120], v[113:114]
	ds_read_b128 v[113:116], v112 offset:864
	ds_read_b64 v[119:120], v112 offset:880
	s_waitcnt vmcnt(4) lgkmcnt(1)
	v_fma_f64 v[113:114], v[155:156], v[113:114], v[117:118]
	s_waitcnt vmcnt(3)
	v_fma_f64 v[113:114], v[147:148], v[115:116], v[113:114]
	s_waitcnt vmcnt(2) lgkmcnt(0)
	v_fma_f64 v[113:114], v[145:146], v[119:120], v[113:114]
	s_waitcnt vmcnt(0)
	v_add_f64 v[113:114], v[123:124], -v[113:114]
	buffer_store_dword v114, off, s[0:3], 0 offset:156
	buffer_store_dword v113, off, s[0:3], 0 offset:152
	v_cmpx_lt_u32_e32 18, v0
	s_cbranch_execz .LBB54_303
; %bb.302:
	s_clause 0x1
	buffer_load_dword v113, off, s[0:3], 0 offset:144
	buffer_load_dword v114, off, s[0:3], 0 offset:148
	buffer_store_dword v112, off, s[0:3], 0 offset:144
	buffer_store_dword v112, off, s[0:3], 0 offset:148
	s_waitcnt vmcnt(0)
	ds_write_b64 v111, v[113:114]
.LBB54_303:
	s_or_b32 exec_lo, exec_lo, s4
	s_waitcnt lgkmcnt(0)
	s_waitcnt_vscnt null, 0x0
	s_barrier
	buffer_gl0_inv
	s_clause 0x1c
	buffer_load_dword v121, off, s[0:3], 0 offset:152
	buffer_load_dword v122, off, s[0:3], 0 offset:156
	buffer_load_dword v123, off, s[0:3], 0 offset:160
	buffer_load_dword v124, off, s[0:3], 0 offset:164
	buffer_load_dword v125, off, s[0:3], 0 offset:168
	buffer_load_dword v126, off, s[0:3], 0 offset:172
	buffer_load_dword v127, off, s[0:3], 0 offset:176
	buffer_load_dword v128, off, s[0:3], 0 offset:180
	buffer_load_dword v129, off, s[0:3], 0 offset:184
	buffer_load_dword v130, off, s[0:3], 0 offset:188
	buffer_load_dword v131, off, s[0:3], 0 offset:192
	buffer_load_dword v132, off, s[0:3], 0 offset:196
	buffer_load_dword v133, off, s[0:3], 0 offset:200
	buffer_load_dword v134, off, s[0:3], 0 offset:204
	buffer_load_dword v136, off, s[0:3], 0 offset:212
	buffer_load_dword v137, off, s[0:3], 0 offset:232
	buffer_load_dword v139, off, s[0:3], 0 offset:224
	buffer_load_dword v141, off, s[0:3], 0 offset:216
	buffer_load_dword v135, off, s[0:3], 0 offset:208
	buffer_load_dword v142, off, s[0:3], 0 offset:220
	buffer_load_dword v140, off, s[0:3], 0 offset:228
	buffer_load_dword v138, off, s[0:3], 0 offset:236
	buffer_load_dword v144, off, s[0:3], 0 offset:244
	buffer_load_dword v145, off, s[0:3], 0 offset:264
	buffer_load_dword v147, off, s[0:3], 0 offset:256
	buffer_load_dword v149, off, s[0:3], 0 offset:248
	buffer_load_dword v143, off, s[0:3], 0 offset:240
	buffer_load_dword v150, off, s[0:3], 0 offset:252
	buffer_load_dword v148, off, s[0:3], 0 offset:260
	ds_read2_b64 v[113:116], v112 offset0:75 offset1:76
	ds_read2_b64 v[117:120], v112 offset0:77 offset1:78
	buffer_load_dword v146, off, s[0:3], 0 offset:268
	s_mov_b32 s4, exec_lo
	s_waitcnt vmcnt(28) lgkmcnt(1)
	v_fma_f64 v[113:114], v[121:122], v[113:114], 0
	s_clause 0x7
	buffer_load_dword v122, off, s[0:3], 0 offset:276
	buffer_load_dword v151, off, s[0:3], 0 offset:296
	buffer_load_dword v153, off, s[0:3], 0 offset:288
	buffer_load_dword v155, off, s[0:3], 0 offset:280
	buffer_load_dword v121, off, s[0:3], 0 offset:272
	buffer_load_dword v156, off, s[0:3], 0 offset:284
	buffer_load_dword v154, off, s[0:3], 0 offset:292
	buffer_load_dword v152, off, s[0:3], 0 offset:300
	s_waitcnt vmcnt(34)
	v_fma_f64 v[113:114], v[123:124], v[115:116], v[113:114]
	s_waitcnt vmcnt(32) lgkmcnt(0)
	v_fma_f64 v[113:114], v[125:126], v[117:118], v[113:114]
	s_waitcnt vmcnt(30)
	v_fma_f64 v[123:124], v[127:128], v[119:120], v[113:114]
	ds_read2_b64 v[113:116], v112 offset0:79 offset1:80
	ds_read2_b64 v[117:120], v112 offset0:81 offset1:82
	s_waitcnt vmcnt(28) lgkmcnt(1)
	v_fma_f64 v[113:114], v[129:130], v[113:114], v[123:124]
	s_clause 0x7
	buffer_load_dword v124, off, s[0:3], 0 offset:308
	buffer_load_dword v125, off, s[0:3], 0 offset:328
	buffer_load_dword v127, off, s[0:3], 0 offset:320
	buffer_load_dword v129, off, s[0:3], 0 offset:312
	buffer_load_dword v123, off, s[0:3], 0 offset:304
	buffer_load_dword v130, off, s[0:3], 0 offset:316
	buffer_load_dword v128, off, s[0:3], 0 offset:324
	buffer_load_dword v126, off, s[0:3], 0 offset:332
	s_waitcnt vmcnt(34)
	v_fma_f64 v[113:114], v[131:132], v[115:116], v[113:114]
	s_waitcnt vmcnt(32) lgkmcnt(0)
	v_fma_f64 v[113:114], v[133:134], v[117:118], v[113:114]
	s_waitcnt vmcnt(27)
	v_fma_f64 v[131:132], v[135:136], v[119:120], v[113:114]
	ds_read2_b64 v[113:116], v112 offset0:83 offset1:84
	ds_read2_b64 v[117:120], v112 offset0:85 offset1:86
	;; [unrolled: 19-line block ×5, first 2 shown]
	s_waitcnt vmcnt(26) lgkmcnt(1)
	v_fma_f64 v[113:114], v[129:130], v[113:114], v[123:124]
	s_clause 0x1
	buffer_load_dword v124, off, s[0:3], 0 offset:436
	buffer_load_dword v123, off, s[0:3], 0 offset:432
	s_waitcnt vmcnt(27)
	v_fma_f64 v[113:114], v[127:128], v[115:116], v[113:114]
	s_clause 0x1
	buffer_load_dword v127, off, s[0:3], 0 offset:144
	buffer_load_dword v128, off, s[0:3], 0 offset:148
	s_waitcnt vmcnt(28) lgkmcnt(0)
	v_fma_f64 v[113:114], v[125:126], v[117:118], v[113:114]
	s_waitcnt vmcnt(23)
	v_fma_f64 v[125:126], v[131:132], v[119:120], v[113:114]
	ds_read2_b64 v[113:116], v112 offset0:99 offset1:100
	ds_read2_b64 v[117:120], v112 offset0:101 offset1:102
	s_waitcnt vmcnt(22) lgkmcnt(1)
	v_fma_f64 v[113:114], v[141:142], v[113:114], v[125:126]
	s_waitcnt vmcnt(21)
	v_fma_f64 v[113:114], v[135:136], v[115:116], v[113:114]
	s_waitcnt vmcnt(20) lgkmcnt(0)
	v_fma_f64 v[113:114], v[133:134], v[117:118], v[113:114]
	s_waitcnt vmcnt(15)
	v_fma_f64 v[125:126], v[137:138], v[119:120], v[113:114]
	ds_read2_b64 v[113:116], v112 offset0:103 offset1:104
	ds_read2_b64 v[117:120], v112 offset0:105 offset1:106
	s_waitcnt vmcnt(14) lgkmcnt(1)
	v_fma_f64 v[113:114], v[149:150], v[113:114], v[125:126]
	s_waitcnt vmcnt(13)
	v_fma_f64 v[113:114], v[143:144], v[115:116], v[113:114]
	;; [unrolled: 10-line block ×3, first 2 shown]
	s_waitcnt vmcnt(4) lgkmcnt(0)
	v_fma_f64 v[112:113], v[145:146], v[117:118], v[112:113]
	s_waitcnt vmcnt(2)
	v_fma_f64 v[112:113], v[123:124], v[119:120], v[112:113]
	s_waitcnt vmcnt(0)
	v_add_f64 v[112:113], v[127:128], -v[112:113]
	buffer_store_dword v113, off, s[0:3], 0 offset:148
	buffer_store_dword v112, off, s[0:3], 0 offset:144
	v_cmpx_lt_u32_e32 17, v0
	s_cbranch_execz .LBB54_305
; %bb.304:
	s_clause 0x1
	buffer_load_dword v112, off, s[0:3], 0 offset:136
	buffer_load_dword v113, off, s[0:3], 0 offset:140
	v_mov_b32_e32 v114, 0
	buffer_store_dword v114, off, s[0:3], 0 offset:136
	buffer_store_dword v114, off, s[0:3], 0 offset:140
	s_waitcnt vmcnt(0)
	ds_write_b64 v111, v[112:113]
.LBB54_305:
	s_or_b32 exec_lo, exec_lo, s4
	s_waitcnt lgkmcnt(0)
	s_waitcnt_vscnt null, 0x0
	s_barrier
	buffer_gl0_inv
	s_clause 0x1c
	buffer_load_dword v121, off, s[0:3], 0 offset:144
	buffer_load_dword v122, off, s[0:3], 0 offset:148
	;; [unrolled: 1-line block ×29, first 2 shown]
	v_mov_b32_e32 v112, 0
	buffer_load_dword v146, off, s[0:3], 0 offset:260
	s_mov_b32 s4, exec_lo
	ds_read_b128 v[113:116], v112 offset:592
	ds_read_b128 v[117:120], v112 offset:608
	s_waitcnt vmcnt(28) lgkmcnt(1)
	v_fma_f64 v[113:114], v[121:122], v[113:114], 0
	s_clause 0x7
	buffer_load_dword v122, off, s[0:3], 0 offset:268
	buffer_load_dword v151, off, s[0:3], 0 offset:288
	buffer_load_dword v153, off, s[0:3], 0 offset:280
	buffer_load_dword v155, off, s[0:3], 0 offset:272
	buffer_load_dword v121, off, s[0:3], 0 offset:264
	buffer_load_dword v156, off, s[0:3], 0 offset:276
	buffer_load_dword v154, off, s[0:3], 0 offset:284
	buffer_load_dword v152, off, s[0:3], 0 offset:292
	s_waitcnt vmcnt(34)
	v_fma_f64 v[113:114], v[123:124], v[115:116], v[113:114]
	s_waitcnt vmcnt(32) lgkmcnt(0)
	v_fma_f64 v[113:114], v[125:126], v[117:118], v[113:114]
	s_waitcnt vmcnt(30)
	v_fma_f64 v[123:124], v[127:128], v[119:120], v[113:114]
	ds_read_b128 v[113:116], v112 offset:624
	ds_read_b128 v[117:120], v112 offset:640
	s_waitcnt vmcnt(28) lgkmcnt(1)
	v_fma_f64 v[113:114], v[129:130], v[113:114], v[123:124]
	s_clause 0x7
	buffer_load_dword v124, off, s[0:3], 0 offset:300
	buffer_load_dword v125, off, s[0:3], 0 offset:320
	buffer_load_dword v127, off, s[0:3], 0 offset:312
	buffer_load_dword v129, off, s[0:3], 0 offset:304
	buffer_load_dword v123, off, s[0:3], 0 offset:296
	buffer_load_dword v130, off, s[0:3], 0 offset:308
	buffer_load_dword v128, off, s[0:3], 0 offset:316
	buffer_load_dword v126, off, s[0:3], 0 offset:324
	s_waitcnt vmcnt(34)
	v_fma_f64 v[113:114], v[131:132], v[115:116], v[113:114]
	s_waitcnt vmcnt(32) lgkmcnt(0)
	v_fma_f64 v[113:114], v[133:134], v[117:118], v[113:114]
	s_waitcnt vmcnt(27)
	v_fma_f64 v[131:132], v[135:136], v[119:120], v[113:114]
	;; [unrolled: 19-line block ×5, first 2 shown]
	ds_read_b128 v[113:116], v112 offset:752
	ds_read_b128 v[117:120], v112 offset:768
	s_waitcnt vmcnt(26) lgkmcnt(1)
	v_fma_f64 v[113:114], v[129:130], v[113:114], v[123:124]
	s_clause 0x3
	buffer_load_dword v124, off, s[0:3], 0 offset:428
	buffer_load_dword v129, off, s[0:3], 0 offset:432
	;; [unrolled: 1-line block ×4, first 2 shown]
	s_waitcnt vmcnt(29)
	v_fma_f64 v[113:114], v[127:128], v[115:116], v[113:114]
	s_waitcnt vmcnt(28) lgkmcnt(0)
	v_fma_f64 v[113:114], v[125:126], v[117:118], v[113:114]
	s_clause 0x1
	buffer_load_dword v125, off, s[0:3], 0 offset:136
	buffer_load_dword v126, off, s[0:3], 0 offset:140
	s_waitcnt vmcnt(25)
	v_fma_f64 v[127:128], v[131:132], v[119:120], v[113:114]
	ds_read_b128 v[113:116], v112 offset:784
	ds_read_b128 v[117:120], v112 offset:800
	s_waitcnt vmcnt(24) lgkmcnt(1)
	v_fma_f64 v[113:114], v[141:142], v[113:114], v[127:128]
	s_waitcnt vmcnt(23)
	v_fma_f64 v[113:114], v[135:136], v[115:116], v[113:114]
	s_waitcnt vmcnt(22) lgkmcnt(0)
	v_fma_f64 v[113:114], v[133:134], v[117:118], v[113:114]
	s_waitcnt vmcnt(17)
	v_fma_f64 v[127:128], v[137:138], v[119:120], v[113:114]
	ds_read_b128 v[113:116], v112 offset:816
	ds_read_b128 v[117:120], v112 offset:832
	s_waitcnt vmcnt(16) lgkmcnt(1)
	v_fma_f64 v[113:114], v[149:150], v[113:114], v[127:128]
	s_waitcnt vmcnt(15)
	v_fma_f64 v[113:114], v[143:144], v[115:116], v[113:114]
	s_waitcnt vmcnt(14) lgkmcnt(0)
	v_fma_f64 v[113:114], v[139:140], v[117:118], v[113:114]
	s_waitcnt vmcnt(9)
	v_fma_f64 v[121:122], v[121:122], v[119:120], v[113:114]
	ds_read_b128 v[113:116], v112 offset:848
	ds_read_b128 v[117:120], v112 offset:864
	s_waitcnt vmcnt(8) lgkmcnt(1)
	v_fma_f64 v[113:114], v[155:156], v[113:114], v[121:122]
	s_waitcnt vmcnt(7)
	v_fma_f64 v[113:114], v[147:148], v[115:116], v[113:114]
	ds_read_b64 v[115:116], v112 offset:880
	s_waitcnt vmcnt(6) lgkmcnt(1)
	v_fma_f64 v[113:114], v[145:146], v[117:118], v[113:114]
	s_waitcnt vmcnt(3)
	v_fma_f64 v[113:114], v[123:124], v[119:120], v[113:114]
	s_waitcnt vmcnt(2) lgkmcnt(0)
	v_fma_f64 v[113:114], v[129:130], v[115:116], v[113:114]
	s_waitcnt vmcnt(0)
	v_add_f64 v[113:114], v[125:126], -v[113:114]
	buffer_store_dword v114, off, s[0:3], 0 offset:140
	buffer_store_dword v113, off, s[0:3], 0 offset:136
	v_cmpx_lt_u32_e32 16, v0
	s_cbranch_execz .LBB54_307
; %bb.306:
	s_clause 0x1
	buffer_load_dword v113, off, s[0:3], 0 offset:128
	buffer_load_dword v114, off, s[0:3], 0 offset:132
	buffer_store_dword v112, off, s[0:3], 0 offset:128
	buffer_store_dword v112, off, s[0:3], 0 offset:132
	s_waitcnt vmcnt(0)
	ds_write_b64 v111, v[113:114]
.LBB54_307:
	s_or_b32 exec_lo, exec_lo, s4
	s_waitcnt lgkmcnt(0)
	s_waitcnt_vscnt null, 0x0
	s_barrier
	buffer_gl0_inv
	s_clause 0x1c
	buffer_load_dword v121, off, s[0:3], 0 offset:136
	buffer_load_dword v122, off, s[0:3], 0 offset:140
	;; [unrolled: 1-line block ×29, first 2 shown]
	ds_read2_b64 v[113:116], v112 offset0:73 offset1:74
	ds_read2_b64 v[117:120], v112 offset0:75 offset1:76
	buffer_load_dword v146, off, s[0:3], 0 offset:252
	s_mov_b32 s4, exec_lo
	s_waitcnt vmcnt(28) lgkmcnt(1)
	v_fma_f64 v[113:114], v[121:122], v[113:114], 0
	s_clause 0x7
	buffer_load_dword v122, off, s[0:3], 0 offset:260
	buffer_load_dword v151, off, s[0:3], 0 offset:280
	buffer_load_dword v153, off, s[0:3], 0 offset:272
	buffer_load_dword v155, off, s[0:3], 0 offset:264
	buffer_load_dword v121, off, s[0:3], 0 offset:256
	buffer_load_dword v156, off, s[0:3], 0 offset:268
	buffer_load_dword v154, off, s[0:3], 0 offset:276
	buffer_load_dword v152, off, s[0:3], 0 offset:284
	s_waitcnt vmcnt(34)
	v_fma_f64 v[113:114], v[123:124], v[115:116], v[113:114]
	s_waitcnt vmcnt(32) lgkmcnt(0)
	v_fma_f64 v[113:114], v[125:126], v[117:118], v[113:114]
	s_waitcnt vmcnt(30)
	v_fma_f64 v[123:124], v[127:128], v[119:120], v[113:114]
	ds_read2_b64 v[113:116], v112 offset0:77 offset1:78
	ds_read2_b64 v[117:120], v112 offset0:79 offset1:80
	s_waitcnt vmcnt(28) lgkmcnt(1)
	v_fma_f64 v[113:114], v[129:130], v[113:114], v[123:124]
	s_clause 0x7
	buffer_load_dword v124, off, s[0:3], 0 offset:292
	buffer_load_dword v125, off, s[0:3], 0 offset:312
	buffer_load_dword v127, off, s[0:3], 0 offset:304
	buffer_load_dword v129, off, s[0:3], 0 offset:296
	buffer_load_dword v123, off, s[0:3], 0 offset:288
	buffer_load_dword v130, off, s[0:3], 0 offset:300
	buffer_load_dword v128, off, s[0:3], 0 offset:308
	buffer_load_dword v126, off, s[0:3], 0 offset:316
	s_waitcnt vmcnt(34)
	v_fma_f64 v[113:114], v[131:132], v[115:116], v[113:114]
	s_waitcnt vmcnt(32) lgkmcnt(0)
	v_fma_f64 v[113:114], v[133:134], v[117:118], v[113:114]
	s_waitcnt vmcnt(27)
	v_fma_f64 v[131:132], v[135:136], v[119:120], v[113:114]
	ds_read2_b64 v[113:116], v112 offset0:81 offset1:82
	ds_read2_b64 v[117:120], v112 offset0:83 offset1:84
	;; [unrolled: 19-line block ×5, first 2 shown]
	s_waitcnt vmcnt(26) lgkmcnt(1)
	v_fma_f64 v[113:114], v[129:130], v[113:114], v[123:124]
	s_clause 0x5
	buffer_load_dword v124, off, s[0:3], 0 offset:420
	buffer_load_dword v129, off, s[0:3], 0 offset:432
	;; [unrolled: 1-line block ×6, first 2 shown]
	s_waitcnt vmcnt(31)
	v_fma_f64 v[113:114], v[127:128], v[115:116], v[113:114]
	s_waitcnt vmcnt(30) lgkmcnt(0)
	v_fma_f64 v[113:114], v[125:126], v[117:118], v[113:114]
	s_waitcnt vmcnt(25)
	v_fma_f64 v[125:126], v[131:132], v[119:120], v[113:114]
	ds_read2_b64 v[113:116], v112 offset0:97 offset1:98
	s_clause 0x1
	buffer_load_dword v127, off, s[0:3], 0 offset:128
	buffer_load_dword v128, off, s[0:3], 0 offset:132
	ds_read2_b64 v[117:120], v112 offset0:99 offset1:100
	s_waitcnt vmcnt(26) lgkmcnt(1)
	v_fma_f64 v[113:114], v[141:142], v[113:114], v[125:126]
	s_waitcnt vmcnt(25)
	v_fma_f64 v[113:114], v[135:136], v[115:116], v[113:114]
	s_waitcnt vmcnt(24) lgkmcnt(0)
	v_fma_f64 v[113:114], v[133:134], v[117:118], v[113:114]
	s_waitcnt vmcnt(19)
	v_fma_f64 v[125:126], v[137:138], v[119:120], v[113:114]
	ds_read2_b64 v[113:116], v112 offset0:101 offset1:102
	ds_read2_b64 v[117:120], v112 offset0:103 offset1:104
	s_waitcnt vmcnt(18) lgkmcnt(1)
	v_fma_f64 v[113:114], v[149:150], v[113:114], v[125:126]
	s_waitcnt vmcnt(17)
	v_fma_f64 v[113:114], v[143:144], v[115:116], v[113:114]
	s_waitcnt vmcnt(16) lgkmcnt(0)
	v_fma_f64 v[113:114], v[139:140], v[117:118], v[113:114]
	s_waitcnt vmcnt(11)
	v_fma_f64 v[121:122], v[121:122], v[119:120], v[113:114]
	ds_read2_b64 v[113:116], v112 offset0:105 offset1:106
	;; [unrolled: 10-line block ×3, first 2 shown]
	s_waitcnt vmcnt(3) lgkmcnt(0)
	v_fma_f64 v[112:113], v[151:152], v[112:113], v[116:117]
	s_waitcnt vmcnt(2)
	v_fma_f64 v[112:113], v[129:130], v[114:115], v[112:113]
	s_waitcnt vmcnt(0)
	v_add_f64 v[112:113], v[127:128], -v[112:113]
	buffer_store_dword v113, off, s[0:3], 0 offset:132
	buffer_store_dword v112, off, s[0:3], 0 offset:128
	v_cmpx_lt_u32_e32 15, v0
	s_cbranch_execz .LBB54_309
; %bb.308:
	s_clause 0x1
	buffer_load_dword v112, off, s[0:3], 0 offset:120
	buffer_load_dword v113, off, s[0:3], 0 offset:124
	v_mov_b32_e32 v114, 0
	buffer_store_dword v114, off, s[0:3], 0 offset:120
	buffer_store_dword v114, off, s[0:3], 0 offset:124
	s_waitcnt vmcnt(0)
	ds_write_b64 v111, v[112:113]
.LBB54_309:
	s_or_b32 exec_lo, exec_lo, s4
	s_waitcnt lgkmcnt(0)
	s_waitcnt_vscnt null, 0x0
	s_barrier
	buffer_gl0_inv
	s_clause 0x1c
	buffer_load_dword v121, off, s[0:3], 0 offset:128
	buffer_load_dword v122, off, s[0:3], 0 offset:132
	;; [unrolled: 1-line block ×29, first 2 shown]
	v_mov_b32_e32 v112, 0
	buffer_load_dword v146, off, s[0:3], 0 offset:244
	s_mov_b32 s4, exec_lo
	ds_read_b128 v[113:116], v112 offset:576
	ds_read_b128 v[117:120], v112 offset:592
	s_waitcnt vmcnt(28) lgkmcnt(1)
	v_fma_f64 v[113:114], v[121:122], v[113:114], 0
	s_clause 0x7
	buffer_load_dword v122, off, s[0:3], 0 offset:252
	buffer_load_dword v151, off, s[0:3], 0 offset:272
	buffer_load_dword v153, off, s[0:3], 0 offset:264
	buffer_load_dword v155, off, s[0:3], 0 offset:256
	buffer_load_dword v121, off, s[0:3], 0 offset:248
	buffer_load_dword v156, off, s[0:3], 0 offset:260
	buffer_load_dword v154, off, s[0:3], 0 offset:268
	buffer_load_dword v152, off, s[0:3], 0 offset:276
	s_waitcnt vmcnt(34)
	v_fma_f64 v[113:114], v[123:124], v[115:116], v[113:114]
	s_waitcnt vmcnt(32) lgkmcnt(0)
	v_fma_f64 v[113:114], v[125:126], v[117:118], v[113:114]
	s_waitcnt vmcnt(30)
	v_fma_f64 v[123:124], v[127:128], v[119:120], v[113:114]
	ds_read_b128 v[113:116], v112 offset:608
	ds_read_b128 v[117:120], v112 offset:624
	s_waitcnt vmcnt(28) lgkmcnt(1)
	v_fma_f64 v[113:114], v[129:130], v[113:114], v[123:124]
	s_clause 0x7
	buffer_load_dword v124, off, s[0:3], 0 offset:284
	buffer_load_dword v125, off, s[0:3], 0 offset:304
	buffer_load_dword v127, off, s[0:3], 0 offset:296
	buffer_load_dword v129, off, s[0:3], 0 offset:288
	buffer_load_dword v123, off, s[0:3], 0 offset:280
	buffer_load_dword v130, off, s[0:3], 0 offset:292
	buffer_load_dword v128, off, s[0:3], 0 offset:300
	buffer_load_dword v126, off, s[0:3], 0 offset:308
	s_waitcnt vmcnt(34)
	v_fma_f64 v[113:114], v[131:132], v[115:116], v[113:114]
	s_waitcnt vmcnt(32) lgkmcnt(0)
	v_fma_f64 v[113:114], v[133:134], v[117:118], v[113:114]
	s_waitcnt vmcnt(27)
	v_fma_f64 v[131:132], v[135:136], v[119:120], v[113:114]
	;; [unrolled: 19-line block ×6, first 2 shown]
	ds_read_b128 v[113:116], v112 offset:768
	ds_read_b128 v[117:120], v112 offset:784
	s_waitcnt vmcnt(26) lgkmcnt(1)
	v_fma_f64 v[113:114], v[141:142], v[113:114], v[125:126]
	s_clause 0x1
	buffer_load_dword v125, off, s[0:3], 0 offset:120
	buffer_load_dword v126, off, s[0:3], 0 offset:124
	s_waitcnt vmcnt(27)
	v_fma_f64 v[113:114], v[135:136], v[115:116], v[113:114]
	s_waitcnt vmcnt(26) lgkmcnt(0)
	v_fma_f64 v[113:114], v[133:134], v[117:118], v[113:114]
	s_waitcnt vmcnt(21)
	v_fma_f64 v[127:128], v[137:138], v[119:120], v[113:114]
	ds_read_b128 v[113:116], v112 offset:800
	ds_read_b128 v[117:120], v112 offset:816
	s_waitcnt vmcnt(20) lgkmcnt(1)
	v_fma_f64 v[113:114], v[149:150], v[113:114], v[127:128]
	s_waitcnt vmcnt(19)
	v_fma_f64 v[113:114], v[143:144], v[115:116], v[113:114]
	s_waitcnt vmcnt(18) lgkmcnt(0)
	v_fma_f64 v[113:114], v[139:140], v[117:118], v[113:114]
	s_waitcnt vmcnt(13)
	v_fma_f64 v[121:122], v[121:122], v[119:120], v[113:114]
	ds_read_b128 v[113:116], v112 offset:832
	ds_read_b128 v[117:120], v112 offset:848
	s_waitcnt vmcnt(12) lgkmcnt(1)
	v_fma_f64 v[113:114], v[155:156], v[113:114], v[121:122]
	s_waitcnt vmcnt(11)
	v_fma_f64 v[113:114], v[147:148], v[115:116], v[113:114]
	s_waitcnt vmcnt(10) lgkmcnt(0)
	v_fma_f64 v[113:114], v[145:146], v[117:118], v[113:114]
	s_waitcnt vmcnt(5)
	v_fma_f64 v[117:118], v[123:124], v[119:120], v[113:114]
	ds_read_b128 v[113:116], v112 offset:864
	ds_read_b64 v[119:120], v112 offset:880
	s_waitcnt vmcnt(4) lgkmcnt(1)
	v_fma_f64 v[113:114], v[153:154], v[113:114], v[117:118]
	s_waitcnt vmcnt(3)
	v_fma_f64 v[113:114], v[151:152], v[115:116], v[113:114]
	s_waitcnt vmcnt(2) lgkmcnt(0)
	v_fma_f64 v[113:114], v[129:130], v[119:120], v[113:114]
	s_waitcnt vmcnt(0)
	v_add_f64 v[113:114], v[125:126], -v[113:114]
	buffer_store_dword v114, off, s[0:3], 0 offset:124
	buffer_store_dword v113, off, s[0:3], 0 offset:120
	v_cmpx_lt_u32_e32 14, v0
	s_cbranch_execz .LBB54_311
; %bb.310:
	s_clause 0x1
	buffer_load_dword v113, off, s[0:3], 0 offset:112
	buffer_load_dword v114, off, s[0:3], 0 offset:116
	buffer_store_dword v112, off, s[0:3], 0 offset:112
	buffer_store_dword v112, off, s[0:3], 0 offset:116
	s_waitcnt vmcnt(0)
	ds_write_b64 v111, v[113:114]
.LBB54_311:
	s_or_b32 exec_lo, exec_lo, s4
	s_waitcnt lgkmcnt(0)
	s_waitcnt_vscnt null, 0x0
	s_barrier
	buffer_gl0_inv
	s_clause 0x1c
	buffer_load_dword v121, off, s[0:3], 0 offset:120
	buffer_load_dword v122, off, s[0:3], 0 offset:124
	;; [unrolled: 1-line block ×29, first 2 shown]
	ds_read2_b64 v[113:116], v112 offset0:71 offset1:72
	ds_read2_b64 v[117:120], v112 offset0:73 offset1:74
	buffer_load_dword v146, off, s[0:3], 0 offset:236
	s_mov_b32 s4, exec_lo
	s_waitcnt vmcnt(28) lgkmcnt(1)
	v_fma_f64 v[113:114], v[121:122], v[113:114], 0
	s_clause 0x7
	buffer_load_dword v122, off, s[0:3], 0 offset:244
	buffer_load_dword v151, off, s[0:3], 0 offset:264
	buffer_load_dword v153, off, s[0:3], 0 offset:256
	buffer_load_dword v155, off, s[0:3], 0 offset:248
	buffer_load_dword v121, off, s[0:3], 0 offset:240
	buffer_load_dword v156, off, s[0:3], 0 offset:252
	buffer_load_dword v154, off, s[0:3], 0 offset:260
	buffer_load_dword v152, off, s[0:3], 0 offset:268
	s_waitcnt vmcnt(34)
	v_fma_f64 v[113:114], v[123:124], v[115:116], v[113:114]
	s_waitcnt vmcnt(32) lgkmcnt(0)
	v_fma_f64 v[113:114], v[125:126], v[117:118], v[113:114]
	s_waitcnt vmcnt(30)
	v_fma_f64 v[123:124], v[127:128], v[119:120], v[113:114]
	ds_read2_b64 v[113:116], v112 offset0:75 offset1:76
	ds_read2_b64 v[117:120], v112 offset0:77 offset1:78
	s_waitcnt vmcnt(28) lgkmcnt(1)
	v_fma_f64 v[113:114], v[129:130], v[113:114], v[123:124]
	s_clause 0x7
	buffer_load_dword v124, off, s[0:3], 0 offset:276
	buffer_load_dword v125, off, s[0:3], 0 offset:296
	buffer_load_dword v127, off, s[0:3], 0 offset:288
	buffer_load_dword v129, off, s[0:3], 0 offset:280
	buffer_load_dword v123, off, s[0:3], 0 offset:272
	buffer_load_dword v130, off, s[0:3], 0 offset:284
	buffer_load_dword v128, off, s[0:3], 0 offset:292
	buffer_load_dword v126, off, s[0:3], 0 offset:300
	s_waitcnt vmcnt(34)
	v_fma_f64 v[113:114], v[131:132], v[115:116], v[113:114]
	s_waitcnt vmcnt(32) lgkmcnt(0)
	v_fma_f64 v[113:114], v[133:134], v[117:118], v[113:114]
	s_waitcnt vmcnt(27)
	v_fma_f64 v[131:132], v[135:136], v[119:120], v[113:114]
	ds_read2_b64 v[113:116], v112 offset0:79 offset1:80
	ds_read2_b64 v[117:120], v112 offset0:81 offset1:82
	;; [unrolled: 19-line block ×6, first 2 shown]
	s_waitcnt vmcnt(26) lgkmcnt(1)
	v_fma_f64 v[113:114], v[141:142], v[113:114], v[125:126]
	s_clause 0x3
	buffer_load_dword v126, off, s[0:3], 0 offset:436
	buffer_load_dword v125, off, s[0:3], 0 offset:432
	;; [unrolled: 1-line block ×4, first 2 shown]
	s_waitcnt vmcnt(29)
	v_fma_f64 v[113:114], v[135:136], v[115:116], v[113:114]
	s_waitcnt vmcnt(28) lgkmcnt(0)
	v_fma_f64 v[113:114], v[133:134], v[117:118], v[113:114]
	s_waitcnt vmcnt(23)
	v_fma_f64 v[131:132], v[137:138], v[119:120], v[113:114]
	ds_read2_b64 v[113:116], v112 offset0:99 offset1:100
	ds_read2_b64 v[117:120], v112 offset0:101 offset1:102
	s_waitcnt vmcnt(22) lgkmcnt(1)
	v_fma_f64 v[113:114], v[149:150], v[113:114], v[131:132]
	s_waitcnt vmcnt(21)
	v_fma_f64 v[113:114], v[143:144], v[115:116], v[113:114]
	s_waitcnt vmcnt(20) lgkmcnt(0)
	v_fma_f64 v[113:114], v[139:140], v[117:118], v[113:114]
	s_waitcnt vmcnt(15)
	v_fma_f64 v[121:122], v[121:122], v[119:120], v[113:114]
	ds_read2_b64 v[113:116], v112 offset0:103 offset1:104
	ds_read2_b64 v[117:120], v112 offset0:105 offset1:106
	s_waitcnt vmcnt(14) lgkmcnt(1)
	v_fma_f64 v[113:114], v[155:156], v[113:114], v[121:122]
	;; [unrolled: 10-line block ×3, first 2 shown]
	s_waitcnt vmcnt(5)
	v_fma_f64 v[112:113], v[151:152], v[115:116], v[112:113]
	s_waitcnt vmcnt(4) lgkmcnt(0)
	v_fma_f64 v[112:113], v[129:130], v[117:118], v[112:113]
	s_waitcnt vmcnt(2)
	v_fma_f64 v[112:113], v[125:126], v[119:120], v[112:113]
	s_waitcnt vmcnt(0)
	v_add_f64 v[112:113], v[127:128], -v[112:113]
	buffer_store_dword v113, off, s[0:3], 0 offset:116
	buffer_store_dword v112, off, s[0:3], 0 offset:112
	v_cmpx_lt_u32_e32 13, v0
	s_cbranch_execz .LBB54_313
; %bb.312:
	s_clause 0x1
	buffer_load_dword v112, off, s[0:3], 0 offset:104
	buffer_load_dword v113, off, s[0:3], 0 offset:108
	v_mov_b32_e32 v114, 0
	buffer_store_dword v114, off, s[0:3], 0 offset:104
	buffer_store_dword v114, off, s[0:3], 0 offset:108
	s_waitcnt vmcnt(0)
	ds_write_b64 v111, v[112:113]
.LBB54_313:
	s_or_b32 exec_lo, exec_lo, s4
	s_waitcnt lgkmcnt(0)
	s_waitcnt_vscnt null, 0x0
	s_barrier
	buffer_gl0_inv
	s_clause 0x1c
	buffer_load_dword v121, off, s[0:3], 0 offset:112
	buffer_load_dword v122, off, s[0:3], 0 offset:116
	;; [unrolled: 1-line block ×29, first 2 shown]
	v_mov_b32_e32 v112, 0
	buffer_load_dword v146, off, s[0:3], 0 offset:228
	s_mov_b32 s4, exec_lo
	ds_read_b128 v[113:116], v112 offset:560
	ds_read_b128 v[117:120], v112 offset:576
	s_waitcnt vmcnt(28) lgkmcnt(1)
	v_fma_f64 v[113:114], v[121:122], v[113:114], 0
	s_clause 0x7
	buffer_load_dword v122, off, s[0:3], 0 offset:236
	buffer_load_dword v151, off, s[0:3], 0 offset:256
	buffer_load_dword v153, off, s[0:3], 0 offset:248
	buffer_load_dword v155, off, s[0:3], 0 offset:240
	buffer_load_dword v121, off, s[0:3], 0 offset:232
	buffer_load_dword v156, off, s[0:3], 0 offset:244
	buffer_load_dword v154, off, s[0:3], 0 offset:252
	buffer_load_dword v152, off, s[0:3], 0 offset:260
	s_waitcnt vmcnt(34)
	v_fma_f64 v[113:114], v[123:124], v[115:116], v[113:114]
	s_waitcnt vmcnt(32) lgkmcnt(0)
	v_fma_f64 v[113:114], v[125:126], v[117:118], v[113:114]
	s_waitcnt vmcnt(30)
	v_fma_f64 v[123:124], v[127:128], v[119:120], v[113:114]
	ds_read_b128 v[113:116], v112 offset:592
	ds_read_b128 v[117:120], v112 offset:608
	s_waitcnt vmcnt(28) lgkmcnt(1)
	v_fma_f64 v[113:114], v[129:130], v[113:114], v[123:124]
	s_clause 0x7
	buffer_load_dword v124, off, s[0:3], 0 offset:268
	buffer_load_dword v125, off, s[0:3], 0 offset:288
	buffer_load_dword v127, off, s[0:3], 0 offset:280
	buffer_load_dword v129, off, s[0:3], 0 offset:272
	buffer_load_dword v123, off, s[0:3], 0 offset:264
	buffer_load_dword v130, off, s[0:3], 0 offset:276
	buffer_load_dword v128, off, s[0:3], 0 offset:284
	buffer_load_dword v126, off, s[0:3], 0 offset:292
	s_waitcnt vmcnt(34)
	v_fma_f64 v[113:114], v[131:132], v[115:116], v[113:114]
	s_waitcnt vmcnt(32) lgkmcnt(0)
	v_fma_f64 v[113:114], v[133:134], v[117:118], v[113:114]
	s_waitcnt vmcnt(27)
	v_fma_f64 v[131:132], v[135:136], v[119:120], v[113:114]
	;; [unrolled: 19-line block ×6, first 2 shown]
	ds_read_b128 v[113:116], v112 offset:752
	ds_read_b128 v[117:120], v112 offset:768
	s_waitcnt vmcnt(26) lgkmcnt(1)
	v_fma_f64 v[113:114], v[141:142], v[113:114], v[125:126]
	s_clause 0x5
	buffer_load_dword v126, off, s[0:3], 0 offset:428
	buffer_load_dword v127, off, s[0:3], 0 offset:432
	;; [unrolled: 1-line block ×6, first 2 shown]
	s_waitcnt vmcnt(31)
	v_fma_f64 v[113:114], v[135:136], v[115:116], v[113:114]
	s_waitcnt vmcnt(30) lgkmcnt(0)
	v_fma_f64 v[113:114], v[133:134], v[117:118], v[113:114]
	s_waitcnt vmcnt(25)
	v_fma_f64 v[133:134], v[137:138], v[119:120], v[113:114]
	ds_read_b128 v[113:116], v112 offset:784
	ds_read_b128 v[117:120], v112 offset:800
	s_waitcnt vmcnt(24) lgkmcnt(1)
	v_fma_f64 v[113:114], v[149:150], v[113:114], v[133:134]
	s_waitcnt vmcnt(23)
	v_fma_f64 v[113:114], v[143:144], v[115:116], v[113:114]
	s_waitcnt vmcnt(22) lgkmcnt(0)
	v_fma_f64 v[113:114], v[139:140], v[117:118], v[113:114]
	s_waitcnt vmcnt(17)
	v_fma_f64 v[121:122], v[121:122], v[119:120], v[113:114]
	ds_read_b128 v[113:116], v112 offset:816
	ds_read_b128 v[117:120], v112 offset:832
	s_waitcnt vmcnt(16) lgkmcnt(1)
	v_fma_f64 v[113:114], v[155:156], v[113:114], v[121:122]
	;; [unrolled: 10-line block ×3, first 2 shown]
	s_waitcnt vmcnt(7)
	v_fma_f64 v[113:114], v[151:152], v[115:116], v[113:114]
	ds_read_b64 v[115:116], v112 offset:880
	s_waitcnt vmcnt(6) lgkmcnt(1)
	v_fma_f64 v[113:114], v[129:130], v[117:118], v[113:114]
	s_waitcnt vmcnt(3)
	v_fma_f64 v[113:114], v[125:126], v[119:120], v[113:114]
	s_waitcnt vmcnt(2) lgkmcnt(0)
	v_fma_f64 v[113:114], v[127:128], v[115:116], v[113:114]
	s_waitcnt vmcnt(0)
	v_add_f64 v[113:114], v[131:132], -v[113:114]
	buffer_store_dword v114, off, s[0:3], 0 offset:108
	buffer_store_dword v113, off, s[0:3], 0 offset:104
	v_cmpx_lt_u32_e32 12, v0
	s_cbranch_execz .LBB54_315
; %bb.314:
	s_clause 0x1
	buffer_load_dword v113, off, s[0:3], 0 offset:96
	buffer_load_dword v114, off, s[0:3], 0 offset:100
	buffer_store_dword v112, off, s[0:3], 0 offset:96
	buffer_store_dword v112, off, s[0:3], 0 offset:100
	s_waitcnt vmcnt(0)
	ds_write_b64 v111, v[113:114]
.LBB54_315:
	s_or_b32 exec_lo, exec_lo, s4
	s_waitcnt lgkmcnt(0)
	s_waitcnt_vscnt null, 0x0
	s_barrier
	buffer_gl0_inv
	s_clause 0x1c
	buffer_load_dword v121, off, s[0:3], 0 offset:104
	buffer_load_dword v122, off, s[0:3], 0 offset:108
	;; [unrolled: 1-line block ×29, first 2 shown]
	ds_read2_b64 v[113:116], v112 offset0:69 offset1:70
	ds_read2_b64 v[117:120], v112 offset0:71 offset1:72
	buffer_load_dword v146, off, s[0:3], 0 offset:220
	s_mov_b32 s4, exec_lo
	s_waitcnt vmcnt(28) lgkmcnt(1)
	v_fma_f64 v[113:114], v[121:122], v[113:114], 0
	s_clause 0x7
	buffer_load_dword v122, off, s[0:3], 0 offset:228
	buffer_load_dword v151, off, s[0:3], 0 offset:248
	buffer_load_dword v153, off, s[0:3], 0 offset:240
	buffer_load_dword v155, off, s[0:3], 0 offset:232
	buffer_load_dword v121, off, s[0:3], 0 offset:224
	buffer_load_dword v156, off, s[0:3], 0 offset:236
	buffer_load_dword v154, off, s[0:3], 0 offset:244
	buffer_load_dword v152, off, s[0:3], 0 offset:252
	s_waitcnt vmcnt(34)
	v_fma_f64 v[113:114], v[123:124], v[115:116], v[113:114]
	s_waitcnt vmcnt(32) lgkmcnt(0)
	v_fma_f64 v[113:114], v[125:126], v[117:118], v[113:114]
	s_waitcnt vmcnt(30)
	v_fma_f64 v[123:124], v[127:128], v[119:120], v[113:114]
	ds_read2_b64 v[113:116], v112 offset0:73 offset1:74
	ds_read2_b64 v[117:120], v112 offset0:75 offset1:76
	s_waitcnt vmcnt(28) lgkmcnt(1)
	v_fma_f64 v[113:114], v[129:130], v[113:114], v[123:124]
	s_clause 0x7
	buffer_load_dword v124, off, s[0:3], 0 offset:260
	buffer_load_dword v125, off, s[0:3], 0 offset:280
	buffer_load_dword v127, off, s[0:3], 0 offset:272
	buffer_load_dword v129, off, s[0:3], 0 offset:264
	buffer_load_dword v123, off, s[0:3], 0 offset:256
	buffer_load_dword v130, off, s[0:3], 0 offset:268
	buffer_load_dword v128, off, s[0:3], 0 offset:276
	buffer_load_dword v126, off, s[0:3], 0 offset:284
	s_waitcnt vmcnt(34)
	v_fma_f64 v[113:114], v[131:132], v[115:116], v[113:114]
	s_waitcnt vmcnt(32) lgkmcnt(0)
	v_fma_f64 v[113:114], v[133:134], v[117:118], v[113:114]
	s_waitcnt vmcnt(27)
	v_fma_f64 v[131:132], v[135:136], v[119:120], v[113:114]
	ds_read2_b64 v[113:116], v112 offset0:77 offset1:78
	ds_read2_b64 v[117:120], v112 offset0:79 offset1:80
	;; [unrolled: 19-line block ×6, first 2 shown]
	s_waitcnt vmcnt(26) lgkmcnt(1)
	v_fma_f64 v[113:114], v[141:142], v[113:114], v[125:126]
	s_clause 0x5
	buffer_load_dword v126, off, s[0:3], 0 offset:420
	buffer_load_dword v127, off, s[0:3], 0 offset:432
	;; [unrolled: 1-line block ×6, first 2 shown]
	s_waitcnt vmcnt(31)
	v_fma_f64 v[113:114], v[135:136], v[115:116], v[113:114]
	s_waitcnt vmcnt(30) lgkmcnt(0)
	v_fma_f64 v[113:114], v[133:134], v[117:118], v[113:114]
	s_waitcnt vmcnt(25)
	v_fma_f64 v[133:134], v[137:138], v[119:120], v[113:114]
	ds_read2_b64 v[113:116], v112 offset0:97 offset1:98
	s_clause 0x1
	buffer_load_dword v135, off, s[0:3], 0 offset:96
	buffer_load_dword v136, off, s[0:3], 0 offset:100
	ds_read2_b64 v[117:120], v112 offset0:99 offset1:100
	s_waitcnt vmcnt(26) lgkmcnt(1)
	v_fma_f64 v[113:114], v[149:150], v[113:114], v[133:134]
	s_waitcnt vmcnt(25)
	v_fma_f64 v[113:114], v[143:144], v[115:116], v[113:114]
	s_waitcnt vmcnt(24) lgkmcnt(0)
	v_fma_f64 v[113:114], v[139:140], v[117:118], v[113:114]
	s_waitcnt vmcnt(19)
	v_fma_f64 v[121:122], v[121:122], v[119:120], v[113:114]
	ds_read2_b64 v[113:116], v112 offset0:101 offset1:102
	ds_read2_b64 v[117:120], v112 offset0:103 offset1:104
	s_waitcnt vmcnt(18) lgkmcnt(1)
	v_fma_f64 v[113:114], v[155:156], v[113:114], v[121:122]
	s_waitcnt vmcnt(17)
	v_fma_f64 v[113:114], v[147:148], v[115:116], v[113:114]
	s_waitcnt vmcnt(16) lgkmcnt(0)
	v_fma_f64 v[113:114], v[145:146], v[117:118], v[113:114]
	s_waitcnt vmcnt(11)
	v_fma_f64 v[121:122], v[123:124], v[119:120], v[113:114]
	ds_read2_b64 v[113:116], v112 offset0:105 offset1:106
	;; [unrolled: 10-line block ×3, first 2 shown]
	s_waitcnt vmcnt(3) lgkmcnt(0)
	v_fma_f64 v[112:113], v[131:132], v[112:113], v[116:117]
	s_waitcnt vmcnt(2)
	v_fma_f64 v[112:113], v[127:128], v[114:115], v[112:113]
	s_waitcnt vmcnt(0)
	v_add_f64 v[112:113], v[135:136], -v[112:113]
	buffer_store_dword v113, off, s[0:3], 0 offset:100
	buffer_store_dword v112, off, s[0:3], 0 offset:96
	v_cmpx_lt_u32_e32 11, v0
	s_cbranch_execz .LBB54_317
; %bb.316:
	s_clause 0x1
	buffer_load_dword v112, off, s[0:3], 0 offset:88
	buffer_load_dword v113, off, s[0:3], 0 offset:92
	v_mov_b32_e32 v114, 0
	buffer_store_dword v114, off, s[0:3], 0 offset:88
	buffer_store_dword v114, off, s[0:3], 0 offset:92
	s_waitcnt vmcnt(0)
	ds_write_b64 v111, v[112:113]
.LBB54_317:
	s_or_b32 exec_lo, exec_lo, s4
	s_waitcnt lgkmcnt(0)
	s_waitcnt_vscnt null, 0x0
	s_barrier
	buffer_gl0_inv
	s_clause 0x1c
	buffer_load_dword v121, off, s[0:3], 0 offset:96
	buffer_load_dword v122, off, s[0:3], 0 offset:100
	;; [unrolled: 1-line block ×29, first 2 shown]
	v_mov_b32_e32 v112, 0
	buffer_load_dword v146, off, s[0:3], 0 offset:212
	s_mov_b32 s4, exec_lo
	ds_read_b128 v[113:116], v112 offset:544
	ds_read_b128 v[117:120], v112 offset:560
	s_waitcnt vmcnt(28) lgkmcnt(1)
	v_fma_f64 v[113:114], v[121:122], v[113:114], 0
	s_clause 0x7
	buffer_load_dword v122, off, s[0:3], 0 offset:220
	buffer_load_dword v151, off, s[0:3], 0 offset:240
	buffer_load_dword v153, off, s[0:3], 0 offset:232
	buffer_load_dword v155, off, s[0:3], 0 offset:224
	buffer_load_dword v121, off, s[0:3], 0 offset:216
	buffer_load_dword v156, off, s[0:3], 0 offset:228
	buffer_load_dword v154, off, s[0:3], 0 offset:236
	buffer_load_dword v152, off, s[0:3], 0 offset:244
	s_waitcnt vmcnt(34)
	v_fma_f64 v[113:114], v[123:124], v[115:116], v[113:114]
	s_waitcnt vmcnt(32) lgkmcnt(0)
	v_fma_f64 v[113:114], v[125:126], v[117:118], v[113:114]
	s_waitcnt vmcnt(30)
	v_fma_f64 v[123:124], v[127:128], v[119:120], v[113:114]
	ds_read_b128 v[113:116], v112 offset:576
	ds_read_b128 v[117:120], v112 offset:592
	s_waitcnt vmcnt(28) lgkmcnt(1)
	v_fma_f64 v[113:114], v[129:130], v[113:114], v[123:124]
	s_clause 0x7
	buffer_load_dword v124, off, s[0:3], 0 offset:252
	buffer_load_dword v125, off, s[0:3], 0 offset:272
	buffer_load_dword v127, off, s[0:3], 0 offset:264
	buffer_load_dword v129, off, s[0:3], 0 offset:256
	buffer_load_dword v123, off, s[0:3], 0 offset:248
	buffer_load_dword v130, off, s[0:3], 0 offset:260
	buffer_load_dword v128, off, s[0:3], 0 offset:268
	buffer_load_dword v126, off, s[0:3], 0 offset:276
	s_waitcnt vmcnt(34)
	v_fma_f64 v[113:114], v[131:132], v[115:116], v[113:114]
	s_waitcnt vmcnt(32) lgkmcnt(0)
	v_fma_f64 v[113:114], v[133:134], v[117:118], v[113:114]
	s_waitcnt vmcnt(27)
	v_fma_f64 v[131:132], v[135:136], v[119:120], v[113:114]
	;; [unrolled: 19-line block ×7, first 2 shown]
	ds_read_b128 v[113:116], v112 offset:768
	ds_read_b128 v[117:120], v112 offset:784
	s_waitcnt vmcnt(26) lgkmcnt(1)
	v_fma_f64 v[113:114], v[149:150], v[113:114], v[133:134]
	s_clause 0x1
	buffer_load_dword v133, off, s[0:3], 0 offset:88
	buffer_load_dword v134, off, s[0:3], 0 offset:92
	s_waitcnt vmcnt(27)
	v_fma_f64 v[113:114], v[143:144], v[115:116], v[113:114]
	s_waitcnt vmcnt(26) lgkmcnt(0)
	v_fma_f64 v[113:114], v[139:140], v[117:118], v[113:114]
	s_waitcnt vmcnt(21)
	v_fma_f64 v[121:122], v[121:122], v[119:120], v[113:114]
	ds_read_b128 v[113:116], v112 offset:800
	ds_read_b128 v[117:120], v112 offset:816
	s_waitcnt vmcnt(20) lgkmcnt(1)
	v_fma_f64 v[113:114], v[155:156], v[113:114], v[121:122]
	s_waitcnt vmcnt(19)
	v_fma_f64 v[113:114], v[147:148], v[115:116], v[113:114]
	s_waitcnt vmcnt(18) lgkmcnt(0)
	v_fma_f64 v[113:114], v[145:146], v[117:118], v[113:114]
	s_waitcnt vmcnt(13)
	v_fma_f64 v[121:122], v[123:124], v[119:120], v[113:114]
	ds_read_b128 v[113:116], v112 offset:832
	ds_read_b128 v[117:120], v112 offset:848
	s_waitcnt vmcnt(12) lgkmcnt(1)
	v_fma_f64 v[113:114], v[153:154], v[113:114], v[121:122]
	s_waitcnt vmcnt(11)
	v_fma_f64 v[113:114], v[151:152], v[115:116], v[113:114]
	s_waitcnt vmcnt(10) lgkmcnt(0)
	v_fma_f64 v[113:114], v[129:130], v[117:118], v[113:114]
	s_waitcnt vmcnt(5)
	v_fma_f64 v[117:118], v[125:126], v[119:120], v[113:114]
	ds_read_b128 v[113:116], v112 offset:864
	ds_read_b64 v[119:120], v112 offset:880
	s_waitcnt vmcnt(4) lgkmcnt(1)
	v_fma_f64 v[113:114], v[141:142], v[113:114], v[117:118]
	s_waitcnt vmcnt(3)
	v_fma_f64 v[113:114], v[131:132], v[115:116], v[113:114]
	s_waitcnt vmcnt(2) lgkmcnt(0)
	v_fma_f64 v[113:114], v[127:128], v[119:120], v[113:114]
	s_waitcnt vmcnt(0)
	v_add_f64 v[113:114], v[133:134], -v[113:114]
	buffer_store_dword v114, off, s[0:3], 0 offset:92
	buffer_store_dword v113, off, s[0:3], 0 offset:88
	v_cmpx_lt_u32_e32 10, v0
	s_cbranch_execz .LBB54_319
; %bb.318:
	s_clause 0x1
	buffer_load_dword v113, off, s[0:3], 0 offset:80
	buffer_load_dword v114, off, s[0:3], 0 offset:84
	buffer_store_dword v112, off, s[0:3], 0 offset:80
	buffer_store_dword v112, off, s[0:3], 0 offset:84
	s_waitcnt vmcnt(0)
	ds_write_b64 v111, v[113:114]
.LBB54_319:
	s_or_b32 exec_lo, exec_lo, s4
	s_waitcnt lgkmcnt(0)
	s_waitcnt_vscnt null, 0x0
	s_barrier
	buffer_gl0_inv
	s_clause 0x1c
	buffer_load_dword v121, off, s[0:3], 0 offset:88
	buffer_load_dword v122, off, s[0:3], 0 offset:92
	;; [unrolled: 1-line block ×29, first 2 shown]
	ds_read2_b64 v[113:116], v112 offset0:67 offset1:68
	ds_read2_b64 v[117:120], v112 offset0:69 offset1:70
	buffer_load_dword v146, off, s[0:3], 0 offset:204
	s_mov_b32 s4, exec_lo
	s_waitcnt vmcnt(28) lgkmcnt(1)
	v_fma_f64 v[113:114], v[121:122], v[113:114], 0
	s_clause 0x7
	buffer_load_dword v122, off, s[0:3], 0 offset:212
	buffer_load_dword v151, off, s[0:3], 0 offset:232
	buffer_load_dword v153, off, s[0:3], 0 offset:224
	buffer_load_dword v155, off, s[0:3], 0 offset:216
	buffer_load_dword v121, off, s[0:3], 0 offset:208
	buffer_load_dword v156, off, s[0:3], 0 offset:220
	buffer_load_dword v154, off, s[0:3], 0 offset:228
	buffer_load_dword v152, off, s[0:3], 0 offset:236
	s_waitcnt vmcnt(34)
	v_fma_f64 v[113:114], v[123:124], v[115:116], v[113:114]
	s_waitcnt vmcnt(32) lgkmcnt(0)
	v_fma_f64 v[113:114], v[125:126], v[117:118], v[113:114]
	s_waitcnt vmcnt(30)
	v_fma_f64 v[123:124], v[127:128], v[119:120], v[113:114]
	ds_read2_b64 v[113:116], v112 offset0:71 offset1:72
	ds_read2_b64 v[117:120], v112 offset0:73 offset1:74
	s_waitcnt vmcnt(28) lgkmcnt(1)
	v_fma_f64 v[113:114], v[129:130], v[113:114], v[123:124]
	s_clause 0x7
	buffer_load_dword v124, off, s[0:3], 0 offset:244
	buffer_load_dword v125, off, s[0:3], 0 offset:264
	buffer_load_dword v127, off, s[0:3], 0 offset:256
	buffer_load_dword v129, off, s[0:3], 0 offset:248
	buffer_load_dword v123, off, s[0:3], 0 offset:240
	buffer_load_dword v130, off, s[0:3], 0 offset:252
	buffer_load_dword v128, off, s[0:3], 0 offset:260
	buffer_load_dword v126, off, s[0:3], 0 offset:268
	s_waitcnt vmcnt(34)
	v_fma_f64 v[113:114], v[131:132], v[115:116], v[113:114]
	s_waitcnt vmcnt(32) lgkmcnt(0)
	v_fma_f64 v[113:114], v[133:134], v[117:118], v[113:114]
	s_waitcnt vmcnt(27)
	v_fma_f64 v[131:132], v[135:136], v[119:120], v[113:114]
	ds_read2_b64 v[113:116], v112 offset0:75 offset1:76
	ds_read2_b64 v[117:120], v112 offset0:77 offset1:78
	;; [unrolled: 19-line block ×7, first 2 shown]
	s_waitcnt vmcnt(26) lgkmcnt(1)
	v_fma_f64 v[113:114], v[149:150], v[113:114], v[133:134]
	s_clause 0x3
	buffer_load_dword v134, off, s[0:3], 0 offset:436
	buffer_load_dword v133, off, s[0:3], 0 offset:432
	;; [unrolled: 1-line block ×4, first 2 shown]
	s_waitcnt vmcnt(29)
	v_fma_f64 v[113:114], v[143:144], v[115:116], v[113:114]
	s_waitcnt vmcnt(28) lgkmcnt(0)
	v_fma_f64 v[113:114], v[139:140], v[117:118], v[113:114]
	s_waitcnt vmcnt(23)
	v_fma_f64 v[121:122], v[121:122], v[119:120], v[113:114]
	ds_read2_b64 v[113:116], v112 offset0:99 offset1:100
	ds_read2_b64 v[117:120], v112 offset0:101 offset1:102
	s_waitcnt vmcnt(22) lgkmcnt(1)
	v_fma_f64 v[113:114], v[155:156], v[113:114], v[121:122]
	s_waitcnt vmcnt(21)
	v_fma_f64 v[113:114], v[147:148], v[115:116], v[113:114]
	s_waitcnt vmcnt(20) lgkmcnt(0)
	v_fma_f64 v[113:114], v[145:146], v[117:118], v[113:114]
	s_waitcnt vmcnt(15)
	v_fma_f64 v[121:122], v[123:124], v[119:120], v[113:114]
	ds_read2_b64 v[113:116], v112 offset0:103 offset1:104
	ds_read2_b64 v[117:120], v112 offset0:105 offset1:106
	s_waitcnt vmcnt(14) lgkmcnt(1)
	v_fma_f64 v[113:114], v[153:154], v[113:114], v[121:122]
	;; [unrolled: 10-line block ×3, first 2 shown]
	s_waitcnt vmcnt(5)
	v_fma_f64 v[112:113], v[131:132], v[115:116], v[112:113]
	s_waitcnt vmcnt(4) lgkmcnt(0)
	v_fma_f64 v[112:113], v[127:128], v[117:118], v[112:113]
	s_waitcnt vmcnt(2)
	v_fma_f64 v[112:113], v[133:134], v[119:120], v[112:113]
	s_waitcnt vmcnt(0)
	v_add_f64 v[112:113], v[135:136], -v[112:113]
	buffer_store_dword v113, off, s[0:3], 0 offset:84
	buffer_store_dword v112, off, s[0:3], 0 offset:80
	v_cmpx_lt_u32_e32 9, v0
	s_cbranch_execz .LBB54_321
; %bb.320:
	s_clause 0x1
	buffer_load_dword v112, off, s[0:3], 0 offset:72
	buffer_load_dword v113, off, s[0:3], 0 offset:76
	v_mov_b32_e32 v114, 0
	buffer_store_dword v114, off, s[0:3], 0 offset:72
	buffer_store_dword v114, off, s[0:3], 0 offset:76
	s_waitcnt vmcnt(0)
	ds_write_b64 v111, v[112:113]
.LBB54_321:
	s_or_b32 exec_lo, exec_lo, s4
	s_waitcnt lgkmcnt(0)
	s_waitcnt_vscnt null, 0x0
	s_barrier
	buffer_gl0_inv
	s_clause 0x1c
	buffer_load_dword v121, off, s[0:3], 0 offset:80
	buffer_load_dword v122, off, s[0:3], 0 offset:84
	;; [unrolled: 1-line block ×29, first 2 shown]
	v_mov_b32_e32 v112, 0
	buffer_load_dword v146, off, s[0:3], 0 offset:196
	s_mov_b32 s4, exec_lo
	ds_read_b128 v[113:116], v112 offset:528
	ds_read_b128 v[117:120], v112 offset:544
	s_waitcnt vmcnt(28) lgkmcnt(1)
	v_fma_f64 v[113:114], v[121:122], v[113:114], 0
	s_clause 0x7
	buffer_load_dword v122, off, s[0:3], 0 offset:204
	buffer_load_dword v151, off, s[0:3], 0 offset:224
	buffer_load_dword v153, off, s[0:3], 0 offset:216
	buffer_load_dword v155, off, s[0:3], 0 offset:208
	buffer_load_dword v121, off, s[0:3], 0 offset:200
	buffer_load_dword v156, off, s[0:3], 0 offset:212
	buffer_load_dword v154, off, s[0:3], 0 offset:220
	buffer_load_dword v152, off, s[0:3], 0 offset:228
	s_waitcnt vmcnt(34)
	v_fma_f64 v[113:114], v[123:124], v[115:116], v[113:114]
	s_waitcnt vmcnt(32) lgkmcnt(0)
	v_fma_f64 v[113:114], v[125:126], v[117:118], v[113:114]
	s_waitcnt vmcnt(30)
	v_fma_f64 v[123:124], v[127:128], v[119:120], v[113:114]
	ds_read_b128 v[113:116], v112 offset:560
	ds_read_b128 v[117:120], v112 offset:576
	s_waitcnt vmcnt(28) lgkmcnt(1)
	v_fma_f64 v[113:114], v[129:130], v[113:114], v[123:124]
	s_clause 0x7
	buffer_load_dword v124, off, s[0:3], 0 offset:236
	buffer_load_dword v125, off, s[0:3], 0 offset:256
	buffer_load_dword v127, off, s[0:3], 0 offset:248
	buffer_load_dword v129, off, s[0:3], 0 offset:240
	buffer_load_dword v123, off, s[0:3], 0 offset:232
	buffer_load_dword v130, off, s[0:3], 0 offset:244
	buffer_load_dword v128, off, s[0:3], 0 offset:252
	buffer_load_dword v126, off, s[0:3], 0 offset:260
	s_waitcnt vmcnt(34)
	v_fma_f64 v[113:114], v[131:132], v[115:116], v[113:114]
	s_waitcnt vmcnt(32) lgkmcnt(0)
	v_fma_f64 v[113:114], v[133:134], v[117:118], v[113:114]
	s_waitcnt vmcnt(27)
	v_fma_f64 v[131:132], v[135:136], v[119:120], v[113:114]
	;; [unrolled: 19-line block ×7, first 2 shown]
	ds_read_b128 v[113:116], v112 offset:752
	ds_read_b128 v[117:120], v112 offset:768
	s_waitcnt vmcnt(26) lgkmcnt(1)
	v_fma_f64 v[113:114], v[149:150], v[113:114], v[133:134]
	s_clause 0x5
	buffer_load_dword v134, off, s[0:3], 0 offset:428
	buffer_load_dword v135, off, s[0:3], 0 offset:432
	;; [unrolled: 1-line block ×6, first 2 shown]
	s_waitcnt vmcnt(31)
	v_fma_f64 v[113:114], v[143:144], v[115:116], v[113:114]
	s_waitcnt vmcnt(30) lgkmcnt(0)
	v_fma_f64 v[113:114], v[139:140], v[117:118], v[113:114]
	s_waitcnt vmcnt(25)
	v_fma_f64 v[121:122], v[121:122], v[119:120], v[113:114]
	ds_read_b128 v[113:116], v112 offset:784
	ds_read_b128 v[117:120], v112 offset:800
	s_waitcnt vmcnt(24) lgkmcnt(1)
	v_fma_f64 v[113:114], v[155:156], v[113:114], v[121:122]
	s_waitcnt vmcnt(23)
	v_fma_f64 v[113:114], v[147:148], v[115:116], v[113:114]
	s_waitcnt vmcnt(22) lgkmcnt(0)
	v_fma_f64 v[113:114], v[145:146], v[117:118], v[113:114]
	s_waitcnt vmcnt(17)
	v_fma_f64 v[121:122], v[123:124], v[119:120], v[113:114]
	ds_read_b128 v[113:116], v112 offset:816
	ds_read_b128 v[117:120], v112 offset:832
	s_waitcnt vmcnt(16) lgkmcnt(1)
	v_fma_f64 v[113:114], v[153:154], v[113:114], v[121:122]
	s_waitcnt vmcnt(15)
	v_fma_f64 v[113:114], v[151:152], v[115:116], v[113:114]
	s_waitcnt vmcnt(14) lgkmcnt(0)
	v_fma_f64 v[113:114], v[129:130], v[117:118], v[113:114]
	s_waitcnt vmcnt(9)
	v_fma_f64 v[121:122], v[125:126], v[119:120], v[113:114]
	ds_read_b128 v[113:116], v112 offset:848
	ds_read_b128 v[117:120], v112 offset:864
	s_waitcnt vmcnt(8) lgkmcnt(1)
	v_fma_f64 v[113:114], v[141:142], v[113:114], v[121:122]
	s_waitcnt vmcnt(7)
	v_fma_f64 v[113:114], v[131:132], v[115:116], v[113:114]
	ds_read_b64 v[115:116], v112 offset:880
	s_waitcnt vmcnt(6) lgkmcnt(1)
	v_fma_f64 v[113:114], v[127:128], v[117:118], v[113:114]
	s_waitcnt vmcnt(3)
	v_fma_f64 v[113:114], v[133:134], v[119:120], v[113:114]
	s_waitcnt vmcnt(2) lgkmcnt(0)
	v_fma_f64 v[113:114], v[135:136], v[115:116], v[113:114]
	s_waitcnt vmcnt(0)
	v_add_f64 v[113:114], v[137:138], -v[113:114]
	buffer_store_dword v114, off, s[0:3], 0 offset:76
	buffer_store_dword v113, off, s[0:3], 0 offset:72
	v_cmpx_lt_u32_e32 8, v0
	s_cbranch_execz .LBB54_323
; %bb.322:
	s_clause 0x1
	buffer_load_dword v113, off, s[0:3], 0 offset:64
	buffer_load_dword v114, off, s[0:3], 0 offset:68
	buffer_store_dword v112, off, s[0:3], 0 offset:64
	buffer_store_dword v112, off, s[0:3], 0 offset:68
	s_waitcnt vmcnt(0)
	ds_write_b64 v111, v[113:114]
.LBB54_323:
	s_or_b32 exec_lo, exec_lo, s4
	s_waitcnt lgkmcnt(0)
	s_waitcnt_vscnt null, 0x0
	s_barrier
	buffer_gl0_inv
	s_clause 0x1c
	buffer_load_dword v121, off, s[0:3], 0 offset:72
	buffer_load_dword v122, off, s[0:3], 0 offset:76
	buffer_load_dword v123, off, s[0:3], 0 offset:80
	buffer_load_dword v124, off, s[0:3], 0 offset:84
	buffer_load_dword v125, off, s[0:3], 0 offset:88
	buffer_load_dword v126, off, s[0:3], 0 offset:92
	buffer_load_dword v127, off, s[0:3], 0 offset:96
	buffer_load_dword v128, off, s[0:3], 0 offset:100
	buffer_load_dword v129, off, s[0:3], 0 offset:104
	buffer_load_dword v130, off, s[0:3], 0 offset:108
	buffer_load_dword v131, off, s[0:3], 0 offset:112
	buffer_load_dword v132, off, s[0:3], 0 offset:116
	buffer_load_dword v133, off, s[0:3], 0 offset:120
	buffer_load_dword v134, off, s[0:3], 0 offset:124
	buffer_load_dword v136, off, s[0:3], 0 offset:132
	buffer_load_dword v137, off, s[0:3], 0 offset:152
	buffer_load_dword v139, off, s[0:3], 0 offset:144
	buffer_load_dword v141, off, s[0:3], 0 offset:136
	buffer_load_dword v135, off, s[0:3], 0 offset:128
	buffer_load_dword v142, off, s[0:3], 0 offset:140
	buffer_load_dword v140, off, s[0:3], 0 offset:148
	buffer_load_dword v138, off, s[0:3], 0 offset:156
	buffer_load_dword v144, off, s[0:3], 0 offset:164
	buffer_load_dword v145, off, s[0:3], 0 offset:184
	buffer_load_dword v147, off, s[0:3], 0 offset:176
	buffer_load_dword v149, off, s[0:3], 0 offset:168
	buffer_load_dword v143, off, s[0:3], 0 offset:160
	buffer_load_dword v150, off, s[0:3], 0 offset:172
	buffer_load_dword v148, off, s[0:3], 0 offset:180
	ds_read2_b64 v[113:116], v112 offset0:65 offset1:66
	ds_read2_b64 v[117:120], v112 offset0:67 offset1:68
	buffer_load_dword v146, off, s[0:3], 0 offset:188
	s_mov_b32 s4, exec_lo
	s_waitcnt vmcnt(28) lgkmcnt(1)
	v_fma_f64 v[113:114], v[121:122], v[113:114], 0
	s_clause 0x7
	buffer_load_dword v122, off, s[0:3], 0 offset:196
	buffer_load_dword v151, off, s[0:3], 0 offset:216
	buffer_load_dword v153, off, s[0:3], 0 offset:208
	buffer_load_dword v155, off, s[0:3], 0 offset:200
	buffer_load_dword v121, off, s[0:3], 0 offset:192
	buffer_load_dword v156, off, s[0:3], 0 offset:204
	buffer_load_dword v154, off, s[0:3], 0 offset:212
	buffer_load_dword v152, off, s[0:3], 0 offset:220
	s_waitcnt vmcnt(34)
	v_fma_f64 v[113:114], v[123:124], v[115:116], v[113:114]
	s_waitcnt vmcnt(32) lgkmcnt(0)
	v_fma_f64 v[113:114], v[125:126], v[117:118], v[113:114]
	s_waitcnt vmcnt(30)
	v_fma_f64 v[123:124], v[127:128], v[119:120], v[113:114]
	ds_read2_b64 v[113:116], v112 offset0:69 offset1:70
	ds_read2_b64 v[117:120], v112 offset0:71 offset1:72
	s_waitcnt vmcnt(28) lgkmcnt(1)
	v_fma_f64 v[113:114], v[129:130], v[113:114], v[123:124]
	s_clause 0x7
	buffer_load_dword v124, off, s[0:3], 0 offset:228
	buffer_load_dword v125, off, s[0:3], 0 offset:248
	buffer_load_dword v127, off, s[0:3], 0 offset:240
	buffer_load_dword v129, off, s[0:3], 0 offset:232
	buffer_load_dword v123, off, s[0:3], 0 offset:224
	buffer_load_dword v130, off, s[0:3], 0 offset:236
	buffer_load_dword v128, off, s[0:3], 0 offset:244
	buffer_load_dword v126, off, s[0:3], 0 offset:252
	s_waitcnt vmcnt(34)
	v_fma_f64 v[113:114], v[131:132], v[115:116], v[113:114]
	s_waitcnt vmcnt(32) lgkmcnt(0)
	v_fma_f64 v[113:114], v[133:134], v[117:118], v[113:114]
	s_waitcnt vmcnt(27)
	v_fma_f64 v[131:132], v[135:136], v[119:120], v[113:114]
	ds_read2_b64 v[113:116], v112 offset0:73 offset1:74
	ds_read2_b64 v[117:120], v112 offset0:75 offset1:76
	;; [unrolled: 19-line block ×7, first 2 shown]
	s_waitcnt vmcnt(26) lgkmcnt(1)
	v_fma_f64 v[113:114], v[149:150], v[113:114], v[133:134]
	s_clause 0x5
	buffer_load_dword v134, off, s[0:3], 0 offset:420
	buffer_load_dword v135, off, s[0:3], 0 offset:432
	;; [unrolled: 1-line block ×6, first 2 shown]
	s_waitcnt vmcnt(31)
	v_fma_f64 v[113:114], v[143:144], v[115:116], v[113:114]
	s_waitcnt vmcnt(30) lgkmcnt(0)
	v_fma_f64 v[113:114], v[139:140], v[117:118], v[113:114]
	s_waitcnt vmcnt(25)
	v_fma_f64 v[121:122], v[121:122], v[119:120], v[113:114]
	ds_read2_b64 v[113:116], v112 offset0:97 offset1:98
	s_clause 0x1
	buffer_load_dword v139, off, s[0:3], 0 offset:64
	buffer_load_dword v140, off, s[0:3], 0 offset:68
	ds_read2_b64 v[117:120], v112 offset0:99 offset1:100
	s_waitcnt vmcnt(26) lgkmcnt(1)
	v_fma_f64 v[113:114], v[155:156], v[113:114], v[121:122]
	s_waitcnt vmcnt(25)
	v_fma_f64 v[113:114], v[147:148], v[115:116], v[113:114]
	s_waitcnt vmcnt(24) lgkmcnt(0)
	v_fma_f64 v[113:114], v[145:146], v[117:118], v[113:114]
	s_waitcnt vmcnt(19)
	v_fma_f64 v[121:122], v[123:124], v[119:120], v[113:114]
	ds_read2_b64 v[113:116], v112 offset0:101 offset1:102
	ds_read2_b64 v[117:120], v112 offset0:103 offset1:104
	s_waitcnt vmcnt(18) lgkmcnt(1)
	v_fma_f64 v[113:114], v[153:154], v[113:114], v[121:122]
	s_waitcnt vmcnt(17)
	v_fma_f64 v[113:114], v[151:152], v[115:116], v[113:114]
	s_waitcnt vmcnt(16) lgkmcnt(0)
	v_fma_f64 v[113:114], v[129:130], v[117:118], v[113:114]
	s_waitcnt vmcnt(11)
	v_fma_f64 v[121:122], v[125:126], v[119:120], v[113:114]
	ds_read2_b64 v[113:116], v112 offset0:105 offset1:106
	ds_read2_b64 v[117:120], v112 offset0:107 offset1:108
	s_waitcnt vmcnt(10) lgkmcnt(1)
	v_fma_f64 v[113:114], v[141:142], v[113:114], v[121:122]
	s_waitcnt vmcnt(9)
	v_fma_f64 v[113:114], v[131:132], v[115:116], v[113:114]
	s_waitcnt vmcnt(8) lgkmcnt(0)
	v_fma_f64 v[113:114], v[127:128], v[117:118], v[113:114]
	s_waitcnt vmcnt(4)
	v_fma_f64 v[116:117], v[133:134], v[119:120], v[113:114]
	ds_read2_b64 v[112:115], v112 offset0:109 offset1:110
	s_waitcnt vmcnt(3) lgkmcnt(0)
	v_fma_f64 v[112:113], v[137:138], v[112:113], v[116:117]
	s_waitcnt vmcnt(2)
	v_fma_f64 v[112:113], v[135:136], v[114:115], v[112:113]
	s_waitcnt vmcnt(0)
	v_add_f64 v[112:113], v[139:140], -v[112:113]
	buffer_store_dword v113, off, s[0:3], 0 offset:68
	buffer_store_dword v112, off, s[0:3], 0 offset:64
	v_cmpx_lt_u32_e32 7, v0
	s_cbranch_execz .LBB54_325
; %bb.324:
	s_clause 0x1
	buffer_load_dword v112, off, s[0:3], 0 offset:56
	buffer_load_dword v113, off, s[0:3], 0 offset:60
	v_mov_b32_e32 v114, 0
	buffer_store_dword v114, off, s[0:3], 0 offset:56
	buffer_store_dword v114, off, s[0:3], 0 offset:60
	s_waitcnt vmcnt(0)
	ds_write_b64 v111, v[112:113]
.LBB54_325:
	s_or_b32 exec_lo, exec_lo, s4
	s_waitcnt lgkmcnt(0)
	s_waitcnt_vscnt null, 0x0
	s_barrier
	buffer_gl0_inv
	s_clause 0x1c
	buffer_load_dword v121, off, s[0:3], 0 offset:64
	buffer_load_dword v122, off, s[0:3], 0 offset:68
	;; [unrolled: 1-line block ×29, first 2 shown]
	v_mov_b32_e32 v112, 0
	buffer_load_dword v146, off, s[0:3], 0 offset:180
	s_mov_b32 s4, exec_lo
	ds_read_b128 v[113:116], v112 offset:512
	ds_read_b128 v[117:120], v112 offset:528
	s_waitcnt vmcnt(28) lgkmcnt(1)
	v_fma_f64 v[113:114], v[121:122], v[113:114], 0
	s_clause 0x7
	buffer_load_dword v122, off, s[0:3], 0 offset:188
	buffer_load_dword v151, off, s[0:3], 0 offset:208
	buffer_load_dword v153, off, s[0:3], 0 offset:200
	buffer_load_dword v155, off, s[0:3], 0 offset:192
	buffer_load_dword v121, off, s[0:3], 0 offset:184
	buffer_load_dword v156, off, s[0:3], 0 offset:196
	buffer_load_dword v154, off, s[0:3], 0 offset:204
	buffer_load_dword v152, off, s[0:3], 0 offset:212
	s_waitcnt vmcnt(34)
	v_fma_f64 v[113:114], v[123:124], v[115:116], v[113:114]
	s_waitcnt vmcnt(32) lgkmcnt(0)
	v_fma_f64 v[113:114], v[125:126], v[117:118], v[113:114]
	s_waitcnt vmcnt(30)
	v_fma_f64 v[123:124], v[127:128], v[119:120], v[113:114]
	ds_read_b128 v[113:116], v112 offset:544
	ds_read_b128 v[117:120], v112 offset:560
	s_waitcnt vmcnt(28) lgkmcnt(1)
	v_fma_f64 v[113:114], v[129:130], v[113:114], v[123:124]
	s_clause 0x7
	buffer_load_dword v124, off, s[0:3], 0 offset:220
	buffer_load_dword v125, off, s[0:3], 0 offset:240
	buffer_load_dword v127, off, s[0:3], 0 offset:232
	buffer_load_dword v129, off, s[0:3], 0 offset:224
	buffer_load_dword v123, off, s[0:3], 0 offset:216
	buffer_load_dword v130, off, s[0:3], 0 offset:228
	buffer_load_dword v128, off, s[0:3], 0 offset:236
	buffer_load_dword v126, off, s[0:3], 0 offset:244
	s_waitcnt vmcnt(34)
	v_fma_f64 v[113:114], v[131:132], v[115:116], v[113:114]
	s_waitcnt vmcnt(32) lgkmcnt(0)
	v_fma_f64 v[113:114], v[133:134], v[117:118], v[113:114]
	s_waitcnt vmcnt(27)
	v_fma_f64 v[131:132], v[135:136], v[119:120], v[113:114]
	;; [unrolled: 19-line block ×8, first 2 shown]
	ds_read_b128 v[113:116], v112 offset:768
	ds_read_b128 v[117:120], v112 offset:784
	s_waitcnt vmcnt(26) lgkmcnt(1)
	v_fma_f64 v[113:114], v[155:156], v[113:114], v[121:122]
	s_clause 0x1
	buffer_load_dword v121, off, s[0:3], 0 offset:56
	buffer_load_dword v122, off, s[0:3], 0 offset:60
	s_waitcnt vmcnt(27)
	v_fma_f64 v[113:114], v[147:148], v[115:116], v[113:114]
	s_waitcnt vmcnt(26) lgkmcnt(0)
	v_fma_f64 v[113:114], v[145:146], v[117:118], v[113:114]
	s_waitcnt vmcnt(21)
	v_fma_f64 v[123:124], v[123:124], v[119:120], v[113:114]
	ds_read_b128 v[113:116], v112 offset:800
	ds_read_b128 v[117:120], v112 offset:816
	s_waitcnt vmcnt(20) lgkmcnt(1)
	v_fma_f64 v[113:114], v[153:154], v[113:114], v[123:124]
	s_waitcnt vmcnt(19)
	v_fma_f64 v[113:114], v[151:152], v[115:116], v[113:114]
	s_waitcnt vmcnt(18) lgkmcnt(0)
	v_fma_f64 v[113:114], v[129:130], v[117:118], v[113:114]
	s_waitcnt vmcnt(13)
	v_fma_f64 v[123:124], v[125:126], v[119:120], v[113:114]
	ds_read_b128 v[113:116], v112 offset:832
	ds_read_b128 v[117:120], v112 offset:848
	s_waitcnt vmcnt(12) lgkmcnt(1)
	v_fma_f64 v[113:114], v[141:142], v[113:114], v[123:124]
	s_waitcnt vmcnt(11)
	v_fma_f64 v[113:114], v[131:132], v[115:116], v[113:114]
	s_waitcnt vmcnt(10) lgkmcnt(0)
	v_fma_f64 v[113:114], v[127:128], v[117:118], v[113:114]
	s_waitcnt vmcnt(5)
	v_fma_f64 v[117:118], v[133:134], v[119:120], v[113:114]
	ds_read_b128 v[113:116], v112 offset:864
	ds_read_b64 v[119:120], v112 offset:880
	s_waitcnt vmcnt(4) lgkmcnt(1)
	v_fma_f64 v[113:114], v[149:150], v[113:114], v[117:118]
	s_waitcnt vmcnt(3)
	v_fma_f64 v[113:114], v[137:138], v[115:116], v[113:114]
	s_waitcnt vmcnt(2) lgkmcnt(0)
	v_fma_f64 v[113:114], v[135:136], v[119:120], v[113:114]
	s_waitcnt vmcnt(0)
	v_add_f64 v[113:114], v[121:122], -v[113:114]
	buffer_store_dword v114, off, s[0:3], 0 offset:60
	buffer_store_dword v113, off, s[0:3], 0 offset:56
	v_cmpx_lt_u32_e32 6, v0
	s_cbranch_execz .LBB54_327
; %bb.326:
	s_clause 0x1
	buffer_load_dword v113, off, s[0:3], 0 offset:48
	buffer_load_dword v114, off, s[0:3], 0 offset:52
	buffer_store_dword v112, off, s[0:3], 0 offset:48
	buffer_store_dword v112, off, s[0:3], 0 offset:52
	s_waitcnt vmcnt(0)
	ds_write_b64 v111, v[113:114]
.LBB54_327:
	s_or_b32 exec_lo, exec_lo, s4
	s_waitcnt lgkmcnt(0)
	s_waitcnt_vscnt null, 0x0
	s_barrier
	buffer_gl0_inv
	s_clause 0x1c
	buffer_load_dword v121, off, s[0:3], 0 offset:56
	buffer_load_dword v122, off, s[0:3], 0 offset:60
	;; [unrolled: 1-line block ×29, first 2 shown]
	ds_read2_b64 v[113:116], v112 offset0:63 offset1:64
	ds_read2_b64 v[117:120], v112 offset0:65 offset1:66
	buffer_load_dword v146, off, s[0:3], 0 offset:172
	s_mov_b32 s4, exec_lo
	s_waitcnt vmcnt(28) lgkmcnt(1)
	v_fma_f64 v[113:114], v[121:122], v[113:114], 0
	s_clause 0x7
	buffer_load_dword v122, off, s[0:3], 0 offset:180
	buffer_load_dword v151, off, s[0:3], 0 offset:200
	buffer_load_dword v153, off, s[0:3], 0 offset:192
	buffer_load_dword v155, off, s[0:3], 0 offset:184
	buffer_load_dword v121, off, s[0:3], 0 offset:176
	buffer_load_dword v156, off, s[0:3], 0 offset:188
	buffer_load_dword v154, off, s[0:3], 0 offset:196
	buffer_load_dword v152, off, s[0:3], 0 offset:204
	s_waitcnt vmcnt(34)
	v_fma_f64 v[113:114], v[123:124], v[115:116], v[113:114]
	s_waitcnt vmcnt(32) lgkmcnt(0)
	v_fma_f64 v[113:114], v[125:126], v[117:118], v[113:114]
	s_waitcnt vmcnt(30)
	v_fma_f64 v[123:124], v[127:128], v[119:120], v[113:114]
	ds_read2_b64 v[113:116], v112 offset0:67 offset1:68
	ds_read2_b64 v[117:120], v112 offset0:69 offset1:70
	s_waitcnt vmcnt(28) lgkmcnt(1)
	v_fma_f64 v[113:114], v[129:130], v[113:114], v[123:124]
	s_clause 0x7
	buffer_load_dword v124, off, s[0:3], 0 offset:212
	buffer_load_dword v125, off, s[0:3], 0 offset:232
	buffer_load_dword v127, off, s[0:3], 0 offset:224
	buffer_load_dword v129, off, s[0:3], 0 offset:216
	buffer_load_dword v123, off, s[0:3], 0 offset:208
	buffer_load_dword v130, off, s[0:3], 0 offset:220
	buffer_load_dword v128, off, s[0:3], 0 offset:228
	buffer_load_dword v126, off, s[0:3], 0 offset:236
	s_waitcnt vmcnt(34)
	v_fma_f64 v[113:114], v[131:132], v[115:116], v[113:114]
	s_waitcnt vmcnt(32) lgkmcnt(0)
	v_fma_f64 v[113:114], v[133:134], v[117:118], v[113:114]
	s_waitcnt vmcnt(27)
	v_fma_f64 v[131:132], v[135:136], v[119:120], v[113:114]
	ds_read2_b64 v[113:116], v112 offset0:71 offset1:72
	ds_read2_b64 v[117:120], v112 offset0:73 offset1:74
	;; [unrolled: 19-line block ×8, first 2 shown]
	s_waitcnt vmcnt(26) lgkmcnt(1)
	v_fma_f64 v[113:114], v[155:156], v[113:114], v[121:122]
	s_clause 0x3
	buffer_load_dword v122, off, s[0:3], 0 offset:436
	buffer_load_dword v121, off, s[0:3], 0 offset:432
	;; [unrolled: 1-line block ×4, first 2 shown]
	s_waitcnt vmcnt(29)
	v_fma_f64 v[113:114], v[147:148], v[115:116], v[113:114]
	s_waitcnt vmcnt(28) lgkmcnt(0)
	v_fma_f64 v[113:114], v[145:146], v[117:118], v[113:114]
	s_waitcnt vmcnt(23)
	v_fma_f64 v[123:124], v[123:124], v[119:120], v[113:114]
	ds_read2_b64 v[113:116], v112 offset0:99 offset1:100
	ds_read2_b64 v[117:120], v112 offset0:101 offset1:102
	s_waitcnt vmcnt(22) lgkmcnt(1)
	v_fma_f64 v[113:114], v[153:154], v[113:114], v[123:124]
	s_waitcnt vmcnt(21)
	v_fma_f64 v[113:114], v[151:152], v[115:116], v[113:114]
	s_waitcnt vmcnt(20) lgkmcnt(0)
	v_fma_f64 v[113:114], v[129:130], v[117:118], v[113:114]
	s_waitcnt vmcnt(15)
	v_fma_f64 v[123:124], v[125:126], v[119:120], v[113:114]
	ds_read2_b64 v[113:116], v112 offset0:103 offset1:104
	ds_read2_b64 v[117:120], v112 offset0:105 offset1:106
	s_waitcnt vmcnt(14) lgkmcnt(1)
	v_fma_f64 v[113:114], v[141:142], v[113:114], v[123:124]
	;; [unrolled: 10-line block ×3, first 2 shown]
	s_waitcnt vmcnt(5)
	v_fma_f64 v[112:113], v[137:138], v[115:116], v[112:113]
	s_waitcnt vmcnt(4) lgkmcnt(0)
	v_fma_f64 v[112:113], v[135:136], v[117:118], v[112:113]
	s_waitcnt vmcnt(2)
	v_fma_f64 v[112:113], v[121:122], v[119:120], v[112:113]
	s_waitcnt vmcnt(0)
	v_add_f64 v[112:113], v[139:140], -v[112:113]
	buffer_store_dword v113, off, s[0:3], 0 offset:52
	buffer_store_dword v112, off, s[0:3], 0 offset:48
	v_cmpx_lt_u32_e32 5, v0
	s_cbranch_execz .LBB54_329
; %bb.328:
	s_clause 0x1
	buffer_load_dword v112, off, s[0:3], 0 offset:40
	buffer_load_dword v113, off, s[0:3], 0 offset:44
	v_mov_b32_e32 v114, 0
	buffer_store_dword v114, off, s[0:3], 0 offset:40
	buffer_store_dword v114, off, s[0:3], 0 offset:44
	s_waitcnt vmcnt(0)
	ds_write_b64 v111, v[112:113]
.LBB54_329:
	s_or_b32 exec_lo, exec_lo, s4
	s_waitcnt lgkmcnt(0)
	s_waitcnt_vscnt null, 0x0
	s_barrier
	buffer_gl0_inv
	s_clause 0x1c
	buffer_load_dword v121, off, s[0:3], 0 offset:48
	buffer_load_dword v122, off, s[0:3], 0 offset:52
	;; [unrolled: 1-line block ×29, first 2 shown]
	v_mov_b32_e32 v112, 0
	buffer_load_dword v146, off, s[0:3], 0 offset:164
	s_mov_b32 s4, exec_lo
	ds_read_b128 v[113:116], v112 offset:496
	ds_read_b128 v[117:120], v112 offset:512
	s_waitcnt vmcnt(28) lgkmcnt(1)
	v_fma_f64 v[113:114], v[121:122], v[113:114], 0
	s_clause 0x7
	buffer_load_dword v122, off, s[0:3], 0 offset:172
	buffer_load_dword v151, off, s[0:3], 0 offset:192
	buffer_load_dword v153, off, s[0:3], 0 offset:184
	buffer_load_dword v155, off, s[0:3], 0 offset:176
	buffer_load_dword v121, off, s[0:3], 0 offset:168
	buffer_load_dword v156, off, s[0:3], 0 offset:180
	buffer_load_dword v154, off, s[0:3], 0 offset:188
	buffer_load_dword v152, off, s[0:3], 0 offset:196
	s_waitcnt vmcnt(34)
	v_fma_f64 v[113:114], v[123:124], v[115:116], v[113:114]
	s_waitcnt vmcnt(32) lgkmcnt(0)
	v_fma_f64 v[113:114], v[125:126], v[117:118], v[113:114]
	s_waitcnt vmcnt(30)
	v_fma_f64 v[123:124], v[127:128], v[119:120], v[113:114]
	ds_read_b128 v[113:116], v112 offset:528
	ds_read_b128 v[117:120], v112 offset:544
	s_waitcnt vmcnt(28) lgkmcnt(1)
	v_fma_f64 v[113:114], v[129:130], v[113:114], v[123:124]
	s_clause 0x7
	buffer_load_dword v124, off, s[0:3], 0 offset:204
	buffer_load_dword v125, off, s[0:3], 0 offset:224
	buffer_load_dword v127, off, s[0:3], 0 offset:216
	buffer_load_dword v129, off, s[0:3], 0 offset:208
	buffer_load_dword v123, off, s[0:3], 0 offset:200
	buffer_load_dword v130, off, s[0:3], 0 offset:212
	buffer_load_dword v128, off, s[0:3], 0 offset:220
	buffer_load_dword v126, off, s[0:3], 0 offset:228
	s_waitcnt vmcnt(34)
	v_fma_f64 v[113:114], v[131:132], v[115:116], v[113:114]
	s_waitcnt vmcnt(32) lgkmcnt(0)
	v_fma_f64 v[113:114], v[133:134], v[117:118], v[113:114]
	s_waitcnt vmcnt(27)
	v_fma_f64 v[131:132], v[135:136], v[119:120], v[113:114]
	;; [unrolled: 19-line block ×8, first 2 shown]
	ds_read_b128 v[113:116], v112 offset:752
	ds_read_b128 v[117:120], v112 offset:768
	s_waitcnt vmcnt(26) lgkmcnt(1)
	v_fma_f64 v[113:114], v[155:156], v[113:114], v[121:122]
	s_clause 0x5
	buffer_load_dword v122, off, s[0:3], 0 offset:428
	buffer_load_dword v139, off, s[0:3], 0 offset:432
	;; [unrolled: 1-line block ×6, first 2 shown]
	s_waitcnt vmcnt(31)
	v_fma_f64 v[113:114], v[147:148], v[115:116], v[113:114]
	s_waitcnt vmcnt(30) lgkmcnt(0)
	v_fma_f64 v[113:114], v[145:146], v[117:118], v[113:114]
	s_waitcnt vmcnt(25)
	v_fma_f64 v[123:124], v[123:124], v[119:120], v[113:114]
	ds_read_b128 v[113:116], v112 offset:784
	ds_read_b128 v[117:120], v112 offset:800
	s_waitcnt vmcnt(24) lgkmcnt(1)
	v_fma_f64 v[113:114], v[153:154], v[113:114], v[123:124]
	s_waitcnt vmcnt(23)
	v_fma_f64 v[113:114], v[151:152], v[115:116], v[113:114]
	s_waitcnt vmcnt(22) lgkmcnt(0)
	v_fma_f64 v[113:114], v[129:130], v[117:118], v[113:114]
	s_waitcnt vmcnt(17)
	v_fma_f64 v[123:124], v[125:126], v[119:120], v[113:114]
	ds_read_b128 v[113:116], v112 offset:816
	ds_read_b128 v[117:120], v112 offset:832
	s_waitcnt vmcnt(16) lgkmcnt(1)
	v_fma_f64 v[113:114], v[141:142], v[113:114], v[123:124]
	;; [unrolled: 10-line block ×3, first 2 shown]
	s_waitcnt vmcnt(7)
	v_fma_f64 v[113:114], v[137:138], v[115:116], v[113:114]
	ds_read_b64 v[115:116], v112 offset:880
	s_waitcnt vmcnt(6) lgkmcnt(1)
	v_fma_f64 v[113:114], v[135:136], v[117:118], v[113:114]
	s_waitcnt vmcnt(3)
	v_fma_f64 v[113:114], v[121:122], v[119:120], v[113:114]
	s_waitcnt vmcnt(2) lgkmcnt(0)
	v_fma_f64 v[113:114], v[139:140], v[115:116], v[113:114]
	s_waitcnt vmcnt(0)
	v_add_f64 v[113:114], v[143:144], -v[113:114]
	buffer_store_dword v114, off, s[0:3], 0 offset:44
	buffer_store_dword v113, off, s[0:3], 0 offset:40
	v_cmpx_lt_u32_e32 4, v0
	s_cbranch_execz .LBB54_331
; %bb.330:
	s_clause 0x1
	buffer_load_dword v113, off, s[0:3], 0 offset:32
	buffer_load_dword v114, off, s[0:3], 0 offset:36
	buffer_store_dword v112, off, s[0:3], 0 offset:32
	buffer_store_dword v112, off, s[0:3], 0 offset:36
	s_waitcnt vmcnt(0)
	ds_write_b64 v111, v[113:114]
.LBB54_331:
	s_or_b32 exec_lo, exec_lo, s4
	s_waitcnt lgkmcnt(0)
	s_waitcnt_vscnt null, 0x0
	s_barrier
	buffer_gl0_inv
	s_clause 0x1c
	buffer_load_dword v121, off, s[0:3], 0 offset:40
	buffer_load_dword v122, off, s[0:3], 0 offset:44
	;; [unrolled: 1-line block ×29, first 2 shown]
	ds_read2_b64 v[113:116], v112 offset0:61 offset1:62
	ds_read2_b64 v[117:120], v112 offset0:63 offset1:64
	buffer_load_dword v146, off, s[0:3], 0 offset:156
	s_mov_b32 s4, exec_lo
	s_waitcnt vmcnt(28) lgkmcnt(1)
	v_fma_f64 v[113:114], v[121:122], v[113:114], 0
	s_clause 0x7
	buffer_load_dword v122, off, s[0:3], 0 offset:164
	buffer_load_dword v151, off, s[0:3], 0 offset:184
	buffer_load_dword v153, off, s[0:3], 0 offset:176
	buffer_load_dword v155, off, s[0:3], 0 offset:168
	buffer_load_dword v121, off, s[0:3], 0 offset:160
	buffer_load_dword v156, off, s[0:3], 0 offset:172
	buffer_load_dword v154, off, s[0:3], 0 offset:180
	buffer_load_dword v152, off, s[0:3], 0 offset:188
	s_waitcnt vmcnt(34)
	v_fma_f64 v[113:114], v[123:124], v[115:116], v[113:114]
	s_waitcnt vmcnt(32) lgkmcnt(0)
	v_fma_f64 v[113:114], v[125:126], v[117:118], v[113:114]
	s_waitcnt vmcnt(30)
	v_fma_f64 v[123:124], v[127:128], v[119:120], v[113:114]
	ds_read2_b64 v[113:116], v112 offset0:65 offset1:66
	ds_read2_b64 v[117:120], v112 offset0:67 offset1:68
	s_waitcnt vmcnt(28) lgkmcnt(1)
	v_fma_f64 v[113:114], v[129:130], v[113:114], v[123:124]
	s_clause 0x7
	buffer_load_dword v124, off, s[0:3], 0 offset:196
	buffer_load_dword v125, off, s[0:3], 0 offset:216
	buffer_load_dword v127, off, s[0:3], 0 offset:208
	buffer_load_dword v129, off, s[0:3], 0 offset:200
	buffer_load_dword v123, off, s[0:3], 0 offset:192
	buffer_load_dword v130, off, s[0:3], 0 offset:204
	buffer_load_dword v128, off, s[0:3], 0 offset:212
	buffer_load_dword v126, off, s[0:3], 0 offset:220
	s_waitcnt vmcnt(34)
	v_fma_f64 v[113:114], v[131:132], v[115:116], v[113:114]
	s_waitcnt vmcnt(32) lgkmcnt(0)
	v_fma_f64 v[113:114], v[133:134], v[117:118], v[113:114]
	s_waitcnt vmcnt(27)
	v_fma_f64 v[131:132], v[135:136], v[119:120], v[113:114]
	ds_read2_b64 v[113:116], v112 offset0:69 offset1:70
	ds_read2_b64 v[117:120], v112 offset0:71 offset1:72
	;; [unrolled: 19-line block ×8, first 2 shown]
	s_waitcnt vmcnt(26) lgkmcnt(1)
	v_fma_f64 v[113:114], v[155:156], v[113:114], v[121:122]
	s_clause 0x5
	buffer_load_dword v122, off, s[0:3], 0 offset:420
	buffer_load_dword v139, off, s[0:3], 0 offset:432
	;; [unrolled: 1-line block ×6, first 2 shown]
	s_waitcnt vmcnt(31)
	v_fma_f64 v[113:114], v[147:148], v[115:116], v[113:114]
	s_waitcnt vmcnt(30) lgkmcnt(0)
	v_fma_f64 v[113:114], v[145:146], v[117:118], v[113:114]
	s_waitcnt vmcnt(25)
	v_fma_f64 v[123:124], v[123:124], v[119:120], v[113:114]
	ds_read2_b64 v[113:116], v112 offset0:97 offset1:98
	s_clause 0x1
	buffer_load_dword v145, off, s[0:3], 0 offset:32
	buffer_load_dword v146, off, s[0:3], 0 offset:36
	ds_read2_b64 v[117:120], v112 offset0:99 offset1:100
	s_waitcnt vmcnt(26) lgkmcnt(1)
	v_fma_f64 v[113:114], v[153:154], v[113:114], v[123:124]
	s_waitcnt vmcnt(25)
	v_fma_f64 v[113:114], v[151:152], v[115:116], v[113:114]
	s_waitcnt vmcnt(24) lgkmcnt(0)
	v_fma_f64 v[113:114], v[129:130], v[117:118], v[113:114]
	s_waitcnt vmcnt(19)
	v_fma_f64 v[123:124], v[125:126], v[119:120], v[113:114]
	ds_read2_b64 v[113:116], v112 offset0:101 offset1:102
	ds_read2_b64 v[117:120], v112 offset0:103 offset1:104
	s_waitcnt vmcnt(18) lgkmcnt(1)
	v_fma_f64 v[113:114], v[141:142], v[113:114], v[123:124]
	s_waitcnt vmcnt(17)
	v_fma_f64 v[113:114], v[131:132], v[115:116], v[113:114]
	s_waitcnt vmcnt(16) lgkmcnt(0)
	v_fma_f64 v[113:114], v[127:128], v[117:118], v[113:114]
	s_waitcnt vmcnt(11)
	v_fma_f64 v[123:124], v[133:134], v[119:120], v[113:114]
	ds_read2_b64 v[113:116], v112 offset0:105 offset1:106
	;; [unrolled: 10-line block ×3, first 2 shown]
	s_waitcnt vmcnt(3) lgkmcnt(0)
	v_fma_f64 v[112:113], v[143:144], v[112:113], v[116:117]
	s_waitcnt vmcnt(2)
	v_fma_f64 v[112:113], v[139:140], v[114:115], v[112:113]
	s_waitcnt vmcnt(0)
	v_add_f64 v[112:113], v[145:146], -v[112:113]
	buffer_store_dword v113, off, s[0:3], 0 offset:36
	buffer_store_dword v112, off, s[0:3], 0 offset:32
	v_cmpx_lt_u32_e32 3, v0
	s_cbranch_execz .LBB54_333
; %bb.332:
	s_clause 0x1
	buffer_load_dword v112, off, s[0:3], 0 offset:24
	buffer_load_dword v113, off, s[0:3], 0 offset:28
	v_mov_b32_e32 v114, 0
	buffer_store_dword v114, off, s[0:3], 0 offset:24
	buffer_store_dword v114, off, s[0:3], 0 offset:28
	s_waitcnt vmcnt(0)
	ds_write_b64 v111, v[112:113]
.LBB54_333:
	s_or_b32 exec_lo, exec_lo, s4
	s_waitcnt lgkmcnt(0)
	s_waitcnt_vscnt null, 0x0
	s_barrier
	buffer_gl0_inv
	s_clause 0x1c
	buffer_load_dword v121, off, s[0:3], 0 offset:32
	buffer_load_dword v122, off, s[0:3], 0 offset:36
	;; [unrolled: 1-line block ×29, first 2 shown]
	v_mov_b32_e32 v112, 0
	buffer_load_dword v146, off, s[0:3], 0 offset:148
	s_mov_b32 s4, exec_lo
	ds_read_b128 v[113:116], v112 offset:480
	ds_read_b128 v[117:120], v112 offset:496
	s_waitcnt vmcnt(28) lgkmcnt(1)
	v_fma_f64 v[113:114], v[121:122], v[113:114], 0
	s_clause 0x7
	buffer_load_dword v122, off, s[0:3], 0 offset:156
	buffer_load_dword v151, off, s[0:3], 0 offset:176
	buffer_load_dword v153, off, s[0:3], 0 offset:168
	buffer_load_dword v155, off, s[0:3], 0 offset:160
	buffer_load_dword v121, off, s[0:3], 0 offset:152
	buffer_load_dword v156, off, s[0:3], 0 offset:164
	buffer_load_dword v154, off, s[0:3], 0 offset:172
	buffer_load_dword v152, off, s[0:3], 0 offset:180
	s_waitcnt vmcnt(34)
	v_fma_f64 v[113:114], v[123:124], v[115:116], v[113:114]
	s_waitcnt vmcnt(32) lgkmcnt(0)
	v_fma_f64 v[113:114], v[125:126], v[117:118], v[113:114]
	s_waitcnt vmcnt(30)
	v_fma_f64 v[123:124], v[127:128], v[119:120], v[113:114]
	ds_read_b128 v[113:116], v112 offset:512
	ds_read_b128 v[117:120], v112 offset:528
	s_waitcnt vmcnt(28) lgkmcnt(1)
	v_fma_f64 v[113:114], v[129:130], v[113:114], v[123:124]
	s_clause 0x7
	buffer_load_dword v124, off, s[0:3], 0 offset:188
	buffer_load_dword v125, off, s[0:3], 0 offset:208
	buffer_load_dword v127, off, s[0:3], 0 offset:200
	buffer_load_dword v129, off, s[0:3], 0 offset:192
	buffer_load_dword v123, off, s[0:3], 0 offset:184
	buffer_load_dword v130, off, s[0:3], 0 offset:196
	buffer_load_dword v128, off, s[0:3], 0 offset:204
	buffer_load_dword v126, off, s[0:3], 0 offset:212
	s_waitcnt vmcnt(34)
	v_fma_f64 v[113:114], v[131:132], v[115:116], v[113:114]
	s_waitcnt vmcnt(32) lgkmcnt(0)
	v_fma_f64 v[113:114], v[133:134], v[117:118], v[113:114]
	s_waitcnt vmcnt(27)
	v_fma_f64 v[131:132], v[135:136], v[119:120], v[113:114]
	;; [unrolled: 19-line block ×9, first 2 shown]
	ds_read_b128 v[113:116], v112 offset:768
	ds_read_b128 v[117:120], v112 offset:784
	s_waitcnt vmcnt(26) lgkmcnt(1)
	v_fma_f64 v[113:114], v[153:154], v[113:114], v[123:124]
	s_clause 0x1
	buffer_load_dword v123, off, s[0:3], 0 offset:24
	buffer_load_dword v124, off, s[0:3], 0 offset:28
	s_waitcnt vmcnt(27)
	v_fma_f64 v[113:114], v[151:152], v[115:116], v[113:114]
	s_waitcnt vmcnt(26) lgkmcnt(0)
	v_fma_f64 v[113:114], v[129:130], v[117:118], v[113:114]
	s_waitcnt vmcnt(21)
	v_fma_f64 v[125:126], v[125:126], v[119:120], v[113:114]
	ds_read_b128 v[113:116], v112 offset:800
	ds_read_b128 v[117:120], v112 offset:816
	s_waitcnt vmcnt(20) lgkmcnt(1)
	v_fma_f64 v[113:114], v[141:142], v[113:114], v[125:126]
	s_waitcnt vmcnt(19)
	v_fma_f64 v[113:114], v[131:132], v[115:116], v[113:114]
	s_waitcnt vmcnt(18) lgkmcnt(0)
	v_fma_f64 v[113:114], v[127:128], v[117:118], v[113:114]
	s_waitcnt vmcnt(13)
	v_fma_f64 v[125:126], v[133:134], v[119:120], v[113:114]
	ds_read_b128 v[113:116], v112 offset:832
	ds_read_b128 v[117:120], v112 offset:848
	s_waitcnt vmcnt(12) lgkmcnt(1)
	v_fma_f64 v[113:114], v[149:150], v[113:114], v[125:126]
	s_waitcnt vmcnt(11)
	v_fma_f64 v[113:114], v[137:138], v[115:116], v[113:114]
	s_waitcnt vmcnt(10) lgkmcnt(0)
	v_fma_f64 v[113:114], v[135:136], v[117:118], v[113:114]
	s_waitcnt vmcnt(5)
	v_fma_f64 v[117:118], v[121:122], v[119:120], v[113:114]
	ds_read_b128 v[113:116], v112 offset:864
	ds_read_b64 v[119:120], v112 offset:880
	s_waitcnt vmcnt(4) lgkmcnt(1)
	v_fma_f64 v[113:114], v[155:156], v[113:114], v[117:118]
	s_waitcnt vmcnt(3)
	v_fma_f64 v[113:114], v[143:144], v[115:116], v[113:114]
	s_waitcnt vmcnt(2) lgkmcnt(0)
	v_fma_f64 v[113:114], v[139:140], v[119:120], v[113:114]
	s_waitcnt vmcnt(0)
	v_add_f64 v[113:114], v[123:124], -v[113:114]
	buffer_store_dword v114, off, s[0:3], 0 offset:28
	buffer_store_dword v113, off, s[0:3], 0 offset:24
	v_cmpx_lt_u32_e32 2, v0
	s_cbranch_execz .LBB54_335
; %bb.334:
	s_clause 0x1
	buffer_load_dword v113, off, s[0:3], 0 offset:16
	buffer_load_dword v114, off, s[0:3], 0 offset:20
	buffer_store_dword v112, off, s[0:3], 0 offset:16
	buffer_store_dword v112, off, s[0:3], 0 offset:20
	s_waitcnt vmcnt(0)
	ds_write_b64 v111, v[113:114]
.LBB54_335:
	s_or_b32 exec_lo, exec_lo, s4
	s_waitcnt lgkmcnt(0)
	s_waitcnt_vscnt null, 0x0
	s_barrier
	buffer_gl0_inv
	s_clause 0x1c
	buffer_load_dword v121, off, s[0:3], 0 offset:24
	buffer_load_dword v122, off, s[0:3], 0 offset:28
	;; [unrolled: 1-line block ×29, first 2 shown]
	ds_read2_b64 v[113:116], v112 offset0:59 offset1:60
	ds_read2_b64 v[117:120], v112 offset0:61 offset1:62
	buffer_load_dword v146, off, s[0:3], 0 offset:140
	s_mov_b32 s4, exec_lo
	s_waitcnt vmcnt(28) lgkmcnt(1)
	v_fma_f64 v[113:114], v[121:122], v[113:114], 0
	s_clause 0x7
	buffer_load_dword v122, off, s[0:3], 0 offset:148
	buffer_load_dword v151, off, s[0:3], 0 offset:168
	buffer_load_dword v153, off, s[0:3], 0 offset:160
	buffer_load_dword v155, off, s[0:3], 0 offset:152
	buffer_load_dword v121, off, s[0:3], 0 offset:144
	buffer_load_dword v156, off, s[0:3], 0 offset:156
	buffer_load_dword v154, off, s[0:3], 0 offset:164
	buffer_load_dword v152, off, s[0:3], 0 offset:172
	s_waitcnt vmcnt(34)
	v_fma_f64 v[113:114], v[123:124], v[115:116], v[113:114]
	s_waitcnt vmcnt(32) lgkmcnt(0)
	v_fma_f64 v[113:114], v[125:126], v[117:118], v[113:114]
	s_waitcnt vmcnt(30)
	v_fma_f64 v[123:124], v[127:128], v[119:120], v[113:114]
	ds_read2_b64 v[113:116], v112 offset0:63 offset1:64
	ds_read2_b64 v[117:120], v112 offset0:65 offset1:66
	s_waitcnt vmcnt(28) lgkmcnt(1)
	v_fma_f64 v[113:114], v[129:130], v[113:114], v[123:124]
	s_clause 0x7
	buffer_load_dword v124, off, s[0:3], 0 offset:180
	buffer_load_dword v125, off, s[0:3], 0 offset:200
	buffer_load_dword v127, off, s[0:3], 0 offset:192
	buffer_load_dword v129, off, s[0:3], 0 offset:184
	buffer_load_dword v123, off, s[0:3], 0 offset:176
	buffer_load_dword v130, off, s[0:3], 0 offset:188
	buffer_load_dword v128, off, s[0:3], 0 offset:196
	buffer_load_dword v126, off, s[0:3], 0 offset:204
	s_waitcnt vmcnt(34)
	v_fma_f64 v[113:114], v[131:132], v[115:116], v[113:114]
	s_waitcnt vmcnt(32) lgkmcnt(0)
	v_fma_f64 v[113:114], v[133:134], v[117:118], v[113:114]
	s_waitcnt vmcnt(27)
	v_fma_f64 v[131:132], v[135:136], v[119:120], v[113:114]
	ds_read2_b64 v[113:116], v112 offset0:67 offset1:68
	ds_read2_b64 v[117:120], v112 offset0:69 offset1:70
	s_waitcnt vmcnt(26) lgkmcnt(1)
	v_fma_f64 v[113:114], v[141:142], v[113:114], v[131:132]
	s_clause 0x7
	buffer_load_dword v132, off, s[0:3], 0 offset:212
	buffer_load_dword v133, off, s[0:3], 0 offset:232
	buffer_load_dword v135, off, s[0:3], 0 offset:224
	buffer_load_dword v141, off, s[0:3], 0 offset:216
	buffer_load_dword v131, off, s[0:3], 0 offset:208
	buffer_load_dword v142, off, s[0:3], 0 offset:220
	buffer_load_dword v136, off, s[0:3], 0 offset:228
	buffer_load_dword v134, off, s[0:3], 0 offset:236
	s_waitcnt vmcnt(33)
	v_fma_f64 v[113:114], v[139:140], v[115:116], v[113:114]
	s_waitcnt vmcnt(32) lgkmcnt(0)
	v_fma_f64 v[113:114], v[137:138], v[117:118], v[113:114]
	s_waitcnt vmcnt(27)
	v_fma_f64 v[137:138], v[143:144], v[119:120], v[113:114]
	ds_read2_b64 v[113:116], v112 offset0:71 offset1:72
	ds_read2_b64 v[117:120], v112 offset0:73 offset1:74
	s_waitcnt vmcnt(26) lgkmcnt(1)
	v_fma_f64 v[113:114], v[149:150], v[113:114], v[137:138]
	s_clause 0x7
	buffer_load_dword v138, off, s[0:3], 0 offset:244
	buffer_load_dword v139, off, s[0:3], 0 offset:264
	buffer_load_dword v143, off, s[0:3], 0 offset:256
	buffer_load_dword v149, off, s[0:3], 0 offset:248
	buffer_load_dword v137, off, s[0:3], 0 offset:240
	buffer_load_dword v150, off, s[0:3], 0 offset:252
	buffer_load_dword v144, off, s[0:3], 0 offset:260
	buffer_load_dword v140, off, s[0:3], 0 offset:268
	s_waitcnt vmcnt(33)
	v_fma_f64 v[113:114], v[147:148], v[115:116], v[113:114]
	s_waitcnt vmcnt(32) lgkmcnt(0)
	v_fma_f64 v[113:114], v[145:146], v[117:118], v[113:114]
	s_waitcnt vmcnt(27)
	v_fma_f64 v[121:122], v[121:122], v[119:120], v[113:114]
	ds_read2_b64 v[113:116], v112 offset0:75 offset1:76
	ds_read2_b64 v[117:120], v112 offset0:77 offset1:78
	s_waitcnt vmcnt(26) lgkmcnt(1)
	v_fma_f64 v[113:114], v[155:156], v[113:114], v[121:122]
	s_clause 0x7
	buffer_load_dword v122, off, s[0:3], 0 offset:276
	buffer_load_dword v145, off, s[0:3], 0 offset:296
	buffer_load_dword v147, off, s[0:3], 0 offset:288
	buffer_load_dword v155, off, s[0:3], 0 offset:280
	buffer_load_dword v121, off, s[0:3], 0 offset:272
	buffer_load_dword v156, off, s[0:3], 0 offset:284
	buffer_load_dword v148, off, s[0:3], 0 offset:292
	buffer_load_dword v146, off, s[0:3], 0 offset:300
	s_waitcnt vmcnt(33)
	v_fma_f64 v[113:114], v[153:154], v[115:116], v[113:114]
	s_waitcnt vmcnt(32) lgkmcnt(0)
	v_fma_f64 v[113:114], v[151:152], v[117:118], v[113:114]
	s_waitcnt vmcnt(27)
	v_fma_f64 v[123:124], v[123:124], v[119:120], v[113:114]
	ds_read2_b64 v[113:116], v112 offset0:79 offset1:80
	ds_read2_b64 v[117:120], v112 offset0:81 offset1:82
	s_waitcnt vmcnt(26) lgkmcnt(1)
	v_fma_f64 v[113:114], v[129:130], v[113:114], v[123:124]
	s_clause 0x7
	buffer_load_dword v124, off, s[0:3], 0 offset:308
	buffer_load_dword v129, off, s[0:3], 0 offset:328
	buffer_load_dword v151, off, s[0:3], 0 offset:320
	buffer_load_dword v153, off, s[0:3], 0 offset:312
	buffer_load_dword v123, off, s[0:3], 0 offset:304
	buffer_load_dword v154, off, s[0:3], 0 offset:316
	buffer_load_dword v152, off, s[0:3], 0 offset:324
	buffer_load_dword v130, off, s[0:3], 0 offset:332
	s_waitcnt vmcnt(33)
	v_fma_f64 v[113:114], v[127:128], v[115:116], v[113:114]
	s_waitcnt vmcnt(32) lgkmcnt(0)
	v_fma_f64 v[113:114], v[125:126], v[117:118], v[113:114]
	s_waitcnt vmcnt(27)
	v_fma_f64 v[125:126], v[131:132], v[119:120], v[113:114]
	ds_read2_b64 v[113:116], v112 offset0:83 offset1:84
	ds_read2_b64 v[117:120], v112 offset0:85 offset1:86
	s_waitcnt vmcnt(26) lgkmcnt(1)
	v_fma_f64 v[113:114], v[141:142], v[113:114], v[125:126]
	s_clause 0x7
	buffer_load_dword v126, off, s[0:3], 0 offset:340
	buffer_load_dword v127, off, s[0:3], 0 offset:360
	buffer_load_dword v131, off, s[0:3], 0 offset:352
	buffer_load_dword v141, off, s[0:3], 0 offset:344
	buffer_load_dword v125, off, s[0:3], 0 offset:336
	buffer_load_dword v142, off, s[0:3], 0 offset:348
	buffer_load_dword v132, off, s[0:3], 0 offset:356
	buffer_load_dword v128, off, s[0:3], 0 offset:364
	s_waitcnt vmcnt(33)
	v_fma_f64 v[113:114], v[135:136], v[115:116], v[113:114]
	s_waitcnt vmcnt(32) lgkmcnt(0)
	v_fma_f64 v[113:114], v[133:134], v[117:118], v[113:114]
	s_waitcnt vmcnt(27)
	v_fma_f64 v[133:134], v[137:138], v[119:120], v[113:114]
	ds_read2_b64 v[113:116], v112 offset0:87 offset1:88
	ds_read2_b64 v[117:120], v112 offset0:89 offset1:90
	s_waitcnt vmcnt(26) lgkmcnt(1)
	v_fma_f64 v[113:114], v[149:150], v[113:114], v[133:134]
	s_clause 0x7
	buffer_load_dword v134, off, s[0:3], 0 offset:372
	buffer_load_dword v135, off, s[0:3], 0 offset:392
	buffer_load_dword v137, off, s[0:3], 0 offset:384
	buffer_load_dword v149, off, s[0:3], 0 offset:376
	buffer_load_dword v133, off, s[0:3], 0 offset:368
	buffer_load_dword v150, off, s[0:3], 0 offset:380
	buffer_load_dword v138, off, s[0:3], 0 offset:388
	buffer_load_dword v136, off, s[0:3], 0 offset:396
	s_waitcnt vmcnt(33)
	v_fma_f64 v[113:114], v[143:144], v[115:116], v[113:114]
	s_waitcnt vmcnt(32) lgkmcnt(0)
	v_fma_f64 v[113:114], v[139:140], v[117:118], v[113:114]
	s_waitcnt vmcnt(27)
	v_fma_f64 v[121:122], v[121:122], v[119:120], v[113:114]
	ds_read2_b64 v[113:116], v112 offset0:91 offset1:92
	ds_read2_b64 v[117:120], v112 offset0:93 offset1:94
	s_waitcnt vmcnt(26) lgkmcnt(1)
	v_fma_f64 v[113:114], v[155:156], v[113:114], v[121:122]
	s_clause 0x7
	buffer_load_dword v122, off, s[0:3], 0 offset:404
	buffer_load_dword v139, off, s[0:3], 0 offset:424
	buffer_load_dword v143, off, s[0:3], 0 offset:416
	buffer_load_dword v155, off, s[0:3], 0 offset:408
	buffer_load_dword v121, off, s[0:3], 0 offset:400
	buffer_load_dword v156, off, s[0:3], 0 offset:412
	buffer_load_dword v144, off, s[0:3], 0 offset:420
	buffer_load_dword v140, off, s[0:3], 0 offset:428
	s_waitcnt vmcnt(33)
	v_fma_f64 v[113:114], v[147:148], v[115:116], v[113:114]
	s_waitcnt vmcnt(32) lgkmcnt(0)
	v_fma_f64 v[113:114], v[145:146], v[117:118], v[113:114]
	s_waitcnt vmcnt(27)
	v_fma_f64 v[123:124], v[123:124], v[119:120], v[113:114]
	ds_read2_b64 v[113:116], v112 offset0:95 offset1:96
	ds_read2_b64 v[117:120], v112 offset0:97 offset1:98
	s_waitcnt vmcnt(26) lgkmcnt(1)
	v_fma_f64 v[113:114], v[153:154], v[113:114], v[123:124]
	s_clause 0x3
	buffer_load_dword v124, off, s[0:3], 0 offset:436
	buffer_load_dword v123, off, s[0:3], 0 offset:432
	;; [unrolled: 1-line block ×4, first 2 shown]
	s_waitcnt vmcnt(29)
	v_fma_f64 v[113:114], v[151:152], v[115:116], v[113:114]
	s_waitcnt vmcnt(28) lgkmcnt(0)
	v_fma_f64 v[113:114], v[129:130], v[117:118], v[113:114]
	s_waitcnt vmcnt(23)
	v_fma_f64 v[125:126], v[125:126], v[119:120], v[113:114]
	ds_read2_b64 v[113:116], v112 offset0:99 offset1:100
	ds_read2_b64 v[117:120], v112 offset0:101 offset1:102
	s_waitcnt vmcnt(22) lgkmcnt(1)
	v_fma_f64 v[113:114], v[141:142], v[113:114], v[125:126]
	s_waitcnt vmcnt(21)
	v_fma_f64 v[113:114], v[131:132], v[115:116], v[113:114]
	s_waitcnt vmcnt(20) lgkmcnt(0)
	v_fma_f64 v[113:114], v[127:128], v[117:118], v[113:114]
	s_waitcnt vmcnt(15)
	v_fma_f64 v[125:126], v[133:134], v[119:120], v[113:114]
	ds_read2_b64 v[113:116], v112 offset0:103 offset1:104
	ds_read2_b64 v[117:120], v112 offset0:105 offset1:106
	s_waitcnt vmcnt(14) lgkmcnt(1)
	v_fma_f64 v[113:114], v[149:150], v[113:114], v[125:126]
	;; [unrolled: 10-line block ×3, first 2 shown]
	s_waitcnt vmcnt(5)
	v_fma_f64 v[112:113], v[143:144], v[115:116], v[112:113]
	s_waitcnt vmcnt(4) lgkmcnt(0)
	v_fma_f64 v[112:113], v[139:140], v[117:118], v[112:113]
	s_waitcnt vmcnt(2)
	v_fma_f64 v[112:113], v[123:124], v[119:120], v[112:113]
	s_waitcnt vmcnt(0)
	v_add_f64 v[112:113], v[145:146], -v[112:113]
	buffer_store_dword v113, off, s[0:3], 0 offset:20
	buffer_store_dword v112, off, s[0:3], 0 offset:16
	v_cmpx_lt_u32_e32 1, v0
	s_cbranch_execz .LBB54_337
; %bb.336:
	s_clause 0x1
	buffer_load_dword v112, off, s[0:3], 0 offset:8
	buffer_load_dword v113, off, s[0:3], 0 offset:12
	v_mov_b32_e32 v114, 0
	buffer_store_dword v114, off, s[0:3], 0 offset:8
	buffer_store_dword v114, off, s[0:3], 0 offset:12
	s_waitcnt vmcnt(0)
	ds_write_b64 v111, v[112:113]
.LBB54_337:
	s_or_b32 exec_lo, exec_lo, s4
	s_waitcnt lgkmcnt(0)
	s_waitcnt_vscnt null, 0x0
	s_barrier
	buffer_gl0_inv
	s_clause 0x1c
	buffer_load_dword v121, off, s[0:3], 0 offset:16
	buffer_load_dword v122, off, s[0:3], 0 offset:20
	;; [unrolled: 1-line block ×29, first 2 shown]
	v_mov_b32_e32 v112, 0
	buffer_load_dword v146, off, s[0:3], 0 offset:132
	s_mov_b32 s4, exec_lo
	ds_read_b128 v[113:116], v112 offset:464
	ds_read_b128 v[117:120], v112 offset:480
	s_waitcnt vmcnt(28) lgkmcnt(1)
	v_fma_f64 v[113:114], v[121:122], v[113:114], 0
	s_clause 0x7
	buffer_load_dword v122, off, s[0:3], 0 offset:140
	buffer_load_dword v151, off, s[0:3], 0 offset:160
	buffer_load_dword v153, off, s[0:3], 0 offset:152
	buffer_load_dword v155, off, s[0:3], 0 offset:144
	buffer_load_dword v121, off, s[0:3], 0 offset:136
	buffer_load_dword v156, off, s[0:3], 0 offset:148
	buffer_load_dword v154, off, s[0:3], 0 offset:156
	buffer_load_dword v152, off, s[0:3], 0 offset:164
	s_waitcnt vmcnt(34)
	v_fma_f64 v[113:114], v[123:124], v[115:116], v[113:114]
	s_waitcnt vmcnt(32) lgkmcnt(0)
	v_fma_f64 v[113:114], v[125:126], v[117:118], v[113:114]
	s_waitcnt vmcnt(30)
	v_fma_f64 v[123:124], v[127:128], v[119:120], v[113:114]
	ds_read_b128 v[113:116], v112 offset:496
	ds_read_b128 v[117:120], v112 offset:512
	s_waitcnt vmcnt(28) lgkmcnt(1)
	v_fma_f64 v[113:114], v[129:130], v[113:114], v[123:124]
	s_clause 0x7
	buffer_load_dword v124, off, s[0:3], 0 offset:172
	buffer_load_dword v125, off, s[0:3], 0 offset:192
	buffer_load_dword v127, off, s[0:3], 0 offset:184
	buffer_load_dword v129, off, s[0:3], 0 offset:176
	buffer_load_dword v123, off, s[0:3], 0 offset:168
	buffer_load_dword v130, off, s[0:3], 0 offset:180
	buffer_load_dword v128, off, s[0:3], 0 offset:188
	buffer_load_dword v126, off, s[0:3], 0 offset:196
	s_waitcnt vmcnt(34)
	v_fma_f64 v[113:114], v[131:132], v[115:116], v[113:114]
	s_waitcnt vmcnt(32) lgkmcnt(0)
	v_fma_f64 v[113:114], v[133:134], v[117:118], v[113:114]
	s_waitcnt vmcnt(27)
	v_fma_f64 v[131:132], v[135:136], v[119:120], v[113:114]
	;; [unrolled: 19-line block ×9, first 2 shown]
	ds_read_b128 v[113:116], v112 offset:752
	ds_read_b128 v[117:120], v112 offset:768
	s_waitcnt vmcnt(26) lgkmcnt(1)
	v_fma_f64 v[113:114], v[153:154], v[113:114], v[123:124]
	s_clause 0x3
	buffer_load_dword v124, off, s[0:3], 0 offset:428
	buffer_load_dword v145, off, s[0:3], 0 offset:432
	;; [unrolled: 1-line block ×4, first 2 shown]
	s_waitcnt vmcnt(29)
	v_fma_f64 v[113:114], v[151:152], v[115:116], v[113:114]
	s_waitcnt vmcnt(28) lgkmcnt(0)
	v_fma_f64 v[113:114], v[129:130], v[117:118], v[113:114]
	s_clause 0x1
	buffer_load_dword v129, off, s[0:3], 0 offset:8
	buffer_load_dword v130, off, s[0:3], 0 offset:12
	s_waitcnt vmcnt(25)
	v_fma_f64 v[125:126], v[125:126], v[119:120], v[113:114]
	ds_read_b128 v[113:116], v112 offset:784
	ds_read_b128 v[117:120], v112 offset:800
	s_waitcnt vmcnt(24) lgkmcnt(1)
	v_fma_f64 v[113:114], v[141:142], v[113:114], v[125:126]
	s_waitcnt vmcnt(23)
	v_fma_f64 v[113:114], v[131:132], v[115:116], v[113:114]
	s_waitcnt vmcnt(22) lgkmcnt(0)
	v_fma_f64 v[113:114], v[127:128], v[117:118], v[113:114]
	s_waitcnt vmcnt(17)
	v_fma_f64 v[125:126], v[133:134], v[119:120], v[113:114]
	ds_read_b128 v[113:116], v112 offset:816
	ds_read_b128 v[117:120], v112 offset:832
	s_waitcnt vmcnt(16) lgkmcnt(1)
	v_fma_f64 v[113:114], v[149:150], v[113:114], v[125:126]
	s_waitcnt vmcnt(15)
	v_fma_f64 v[113:114], v[137:138], v[115:116], v[113:114]
	s_waitcnt vmcnt(14) lgkmcnt(0)
	v_fma_f64 v[113:114], v[135:136], v[117:118], v[113:114]
	s_waitcnt vmcnt(9)
	v_fma_f64 v[121:122], v[121:122], v[119:120], v[113:114]
	ds_read_b128 v[113:116], v112 offset:848
	ds_read_b128 v[117:120], v112 offset:864
	s_waitcnt vmcnt(8) lgkmcnt(1)
	v_fma_f64 v[113:114], v[155:156], v[113:114], v[121:122]
	s_waitcnt vmcnt(7)
	v_fma_f64 v[113:114], v[143:144], v[115:116], v[113:114]
	ds_read_b64 v[115:116], v112 offset:880
	s_waitcnt vmcnt(6) lgkmcnt(1)
	v_fma_f64 v[113:114], v[139:140], v[117:118], v[113:114]
	s_waitcnt vmcnt(3)
	v_fma_f64 v[113:114], v[123:124], v[119:120], v[113:114]
	s_waitcnt vmcnt(2) lgkmcnt(0)
	v_fma_f64 v[113:114], v[145:146], v[115:116], v[113:114]
	s_waitcnt vmcnt(0)
	v_add_f64 v[113:114], v[129:130], -v[113:114]
	buffer_store_dword v114, off, s[0:3], 0 offset:12
	buffer_store_dword v113, off, s[0:3], 0 offset:8
	v_cmpx_ne_u32_e32 0, v0
	s_cbranch_execz .LBB54_339
; %bb.338:
	s_clause 0x1
	buffer_load_dword v113, off, s[0:3], 0
	buffer_load_dword v114, off, s[0:3], 0 offset:4
	buffer_store_dword v112, off, s[0:3], 0
	buffer_store_dword v112, off, s[0:3], 0 offset:4
	s_waitcnt vmcnt(0)
	ds_write_b64 v111, v[113:114]
.LBB54_339:
	s_or_b32 exec_lo, exec_lo, s4
	s_waitcnt lgkmcnt(0)
	s_waitcnt_vscnt null, 0x0
	s_barrier
	buffer_gl0_inv
	s_clause 0x1c
	buffer_load_dword v121, off, s[0:3], 0 offset:8
	buffer_load_dword v122, off, s[0:3], 0 offset:12
	;; [unrolled: 1-line block ×29, first 2 shown]
	ds_read2_b64 v[113:116], v112 offset0:57 offset1:58
	ds_read2_b64 v[117:120], v112 offset0:59 offset1:60
	buffer_load_dword v146, off, s[0:3], 0 offset:124
	s_and_b32 vcc_lo, exec_lo, s22
	s_waitcnt vmcnt(28) lgkmcnt(1)
	v_fma_f64 v[113:114], v[121:122], v[113:114], 0
	s_clause 0x7
	buffer_load_dword v122, off, s[0:3], 0 offset:132
	buffer_load_dword v151, off, s[0:3], 0 offset:152
	buffer_load_dword v153, off, s[0:3], 0 offset:144
	buffer_load_dword v155, off, s[0:3], 0 offset:136
	buffer_load_dword v121, off, s[0:3], 0 offset:128
	buffer_load_dword v156, off, s[0:3], 0 offset:140
	buffer_load_dword v154, off, s[0:3], 0 offset:148
	buffer_load_dword v152, off, s[0:3], 0 offset:156
	s_waitcnt vmcnt(34)
	v_fma_f64 v[113:114], v[123:124], v[115:116], v[113:114]
	s_waitcnt vmcnt(32) lgkmcnt(0)
	v_fma_f64 v[113:114], v[125:126], v[117:118], v[113:114]
	s_waitcnt vmcnt(30)
	v_fma_f64 v[123:124], v[127:128], v[119:120], v[113:114]
	ds_read2_b64 v[113:116], v112 offset0:61 offset1:62
	ds_read2_b64 v[117:120], v112 offset0:63 offset1:64
	s_waitcnt vmcnt(28) lgkmcnt(1)
	v_fma_f64 v[113:114], v[129:130], v[113:114], v[123:124]
	s_clause 0x7
	buffer_load_dword v124, off, s[0:3], 0 offset:164
	buffer_load_dword v125, off, s[0:3], 0 offset:184
	buffer_load_dword v127, off, s[0:3], 0 offset:176
	buffer_load_dword v129, off, s[0:3], 0 offset:168
	buffer_load_dword v123, off, s[0:3], 0 offset:160
	buffer_load_dword v130, off, s[0:3], 0 offset:172
	buffer_load_dword v128, off, s[0:3], 0 offset:180
	buffer_load_dword v126, off, s[0:3], 0 offset:188
	s_waitcnt vmcnt(34)
	v_fma_f64 v[113:114], v[131:132], v[115:116], v[113:114]
	s_waitcnt vmcnt(32) lgkmcnt(0)
	v_fma_f64 v[113:114], v[133:134], v[117:118], v[113:114]
	s_waitcnt vmcnt(27)
	v_fma_f64 v[131:132], v[135:136], v[119:120], v[113:114]
	ds_read2_b64 v[113:116], v112 offset0:65 offset1:66
	ds_read2_b64 v[117:120], v112 offset0:67 offset1:68
	;; [unrolled: 19-line block ×9, first 2 shown]
	s_waitcnt vmcnt(26) lgkmcnt(1)
	v_fma_f64 v[121:122], v[153:154], v[113:114], v[121:122]
	s_clause 0x5
	buffer_load_dword v124, off, s[0:3], 0 offset:420
	buffer_load_dword v145, off, s[0:3], 0 offset:432
	;; [unrolled: 1-line block ×6, first 2 shown]
	s_waitcnt vmcnt(31)
	v_fma_f64 v[115:116], v[151:152], v[115:116], v[121:122]
	s_waitcnt vmcnt(30) lgkmcnt(0)
	v_fma_f64 v[115:116], v[129:130], v[117:118], v[115:116]
	s_waitcnt vmcnt(25)
	v_fma_f64 v[125:126], v[125:126], v[119:120], v[115:116]
	ds_read2_b64 v[115:118], v112 offset0:97 offset1:98
	s_clause 0x1
	buffer_load_dword v129, off, s[0:3], 0
	buffer_load_dword v130, off, s[0:3], 0 offset:4
	ds_read2_b64 v[119:122], v112 offset0:99 offset1:100
	s_waitcnt vmcnt(26) lgkmcnt(1)
	v_fma_f64 v[115:116], v[141:142], v[115:116], v[125:126]
	s_waitcnt vmcnt(25)
	v_fma_f64 v[115:116], v[131:132], v[117:118], v[115:116]
	s_waitcnt vmcnt(24) lgkmcnt(0)
	v_fma_f64 v[115:116], v[127:128], v[119:120], v[115:116]
	s_waitcnt vmcnt(19)
	v_fma_f64 v[125:126], v[133:134], v[121:122], v[115:116]
	ds_read2_b64 v[115:118], v112 offset0:101 offset1:102
	ds_read2_b64 v[119:122], v112 offset0:103 offset1:104
	s_waitcnt vmcnt(18) lgkmcnt(1)
	v_fma_f64 v[115:116], v[149:150], v[115:116], v[125:126]
	s_waitcnt vmcnt(17)
	v_fma_f64 v[115:116], v[137:138], v[117:118], v[115:116]
	s_waitcnt vmcnt(16) lgkmcnt(0)
	v_fma_f64 v[115:116], v[135:136], v[119:120], v[115:116]
	s_waitcnt vmcnt(11)
	v_fma_f64 v[125:126], v[139:140], v[121:122], v[115:116]
	ds_read2_b64 v[115:118], v112 offset0:105 offset1:106
	;; [unrolled: 10-line block ×3, first 2 shown]
	s_waitcnt vmcnt(3) lgkmcnt(0)
	v_fma_f64 v[111:112], v[113:114], v[115:116], v[119:120]
	s_waitcnt vmcnt(2)
	v_fma_f64 v[111:112], v[145:146], v[117:118], v[111:112]
	s_waitcnt vmcnt(0)
	v_add_f64 v[111:112], v[129:130], -v[111:112]
	buffer_store_dword v112, off, s[0:3], 0 offset:4
	buffer_store_dword v111, off, s[0:3], 0
	s_cbranch_vccz .LBB54_448
; %bb.340:
	v_mov_b32_e32 v0, 0
	global_load_dword v111, v0, s[20:21] offset:212
	s_waitcnt vmcnt(0)
	v_add_nc_u32_e32 v111, -1, v111
	v_cmp_ne_u32_e32 vcc_lo, 53, v111
	s_cbranch_vccz .LBB54_342
; %bb.341:
	v_lshlrev_b32_e32 v111, 3, v111
	s_clause 0x1
	buffer_load_dword v112, v111, s[0:3], 0 offen
	buffer_load_dword v115, v111, s[0:3], 0 offen offset:4
	s_waitcnt vmcnt(1)
	buffer_store_dword v112, off, s[0:3], 0 offset:424
	s_waitcnt vmcnt(0)
	buffer_store_dword v115, off, s[0:3], 0 offset:428
	buffer_store_dword v113, v111, s[0:3], 0 offen
	buffer_store_dword v114, v111, s[0:3], 0 offen offset:4
.LBB54_342:
	global_load_dword v0, v0, s[20:21] offset:208
	s_waitcnt vmcnt(0)
	v_add_nc_u32_e32 v0, -1, v0
	v_cmp_eq_u32_e32 vcc_lo, 52, v0
	s_cbranch_vccnz .LBB54_344
; %bb.343:
	v_lshlrev_b32_e32 v0, 3, v0
	s_clause 0x3
	buffer_load_dword v111, v0, s[0:3], 0 offen
	buffer_load_dword v112, v0, s[0:3], 0 offen offset:4
	buffer_load_dword v113, off, s[0:3], 0 offset:420
	buffer_load_dword v114, off, s[0:3], 0 offset:416
	s_waitcnt vmcnt(3)
	buffer_store_dword v111, off, s[0:3], 0 offset:416
	s_waitcnt vmcnt(2)
	buffer_store_dword v112, off, s[0:3], 0 offset:420
	s_waitcnt vmcnt(1)
	buffer_store_dword v113, v0, s[0:3], 0 offen offset:4
	s_waitcnt vmcnt(0)
	buffer_store_dword v114, v0, s[0:3], 0 offen
.LBB54_344:
	v_mov_b32_e32 v0, 0
	global_load_dword v111, v0, s[20:21] offset:204
	s_waitcnt vmcnt(0)
	v_add_nc_u32_e32 v111, -1, v111
	v_cmp_eq_u32_e32 vcc_lo, 51, v111
	s_cbranch_vccnz .LBB54_346
; %bb.345:
	v_lshlrev_b32_e32 v111, 3, v111
	s_clause 0x3
	buffer_load_dword v112, v111, s[0:3], 0 offen
	buffer_load_dword v113, v111, s[0:3], 0 offen offset:4
	buffer_load_dword v114, off, s[0:3], 0 offset:408
	buffer_load_dword v115, off, s[0:3], 0 offset:412
	s_waitcnt vmcnt(3)
	buffer_store_dword v112, off, s[0:3], 0 offset:408
	s_waitcnt vmcnt(2)
	buffer_store_dword v113, off, s[0:3], 0 offset:412
	s_waitcnt vmcnt(1)
	buffer_store_dword v114, v111, s[0:3], 0 offen
	s_waitcnt vmcnt(0)
	buffer_store_dword v115, v111, s[0:3], 0 offen offset:4
.LBB54_346:
	global_load_dword v0, v0, s[20:21] offset:200
	s_waitcnt vmcnt(0)
	v_add_nc_u32_e32 v0, -1, v0
	v_cmp_eq_u32_e32 vcc_lo, 50, v0
	s_cbranch_vccnz .LBB54_348
; %bb.347:
	v_lshlrev_b32_e32 v0, 3, v0
	s_clause 0x3
	buffer_load_dword v111, v0, s[0:3], 0 offen
	buffer_load_dword v112, v0, s[0:3], 0 offen offset:4
	buffer_load_dword v113, off, s[0:3], 0 offset:404
	buffer_load_dword v114, off, s[0:3], 0 offset:400
	s_waitcnt vmcnt(3)
	buffer_store_dword v111, off, s[0:3], 0 offset:400
	s_waitcnt vmcnt(2)
	buffer_store_dword v112, off, s[0:3], 0 offset:404
	s_waitcnt vmcnt(1)
	buffer_store_dword v113, v0, s[0:3], 0 offen offset:4
	s_waitcnt vmcnt(0)
	buffer_store_dword v114, v0, s[0:3], 0 offen
.LBB54_348:
	v_mov_b32_e32 v0, 0
	global_load_dword v111, v0, s[20:21] offset:196
	s_waitcnt vmcnt(0)
	v_add_nc_u32_e32 v111, -1, v111
	v_cmp_eq_u32_e32 vcc_lo, 49, v111
	s_cbranch_vccnz .LBB54_350
; %bb.349:
	v_lshlrev_b32_e32 v111, 3, v111
	s_clause 0x3
	buffer_load_dword v112, v111, s[0:3], 0 offen
	buffer_load_dword v113, v111, s[0:3], 0 offen offset:4
	buffer_load_dword v114, off, s[0:3], 0 offset:392
	buffer_load_dword v115, off, s[0:3], 0 offset:396
	s_waitcnt vmcnt(3)
	buffer_store_dword v112, off, s[0:3], 0 offset:392
	s_waitcnt vmcnt(2)
	buffer_store_dword v113, off, s[0:3], 0 offset:396
	s_waitcnt vmcnt(1)
	buffer_store_dword v114, v111, s[0:3], 0 offen
	s_waitcnt vmcnt(0)
	buffer_store_dword v115, v111, s[0:3], 0 offen offset:4
.LBB54_350:
	;; [unrolled: 43-line block ×26, first 2 shown]
	global_load_dword v0, v0, s[20:21]
	s_clause 0x1
	buffer_load_dword v111, off, s[0:3], 0
	buffer_load_dword v112, off, s[0:3], 0 offset:4
	s_waitcnt vmcnt(2)
	v_add_nc_u32_e32 v0, -1, v0
	v_cmp_eq_u32_e32 vcc_lo, 0, v0
	s_cbranch_vccnz .LBB54_448
; %bb.447:
	v_lshlrev_b32_e32 v0, 3, v0
	s_clause 0x1
	buffer_load_dword v113, v0, s[0:3], 0 offen offset:4
	buffer_load_dword v114, v0, s[0:3], 0 offen
	s_waitcnt vmcnt(1)
	buffer_store_dword v113, off, s[0:3], 0 offset:4
	s_waitcnt vmcnt(0)
	buffer_store_dword v114, off, s[0:3], 0
	buffer_store_dword v112, v0, s[0:3], 0 offen offset:4
	buffer_store_dword v111, v0, s[0:3], 0 offen
	s_clause 0x1
	buffer_load_dword v111, off, s[0:3], 0
	buffer_load_dword v112, off, s[0:3], 0 offset:4
.LBB54_448:
	s_clause 0x1d
	buffer_load_dword v113, off, s[0:3], 0 offset:8
	buffer_load_dword v114, off, s[0:3], 0 offset:12
	;; [unrolled: 1-line block ×30, first 2 shown]
	s_waitcnt vmcnt(30)
	global_store_dwordx2 v[83:84], v[111:112], off
	s_clause 0x11
	buffer_load_dword v83, off, s[0:3], 0 offset:128
	buffer_load_dword v84, off, s[0:3], 0 offset:132
	buffer_load_dword v111, off, s[0:3], 0 offset:136
	buffer_load_dword v112, off, s[0:3], 0 offset:140
	buffer_load_dword v143, off, s[0:3], 0 offset:144
	buffer_load_dword v144, off, s[0:3], 0 offset:148
	buffer_load_dword v145, off, s[0:3], 0 offset:152
	buffer_load_dword v146, off, s[0:3], 0 offset:156
	buffer_load_dword v147, off, s[0:3], 0 offset:160
	buffer_load_dword v148, off, s[0:3], 0 offset:164
	buffer_load_dword v149, off, s[0:3], 0 offset:168
	buffer_load_dword v150, off, s[0:3], 0 offset:172
	buffer_load_dword v151, off, s[0:3], 0 offset:176
	buffer_load_dword v152, off, s[0:3], 0 offset:180
	buffer_load_dword v153, off, s[0:3], 0 offset:184
	buffer_load_dword v154, off, s[0:3], 0 offset:188
	buffer_load_dword v155, off, s[0:3], 0 offset:192
	buffer_load_dword v156, off, s[0:3], 0 offset:196
	s_waitcnt vmcnt(46)
	global_store_dwordx2 v[71:72], v[113:114], off
	s_waitcnt vmcnt(44)
	global_store_dwordx2 v[59:60], v[115:116], off
	s_clause 0x7
	buffer_load_dword v59, off, s[0:3], 0 offset:200
	buffer_load_dword v60, off, s[0:3], 0 offset:204
	buffer_load_dword v71, off, s[0:3], 0 offset:208
	buffer_load_dword v72, off, s[0:3], 0 offset:212
	buffer_load_dword v113, off, s[0:3], 0 offset:216
	buffer_load_dword v114, off, s[0:3], 0 offset:220
	buffer_load_dword v115, off, s[0:3], 0 offset:224
	buffer_load_dword v116, off, s[0:3], 0 offset:228
	s_waitcnt vmcnt(50)
	global_store_dwordx2 v[45:46], v[117:118], off
	s_waitcnt vmcnt(48)
	global_store_dwordx2 v[49:50], v[119:120], off
	s_clause 0x7
	buffer_load_dword v45, off, s[0:3], 0 offset:232
	buffer_load_dword v46, off, s[0:3], 0 offset:236
	buffer_load_dword v49, off, s[0:3], 0 offset:240
	buffer_load_dword v50, off, s[0:3], 0 offset:244
	buffer_load_dword v117, off, s[0:3], 0 offset:248
	buffer_load_dword v118, off, s[0:3], 0 offset:252
	buffer_load_dword v119, off, s[0:3], 0 offset:256
	buffer_load_dword v120, off, s[0:3], 0 offset:260
	;; [unrolled: 13-line block ×5, first 2 shown]
	s_waitcnt vmcnt(62)
	global_store_dwordx2 v[23:24], v[133:134], off
	global_store_dwordx2 v[29:30], v[135:136], off
	s_clause 0x7
	buffer_load_dword v23, off, s[0:3], 0 offset:360
	buffer_load_dword v24, off, s[0:3], 0 offset:364
	;; [unrolled: 1-line block ×8, first 2 shown]
	global_store_dwordx2 v[13:14], v[137:138], off
	s_waitcnt vmcnt(62)
	global_store_dwordx2 v[17:18], v[139:140], off
	s_clause 0x7
	buffer_load_dword v13, off, s[0:3], 0 offset:392
	buffer_load_dword v14, off, s[0:3], 0 offset:396
	;; [unrolled: 1-line block ×8, first 2 shown]
	global_store_dwordx2 v[5:6], v[141:142], off
	s_clause 0x3
	buffer_load_dword v5, off, s[0:3], 0 offset:424
	buffer_load_dword v6, off, s[0:3], 0 offset:428
	;; [unrolled: 1-line block ×4, first 2 shown]
	global_store_dwordx2 v[1:2], v[83:84], off
	global_store_dwordx2 v[3:4], v[111:112], off
	s_waitcnt vmcnt(62)
	global_store_dwordx2 v[7:8], v[143:144], off
	global_store_dwordx2 v[9:10], v[145:146], off
	global_store_dwordx2 v[11:12], v[147:148], off
	global_store_dwordx2 v[15:16], v[149:150], off
	global_store_dwordx2 v[19:20], v[151:152], off
	global_store_dwordx2 v[21:22], v[153:154], off
	s_waitcnt vmcnt(60)
	global_store_dwordx2 v[27:28], v[155:156], off
	s_waitcnt vmcnt(58)
	global_store_dwordx2 v[31:32], v[59:60], off
	;; [unrolled: 2-line block ×31, first 2 shown]
	s_endpgm
	.section	.rodata,"a",@progbits
	.p2align	6, 0x0
	.amdhsa_kernel _ZN9rocsolver6v33100L18getri_kernel_smallILi55EdPdEEvT1_iilPiilS4_bb
		.amdhsa_group_segment_fixed_size 888
		.amdhsa_private_segment_fixed_size 448
		.amdhsa_kernarg_size 60
		.amdhsa_user_sgpr_count 6
		.amdhsa_user_sgpr_private_segment_buffer 1
		.amdhsa_user_sgpr_dispatch_ptr 0
		.amdhsa_user_sgpr_queue_ptr 0
		.amdhsa_user_sgpr_kernarg_segment_ptr 1
		.amdhsa_user_sgpr_dispatch_id 0
		.amdhsa_user_sgpr_flat_scratch_init 0
		.amdhsa_user_sgpr_private_segment_size 0
		.amdhsa_wavefront_size32 1
		.amdhsa_uses_dynamic_stack 0
		.amdhsa_system_sgpr_private_segment_wavefront_offset 1
		.amdhsa_system_sgpr_workgroup_id_x 1
		.amdhsa_system_sgpr_workgroup_id_y 0
		.amdhsa_system_sgpr_workgroup_id_z 0
		.amdhsa_system_sgpr_workgroup_info 0
		.amdhsa_system_vgpr_workitem_id 0
		.amdhsa_next_free_vgpr 166
		.amdhsa_next_free_sgpr 23
		.amdhsa_reserve_vcc 1
		.amdhsa_reserve_flat_scratch 0
		.amdhsa_float_round_mode_32 0
		.amdhsa_float_round_mode_16_64 0
		.amdhsa_float_denorm_mode_32 3
		.amdhsa_float_denorm_mode_16_64 3
		.amdhsa_dx10_clamp 1
		.amdhsa_ieee_mode 1
		.amdhsa_fp16_overflow 0
		.amdhsa_workgroup_processor_mode 1
		.amdhsa_memory_ordered 1
		.amdhsa_forward_progress 1
		.amdhsa_shared_vgpr_count 0
		.amdhsa_exception_fp_ieee_invalid_op 0
		.amdhsa_exception_fp_denorm_src 0
		.amdhsa_exception_fp_ieee_div_zero 0
		.amdhsa_exception_fp_ieee_overflow 0
		.amdhsa_exception_fp_ieee_underflow 0
		.amdhsa_exception_fp_ieee_inexact 0
		.amdhsa_exception_int_div_zero 0
	.end_amdhsa_kernel
	.section	.text._ZN9rocsolver6v33100L18getri_kernel_smallILi55EdPdEEvT1_iilPiilS4_bb,"axG",@progbits,_ZN9rocsolver6v33100L18getri_kernel_smallILi55EdPdEEvT1_iilPiilS4_bb,comdat
.Lfunc_end54:
	.size	_ZN9rocsolver6v33100L18getri_kernel_smallILi55EdPdEEvT1_iilPiilS4_bb, .Lfunc_end54-_ZN9rocsolver6v33100L18getri_kernel_smallILi55EdPdEEvT1_iilPiilS4_bb
                                        ; -- End function
	.set _ZN9rocsolver6v33100L18getri_kernel_smallILi55EdPdEEvT1_iilPiilS4_bb.num_vgpr, 166
	.set _ZN9rocsolver6v33100L18getri_kernel_smallILi55EdPdEEvT1_iilPiilS4_bb.num_agpr, 0
	.set _ZN9rocsolver6v33100L18getri_kernel_smallILi55EdPdEEvT1_iilPiilS4_bb.numbered_sgpr, 23
	.set _ZN9rocsolver6v33100L18getri_kernel_smallILi55EdPdEEvT1_iilPiilS4_bb.num_named_barrier, 0
	.set _ZN9rocsolver6v33100L18getri_kernel_smallILi55EdPdEEvT1_iilPiilS4_bb.private_seg_size, 448
	.set _ZN9rocsolver6v33100L18getri_kernel_smallILi55EdPdEEvT1_iilPiilS4_bb.uses_vcc, 1
	.set _ZN9rocsolver6v33100L18getri_kernel_smallILi55EdPdEEvT1_iilPiilS4_bb.uses_flat_scratch, 0
	.set _ZN9rocsolver6v33100L18getri_kernel_smallILi55EdPdEEvT1_iilPiilS4_bb.has_dyn_sized_stack, 0
	.set _ZN9rocsolver6v33100L18getri_kernel_smallILi55EdPdEEvT1_iilPiilS4_bb.has_recursion, 0
	.set _ZN9rocsolver6v33100L18getri_kernel_smallILi55EdPdEEvT1_iilPiilS4_bb.has_indirect_call, 0
	.section	.AMDGPU.csdata,"",@progbits
; Kernel info:
; codeLenInByte = 79448
; TotalNumSgprs: 25
; NumVgprs: 166
; ScratchSize: 448
; MemoryBound: 1
; FloatMode: 240
; IeeeMode: 1
; LDSByteSize: 888 bytes/workgroup (compile time only)
; SGPRBlocks: 0
; VGPRBlocks: 20
; NumSGPRsForWavesPerEU: 25
; NumVGPRsForWavesPerEU: 166
; Occupancy: 5
; WaveLimiterHint : 1
; COMPUTE_PGM_RSRC2:SCRATCH_EN: 1
; COMPUTE_PGM_RSRC2:USER_SGPR: 6
; COMPUTE_PGM_RSRC2:TRAP_HANDLER: 0
; COMPUTE_PGM_RSRC2:TGID_X_EN: 1
; COMPUTE_PGM_RSRC2:TGID_Y_EN: 0
; COMPUTE_PGM_RSRC2:TGID_Z_EN: 0
; COMPUTE_PGM_RSRC2:TIDIG_COMP_CNT: 0
	.section	.text._ZN9rocsolver6v33100L18getri_kernel_smallILi56EdPdEEvT1_iilPiilS4_bb,"axG",@progbits,_ZN9rocsolver6v33100L18getri_kernel_smallILi56EdPdEEvT1_iilPiilS4_bb,comdat
	.globl	_ZN9rocsolver6v33100L18getri_kernel_smallILi56EdPdEEvT1_iilPiilS4_bb ; -- Begin function _ZN9rocsolver6v33100L18getri_kernel_smallILi56EdPdEEvT1_iilPiilS4_bb
	.p2align	8
	.type	_ZN9rocsolver6v33100L18getri_kernel_smallILi56EdPdEEvT1_iilPiilS4_bb,@function
_ZN9rocsolver6v33100L18getri_kernel_smallILi56EdPdEEvT1_iilPiilS4_bb: ; @_ZN9rocsolver6v33100L18getri_kernel_smallILi56EdPdEEvT1_iilPiilS4_bb
; %bb.0:
	s_add_u32 s0, s0, s7
	s_addc_u32 s1, s1, 0
	s_mov_b32 s7, exec_lo
	v_cmpx_gt_u32_e32 56, v0
	s_cbranch_execz .LBB55_234
; %bb.1:
	s_clause 0x2
	s_load_dword s7, s[4:5], 0x38
	s_load_dwordx4 s[16:19], s[4:5], 0x10
	s_load_dwordx4 s[8:11], s[4:5], 0x28
                                        ; implicit-def: $sgpr20_sgpr21
	s_waitcnt lgkmcnt(0)
	s_bitcmp1_b32 s7, 8
	s_cselect_b32 s22, -1, 0
	s_bfe_u32 s12, s7, 0x10008
	s_ashr_i32 s7, s6, 31
	s_cmp_eq_u32 s12, 0
	s_cbranch_scc1 .LBB55_3
; %bb.2:
	s_load_dword s12, s[4:5], 0x20
	s_mul_i32 s13, s8, s7
	s_mul_hi_u32 s14, s8, s6
	s_mul_i32 s9, s9, s6
	s_add_i32 s13, s14, s13
	s_mul_i32 s8, s8, s6
	s_add_i32 s9, s13, s9
	s_lshl_b64 s[8:9], s[8:9], 2
	s_waitcnt lgkmcnt(0)
	s_ashr_i32 s13, s12, 31
	s_add_u32 s14, s18, s8
	s_addc_u32 s15, s19, s9
	s_lshl_b64 s[8:9], s[12:13], 2
	s_add_u32 s20, s14, s8
	s_addc_u32 s21, s15, s9
.LBB55_3:
	s_clause 0x1
	s_load_dwordx4 s[12:15], s[4:5], 0x0
	s_load_dword s8, s[4:5], 0x38
	s_mul_i32 s4, s16, s7
	s_mul_hi_u32 s5, s16, s6
	s_mul_i32 s9, s17, s6
	s_add_i32 s5, s5, s4
	s_mul_i32 s4, s16, s6
	s_add_i32 s5, s5, s9
	v_lshlrev_b32_e32 v115, 3, v0
	s_lshl_b64 s[4:5], s[4:5], 3
	s_waitcnt lgkmcnt(0)
	v_add3_u32 v1, s15, s15, v0
	s_ashr_i32 s17, s14, 31
	s_mov_b32 s16, s14
	s_add_u32 s9, s12, s4
	s_addc_u32 s13, s13, s5
	v_add_nc_u32_e32 v3, s15, v1
	v_ashrrev_i32_e32 v2, 31, v1
	s_lshl_b64 s[4:5], s[16:17], 3
	s_mov_b32 s12, s15
	s_add_u32 s4, s9, s4
	v_add_nc_u32_e32 v5, s15, v3
	v_lshlrev_b64 v[1:2], 3, v[1:2]
	v_ashrrev_i32_e32 v4, 31, v3
	s_addc_u32 s5, s13, s5
	v_add_co_u32 v83, s9, s4, v115
	v_ashrrev_i32_e32 v6, 31, v5
	v_lshlrev_b64 v[3:4], 3, v[3:4]
	v_add_co_u32 v43, vcc_lo, s4, v1
	v_add_co_ci_u32_e64 v44, null, s5, v2, vcc_lo
	v_lshlrev_b64 v[1:2], 3, v[5:6]
	s_ashr_i32 s13, s15, 31
	v_add_co_u32 v49, vcc_lo, s4, v3
	v_add_co_ci_u32_e64 v84, null, s5, 0, s9
	v_add_co_ci_u32_e64 v50, null, s5, v4, vcc_lo
	v_add_co_u32 v25, vcc_lo, s4, v1
	s_lshl_b64 s[12:13], s[12:13], 3
	v_add_co_ci_u32_e64 v26, null, s5, v2, vcc_lo
	v_add_co_u32 v71, vcc_lo, v83, s12
	v_add_nc_u32_e32 v7, s15, v5
	v_add_co_ci_u32_e64 v72, null, s13, v84, vcc_lo
	s_clause 0x1
	global_load_dwordx2 v[97:98], v115, s[4:5]
	global_load_dwordx2 v[101:102], v[43:44], off
	v_ashrrev_i32_e32 v8, 31, v7
	v_add_nc_u32_e32 v5, s15, v7
	s_clause 0x2
	global_load_dwordx2 v[99:100], v[71:72], off
	global_load_dwordx2 v[103:104], v[49:50], off
	;; [unrolled: 1-line block ×3, first 2 shown]
	s_bitcmp0_b32 s8, 0
	v_lshlrev_b64 v[3:4], 3, v[7:8]
	v_ashrrev_i32_e32 v6, 31, v5
	v_add_nc_u32_e32 v7, s15, v5
	v_lshlrev_b64 v[1:2], 3, v[5:6]
	v_add_nc_u32_e32 v5, s15, v7
	v_ashrrev_i32_e32 v8, 31, v7
	v_add_co_u32 v37, vcc_lo, s4, v3
	v_add_co_ci_u32_e64 v38, null, s5, v4, vcc_lo
	v_ashrrev_i32_e32 v6, 31, v5
	v_lshlrev_b64 v[3:4], 3, v[7:8]
	v_add_nc_u32_e32 v7, s15, v5
	v_add_co_u32 v15, vcc_lo, s4, v1
	v_add_co_ci_u32_e64 v16, null, s5, v2, vcc_lo
	v_lshlrev_b64 v[1:2], 3, v[5:6]
	v_ashrrev_i32_e32 v8, 31, v7
	v_add_co_u32 v27, vcc_lo, s4, v3
	v_add_co_ci_u32_e64 v28, null, s5, v4, vcc_lo
	s_clause 0x1
	global_load_dwordx2 v[107:108], v[37:38], off
	global_load_dwordx2 v[109:110], v[15:16], off
	v_add_co_u32 v31, vcc_lo, s4, v1
	v_lshlrev_b64 v[3:4], 3, v[7:8]
	v_add_co_ci_u32_e64 v32, null, s5, v2, vcc_lo
	global_load_dwordx2 v[111:112], v[27:28], off
	v_add_nc_u32_e32 v5, s15, v7
	global_load_dwordx2 v[113:114], v[31:32], off
	v_add_co_u32 v45, vcc_lo, s4, v3
	v_add_co_ci_u32_e64 v46, null, s5, v4, vcc_lo
	v_add_nc_u32_e32 v7, s15, v5
	v_ashrrev_i32_e32 v6, 31, v5
	global_load_dwordx2 v[116:117], v[45:46], off
	v_ashrrev_i32_e32 v8, 31, v7
	v_add_nc_u32_e32 v1, s15, v7
	v_lshlrev_b64 v[3:4], 3, v[5:6]
	v_lshlrev_b64 v[5:6], 3, v[7:8]
	v_add_nc_u32_e32 v7, s15, v1
	v_ashrrev_i32_e32 v2, 31, v1
	v_add_co_u32 v51, vcc_lo, s4, v3
	v_add_co_ci_u32_e64 v52, null, s5, v4, vcc_lo
	v_ashrrev_i32_e32 v8, 31, v7
	v_add_nc_u32_e32 v3, s15, v7
	v_lshlrev_b64 v[1:2], 3, v[1:2]
	v_add_co_u32 v55, vcc_lo, s4, v5
	v_add_co_ci_u32_e64 v56, null, s5, v6, vcc_lo
	v_lshlrev_b64 v[5:6], 3, v[7:8]
	v_ashrrev_i32_e32 v4, 31, v3
	v_add_nc_u32_e32 v7, s15, v3
	v_add_co_u32 v33, vcc_lo, s4, v1
	v_add_co_ci_u32_e64 v34, null, s5, v2, vcc_lo
	v_lshlrev_b64 v[1:2], 3, v[3:4]
	v_ashrrev_i32_e32 v8, 31, v7
	v_add_nc_u32_e32 v3, s15, v7
	;; [unrolled: 5-line block ×3, first 2 shown]
	v_add_co_u32 v17, vcc_lo, s4, v1
	v_add_co_ci_u32_e64 v18, null, s5, v2, vcc_lo
	v_lshlrev_b64 v[1:2], 3, v[3:4]
	v_add_nc_u32_e32 v3, s15, v7
	v_ashrrev_i32_e32 v8, 31, v7
	v_add_co_u32 v21, vcc_lo, s4, v5
	v_add_co_ci_u32_e64 v22, null, s5, v6, vcc_lo
	v_add_nc_u32_e32 v9, s15, v3
	v_lshlrev_b64 v[5:6], 3, v[7:8]
	v_add_co_u32 v7, vcc_lo, s4, v1
	v_add_co_ci_u32_e64 v8, null, s5, v2, vcc_lo
	v_ashrrev_i32_e32 v10, 31, v9
	v_add_nc_u32_e32 v11, s15, v9
	v_add_co_u32 v1, vcc_lo, s4, v5
	v_add_co_ci_u32_e64 v2, null, s5, v6, vcc_lo
	v_lshlrev_b64 v[5:6], 3, v[9:10]
	v_add_nc_u32_e32 v9, s15, v11
	v_ashrrev_i32_e32 v4, 31, v3
	v_ashrrev_i32_e32 v12, 31, v11
	s_clause 0x5
	global_load_dwordx2 v[118:119], v[51:52], off
	global_load_dwordx2 v[120:121], v[55:56], off
	global_load_dwordx2 v[122:123], v[33:34], off
	global_load_dwordx2 v[126:127], v[17:18], off
	global_load_dwordx2 v[128:129], v[21:22], off
	global_load_dwordx2 v[130:131], v[7:8], off
	v_add_nc_u32_e32 v13, s15, v9
	v_lshlrev_b64 v[3:4], 3, v[3:4]
	v_ashrrev_i32_e32 v10, 31, v9
	v_lshlrev_b64 v[11:12], 3, v[11:12]
	global_load_dwordx2 v[124:125], v[39:40], off
	v_add_nc_u32_e32 v23, s15, v13
	v_ashrrev_i32_e32 v14, 31, v13
	v_add_co_u32 v3, vcc_lo, s4, v3
	v_lshlrev_b64 v[19:20], 3, v[9:10]
	v_add_co_ci_u32_e64 v4, null, s5, v4, vcc_lo
	v_add_co_u32 v5, vcc_lo, s4, v5
	v_ashrrev_i32_e32 v24, 31, v23
	v_add_nc_u32_e32 v29, s15, v23
	v_add_co_ci_u32_e64 v6, null, s5, v6, vcc_lo
	v_add_co_u32 v9, vcc_lo, s4, v11
	v_add_co_ci_u32_e64 v10, null, s5, v12, vcc_lo
	v_add_co_u32 v11, vcc_lo, s4, v19
	v_add_co_ci_u32_e64 v12, null, s5, v20, vcc_lo
	v_lshlrev_b64 v[19:20], 3, v[23:24]
	v_add_nc_u32_e32 v23, s15, v29
	v_ashrrev_i32_e32 v30, 31, v29
	v_lshlrev_b64 v[13:14], 3, v[13:14]
	s_clause 0x3
	global_load_dwordx2 v[134:135], v[1:2], off
	global_load_dwordx2 v[136:137], v[3:4], off
	;; [unrolled: 1-line block ×4, first 2 shown]
	v_add_nc_u32_e32 v35, s15, v23
	v_ashrrev_i32_e32 v24, 31, v23
	v_lshlrev_b64 v[29:30], 3, v[29:30]
	v_add_co_u32 v13, vcc_lo, s4, v13
	v_add_nc_u32_e32 v47, s15, v35
	v_lshlrev_b64 v[41:42], 3, v[23:24]
	v_add_co_ci_u32_e64 v14, null, s5, v14, vcc_lo
	v_add_co_u32 v19, vcc_lo, s4, v19
	v_ashrrev_i32_e32 v48, 31, v47
	v_add_nc_u32_e32 v53, s15, v47
	v_add_co_ci_u32_e64 v20, null, s5, v20, vcc_lo
	v_add_co_u32 v23, vcc_lo, s4, v29
	v_add_co_ci_u32_e64 v24, null, s5, v30, vcc_lo
	v_add_co_u32 v29, vcc_lo, s4, v41
	v_add_co_ci_u32_e64 v30, null, s5, v42, vcc_lo
	v_lshlrev_b64 v[41:42], 3, v[47:48]
	v_add_nc_u32_e32 v47, s15, v53
	v_ashrrev_i32_e32 v36, 31, v35
	v_ashrrev_i32_e32 v54, 31, v53
	v_add_nc_u32_e32 v57, s15, v47
	v_lshlrev_b64 v[35:36], 3, v[35:36]
	v_ashrrev_i32_e32 v48, 31, v47
	v_lshlrev_b64 v[53:54], 3, v[53:54]
	v_add_nc_u32_e32 v61, s15, v57
	v_ashrrev_i32_e32 v58, 31, v57
	v_add_co_u32 v35, vcc_lo, s4, v35
	v_lshlrev_b64 v[59:60], 3, v[47:48]
	v_add_co_ci_u32_e64 v36, null, s5, v36, vcc_lo
	v_add_co_u32 v41, vcc_lo, s4, v41
	v_ashrrev_i32_e32 v62, 31, v61
	v_add_nc_u32_e32 v63, s15, v61
	v_add_co_ci_u32_e64 v42, null, s5, v42, vcc_lo
	v_add_co_u32 v47, vcc_lo, s4, v53
	v_add_co_ci_u32_e64 v48, null, s5, v54, vcc_lo
	v_add_co_u32 v53, vcc_lo, s4, v59
	v_add_co_ci_u32_e64 v54, null, s5, v60, vcc_lo
	v_lshlrev_b64 v[59:60], 3, v[61:62]
	v_add_nc_u32_e32 v61, s15, v63
	v_ashrrev_i32_e32 v64, 31, v63
	v_lshlrev_b64 v[57:58], 3, v[57:58]
	v_add_nc_u32_e32 v65, s15, v61
	v_ashrrev_i32_e32 v62, 31, v61
	v_lshlrev_b64 v[63:64], 3, v[63:64]
	v_add_co_u32 v57, vcc_lo, s4, v57
	v_add_nc_u32_e32 v69, s15, v65
	v_lshlrev_b64 v[67:68], 3, v[61:62]
	v_add_co_ci_u32_e64 v58, null, s5, v58, vcc_lo
	v_add_co_u32 v59, vcc_lo, s4, v59
	v_ashrrev_i32_e32 v70, 31, v69
	v_add_nc_u32_e32 v73, s15, v69
	v_add_co_ci_u32_e64 v60, null, s5, v60, vcc_lo
	v_add_co_u32 v61, vcc_lo, s4, v63
	v_add_co_ci_u32_e64 v62, null, s5, v64, vcc_lo
	v_add_co_u32 v63, vcc_lo, s4, v67
	v_add_co_ci_u32_e64 v64, null, s5, v68, vcc_lo
	v_lshlrev_b64 v[67:68], 3, v[69:70]
	v_add_nc_u32_e32 v69, s15, v73
	v_ashrrev_i32_e32 v66, 31, v65
	v_ashrrev_i32_e32 v74, 31, v73
	v_add_nc_u32_e32 v75, s15, v69
	v_lshlrev_b64 v[65:66], 3, v[65:66]
	v_ashrrev_i32_e32 v70, 31, v69
	v_lshlrev_b64 v[73:74], 3, v[73:74]
	v_add_nc_u32_e32 v79, s15, v75
	v_ashrrev_i32_e32 v76, 31, v75
	v_add_co_u32 v65, vcc_lo, s4, v65
	v_lshlrev_b64 v[77:78], 3, v[69:70]
	v_add_co_ci_u32_e64 v66, null, s5, v66, vcc_lo
	v_add_co_u32 v67, vcc_lo, s4, v67
	v_ashrrev_i32_e32 v80, 31, v79
	v_add_nc_u32_e32 v81, s15, v79
	v_add_co_ci_u32_e64 v68, null, s5, v68, vcc_lo
	v_add_co_u32 v69, vcc_lo, s4, v73
	v_add_co_ci_u32_e64 v70, null, s5, v74, vcc_lo
	v_add_co_u32 v73, vcc_lo, s4, v77
	v_add_co_ci_u32_e64 v74, null, s5, v78, vcc_lo
	v_lshlrev_b64 v[77:78], 3, v[79:80]
	v_add_nc_u32_e32 v79, s15, v81
	v_ashrrev_i32_e32 v82, 31, v81
	v_lshlrev_b64 v[75:76], 3, v[75:76]
	v_add_nc_u32_e32 v85, s15, v79
	v_ashrrev_i32_e32 v80, 31, v79
	v_lshlrev_b64 v[81:82], 3, v[81:82]
	v_add_co_u32 v75, vcc_lo, s4, v75
	v_add_nc_u32_e32 v89, s15, v85
	v_lshlrev_b64 v[87:88], 3, v[79:80]
	v_add_co_ci_u32_e64 v76, null, s5, v76, vcc_lo
	v_add_co_u32 v77, vcc_lo, s4, v77
	v_ashrrev_i32_e32 v90, 31, v89
	v_add_co_ci_u32_e64 v78, null, s5, v78, vcc_lo
	v_add_co_u32 v79, vcc_lo, s4, v81
	v_add_co_ci_u32_e64 v80, null, s5, v82, vcc_lo
	v_add_co_u32 v81, vcc_lo, s4, v87
	v_add_co_ci_u32_e64 v82, null, s5, v88, vcc_lo
	v_lshlrev_b64 v[87:88], 3, v[89:90]
	v_add_nc_u32_e32 v89, s15, v89
	v_ashrrev_i32_e32 v86, 31, v85
	v_add_nc_u32_e32 v91, s15, v89
	v_ashrrev_i32_e32 v90, 31, v89
	v_lshlrev_b64 v[85:86], 3, v[85:86]
	v_add_nc_u32_e32 v93, s15, v91
	v_ashrrev_i32_e32 v92, 31, v91
	v_lshlrev_b64 v[89:90], 3, v[89:90]
	v_add_co_u32 v85, vcc_lo, s4, v85
	v_ashrrev_i32_e32 v94, 31, v93
	v_add_nc_u32_e32 v132, s15, v93
	v_lshlrev_b64 v[91:92], 3, v[91:92]
	v_add_co_ci_u32_e64 v86, null, s5, v86, vcc_lo
	v_add_co_u32 v87, vcc_lo, s4, v87
	v_lshlrev_b64 v[94:95], 3, v[93:94]
	v_add_nc_u32_e32 v142, s15, v132
	v_add_co_ci_u32_e64 v88, null, s5, v88, vcc_lo
	v_add_co_u32 v89, vcc_lo, s4, v89
	v_ashrrev_i32_e32 v133, 31, v132
	v_add_co_ci_u32_e64 v90, null, s5, v90, vcc_lo
	v_add_co_u32 v91, vcc_lo, s4, v91
	v_ashrrev_i32_e32 v143, 31, v142
	v_add_co_ci_u32_e64 v92, null, s5, v92, vcc_lo
	v_add_co_u32 v93, vcc_lo, s4, v94
	v_add_co_ci_u32_e64 v94, null, s5, v95, vcc_lo
	v_lshlrev_b64 v[95:96], 3, v[132:133]
	v_lshlrev_b64 v[150:151], 3, v[142:143]
	s_clause 0x2
	global_load_dwordx2 v[132:133], v[11:12], off
	global_load_dwordx2 v[144:145], v[13:14], off
	;; [unrolled: 1-line block ×3, first 2 shown]
	s_waitcnt vmcnt(23)
	buffer_store_dword v97, off, s[0:3], 0
	buffer_store_dword v98, off, s[0:3], 0 offset:4
	global_load_dwordx2 v[148:149], v[23:24], off
	v_add_co_u32 v95, vcc_lo, s4, v95
	v_add_co_ci_u32_e64 v96, null, s5, v96, vcc_lo
	v_add_co_u32 v97, vcc_lo, s4, v150
	s_clause 0x1
	global_load_dwordx2 v[152:153], v[29:30], off
	global_load_dwordx2 v[154:155], v[35:36], off
	v_add_co_ci_u32_e64 v98, null, s5, v151, vcc_lo
	global_load_dwordx2 v[150:151], v[41:42], off
	s_waitcnt vmcnt(25)
	buffer_store_dword v100, off, s[0:3], 0 offset:12
	buffer_store_dword v99, off, s[0:3], 0 offset:8
	;; [unrolled: 1-line block ×3, first 2 shown]
	global_load_dwordx2 v[156:157], v[47:48], off
	v_add_nc_u32_e32 v142, s15, v142
	buffer_store_dword v101, off, s[0:3], 0 offset:16
	s_waitcnt vmcnt(25)
	buffer_store_dword v104, off, s[0:3], 0 offset:28
	buffer_store_dword v103, off, s[0:3], 0 offset:24
	s_waitcnt vmcnt(24)
	buffer_store_dword v106, off, s[0:3], 0 offset:36
	;; [unrolled: 3-line block ×4, first 2 shown]
	v_ashrrev_i32_e32 v143, 31, v142
	v_add_nc_u32_e32 v103, s15, v142
	buffer_store_dword v109, off, s[0:3], 0 offset:48
	global_load_dwordx2 v[158:159], v[57:58], off
	v_lshlrev_b64 v[99:100], 3, v[142:143]
	global_load_dwordx2 v[142:143], v[53:54], off
	s_waitcnt vmcnt(23)
	buffer_store_dword v112, off, s[0:3], 0 offset:60
	buffer_store_dword v111, off, s[0:3], 0 offset:56
	global_load_dwordx2 v[160:161], v[59:60], off
	s_waitcnt vmcnt(23)
	buffer_store_dword v114, off, s[0:3], 0 offset:68
	buffer_store_dword v113, off, s[0:3], 0 offset:64
	s_clause 0x1
	global_load_dwordx2 v[113:114], v[61:62], off
	global_load_dwordx2 v[162:163], v[63:64], off
	s_waitcnt vmcnt(24)
	buffer_store_dword v116, off, s[0:3], 0 offset:72
	buffer_store_dword v117, off, s[0:3], 0 offset:76
	global_load_dwordx2 v[116:117], v[65:66], off
	v_ashrrev_i32_e32 v104, 31, v103
	s_waitcnt vmcnt(24)
	buffer_store_dword v118, off, s[0:3], 0 offset:80
	buffer_store_dword v119, off, s[0:3], 0 offset:84
	s_waitcnt vmcnt(23)
	buffer_store_dword v120, off, s[0:3], 0 offset:88
	v_lshlrev_b64 v[101:102], 3, v[103:104]
	v_add_nc_u32_e32 v103, s15, v103
	buffer_store_dword v121, off, s[0:3], 0 offset:92
	s_waitcnt vmcnt(22)
	buffer_store_dword v122, off, s[0:3], 0 offset:96
	buffer_store_dword v123, off, s[0:3], 0 offset:100
	v_add_co_u32 v99, vcc_lo, s4, v99
	v_add_co_ci_u32_e64 v100, null, s5, v100, vcc_lo
	v_add_nc_u32_e32 v106, s15, v103
	s_waitcnt vmcnt(18)
	buffer_store_dword v124, off, s[0:3], 0 offset:104
	buffer_store_dword v125, off, s[0:3], 0 offset:108
	;; [unrolled: 1-line block ×8, first 2 shown]
	v_ashrrev_i32_e32 v104, 31, v103
	v_add_nc_u32_e32 v109, s15, v106
	v_ashrrev_i32_e32 v107, 31, v106
	v_add_co_u32 v101, vcc_lo, s4, v101
	v_lshlrev_b64 v[104:105], 3, v[103:104]
	v_add_nc_u32_e32 v111, s15, v109
	v_lshlrev_b64 v[107:108], 3, v[106:107]
	v_ashrrev_i32_e32 v110, 31, v109
	v_add_co_ci_u32_e64 v102, null, s5, v102, vcc_lo
	v_ashrrev_i32_e32 v112, 31, v111
	v_add_co_u32 v103, vcc_lo, s4, v104
	v_add_co_ci_u32_e64 v104, null, s5, v105, vcc_lo
	v_add_co_u32 v105, vcc_lo, s4, v107
	v_add_co_ci_u32_e64 v106, null, s5, v108, vcc_lo
	v_lshlrev_b64 v[107:108], 3, v[109:110]
	s_waitcnt vmcnt(17)
	buffer_store_dword v134, off, s[0:3], 0 offset:136
	buffer_store_dword v135, off, s[0:3], 0 offset:140
	s_waitcnt vmcnt(16)
	buffer_store_dword v136, off, s[0:3], 0 offset:144
	buffer_store_dword v137, off, s[0:3], 0 offset:148
	;; [unrolled: 3-line block ×4, first 2 shown]
	v_lshlrev_b64 v[109:110], 3, v[111:112]
	v_add_nc_u32_e32 v111, s15, v111
	v_add_co_u32 v107, vcc_lo, s4, v107
	v_add_co_ci_u32_e64 v108, null, s5, v108, vcc_lo
	v_ashrrev_i32_e32 v112, 31, v111
	v_add_co_u32 v109, vcc_lo, s4, v109
	v_add_co_ci_u32_e64 v110, null, s5, v110, vcc_lo
	v_lshlrev_b64 v[111:112], 3, v[111:112]
	s_waitcnt vmcnt(13)
	buffer_store_dword v132, off, s[0:3], 0 offset:168
	buffer_store_dword v133, off, s[0:3], 0 offset:172
	s_waitcnt vmcnt(12)
	buffer_store_dword v144, off, s[0:3], 0 offset:176
	buffer_store_dword v145, off, s[0:3], 0 offset:180
	;; [unrolled: 3-line block ×7, first 2 shown]
	s_clause 0x3
	global_load_dwordx2 v[118:119], v[67:68], off
	global_load_dwordx2 v[120:121], v[69:70], off
	global_load_dwordx2 v[122:123], v[73:74], off
	global_load_dwordx2 v[124:125], v[75:76], off
	s_waitcnt vmcnt(10)
	buffer_store_dword v156, off, s[0:3], 0 offset:224
	buffer_store_dword v157, off, s[0:3], 0 offset:228
	s_clause 0xa
	global_load_dwordx2 v[126:127], v[77:78], off
	global_load_dwordx2 v[128:129], v[79:80], off
	;; [unrolled: 1-line block ×11, first 2 shown]
	v_add_co_u32 v111, vcc_lo, s4, v111
	s_waitcnt vmcnt(19)
	buffer_store_dword v142, off, s[0:3], 0 offset:232
	buffer_store_dword v143, off, s[0:3], 0 offset:236
	global_load_dwordx2 v[142:143], v[95:96], off
	s_waitcnt vmcnt(18)
	buffer_store_dword v114, off, s[0:3], 0 offset:260
	buffer_store_dword v113, off, s[0:3], 0 offset:256
	s_clause 0x3
	global_load_dwordx2 v[113:114], v[103:104], off
	global_load_dwordx2 v[150:151], v[105:106], off
	;; [unrolled: 1-line block ×4, first 2 shown]
	v_add_co_ci_u32_e64 v112, null, s5, v112, vcc_lo
	s_waitcnt vmcnt(20)
	buffer_store_dword v116, off, s[0:3], 0 offset:272
	buffer_store_dword v117, off, s[0:3], 0 offset:276
	s_mov_b32 s5, -1
	global_load_dwordx2 v[116:117], v[111:112], off
	buffer_store_dword v158, off, s[0:3], 0 offset:240
	buffer_store_dword v159, off, s[0:3], 0 offset:244
	buffer_store_dword v161, off, s[0:3], 0 offset:252
	buffer_store_dword v160, off, s[0:3], 0 offset:248
	buffer_store_dword v162, off, s[0:3], 0 offset:264
	buffer_store_dword v163, off, s[0:3], 0 offset:268
	s_waitcnt vmcnt(20)
	buffer_store_dword v118, off, s[0:3], 0 offset:280
	buffer_store_dword v119, off, s[0:3], 0 offset:284
	s_waitcnt vmcnt(19)
	buffer_store_dword v120, off, s[0:3], 0 offset:288
	buffer_store_dword v121, off, s[0:3], 0 offset:292
	;; [unrolled: 3-line block ×13, first 2 shown]
	buffer_store_dword v144, off, s[0:3], 0 offset:384
	buffer_store_dword v145, off, s[0:3], 0 offset:388
	;; [unrolled: 1-line block ×6, first 2 shown]
	s_waitcnt vmcnt(4)
	buffer_store_dword v113, off, s[0:3], 0 offset:408
	buffer_store_dword v114, off, s[0:3], 0 offset:412
	s_waitcnt vmcnt(3)
	buffer_store_dword v150, off, s[0:3], 0 offset:416
	buffer_store_dword v151, off, s[0:3], 0 offset:420
	;; [unrolled: 3-line block ×5, first 2 shown]
	s_cbranch_scc1 .LBB55_232
; %bb.4:
	v_cmp_eq_u32_e64 s4, 0, v0
	s_and_saveexec_b32 s5, s4
; %bb.5:
	v_mov_b32_e32 v113, 0
	ds_write_b32 v113, v113 offset:896
; %bb.6:
	s_or_b32 exec_lo, exec_lo, s5
	v_lshl_add_u32 v113, v0, 3, 0
	s_waitcnt lgkmcnt(0)
	s_waitcnt_vscnt null, 0x0
	s_barrier
	buffer_gl0_inv
	s_mov_b32 s8, exec_lo
	s_clause 0x1
	buffer_load_dword v116, v113, s[0:3], 0 offen
	buffer_load_dword v117, v113, s[0:3], 0 offen offset:4
	s_waitcnt vmcnt(0)
	v_cmpx_eq_f64_e32 0, v[116:117]
	s_cbranch_execz .LBB55_10
; %bb.7:
	v_mov_b32_e32 v114, 0
	s_mov_b32 s9, 0
	ds_read_b32 v116, v114 offset:896
	s_waitcnt lgkmcnt(0)
	v_readfirstlane_b32 s5, v116
	v_add_nc_u32_e32 v116, 1, v0
	s_cmp_eq_u32 s5, 0
	v_cmp_gt_i32_e32 vcc_lo, s5, v116
	s_cselect_b32 s12, -1, 0
	s_or_b32 s12, s12, vcc_lo
	s_and_b32 exec_lo, exec_lo, s12
	s_cbranch_execz .LBB55_10
; %bb.8:
	v_mov_b32_e32 v117, s5
.LBB55_9:                               ; =>This Inner Loop Header: Depth=1
	ds_cmpst_rtn_b32 v117, v114, v117, v116 offset:896
	s_waitcnt lgkmcnt(0)
	v_cmp_ne_u32_e32 vcc_lo, 0, v117
	v_cmp_le_i32_e64 s5, v117, v116
	s_and_b32 s5, vcc_lo, s5
	s_and_b32 s5, exec_lo, s5
	s_or_b32 s9, s5, s9
	s_andn2_b32 exec_lo, exec_lo, s9
	s_cbranch_execnz .LBB55_9
.LBB55_10:
	s_or_b32 exec_lo, exec_lo, s8
	v_mov_b32_e32 v114, 0
	s_barrier
	buffer_gl0_inv
	ds_read_b32 v116, v114 offset:896
	s_and_saveexec_b32 s5, s4
	s_cbranch_execz .LBB55_12
; %bb.11:
	s_lshl_b64 s[8:9], s[6:7], 2
	s_add_u32 s8, s10, s8
	s_addc_u32 s9, s11, s9
	s_waitcnt lgkmcnt(0)
	global_store_dword v114, v116, s[8:9]
.LBB55_12:
	s_or_b32 exec_lo, exec_lo, s5
	s_waitcnt lgkmcnt(0)
	v_cmp_ne_u32_e32 vcc_lo, 0, v116
	s_mov_b32 s5, 0
	s_cbranch_vccnz .LBB55_232
; %bb.13:
	s_clause 0x1
	buffer_load_dword v116, v113, s[0:3], 0 offen
	buffer_load_dword v117, v113, s[0:3], 0 offen offset:4
	s_waitcnt vmcnt(0)
	v_div_scale_f64 v[118:119], null, v[116:117], v[116:117], 1.0
	v_div_scale_f64 v[124:125], vcc_lo, 1.0, v[116:117], 1.0
	v_rcp_f64_e32 v[120:121], v[118:119]
	v_fma_f64 v[122:123], -v[118:119], v[120:121], 1.0
	v_fma_f64 v[120:121], v[120:121], v[122:123], v[120:121]
	v_fma_f64 v[122:123], -v[118:119], v[120:121], 1.0
	v_fma_f64 v[120:121], v[120:121], v[122:123], v[120:121]
	v_mul_f64 v[122:123], v[124:125], v[120:121]
	v_fma_f64 v[118:119], -v[118:119], v[122:123], v[124:125]
	v_div_fmas_f64 v[118:119], v[118:119], v[120:121], v[122:123]
	v_div_fixup_f64 v[117:118], v[118:119], v[116:117], 1.0
	v_add_nc_u32_e32 v116, 0x1c0, v115
	buffer_store_dword v118, v113, s[0:3], 0 offen offset:4
	buffer_store_dword v117, v113, s[0:3], 0 offen
	s_clause 0x1
	buffer_load_dword v120, off, s[0:3], 0 offset:12
	buffer_load_dword v119, off, s[0:3], 0 offset:8
	v_xor_b32_e32 v118, 0x80000000, v118
	s_waitcnt vmcnt(0)
	ds_write2_b64 v115, v[117:118], v[119:120] offset1:56
	s_waitcnt lgkmcnt(0)
	s_waitcnt_vscnt null, 0x0
	s_barrier
	buffer_gl0_inv
	s_and_saveexec_b32 s5, s4
	s_cbranch_execz .LBB55_15
; %bb.14:
	s_clause 0x1
	buffer_load_dword v117, v113, s[0:3], 0 offen
	buffer_load_dword v118, v113, s[0:3], 0 offen offset:4
	ds_read_b64 v[119:120], v116
	v_mov_b32_e32 v114, 0
	ds_read_b64 v[121:122], v114 offset:8
	s_waitcnt vmcnt(0) lgkmcnt(1)
	v_fma_f64 v[117:118], v[117:118], v[119:120], 0
	s_waitcnt lgkmcnt(0)
	v_mul_f64 v[117:118], v[117:118], v[121:122]
	buffer_store_dword v117, off, s[0:3], 0 offset:8
	buffer_store_dword v118, off, s[0:3], 0 offset:12
.LBB55_15:
	s_or_b32 exec_lo, exec_lo, s5
	s_waitcnt_vscnt null, 0x0
	s_barrier
	buffer_gl0_inv
	s_clause 0x1
	buffer_load_dword v117, off, s[0:3], 0 offset:16
	buffer_load_dword v118, off, s[0:3], 0 offset:20
	s_mov_b32 s5, exec_lo
	s_waitcnt vmcnt(0)
	ds_write_b64 v116, v[117:118]
	s_waitcnt lgkmcnt(0)
	s_barrier
	buffer_gl0_inv
	v_cmpx_gt_u32_e32 2, v0
	s_cbranch_execz .LBB55_19
; %bb.16:
	s_clause 0x1
	buffer_load_dword v117, v113, s[0:3], 0 offen
	buffer_load_dword v118, v113, s[0:3], 0 offen offset:4
	ds_read_b64 v[113:114], v116
	s_waitcnt vmcnt(0) lgkmcnt(0)
	v_fma_f64 v[113:114], v[117:118], v[113:114], 0
	s_and_saveexec_b32 s8, s4
	s_cbranch_execz .LBB55_18
; %bb.17:
	s_clause 0x1
	buffer_load_dword v117, off, s[0:3], 0 offset:8
	buffer_load_dword v118, off, s[0:3], 0 offset:12
	v_mov_b32_e32 v119, 0
	ds_read_b64 v[119:120], v119 offset:456
	s_waitcnt vmcnt(0) lgkmcnt(0)
	v_fma_f64 v[113:114], v[117:118], v[119:120], v[113:114]
.LBB55_18:
	s_or_b32 exec_lo, exec_lo, s8
	v_mov_b32_e32 v117, 0
	ds_read_b64 v[117:118], v117 offset:16
	s_waitcnt lgkmcnt(0)
	v_mul_f64 v[113:114], v[113:114], v[117:118]
	buffer_store_dword v114, off, s[0:3], 0 offset:20
	buffer_store_dword v113, off, s[0:3], 0 offset:16
.LBB55_19:
	s_or_b32 exec_lo, exec_lo, s5
	s_waitcnt_vscnt null, 0x0
	s_barrier
	buffer_gl0_inv
	s_clause 0x1
	buffer_load_dword v113, off, s[0:3], 0 offset:24
	buffer_load_dword v114, off, s[0:3], 0 offset:28
	v_add_nc_u32_e32 v117, -1, v0
	s_mov_b32 s4, exec_lo
	s_waitcnt vmcnt(0)
	ds_write_b64 v116, v[113:114]
	s_waitcnt lgkmcnt(0)
	s_barrier
	buffer_gl0_inv
	v_cmpx_gt_u32_e32 3, v0
	s_cbranch_execz .LBB55_23
; %bb.20:
	v_mov_b32_e32 v113, 0
	v_add_nc_u32_e32 v118, -1, v0
	v_add_nc_u32_e32 v119, 0x1c0, v115
	v_mov_b32_e32 v114, 0
	v_mov_b32_e32 v120, v115
	s_mov_b32 s5, 0
.LBB55_21:                              ; =>This Inner Loop Header: Depth=1
	s_clause 0x1
	buffer_load_dword v121, v120, s[0:3], 0 offen
	buffer_load_dword v122, v120, s[0:3], 0 offen offset:4
	ds_read_b64 v[123:124], v119
	v_add_nc_u32_e32 v118, 1, v118
	v_add_nc_u32_e32 v119, 8, v119
	v_add_nc_u32_e32 v120, 8, v120
	v_cmp_lt_u32_e32 vcc_lo, 1, v118
	s_or_b32 s5, vcc_lo, s5
	s_waitcnt vmcnt(0) lgkmcnt(0)
	v_fma_f64 v[113:114], v[121:122], v[123:124], v[113:114]
	s_andn2_b32 exec_lo, exec_lo, s5
	s_cbranch_execnz .LBB55_21
; %bb.22:
	s_or_b32 exec_lo, exec_lo, s5
	v_mov_b32_e32 v118, 0
	ds_read_b64 v[118:119], v118 offset:24
	s_waitcnt lgkmcnt(0)
	v_mul_f64 v[113:114], v[113:114], v[118:119]
	buffer_store_dword v114, off, s[0:3], 0 offset:28
	buffer_store_dword v113, off, s[0:3], 0 offset:24
.LBB55_23:
	s_or_b32 exec_lo, exec_lo, s4
	s_waitcnt_vscnt null, 0x0
	s_barrier
	buffer_gl0_inv
	s_clause 0x1
	buffer_load_dword v113, off, s[0:3], 0 offset:32
	buffer_load_dword v114, off, s[0:3], 0 offset:36
	s_mov_b32 s4, exec_lo
	s_waitcnt vmcnt(0)
	ds_write_b64 v116, v[113:114]
	s_waitcnt lgkmcnt(0)
	s_barrier
	buffer_gl0_inv
	v_cmpx_gt_u32_e32 4, v0
	s_cbranch_execz .LBB55_27
; %bb.24:
	v_mov_b32_e32 v113, 0
	v_add_nc_u32_e32 v118, -1, v0
	v_add_nc_u32_e32 v119, 0x1c0, v115
	v_mov_b32_e32 v114, 0
	v_mov_b32_e32 v120, v115
	s_mov_b32 s5, 0
.LBB55_25:                              ; =>This Inner Loop Header: Depth=1
	s_clause 0x1
	buffer_load_dword v121, v120, s[0:3], 0 offen
	buffer_load_dword v122, v120, s[0:3], 0 offen offset:4
	ds_read_b64 v[123:124], v119
	v_add_nc_u32_e32 v118, 1, v118
	v_add_nc_u32_e32 v119, 8, v119
	v_add_nc_u32_e32 v120, 8, v120
	v_cmp_lt_u32_e32 vcc_lo, 2, v118
	s_or_b32 s5, vcc_lo, s5
	s_waitcnt vmcnt(0) lgkmcnt(0)
	v_fma_f64 v[113:114], v[121:122], v[123:124], v[113:114]
	s_andn2_b32 exec_lo, exec_lo, s5
	s_cbranch_execnz .LBB55_25
; %bb.26:
	s_or_b32 exec_lo, exec_lo, s5
	v_mov_b32_e32 v118, 0
	ds_read_b64 v[118:119], v118 offset:32
	s_waitcnt lgkmcnt(0)
	v_mul_f64 v[113:114], v[113:114], v[118:119]
	buffer_store_dword v114, off, s[0:3], 0 offset:36
	buffer_store_dword v113, off, s[0:3], 0 offset:32
.LBB55_27:
	s_or_b32 exec_lo, exec_lo, s4
	s_waitcnt_vscnt null, 0x0
	s_barrier
	buffer_gl0_inv
	s_clause 0x1
	buffer_load_dword v113, off, s[0:3], 0 offset:40
	buffer_load_dword v114, off, s[0:3], 0 offset:44
	;; [unrolled: 45-line block ×20, first 2 shown]
	s_mov_b32 s4, exec_lo
	s_waitcnt vmcnt(0)
	ds_write_b64 v116, v[113:114]
	s_waitcnt lgkmcnt(0)
	s_barrier
	buffer_gl0_inv
	v_cmpx_gt_u32_e32 23, v0
	s_cbranch_execz .LBB55_103
; %bb.100:
	v_mov_b32_e32 v113, 0
	v_add_nc_u32_e32 v118, -1, v0
	v_add_nc_u32_e32 v119, 0x1c0, v115
	v_mov_b32_e32 v114, 0
	v_mov_b32_e32 v120, v115
	s_mov_b32 s5, 0
.LBB55_101:                             ; =>This Inner Loop Header: Depth=1
	s_clause 0x1
	buffer_load_dword v121, v120, s[0:3], 0 offen
	buffer_load_dword v122, v120, s[0:3], 0 offen offset:4
	ds_read_b64 v[123:124], v119
	v_add_nc_u32_e32 v118, 1, v118
	v_add_nc_u32_e32 v119, 8, v119
	v_add_nc_u32_e32 v120, 8, v120
	v_cmp_lt_u32_e32 vcc_lo, 21, v118
	s_or_b32 s5, vcc_lo, s5
	s_waitcnt vmcnt(0) lgkmcnt(0)
	v_fma_f64 v[113:114], v[121:122], v[123:124], v[113:114]
	s_andn2_b32 exec_lo, exec_lo, s5
	s_cbranch_execnz .LBB55_101
; %bb.102:
	s_or_b32 exec_lo, exec_lo, s5
	v_mov_b32_e32 v118, 0
	ds_read_b64 v[118:119], v118 offset:184
	s_waitcnt lgkmcnt(0)
	v_mul_f64 v[113:114], v[113:114], v[118:119]
	buffer_store_dword v114, off, s[0:3], 0 offset:188
	buffer_store_dword v113, off, s[0:3], 0 offset:184
.LBB55_103:
	s_or_b32 exec_lo, exec_lo, s4
	s_waitcnt_vscnt null, 0x0
	s_barrier
	buffer_gl0_inv
	s_clause 0x1
	buffer_load_dword v113, off, s[0:3], 0 offset:192
	buffer_load_dword v114, off, s[0:3], 0 offset:196
	s_mov_b32 s4, exec_lo
	s_waitcnt vmcnt(0)
	ds_write_b64 v116, v[113:114]
	s_waitcnt lgkmcnt(0)
	s_barrier
	buffer_gl0_inv
	v_cmpx_gt_u32_e32 24, v0
	s_cbranch_execz .LBB55_107
; %bb.104:
	v_mov_b32_e32 v113, 0
	v_add_nc_u32_e32 v118, -1, v0
	v_add_nc_u32_e32 v119, 0x1c0, v115
	v_mov_b32_e32 v114, 0
	v_mov_b32_e32 v120, v115
	s_mov_b32 s5, 0
.LBB55_105:                             ; =>This Inner Loop Header: Depth=1
	s_clause 0x1
	buffer_load_dword v121, v120, s[0:3], 0 offen
	buffer_load_dword v122, v120, s[0:3], 0 offen offset:4
	ds_read_b64 v[123:124], v119
	v_add_nc_u32_e32 v118, 1, v118
	v_add_nc_u32_e32 v119, 8, v119
	v_add_nc_u32_e32 v120, 8, v120
	v_cmp_lt_u32_e32 vcc_lo, 22, v118
	s_or_b32 s5, vcc_lo, s5
	s_waitcnt vmcnt(0) lgkmcnt(0)
	v_fma_f64 v[113:114], v[121:122], v[123:124], v[113:114]
	s_andn2_b32 exec_lo, exec_lo, s5
	s_cbranch_execnz .LBB55_105
; %bb.106:
	s_or_b32 exec_lo, exec_lo, s5
	v_mov_b32_e32 v118, 0
	ds_read_b64 v[118:119], v118 offset:192
	s_waitcnt lgkmcnt(0)
	v_mul_f64 v[113:114], v[113:114], v[118:119]
	buffer_store_dword v114, off, s[0:3], 0 offset:196
	buffer_store_dword v113, off, s[0:3], 0 offset:192
.LBB55_107:
	s_or_b32 exec_lo, exec_lo, s4
	s_waitcnt_vscnt null, 0x0
	s_barrier
	buffer_gl0_inv
	s_clause 0x1
	buffer_load_dword v113, off, s[0:3], 0 offset:200
	buffer_load_dword v114, off, s[0:3], 0 offset:204
	;; [unrolled: 45-line block ×32, first 2 shown]
	s_mov_b32 s4, exec_lo
	s_waitcnt vmcnt(0)
	ds_write_b64 v116, v[113:114]
	s_waitcnt lgkmcnt(0)
	s_barrier
	buffer_gl0_inv
	v_cmpx_ne_u32_e32 55, v0
	s_cbranch_execz .LBB55_231
; %bb.228:
	v_mov_b32_e32 v113, 0
	v_mov_b32_e32 v114, 0
	s_mov_b32 s5, 0
.LBB55_229:                             ; =>This Inner Loop Header: Depth=1
	s_clause 0x1
	buffer_load_dword v118, v115, s[0:3], 0 offen
	buffer_load_dword v119, v115, s[0:3], 0 offen offset:4
	ds_read_b64 v[120:121], v116
	v_add_nc_u32_e32 v117, 1, v117
	v_add_nc_u32_e32 v116, 8, v116
	v_add_nc_u32_e32 v115, 8, v115
	v_cmp_lt_u32_e32 vcc_lo, 53, v117
	s_or_b32 s5, vcc_lo, s5
	s_waitcnt vmcnt(0) lgkmcnt(0)
	v_fma_f64 v[113:114], v[118:119], v[120:121], v[113:114]
	s_andn2_b32 exec_lo, exec_lo, s5
	s_cbranch_execnz .LBB55_229
; %bb.230:
	s_or_b32 exec_lo, exec_lo, s5
	v_mov_b32_e32 v115, 0
	ds_read_b64 v[115:116], v115 offset:440
	s_waitcnt lgkmcnt(0)
	v_mul_f64 v[113:114], v[113:114], v[115:116]
	buffer_store_dword v114, off, s[0:3], 0 offset:444
	buffer_store_dword v113, off, s[0:3], 0 offset:440
.LBB55_231:
	s_or_b32 exec_lo, exec_lo, s4
	s_mov_b32 s5, -1
	s_waitcnt_vscnt null, 0x0
	s_barrier
	buffer_gl0_inv
.LBB55_232:
	s_and_b32 vcc_lo, exec_lo, s5
	s_cbranch_vccz .LBB55_234
; %bb.233:
	s_lshl_b64 s[4:5], s[6:7], 2
	v_mov_b32_e32 v113, 0
	s_add_u32 s4, s10, s4
	s_addc_u32 s5, s11, s5
	global_load_dword v113, v113, s[4:5]
	s_waitcnt vmcnt(0)
	v_cmp_ne_u32_e32 vcc_lo, 0, v113
	s_cbranch_vccz .LBB55_235
.LBB55_234:
	s_endpgm
.LBB55_235:
	v_lshl_add_u32 v113, v0, 3, 0x1c0
	s_mov_b32 s4, exec_lo
	v_cmpx_eq_u32_e32 55, v0
	s_cbranch_execz .LBB55_237
; %bb.236:
	s_clause 0x1
	buffer_load_dword v114, off, s[0:3], 0 offset:432
	buffer_load_dword v115, off, s[0:3], 0 offset:436
	v_mov_b32_e32 v116, 0
	buffer_store_dword v116, off, s[0:3], 0 offset:432
	buffer_store_dword v116, off, s[0:3], 0 offset:436
	s_waitcnt vmcnt(0)
	ds_write_b64 v113, v[114:115]
.LBB55_237:
	s_or_b32 exec_lo, exec_lo, s4
	s_waitcnt lgkmcnt(0)
	s_waitcnt_vscnt null, 0x0
	s_barrier
	buffer_gl0_inv
	s_clause 0x3
	buffer_load_dword v115, off, s[0:3], 0 offset:440
	buffer_load_dword v116, off, s[0:3], 0 offset:444
	buffer_load_dword v117, off, s[0:3], 0 offset:432
	buffer_load_dword v118, off, s[0:3], 0 offset:436
	v_mov_b32_e32 v114, 0
	s_mov_b32 s4, exec_lo
	ds_read_b64 v[119:120], v114 offset:888
	s_waitcnt vmcnt(2) lgkmcnt(0)
	v_fma_f64 v[115:116], v[115:116], v[119:120], 0
	s_waitcnt vmcnt(0)
	v_add_f64 v[115:116], v[117:118], -v[115:116]
	buffer_store_dword v115, off, s[0:3], 0 offset:432
	buffer_store_dword v116, off, s[0:3], 0 offset:436
	v_cmpx_lt_u32_e32 53, v0
	s_cbranch_execz .LBB55_239
; %bb.238:
	s_clause 0x1
	buffer_load_dword v115, off, s[0:3], 0 offset:424
	buffer_load_dword v116, off, s[0:3], 0 offset:428
	buffer_store_dword v114, off, s[0:3], 0 offset:424
	buffer_store_dword v114, off, s[0:3], 0 offset:428
	s_waitcnt vmcnt(0)
	ds_write_b64 v113, v[115:116]
.LBB55_239:
	s_or_b32 exec_lo, exec_lo, s4
	s_waitcnt lgkmcnt(0)
	s_waitcnt_vscnt null, 0x0
	s_barrier
	buffer_gl0_inv
	s_clause 0x5
	buffer_load_dword v118, off, s[0:3], 0 offset:432
	buffer_load_dword v119, off, s[0:3], 0 offset:436
	;; [unrolled: 1-line block ×6, first 2 shown]
	ds_read_b128 v[114:117], v114 offset:880
	s_mov_b32 s4, exec_lo
	s_waitcnt vmcnt(4) lgkmcnt(0)
	v_fma_f64 v[114:115], v[118:119], v[114:115], 0
	s_waitcnt vmcnt(2)
	v_fma_f64 v[114:115], v[120:121], v[116:117], v[114:115]
	s_waitcnt vmcnt(0)
	v_add_f64 v[114:115], v[122:123], -v[114:115]
	buffer_store_dword v114, off, s[0:3], 0 offset:424
	buffer_store_dword v115, off, s[0:3], 0 offset:428
	v_cmpx_lt_u32_e32 52, v0
	s_cbranch_execz .LBB55_241
; %bb.240:
	s_clause 0x1
	buffer_load_dword v114, off, s[0:3], 0 offset:416
	buffer_load_dword v115, off, s[0:3], 0 offset:420
	v_mov_b32_e32 v116, 0
	buffer_store_dword v116, off, s[0:3], 0 offset:416
	buffer_store_dword v116, off, s[0:3], 0 offset:420
	s_waitcnt vmcnt(0)
	ds_write_b64 v113, v[114:115]
.LBB55_241:
	s_or_b32 exec_lo, exec_lo, s4
	s_waitcnt lgkmcnt(0)
	s_waitcnt_vscnt null, 0x0
	s_barrier
	buffer_gl0_inv
	s_clause 0x7
	buffer_load_dword v119, off, s[0:3], 0 offset:424
	buffer_load_dword v120, off, s[0:3], 0 offset:428
	buffer_load_dword v121, off, s[0:3], 0 offset:432
	buffer_load_dword v122, off, s[0:3], 0 offset:436
	buffer_load_dword v123, off, s[0:3], 0 offset:440
	buffer_load_dword v124, off, s[0:3], 0 offset:444
	buffer_load_dword v125, off, s[0:3], 0 offset:416
	buffer_load_dword v126, off, s[0:3], 0 offset:420
	v_mov_b32_e32 v114, 0
	ds_read2_b64 v[115:118], v114 offset0:109 offset1:110
	ds_read_b64 v[127:128], v114 offset:888
	s_mov_b32 s4, exec_lo
	s_waitcnt vmcnt(6) lgkmcnt(1)
	v_fma_f64 v[115:116], v[119:120], v[115:116], 0
	s_waitcnt vmcnt(4)
	v_fma_f64 v[115:116], v[121:122], v[117:118], v[115:116]
	s_waitcnt vmcnt(2) lgkmcnt(0)
	v_fma_f64 v[115:116], v[123:124], v[127:128], v[115:116]
	s_waitcnt vmcnt(0)
	v_add_f64 v[115:116], v[125:126], -v[115:116]
	buffer_store_dword v115, off, s[0:3], 0 offset:416
	buffer_store_dword v116, off, s[0:3], 0 offset:420
	v_cmpx_lt_u32_e32 51, v0
	s_cbranch_execz .LBB55_243
; %bb.242:
	s_clause 0x1
	buffer_load_dword v115, off, s[0:3], 0 offset:408
	buffer_load_dword v116, off, s[0:3], 0 offset:412
	buffer_store_dword v114, off, s[0:3], 0 offset:408
	buffer_store_dword v114, off, s[0:3], 0 offset:412
	s_waitcnt vmcnt(0)
	ds_write_b64 v113, v[115:116]
.LBB55_243:
	s_or_b32 exec_lo, exec_lo, s4
	s_waitcnt lgkmcnt(0)
	s_waitcnt_vscnt null, 0x0
	s_barrier
	buffer_gl0_inv
	s_clause 0x9
	buffer_load_dword v123, off, s[0:3], 0 offset:416
	buffer_load_dword v124, off, s[0:3], 0 offset:420
	;; [unrolled: 1-line block ×10, first 2 shown]
	ds_read_b128 v[115:118], v114 offset:864
	ds_read_b128 v[119:122], v114 offset:880
	s_mov_b32 s4, exec_lo
	s_waitcnt vmcnt(8) lgkmcnt(1)
	v_fma_f64 v[114:115], v[123:124], v[115:116], 0
	s_waitcnt vmcnt(6)
	v_fma_f64 v[114:115], v[125:126], v[117:118], v[114:115]
	s_waitcnt vmcnt(4) lgkmcnt(0)
	v_fma_f64 v[114:115], v[127:128], v[119:120], v[114:115]
	s_waitcnt vmcnt(2)
	v_fma_f64 v[114:115], v[129:130], v[121:122], v[114:115]
	s_waitcnt vmcnt(0)
	v_add_f64 v[114:115], v[131:132], -v[114:115]
	buffer_store_dword v114, off, s[0:3], 0 offset:408
	buffer_store_dword v115, off, s[0:3], 0 offset:412
	v_cmpx_lt_u32_e32 50, v0
	s_cbranch_execz .LBB55_245
; %bb.244:
	s_clause 0x1
	buffer_load_dword v114, off, s[0:3], 0 offset:400
	buffer_load_dword v115, off, s[0:3], 0 offset:404
	v_mov_b32_e32 v116, 0
	buffer_store_dword v116, off, s[0:3], 0 offset:400
	buffer_store_dword v116, off, s[0:3], 0 offset:404
	s_waitcnt vmcnt(0)
	ds_write_b64 v113, v[114:115]
.LBB55_245:
	s_or_b32 exec_lo, exec_lo, s4
	s_waitcnt lgkmcnt(0)
	s_waitcnt_vscnt null, 0x0
	s_barrier
	buffer_gl0_inv
	s_clause 0xb
	buffer_load_dword v123, off, s[0:3], 0 offset:408
	buffer_load_dword v124, off, s[0:3], 0 offset:412
	buffer_load_dword v125, off, s[0:3], 0 offset:416
	buffer_load_dword v126, off, s[0:3], 0 offset:420
	buffer_load_dword v127, off, s[0:3], 0 offset:424
	buffer_load_dword v128, off, s[0:3], 0 offset:428
	buffer_load_dword v129, off, s[0:3], 0 offset:432
	buffer_load_dword v130, off, s[0:3], 0 offset:436
	buffer_load_dword v131, off, s[0:3], 0 offset:440
	buffer_load_dword v132, off, s[0:3], 0 offset:444
	buffer_load_dword v133, off, s[0:3], 0 offset:400
	buffer_load_dword v134, off, s[0:3], 0 offset:404
	v_mov_b32_e32 v114, 0
	ds_read2_b64 v[115:118], v114 offset0:107 offset1:108
	ds_read2_b64 v[119:122], v114 offset0:109 offset1:110
	s_mov_b32 s4, exec_lo
	s_waitcnt vmcnt(10) lgkmcnt(1)
	v_fma_f64 v[115:116], v[123:124], v[115:116], 0
	s_waitcnt vmcnt(8)
	v_fma_f64 v[115:116], v[125:126], v[117:118], v[115:116]
	ds_read_b64 v[117:118], v114 offset:888
	s_waitcnt vmcnt(6) lgkmcnt(1)
	v_fma_f64 v[115:116], v[127:128], v[119:120], v[115:116]
	s_waitcnt vmcnt(4)
	v_fma_f64 v[115:116], v[129:130], v[121:122], v[115:116]
	s_waitcnt vmcnt(2) lgkmcnt(0)
	v_fma_f64 v[115:116], v[131:132], v[117:118], v[115:116]
	s_waitcnt vmcnt(0)
	v_add_f64 v[115:116], v[133:134], -v[115:116]
	buffer_store_dword v115, off, s[0:3], 0 offset:400
	buffer_store_dword v116, off, s[0:3], 0 offset:404
	v_cmpx_lt_u32_e32 49, v0
	s_cbranch_execz .LBB55_247
; %bb.246:
	s_clause 0x1
	buffer_load_dword v115, off, s[0:3], 0 offset:392
	buffer_load_dword v116, off, s[0:3], 0 offset:396
	buffer_store_dword v114, off, s[0:3], 0 offset:392
	buffer_store_dword v114, off, s[0:3], 0 offset:396
	s_waitcnt vmcnt(0)
	ds_write_b64 v113, v[115:116]
.LBB55_247:
	s_or_b32 exec_lo, exec_lo, s4
	s_waitcnt lgkmcnt(0)
	s_waitcnt_vscnt null, 0x0
	s_barrier
	buffer_gl0_inv
	s_clause 0xd
	buffer_load_dword v123, off, s[0:3], 0 offset:400
	buffer_load_dword v124, off, s[0:3], 0 offset:404
	;; [unrolled: 1-line block ×14, first 2 shown]
	ds_read_b128 v[115:118], v114 offset:848
	ds_read_b128 v[119:122], v114 offset:864
	s_mov_b32 s4, exec_lo
	s_waitcnt vmcnt(12) lgkmcnt(1)
	v_fma_f64 v[115:116], v[123:124], v[115:116], 0
	s_waitcnt vmcnt(10)
	v_fma_f64 v[115:116], v[125:126], v[117:118], v[115:116]
	s_waitcnt vmcnt(8) lgkmcnt(0)
	v_fma_f64 v[115:116], v[127:128], v[119:120], v[115:116]
	s_waitcnt vmcnt(6)
	v_fma_f64 v[118:119], v[129:130], v[121:122], v[115:116]
	ds_read_b128 v[114:117], v114 offset:880
	s_waitcnt vmcnt(4) lgkmcnt(0)
	v_fma_f64 v[114:115], v[131:132], v[114:115], v[118:119]
	s_waitcnt vmcnt(2)
	v_fma_f64 v[114:115], v[133:134], v[116:117], v[114:115]
	s_waitcnt vmcnt(0)
	v_add_f64 v[114:115], v[135:136], -v[114:115]
	buffer_store_dword v114, off, s[0:3], 0 offset:392
	buffer_store_dword v115, off, s[0:3], 0 offset:396
	v_cmpx_lt_u32_e32 48, v0
	s_cbranch_execz .LBB55_249
; %bb.248:
	s_clause 0x1
	buffer_load_dword v114, off, s[0:3], 0 offset:384
	buffer_load_dword v115, off, s[0:3], 0 offset:388
	v_mov_b32_e32 v116, 0
	buffer_store_dword v116, off, s[0:3], 0 offset:384
	buffer_store_dword v116, off, s[0:3], 0 offset:388
	s_waitcnt vmcnt(0)
	ds_write_b64 v113, v[114:115]
.LBB55_249:
	s_or_b32 exec_lo, exec_lo, s4
	s_waitcnt lgkmcnt(0)
	s_waitcnt_vscnt null, 0x0
	s_barrier
	buffer_gl0_inv
	s_clause 0xf
	buffer_load_dword v123, off, s[0:3], 0 offset:392
	buffer_load_dword v124, off, s[0:3], 0 offset:396
	;; [unrolled: 1-line block ×16, first 2 shown]
	v_mov_b32_e32 v114, 0
	ds_read2_b64 v[115:118], v114 offset0:105 offset1:106
	ds_read2_b64 v[119:122], v114 offset0:107 offset1:108
	s_mov_b32 s4, exec_lo
	s_waitcnt vmcnt(14) lgkmcnt(1)
	v_fma_f64 v[115:116], v[123:124], v[115:116], 0
	s_waitcnt vmcnt(12)
	v_fma_f64 v[115:116], v[125:126], v[117:118], v[115:116]
	s_waitcnt vmcnt(10) lgkmcnt(0)
	v_fma_f64 v[115:116], v[127:128], v[119:120], v[115:116]
	s_waitcnt vmcnt(8)
	v_fma_f64 v[119:120], v[129:130], v[121:122], v[115:116]
	ds_read2_b64 v[115:118], v114 offset0:109 offset1:110
	ds_read_b64 v[121:122], v114 offset:888
	s_waitcnt vmcnt(6) lgkmcnt(1)
	v_fma_f64 v[115:116], v[131:132], v[115:116], v[119:120]
	s_waitcnt vmcnt(4)
	v_fma_f64 v[115:116], v[133:134], v[117:118], v[115:116]
	s_waitcnt vmcnt(2) lgkmcnt(0)
	v_fma_f64 v[115:116], v[135:136], v[121:122], v[115:116]
	s_waitcnt vmcnt(0)
	v_add_f64 v[115:116], v[137:138], -v[115:116]
	buffer_store_dword v115, off, s[0:3], 0 offset:384
	buffer_store_dword v116, off, s[0:3], 0 offset:388
	v_cmpx_lt_u32_e32 47, v0
	s_cbranch_execz .LBB55_251
; %bb.250:
	s_clause 0x1
	buffer_load_dword v115, off, s[0:3], 0 offset:376
	buffer_load_dword v116, off, s[0:3], 0 offset:380
	buffer_store_dword v114, off, s[0:3], 0 offset:376
	buffer_store_dword v114, off, s[0:3], 0 offset:380
	s_waitcnt vmcnt(0)
	ds_write_b64 v113, v[115:116]
.LBB55_251:
	s_or_b32 exec_lo, exec_lo, s4
	s_waitcnt lgkmcnt(0)
	s_waitcnt_vscnt null, 0x0
	s_barrier
	buffer_gl0_inv
	s_clause 0x11
	buffer_load_dword v123, off, s[0:3], 0 offset:384
	buffer_load_dword v124, off, s[0:3], 0 offset:388
	;; [unrolled: 1-line block ×18, first 2 shown]
	ds_read_b128 v[115:118], v114 offset:832
	ds_read_b128 v[119:122], v114 offset:848
	s_mov_b32 s4, exec_lo
	s_waitcnt vmcnt(16) lgkmcnt(1)
	v_fma_f64 v[115:116], v[123:124], v[115:116], 0
	s_waitcnt vmcnt(14)
	v_fma_f64 v[115:116], v[125:126], v[117:118], v[115:116]
	s_waitcnt vmcnt(12) lgkmcnt(0)
	v_fma_f64 v[115:116], v[127:128], v[119:120], v[115:116]
	s_waitcnt vmcnt(10)
	v_fma_f64 v[123:124], v[129:130], v[121:122], v[115:116]
	ds_read_b128 v[115:118], v114 offset:864
	ds_read_b128 v[119:122], v114 offset:880
	s_waitcnt vmcnt(8) lgkmcnt(1)
	v_fma_f64 v[114:115], v[131:132], v[115:116], v[123:124]
	s_waitcnt vmcnt(6)
	v_fma_f64 v[114:115], v[133:134], v[117:118], v[114:115]
	s_waitcnt vmcnt(4) lgkmcnt(0)
	v_fma_f64 v[114:115], v[135:136], v[119:120], v[114:115]
	s_waitcnt vmcnt(2)
	v_fma_f64 v[114:115], v[137:138], v[121:122], v[114:115]
	s_waitcnt vmcnt(0)
	v_add_f64 v[114:115], v[139:140], -v[114:115]
	buffer_store_dword v114, off, s[0:3], 0 offset:376
	buffer_store_dword v115, off, s[0:3], 0 offset:380
	v_cmpx_lt_u32_e32 46, v0
	s_cbranch_execz .LBB55_253
; %bb.252:
	s_clause 0x1
	buffer_load_dword v114, off, s[0:3], 0 offset:368
	buffer_load_dword v115, off, s[0:3], 0 offset:372
	v_mov_b32_e32 v116, 0
	buffer_store_dword v116, off, s[0:3], 0 offset:368
	buffer_store_dword v116, off, s[0:3], 0 offset:372
	s_waitcnt vmcnt(0)
	ds_write_b64 v113, v[114:115]
.LBB55_253:
	s_or_b32 exec_lo, exec_lo, s4
	s_waitcnt lgkmcnt(0)
	s_waitcnt_vscnt null, 0x0
	s_barrier
	buffer_gl0_inv
	s_clause 0x13
	buffer_load_dword v119, off, s[0:3], 0 offset:376
	buffer_load_dword v120, off, s[0:3], 0 offset:380
	buffer_load_dword v121, off, s[0:3], 0 offset:384
	buffer_load_dword v122, off, s[0:3], 0 offset:388
	buffer_load_dword v123, off, s[0:3], 0 offset:392
	buffer_load_dword v124, off, s[0:3], 0 offset:396
	buffer_load_dword v125, off, s[0:3], 0 offset:400
	buffer_load_dword v126, off, s[0:3], 0 offset:404
	buffer_load_dword v127, off, s[0:3], 0 offset:408
	buffer_load_dword v128, off, s[0:3], 0 offset:412
	buffer_load_dword v129, off, s[0:3], 0 offset:416
	buffer_load_dword v130, off, s[0:3], 0 offset:420
	buffer_load_dword v131, off, s[0:3], 0 offset:424
	buffer_load_dword v132, off, s[0:3], 0 offset:428
	buffer_load_dword v134, off, s[0:3], 0 offset:436
	buffer_load_dword v133, off, s[0:3], 0 offset:432
	buffer_load_dword v135, off, s[0:3], 0 offset:440
	buffer_load_dword v136, off, s[0:3], 0 offset:444
	buffer_load_dword v137, off, s[0:3], 0 offset:368
	buffer_load_dword v138, off, s[0:3], 0 offset:372
	v_mov_b32_e32 v114, 0
	s_mov_b32 s4, exec_lo
	ds_read2_b64 v[115:118], v114 offset0:103 offset1:104
	s_waitcnt vmcnt(18) lgkmcnt(0)
	v_fma_f64 v[115:116], v[119:120], v[115:116], 0
	s_waitcnt vmcnt(16)
	v_fma_f64 v[119:120], v[121:122], v[117:118], v[115:116]
	ds_read2_b64 v[115:118], v114 offset0:105 offset1:106
	s_waitcnt vmcnt(14) lgkmcnt(0)
	v_fma_f64 v[115:116], v[123:124], v[115:116], v[119:120]
	s_waitcnt vmcnt(12)
	v_fma_f64 v[119:120], v[125:126], v[117:118], v[115:116]
	;; [unrolled: 5-line block ×4, first 2 shown]
	ds_read_b64 v[117:118], v114 offset:888
	s_waitcnt vmcnt(2) lgkmcnt(0)
	v_fma_f64 v[115:116], v[135:136], v[117:118], v[115:116]
	s_waitcnt vmcnt(0)
	v_add_f64 v[115:116], v[137:138], -v[115:116]
	buffer_store_dword v115, off, s[0:3], 0 offset:368
	buffer_store_dword v116, off, s[0:3], 0 offset:372
	v_cmpx_lt_u32_e32 45, v0
	s_cbranch_execz .LBB55_255
; %bb.254:
	s_clause 0x1
	buffer_load_dword v115, off, s[0:3], 0 offset:360
	buffer_load_dword v116, off, s[0:3], 0 offset:364
	buffer_store_dword v114, off, s[0:3], 0 offset:360
	buffer_store_dword v114, off, s[0:3], 0 offset:364
	s_waitcnt vmcnt(0)
	ds_write_b64 v113, v[115:116]
.LBB55_255:
	s_or_b32 exec_lo, exec_lo, s4
	s_waitcnt lgkmcnt(0)
	s_waitcnt_vscnt null, 0x0
	s_barrier
	buffer_gl0_inv
	s_clause 0x15
	buffer_load_dword v119, off, s[0:3], 0 offset:368
	buffer_load_dword v120, off, s[0:3], 0 offset:372
	;; [unrolled: 1-line block ×22, first 2 shown]
	ds_read_b128 v[115:118], v114 offset:816
	s_mov_b32 s4, exec_lo
	s_waitcnt vmcnt(20) lgkmcnt(0)
	v_fma_f64 v[115:116], v[119:120], v[115:116], 0
	s_waitcnt vmcnt(18)
	v_fma_f64 v[119:120], v[121:122], v[117:118], v[115:116]
	ds_read_b128 v[115:118], v114 offset:832
	s_waitcnt vmcnt(16) lgkmcnt(0)
	v_fma_f64 v[115:116], v[123:124], v[115:116], v[119:120]
	s_waitcnt vmcnt(14)
	v_fma_f64 v[119:120], v[125:126], v[117:118], v[115:116]
	ds_read_b128 v[115:118], v114 offset:848
	;; [unrolled: 5-line block ×4, first 2 shown]
	s_waitcnt vmcnt(4) lgkmcnt(0)
	v_fma_f64 v[114:115], v[135:136], v[114:115], v[118:119]
	s_waitcnt vmcnt(2)
	v_fma_f64 v[114:115], v[137:138], v[116:117], v[114:115]
	s_waitcnt vmcnt(0)
	v_add_f64 v[114:115], v[139:140], -v[114:115]
	buffer_store_dword v114, off, s[0:3], 0 offset:360
	buffer_store_dword v115, off, s[0:3], 0 offset:364
	v_cmpx_lt_u32_e32 44, v0
	s_cbranch_execz .LBB55_257
; %bb.256:
	s_clause 0x1
	buffer_load_dword v114, off, s[0:3], 0 offset:352
	buffer_load_dword v115, off, s[0:3], 0 offset:356
	v_mov_b32_e32 v116, 0
	buffer_store_dword v116, off, s[0:3], 0 offset:352
	buffer_store_dword v116, off, s[0:3], 0 offset:356
	s_waitcnt vmcnt(0)
	ds_write_b64 v113, v[114:115]
.LBB55_257:
	s_or_b32 exec_lo, exec_lo, s4
	s_waitcnt lgkmcnt(0)
	s_waitcnt_vscnt null, 0x0
	s_barrier
	buffer_gl0_inv
	s_clause 0x17
	buffer_load_dword v119, off, s[0:3], 0 offset:360
	buffer_load_dword v120, off, s[0:3], 0 offset:364
	;; [unrolled: 1-line block ×24, first 2 shown]
	v_mov_b32_e32 v114, 0
	s_mov_b32 s4, exec_lo
	ds_read2_b64 v[115:118], v114 offset0:101 offset1:102
	s_waitcnt vmcnt(22) lgkmcnt(0)
	v_fma_f64 v[115:116], v[119:120], v[115:116], 0
	s_waitcnt vmcnt(20)
	v_fma_f64 v[119:120], v[121:122], v[117:118], v[115:116]
	ds_read2_b64 v[115:118], v114 offset0:103 offset1:104
	s_waitcnt vmcnt(18) lgkmcnt(0)
	v_fma_f64 v[115:116], v[123:124], v[115:116], v[119:120]
	s_waitcnt vmcnt(16)
	v_fma_f64 v[119:120], v[125:126], v[117:118], v[115:116]
	;; [unrolled: 5-line block ×5, first 2 shown]
	ds_read_b64 v[117:118], v114 offset:888
	s_waitcnt vmcnt(2) lgkmcnt(0)
	v_fma_f64 v[115:116], v[139:140], v[117:118], v[115:116]
	s_waitcnt vmcnt(0)
	v_add_f64 v[115:116], v[141:142], -v[115:116]
	buffer_store_dword v116, off, s[0:3], 0 offset:356
	buffer_store_dword v115, off, s[0:3], 0 offset:352
	v_cmpx_lt_u32_e32 43, v0
	s_cbranch_execz .LBB55_259
; %bb.258:
	s_clause 0x1
	buffer_load_dword v115, off, s[0:3], 0 offset:344
	buffer_load_dword v116, off, s[0:3], 0 offset:348
	buffer_store_dword v114, off, s[0:3], 0 offset:344
	buffer_store_dword v114, off, s[0:3], 0 offset:348
	s_waitcnt vmcnt(0)
	ds_write_b64 v113, v[115:116]
.LBB55_259:
	s_or_b32 exec_lo, exec_lo, s4
	s_waitcnt lgkmcnt(0)
	s_waitcnt_vscnt null, 0x0
	s_barrier
	buffer_gl0_inv
	s_clause 0x19
	buffer_load_dword v123, off, s[0:3], 0 offset:352
	buffer_load_dword v124, off, s[0:3], 0 offset:356
	;; [unrolled: 1-line block ×26, first 2 shown]
	ds_read_b128 v[115:118], v114 offset:800
	ds_read_b128 v[119:122], v114 offset:816
	s_mov_b32 s4, exec_lo
	s_waitcnt vmcnt(24) lgkmcnt(1)
	v_fma_f64 v[115:116], v[123:124], v[115:116], 0
	s_waitcnt vmcnt(22)
	v_fma_f64 v[115:116], v[125:126], v[117:118], v[115:116]
	s_waitcnt vmcnt(20) lgkmcnt(0)
	v_fma_f64 v[115:116], v[127:128], v[119:120], v[115:116]
	s_waitcnt vmcnt(18)
	v_fma_f64 v[123:124], v[129:130], v[121:122], v[115:116]
	ds_read_b128 v[115:118], v114 offset:832
	ds_read_b128 v[119:122], v114 offset:848
	s_waitcnt vmcnt(16) lgkmcnt(1)
	v_fma_f64 v[115:116], v[131:132], v[115:116], v[123:124]
	s_waitcnt vmcnt(14)
	v_fma_f64 v[115:116], v[133:134], v[117:118], v[115:116]
	s_waitcnt vmcnt(12) lgkmcnt(0)
	v_fma_f64 v[115:116], v[135:136], v[119:120], v[115:116]
	s_waitcnt vmcnt(7)
	v_fma_f64 v[123:124], v[137:138], v[121:122], v[115:116]
	ds_read_b128 v[115:118], v114 offset:864
	ds_read_b128 v[119:122], v114 offset:880
	s_waitcnt vmcnt(6) lgkmcnt(1)
	v_fma_f64 v[114:115], v[143:144], v[115:116], v[123:124]
	s_waitcnt vmcnt(5)
	v_fma_f64 v[114:115], v[141:142], v[117:118], v[114:115]
	s_waitcnt vmcnt(4) lgkmcnt(0)
	v_fma_f64 v[114:115], v[139:140], v[119:120], v[114:115]
	s_waitcnt vmcnt(2)
	v_fma_f64 v[114:115], v[145:146], v[121:122], v[114:115]
	s_waitcnt vmcnt(0)
	v_add_f64 v[114:115], v[147:148], -v[114:115]
	buffer_store_dword v115, off, s[0:3], 0 offset:348
	buffer_store_dword v114, off, s[0:3], 0 offset:344
	v_cmpx_lt_u32_e32 42, v0
	s_cbranch_execz .LBB55_261
; %bb.260:
	s_clause 0x1
	buffer_load_dword v114, off, s[0:3], 0 offset:336
	buffer_load_dword v115, off, s[0:3], 0 offset:340
	v_mov_b32_e32 v116, 0
	buffer_store_dword v116, off, s[0:3], 0 offset:336
	buffer_store_dword v116, off, s[0:3], 0 offset:340
	s_waitcnt vmcnt(0)
	ds_write_b64 v113, v[114:115]
.LBB55_261:
	s_or_b32 exec_lo, exec_lo, s4
	s_waitcnt lgkmcnt(0)
	s_waitcnt_vscnt null, 0x0
	s_barrier
	buffer_gl0_inv
	s_clause 0x1b
	buffer_load_dword v123, off, s[0:3], 0 offset:344
	buffer_load_dword v124, off, s[0:3], 0 offset:348
	;; [unrolled: 1-line block ×28, first 2 shown]
	v_mov_b32_e32 v114, 0
	ds_read2_b64 v[115:118], v114 offset0:99 offset1:100
	ds_read2_b64 v[119:122], v114 offset0:101 offset1:102
	s_mov_b32 s4, exec_lo
	s_waitcnt vmcnt(26) lgkmcnt(1)
	v_fma_f64 v[115:116], v[123:124], v[115:116], 0
	s_waitcnt vmcnt(24)
	v_fma_f64 v[115:116], v[125:126], v[117:118], v[115:116]
	s_waitcnt vmcnt(22) lgkmcnt(0)
	v_fma_f64 v[115:116], v[127:128], v[119:120], v[115:116]
	s_waitcnt vmcnt(20)
	v_fma_f64 v[123:124], v[129:130], v[121:122], v[115:116]
	ds_read2_b64 v[115:118], v114 offset0:103 offset1:104
	ds_read2_b64 v[119:122], v114 offset0:105 offset1:106
	s_waitcnt vmcnt(18) lgkmcnt(1)
	v_fma_f64 v[115:116], v[131:132], v[115:116], v[123:124]
	s_waitcnt vmcnt(16)
	v_fma_f64 v[115:116], v[133:134], v[117:118], v[115:116]
	s_waitcnt vmcnt(14) lgkmcnt(0)
	v_fma_f64 v[115:116], v[135:136], v[119:120], v[115:116]
	s_waitcnt vmcnt(9)
	v_fma_f64 v[123:124], v[137:138], v[121:122], v[115:116]
	ds_read2_b64 v[115:118], v114 offset0:107 offset1:108
	ds_read2_b64 v[119:122], v114 offset0:109 offset1:110
	s_waitcnt vmcnt(8) lgkmcnt(1)
	v_fma_f64 v[115:116], v[143:144], v[115:116], v[123:124]
	s_waitcnt vmcnt(7)
	v_fma_f64 v[115:116], v[141:142], v[117:118], v[115:116]
	ds_read_b64 v[117:118], v114 offset:888
	s_waitcnt vmcnt(6) lgkmcnt(1)
	v_fma_f64 v[115:116], v[139:140], v[119:120], v[115:116]
	s_waitcnt vmcnt(3)
	v_fma_f64 v[115:116], v[145:146], v[121:122], v[115:116]
	s_waitcnt vmcnt(2) lgkmcnt(0)
	v_fma_f64 v[115:116], v[147:148], v[117:118], v[115:116]
	s_waitcnt vmcnt(0)
	v_add_f64 v[115:116], v[149:150], -v[115:116]
	buffer_store_dword v116, off, s[0:3], 0 offset:340
	buffer_store_dword v115, off, s[0:3], 0 offset:336
	v_cmpx_lt_u32_e32 41, v0
	s_cbranch_execz .LBB55_263
; %bb.262:
	s_clause 0x1
	buffer_load_dword v115, off, s[0:3], 0 offset:328
	buffer_load_dword v116, off, s[0:3], 0 offset:332
	buffer_store_dword v114, off, s[0:3], 0 offset:328
	buffer_store_dword v114, off, s[0:3], 0 offset:332
	s_waitcnt vmcnt(0)
	ds_write_b64 v113, v[115:116]
.LBB55_263:
	s_or_b32 exec_lo, exec_lo, s4
	s_waitcnt lgkmcnt(0)
	s_waitcnt_vscnt null, 0x0
	s_barrier
	buffer_gl0_inv
	s_clause 0x1b
	buffer_load_dword v123, off, s[0:3], 0 offset:336
	buffer_load_dword v124, off, s[0:3], 0 offset:340
	;; [unrolled: 1-line block ×28, first 2 shown]
	ds_read_b128 v[115:118], v114 offset:784
	s_clause 0x1
	buffer_load_dword v151, off, s[0:3], 0 offset:328
	buffer_load_dword v152, off, s[0:3], 0 offset:332
	ds_read_b128 v[119:122], v114 offset:800
	s_mov_b32 s4, exec_lo
	s_waitcnt vmcnt(28) lgkmcnt(1)
	v_fma_f64 v[115:116], v[123:124], v[115:116], 0
	s_waitcnt vmcnt(26)
	v_fma_f64 v[115:116], v[125:126], v[117:118], v[115:116]
	s_waitcnt vmcnt(24) lgkmcnt(0)
	v_fma_f64 v[115:116], v[127:128], v[119:120], v[115:116]
	s_waitcnt vmcnt(22)
	v_fma_f64 v[123:124], v[129:130], v[121:122], v[115:116]
	ds_read_b128 v[115:118], v114 offset:816
	ds_read_b128 v[119:122], v114 offset:832
	s_waitcnt vmcnt(20) lgkmcnt(1)
	v_fma_f64 v[115:116], v[131:132], v[115:116], v[123:124]
	s_waitcnt vmcnt(18)
	v_fma_f64 v[115:116], v[133:134], v[117:118], v[115:116]
	s_waitcnt vmcnt(16) lgkmcnt(0)
	v_fma_f64 v[115:116], v[135:136], v[119:120], v[115:116]
	s_waitcnt vmcnt(11)
	v_fma_f64 v[123:124], v[137:138], v[121:122], v[115:116]
	ds_read_b128 v[115:118], v114 offset:848
	ds_read_b128 v[119:122], v114 offset:864
	s_waitcnt vmcnt(10) lgkmcnt(1)
	v_fma_f64 v[115:116], v[143:144], v[115:116], v[123:124]
	s_waitcnt vmcnt(9)
	v_fma_f64 v[115:116], v[141:142], v[117:118], v[115:116]
	s_waitcnt vmcnt(8) lgkmcnt(0)
	v_fma_f64 v[115:116], v[139:140], v[119:120], v[115:116]
	s_waitcnt vmcnt(4)
	v_fma_f64 v[118:119], v[145:146], v[121:122], v[115:116]
	ds_read_b128 v[114:117], v114 offset:880
	s_waitcnt vmcnt(3) lgkmcnt(0)
	v_fma_f64 v[114:115], v[149:150], v[114:115], v[118:119]
	s_waitcnt vmcnt(2)
	v_fma_f64 v[114:115], v[147:148], v[116:117], v[114:115]
	s_waitcnt vmcnt(0)
	v_add_f64 v[114:115], v[151:152], -v[114:115]
	buffer_store_dword v115, off, s[0:3], 0 offset:332
	buffer_store_dword v114, off, s[0:3], 0 offset:328
	v_cmpx_lt_u32_e32 40, v0
	s_cbranch_execz .LBB55_265
; %bb.264:
	s_clause 0x1
	buffer_load_dword v114, off, s[0:3], 0 offset:320
	buffer_load_dword v115, off, s[0:3], 0 offset:324
	v_mov_b32_e32 v116, 0
	buffer_store_dword v116, off, s[0:3], 0 offset:320
	buffer_store_dword v116, off, s[0:3], 0 offset:324
	s_waitcnt vmcnt(0)
	ds_write_b64 v113, v[114:115]
.LBB55_265:
	s_or_b32 exec_lo, exec_lo, s4
	s_waitcnt lgkmcnt(0)
	s_waitcnt_vscnt null, 0x0
	s_barrier
	buffer_gl0_inv
	s_clause 0x1c
	buffer_load_dword v123, off, s[0:3], 0 offset:328
	buffer_load_dword v124, off, s[0:3], 0 offset:332
	;; [unrolled: 1-line block ×29, first 2 shown]
	v_mov_b32_e32 v114, 0
	buffer_load_dword v148, off, s[0:3], 0 offset:444
	s_mov_b32 s4, exec_lo
	ds_read2_b64 v[115:118], v114 offset0:97 offset1:98
	ds_read2_b64 v[119:122], v114 offset0:99 offset1:100
	s_waitcnt vmcnt(28) lgkmcnt(1)
	v_fma_f64 v[115:116], v[123:124], v[115:116], 0
	s_clause 0x1
	buffer_load_dword v123, off, s[0:3], 0 offset:320
	buffer_load_dword v124, off, s[0:3], 0 offset:324
	s_waitcnt vmcnt(28)
	v_fma_f64 v[115:116], v[125:126], v[117:118], v[115:116]
	s_waitcnt vmcnt(26) lgkmcnt(0)
	v_fma_f64 v[115:116], v[127:128], v[119:120], v[115:116]
	s_waitcnt vmcnt(24)
	v_fma_f64 v[125:126], v[129:130], v[121:122], v[115:116]
	ds_read2_b64 v[115:118], v114 offset0:101 offset1:102
	ds_read2_b64 v[119:122], v114 offset0:103 offset1:104
	s_waitcnt vmcnt(22) lgkmcnt(1)
	v_fma_f64 v[115:116], v[131:132], v[115:116], v[125:126]
	s_waitcnt vmcnt(20)
	v_fma_f64 v[115:116], v[133:134], v[117:118], v[115:116]
	s_waitcnt vmcnt(18) lgkmcnt(0)
	v_fma_f64 v[115:116], v[135:136], v[119:120], v[115:116]
	s_waitcnt vmcnt(13)
	v_fma_f64 v[125:126], v[137:138], v[121:122], v[115:116]
	ds_read2_b64 v[115:118], v114 offset0:105 offset1:106
	ds_read2_b64 v[119:122], v114 offset0:107 offset1:108
	s_waitcnt vmcnt(12) lgkmcnt(1)
	v_fma_f64 v[115:116], v[143:144], v[115:116], v[125:126]
	s_waitcnt vmcnt(11)
	v_fma_f64 v[115:116], v[141:142], v[117:118], v[115:116]
	s_waitcnt vmcnt(10) lgkmcnt(0)
	v_fma_f64 v[115:116], v[139:140], v[119:120], v[115:116]
	s_waitcnt vmcnt(5)
	v_fma_f64 v[119:120], v[145:146], v[121:122], v[115:116]
	ds_read2_b64 v[115:118], v114 offset0:109 offset1:110
	ds_read_b64 v[121:122], v114 offset:888
	s_waitcnt vmcnt(4) lgkmcnt(1)
	v_fma_f64 v[115:116], v[151:152], v[115:116], v[119:120]
	s_waitcnt vmcnt(3)
	v_fma_f64 v[115:116], v[149:150], v[117:118], v[115:116]
	s_waitcnt vmcnt(2) lgkmcnt(0)
	v_fma_f64 v[115:116], v[147:148], v[121:122], v[115:116]
	s_waitcnt vmcnt(0)
	v_add_f64 v[115:116], v[123:124], -v[115:116]
	buffer_store_dword v116, off, s[0:3], 0 offset:324
	buffer_store_dword v115, off, s[0:3], 0 offset:320
	v_cmpx_lt_u32_e32 39, v0
	s_cbranch_execz .LBB55_267
; %bb.266:
	s_clause 0x1
	buffer_load_dword v115, off, s[0:3], 0 offset:312
	buffer_load_dword v116, off, s[0:3], 0 offset:316
	buffer_store_dword v114, off, s[0:3], 0 offset:312
	buffer_store_dword v114, off, s[0:3], 0 offset:316
	s_waitcnt vmcnt(0)
	ds_write_b64 v113, v[115:116]
.LBB55_267:
	s_or_b32 exec_lo, exec_lo, s4
	s_waitcnt lgkmcnt(0)
	s_waitcnt_vscnt null, 0x0
	s_barrier
	buffer_gl0_inv
	s_clause 0x1c
	buffer_load_dword v123, off, s[0:3], 0 offset:320
	buffer_load_dword v124, off, s[0:3], 0 offset:324
	buffer_load_dword v125, off, s[0:3], 0 offset:328
	buffer_load_dword v126, off, s[0:3], 0 offset:332
	buffer_load_dword v127, off, s[0:3], 0 offset:336
	buffer_load_dword v128, off, s[0:3], 0 offset:340
	buffer_load_dword v129, off, s[0:3], 0 offset:344
	buffer_load_dword v130, off, s[0:3], 0 offset:348
	buffer_load_dword v131, off, s[0:3], 0 offset:352
	buffer_load_dword v132, off, s[0:3], 0 offset:356
	buffer_load_dword v133, off, s[0:3], 0 offset:360
	buffer_load_dword v134, off, s[0:3], 0 offset:364
	buffer_load_dword v135, off, s[0:3], 0 offset:368
	buffer_load_dword v136, off, s[0:3], 0 offset:372
	buffer_load_dword v138, off, s[0:3], 0 offset:380
	buffer_load_dword v139, off, s[0:3], 0 offset:400
	buffer_load_dword v141, off, s[0:3], 0 offset:392
	buffer_load_dword v143, off, s[0:3], 0 offset:384
	buffer_load_dword v137, off, s[0:3], 0 offset:376
	buffer_load_dword v144, off, s[0:3], 0 offset:388
	buffer_load_dword v142, off, s[0:3], 0 offset:396
	buffer_load_dword v140, off, s[0:3], 0 offset:404
	buffer_load_dword v146, off, s[0:3], 0 offset:412
	buffer_load_dword v147, off, s[0:3], 0 offset:432
	buffer_load_dword v149, off, s[0:3], 0 offset:424
	buffer_load_dword v151, off, s[0:3], 0 offset:416
	buffer_load_dword v145, off, s[0:3], 0 offset:408
	buffer_load_dword v152, off, s[0:3], 0 offset:420
	buffer_load_dword v150, off, s[0:3], 0 offset:428
	ds_read_b128 v[115:118], v114 offset:768
	ds_read_b128 v[119:122], v114 offset:784
	buffer_load_dword v148, off, s[0:3], 0 offset:436
	s_mov_b32 s4, exec_lo
	s_waitcnt vmcnt(28) lgkmcnt(1)
	v_fma_f64 v[115:116], v[123:124], v[115:116], 0
	s_clause 0x1
	buffer_load_dword v124, off, s[0:3], 0 offset:444
	buffer_load_dword v123, off, s[0:3], 0 offset:440
	s_waitcnt vmcnt(28)
	v_fma_f64 v[115:116], v[125:126], v[117:118], v[115:116]
	s_clause 0x1
	buffer_load_dword v125, off, s[0:3], 0 offset:312
	buffer_load_dword v126, off, s[0:3], 0 offset:316
	s_waitcnt vmcnt(28) lgkmcnt(0)
	v_fma_f64 v[115:116], v[127:128], v[119:120], v[115:116]
	s_waitcnt vmcnt(26)
	v_fma_f64 v[127:128], v[129:130], v[121:122], v[115:116]
	ds_read_b128 v[115:118], v114 offset:800
	ds_read_b128 v[119:122], v114 offset:816
	s_waitcnt vmcnt(24) lgkmcnt(1)
	v_fma_f64 v[115:116], v[131:132], v[115:116], v[127:128]
	s_waitcnt vmcnt(22)
	v_fma_f64 v[115:116], v[133:134], v[117:118], v[115:116]
	s_waitcnt vmcnt(20) lgkmcnt(0)
	v_fma_f64 v[115:116], v[135:136], v[119:120], v[115:116]
	s_waitcnt vmcnt(15)
	v_fma_f64 v[127:128], v[137:138], v[121:122], v[115:116]
	ds_read_b128 v[115:118], v114 offset:832
	ds_read_b128 v[119:122], v114 offset:848
	s_waitcnt vmcnt(14) lgkmcnt(1)
	v_fma_f64 v[115:116], v[143:144], v[115:116], v[127:128]
	s_waitcnt vmcnt(13)
	v_fma_f64 v[115:116], v[141:142], v[117:118], v[115:116]
	;; [unrolled: 10-line block ×3, first 2 shown]
	s_waitcnt vmcnt(4) lgkmcnt(0)
	v_fma_f64 v[114:115], v[147:148], v[119:120], v[114:115]
	s_waitcnt vmcnt(2)
	v_fma_f64 v[114:115], v[123:124], v[121:122], v[114:115]
	s_waitcnt vmcnt(0)
	v_add_f64 v[114:115], v[125:126], -v[114:115]
	buffer_store_dword v115, off, s[0:3], 0 offset:316
	buffer_store_dword v114, off, s[0:3], 0 offset:312
	v_cmpx_lt_u32_e32 38, v0
	s_cbranch_execz .LBB55_269
; %bb.268:
	s_clause 0x1
	buffer_load_dword v114, off, s[0:3], 0 offset:304
	buffer_load_dword v115, off, s[0:3], 0 offset:308
	v_mov_b32_e32 v116, 0
	buffer_store_dword v116, off, s[0:3], 0 offset:304
	buffer_store_dword v116, off, s[0:3], 0 offset:308
	s_waitcnt vmcnt(0)
	ds_write_b64 v113, v[114:115]
.LBB55_269:
	s_or_b32 exec_lo, exec_lo, s4
	s_waitcnt lgkmcnt(0)
	s_waitcnt_vscnt null, 0x0
	s_barrier
	buffer_gl0_inv
	s_clause 0x1c
	buffer_load_dword v123, off, s[0:3], 0 offset:312
	buffer_load_dword v124, off, s[0:3], 0 offset:316
	;; [unrolled: 1-line block ×29, first 2 shown]
	v_mov_b32_e32 v114, 0
	buffer_load_dword v148, off, s[0:3], 0 offset:428
	s_mov_b32 s4, exec_lo
	ds_read2_b64 v[115:118], v114 offset0:95 offset1:96
	ds_read2_b64 v[119:122], v114 offset0:97 offset1:98
	s_waitcnt vmcnt(28) lgkmcnt(1)
	v_fma_f64 v[115:116], v[123:124], v[115:116], 0
	s_clause 0x3
	buffer_load_dword v124, off, s[0:3], 0 offset:436
	buffer_load_dword v153, off, s[0:3], 0 offset:440
	;; [unrolled: 1-line block ×4, first 2 shown]
	s_waitcnt vmcnt(30)
	v_fma_f64 v[115:116], v[125:126], v[117:118], v[115:116]
	s_clause 0x1
	buffer_load_dword v125, off, s[0:3], 0 offset:304
	buffer_load_dword v126, off, s[0:3], 0 offset:308
	s_waitcnt vmcnt(30) lgkmcnt(0)
	v_fma_f64 v[115:116], v[127:128], v[119:120], v[115:116]
	s_waitcnt vmcnt(28)
	v_fma_f64 v[127:128], v[129:130], v[121:122], v[115:116]
	ds_read2_b64 v[115:118], v114 offset0:99 offset1:100
	ds_read2_b64 v[119:122], v114 offset0:101 offset1:102
	s_waitcnt vmcnt(26) lgkmcnt(1)
	v_fma_f64 v[115:116], v[131:132], v[115:116], v[127:128]
	s_waitcnt vmcnt(24)
	v_fma_f64 v[115:116], v[133:134], v[117:118], v[115:116]
	s_waitcnt vmcnt(22) lgkmcnt(0)
	v_fma_f64 v[115:116], v[135:136], v[119:120], v[115:116]
	s_waitcnt vmcnt(17)
	v_fma_f64 v[127:128], v[137:138], v[121:122], v[115:116]
	ds_read2_b64 v[115:118], v114 offset0:103 offset1:104
	ds_read2_b64 v[119:122], v114 offset0:105 offset1:106
	s_waitcnt vmcnt(16) lgkmcnt(1)
	v_fma_f64 v[115:116], v[143:144], v[115:116], v[127:128]
	s_waitcnt vmcnt(15)
	v_fma_f64 v[115:116], v[141:142], v[117:118], v[115:116]
	;; [unrolled: 10-line block ×3, first 2 shown]
	ds_read_b64 v[117:118], v114 offset:888
	s_waitcnt vmcnt(6) lgkmcnt(1)
	v_fma_f64 v[115:116], v[147:148], v[119:120], v[115:116]
	s_waitcnt vmcnt(3)
	v_fma_f64 v[115:116], v[123:124], v[121:122], v[115:116]
	s_waitcnt vmcnt(2) lgkmcnt(0)
	v_fma_f64 v[115:116], v[153:154], v[117:118], v[115:116]
	s_waitcnt vmcnt(0)
	v_add_f64 v[115:116], v[125:126], -v[115:116]
	buffer_store_dword v116, off, s[0:3], 0 offset:308
	buffer_store_dword v115, off, s[0:3], 0 offset:304
	v_cmpx_lt_u32_e32 37, v0
	s_cbranch_execz .LBB55_271
; %bb.270:
	s_clause 0x1
	buffer_load_dword v115, off, s[0:3], 0 offset:296
	buffer_load_dword v116, off, s[0:3], 0 offset:300
	buffer_store_dword v114, off, s[0:3], 0 offset:296
	buffer_store_dword v114, off, s[0:3], 0 offset:300
	s_waitcnt vmcnt(0)
	ds_write_b64 v113, v[115:116]
.LBB55_271:
	s_or_b32 exec_lo, exec_lo, s4
	s_waitcnt lgkmcnt(0)
	s_waitcnt_vscnt null, 0x0
	s_barrier
	buffer_gl0_inv
	s_clause 0x1c
	buffer_load_dword v123, off, s[0:3], 0 offset:304
	buffer_load_dword v124, off, s[0:3], 0 offset:308
	;; [unrolled: 1-line block ×29, first 2 shown]
	ds_read_b128 v[115:118], v114 offset:752
	ds_read_b128 v[119:122], v114 offset:768
	buffer_load_dword v148, off, s[0:3], 0 offset:420
	s_mov_b32 s4, exec_lo
	s_waitcnt vmcnt(28) lgkmcnt(1)
	v_fma_f64 v[115:116], v[123:124], v[115:116], 0
	s_clause 0x5
	buffer_load_dword v124, off, s[0:3], 0 offset:428
	buffer_load_dword v153, off, s[0:3], 0 offset:440
	;; [unrolled: 1-line block ×6, first 2 shown]
	s_waitcnt vmcnt(32)
	v_fma_f64 v[115:116], v[125:126], v[117:118], v[115:116]
	s_waitcnt vmcnt(30) lgkmcnt(0)
	v_fma_f64 v[115:116], v[127:128], v[119:120], v[115:116]
	s_waitcnt vmcnt(28)
	v_fma_f64 v[125:126], v[129:130], v[121:122], v[115:116]
	ds_read_b128 v[115:118], v114 offset:784
	s_clause 0x1
	buffer_load_dword v127, off, s[0:3], 0 offset:296
	buffer_load_dword v128, off, s[0:3], 0 offset:300
	ds_read_b128 v[119:122], v114 offset:800
	s_waitcnt vmcnt(28) lgkmcnt(1)
	v_fma_f64 v[115:116], v[131:132], v[115:116], v[125:126]
	s_waitcnt vmcnt(26)
	v_fma_f64 v[115:116], v[133:134], v[117:118], v[115:116]
	s_waitcnt vmcnt(24) lgkmcnt(0)
	v_fma_f64 v[115:116], v[135:136], v[119:120], v[115:116]
	s_waitcnt vmcnt(19)
	v_fma_f64 v[125:126], v[137:138], v[121:122], v[115:116]
	ds_read_b128 v[115:118], v114 offset:816
	ds_read_b128 v[119:122], v114 offset:832
	s_waitcnt vmcnt(18) lgkmcnt(1)
	v_fma_f64 v[115:116], v[143:144], v[115:116], v[125:126]
	s_waitcnt vmcnt(17)
	v_fma_f64 v[115:116], v[141:142], v[117:118], v[115:116]
	s_waitcnt vmcnt(16) lgkmcnt(0)
	v_fma_f64 v[115:116], v[139:140], v[119:120], v[115:116]
	s_waitcnt vmcnt(11)
	v_fma_f64 v[125:126], v[145:146], v[121:122], v[115:116]
	ds_read_b128 v[115:118], v114 offset:848
	;; [unrolled: 10-line block ×3, first 2 shown]
	s_waitcnt vmcnt(3) lgkmcnt(0)
	v_fma_f64 v[114:115], v[155:156], v[114:115], v[118:119]
	s_waitcnt vmcnt(2)
	v_fma_f64 v[114:115], v[153:154], v[116:117], v[114:115]
	s_waitcnt vmcnt(0)
	v_add_f64 v[114:115], v[127:128], -v[114:115]
	buffer_store_dword v115, off, s[0:3], 0 offset:300
	buffer_store_dword v114, off, s[0:3], 0 offset:296
	v_cmpx_lt_u32_e32 36, v0
	s_cbranch_execz .LBB55_273
; %bb.272:
	s_clause 0x1
	buffer_load_dword v114, off, s[0:3], 0 offset:288
	buffer_load_dword v115, off, s[0:3], 0 offset:292
	v_mov_b32_e32 v116, 0
	buffer_store_dword v116, off, s[0:3], 0 offset:288
	buffer_store_dword v116, off, s[0:3], 0 offset:292
	s_waitcnt vmcnt(0)
	ds_write_b64 v113, v[114:115]
.LBB55_273:
	s_or_b32 exec_lo, exec_lo, s4
	s_waitcnt lgkmcnt(0)
	s_waitcnt_vscnt null, 0x0
	s_barrier
	buffer_gl0_inv
	s_clause 0x1c
	buffer_load_dword v123, off, s[0:3], 0 offset:296
	buffer_load_dword v124, off, s[0:3], 0 offset:300
	;; [unrolled: 1-line block ×29, first 2 shown]
	v_mov_b32_e32 v114, 0
	buffer_load_dword v148, off, s[0:3], 0 offset:412
	s_mov_b32 s4, exec_lo
	ds_read2_b64 v[115:118], v114 offset0:93 offset1:94
	ds_read2_b64 v[119:122], v114 offset0:95 offset1:96
	s_waitcnt vmcnt(28) lgkmcnt(1)
	v_fma_f64 v[115:116], v[123:124], v[115:116], 0
	s_clause 0x7
	buffer_load_dword v124, off, s[0:3], 0 offset:420
	buffer_load_dword v153, off, s[0:3], 0 offset:440
	;; [unrolled: 1-line block ×8, first 2 shown]
	s_waitcnt vmcnt(34)
	v_fma_f64 v[115:116], v[125:126], v[117:118], v[115:116]
	s_waitcnt vmcnt(32) lgkmcnt(0)
	v_fma_f64 v[115:116], v[127:128], v[119:120], v[115:116]
	s_waitcnt vmcnt(30)
	v_fma_f64 v[125:126], v[129:130], v[121:122], v[115:116]
	ds_read2_b64 v[115:118], v114 offset0:97 offset1:98
	ds_read2_b64 v[119:122], v114 offset0:99 offset1:100
	s_waitcnt vmcnt(28) lgkmcnt(1)
	v_fma_f64 v[115:116], v[131:132], v[115:116], v[125:126]
	s_clause 0x1
	buffer_load_dword v125, off, s[0:3], 0 offset:288
	buffer_load_dword v126, off, s[0:3], 0 offset:292
	s_waitcnt vmcnt(28)
	v_fma_f64 v[115:116], v[133:134], v[117:118], v[115:116]
	s_waitcnt vmcnt(26) lgkmcnt(0)
	v_fma_f64 v[115:116], v[135:136], v[119:120], v[115:116]
	s_waitcnt vmcnt(21)
	v_fma_f64 v[127:128], v[137:138], v[121:122], v[115:116]
	ds_read2_b64 v[115:118], v114 offset0:101 offset1:102
	ds_read2_b64 v[119:122], v114 offset0:103 offset1:104
	s_waitcnt vmcnt(20) lgkmcnt(1)
	v_fma_f64 v[115:116], v[143:144], v[115:116], v[127:128]
	s_waitcnt vmcnt(19)
	v_fma_f64 v[115:116], v[141:142], v[117:118], v[115:116]
	s_waitcnt vmcnt(18) lgkmcnt(0)
	v_fma_f64 v[115:116], v[139:140], v[119:120], v[115:116]
	s_waitcnt vmcnt(13)
	v_fma_f64 v[127:128], v[145:146], v[121:122], v[115:116]
	ds_read2_b64 v[115:118], v114 offset0:105 offset1:106
	ds_read2_b64 v[119:122], v114 offset0:107 offset1:108
	s_waitcnt vmcnt(12) lgkmcnt(1)
	v_fma_f64 v[115:116], v[151:152], v[115:116], v[127:128]
	s_waitcnt vmcnt(11)
	v_fma_f64 v[115:116], v[149:150], v[117:118], v[115:116]
	s_waitcnt vmcnt(10) lgkmcnt(0)
	v_fma_f64 v[115:116], v[147:148], v[119:120], v[115:116]
	s_waitcnt vmcnt(5)
	v_fma_f64 v[119:120], v[123:124], v[121:122], v[115:116]
	ds_read2_b64 v[115:118], v114 offset0:109 offset1:110
	ds_read_b64 v[121:122], v114 offset:888
	s_waitcnt vmcnt(4) lgkmcnt(1)
	v_fma_f64 v[115:116], v[157:158], v[115:116], v[119:120]
	s_waitcnt vmcnt(3)
	v_fma_f64 v[115:116], v[155:156], v[117:118], v[115:116]
	s_waitcnt vmcnt(2) lgkmcnt(0)
	v_fma_f64 v[115:116], v[153:154], v[121:122], v[115:116]
	s_waitcnt vmcnt(0)
	v_add_f64 v[115:116], v[125:126], -v[115:116]
	buffer_store_dword v116, off, s[0:3], 0 offset:292
	buffer_store_dword v115, off, s[0:3], 0 offset:288
	v_cmpx_lt_u32_e32 35, v0
	s_cbranch_execz .LBB55_275
; %bb.274:
	s_clause 0x1
	buffer_load_dword v115, off, s[0:3], 0 offset:280
	buffer_load_dword v116, off, s[0:3], 0 offset:284
	buffer_store_dword v114, off, s[0:3], 0 offset:280
	buffer_store_dword v114, off, s[0:3], 0 offset:284
	s_waitcnt vmcnt(0)
	ds_write_b64 v113, v[115:116]
.LBB55_275:
	s_or_b32 exec_lo, exec_lo, s4
	s_waitcnt lgkmcnt(0)
	s_waitcnt_vscnt null, 0x0
	s_barrier
	buffer_gl0_inv
	s_clause 0x1c
	buffer_load_dword v123, off, s[0:3], 0 offset:288
	buffer_load_dword v124, off, s[0:3], 0 offset:292
	;; [unrolled: 1-line block ×29, first 2 shown]
	ds_read_b128 v[115:118], v114 offset:736
	ds_read_b128 v[119:122], v114 offset:752
	buffer_load_dword v148, off, s[0:3], 0 offset:404
	s_mov_b32 s4, exec_lo
	s_waitcnt vmcnt(28) lgkmcnt(1)
	v_fma_f64 v[115:116], v[123:124], v[115:116], 0
	s_clause 0x7
	buffer_load_dword v124, off, s[0:3], 0 offset:412
	buffer_load_dword v153, off, s[0:3], 0 offset:432
	;; [unrolled: 1-line block ×8, first 2 shown]
	s_waitcnt vmcnt(34)
	v_fma_f64 v[115:116], v[125:126], v[117:118], v[115:116]
	s_waitcnt vmcnt(32) lgkmcnt(0)
	v_fma_f64 v[115:116], v[127:128], v[119:120], v[115:116]
	s_waitcnt vmcnt(30)
	v_fma_f64 v[125:126], v[129:130], v[121:122], v[115:116]
	ds_read_b128 v[115:118], v114 offset:768
	ds_read_b128 v[119:122], v114 offset:784
	s_waitcnt vmcnt(28) lgkmcnt(1)
	v_fma_f64 v[115:116], v[131:132], v[115:116], v[125:126]
	s_clause 0x3
	buffer_load_dword v126, off, s[0:3], 0 offset:444
	buffer_load_dword v125, off, s[0:3], 0 offset:440
	;; [unrolled: 1-line block ×4, first 2 shown]
	s_waitcnt vmcnt(30)
	v_fma_f64 v[115:116], v[133:134], v[117:118], v[115:116]
	s_waitcnt vmcnt(28) lgkmcnt(0)
	v_fma_f64 v[115:116], v[135:136], v[119:120], v[115:116]
	s_waitcnt vmcnt(23)
	v_fma_f64 v[129:130], v[137:138], v[121:122], v[115:116]
	ds_read_b128 v[115:118], v114 offset:800
	ds_read_b128 v[119:122], v114 offset:816
	s_waitcnt vmcnt(22) lgkmcnt(1)
	v_fma_f64 v[115:116], v[143:144], v[115:116], v[129:130]
	s_waitcnt vmcnt(21)
	v_fma_f64 v[115:116], v[141:142], v[117:118], v[115:116]
	s_waitcnt vmcnt(20) lgkmcnt(0)
	v_fma_f64 v[115:116], v[139:140], v[119:120], v[115:116]
	s_waitcnt vmcnt(15)
	v_fma_f64 v[129:130], v[145:146], v[121:122], v[115:116]
	ds_read_b128 v[115:118], v114 offset:832
	ds_read_b128 v[119:122], v114 offset:848
	s_waitcnt vmcnt(14) lgkmcnt(1)
	v_fma_f64 v[115:116], v[151:152], v[115:116], v[129:130]
	;; [unrolled: 10-line block ×3, first 2 shown]
	s_waitcnt vmcnt(5)
	v_fma_f64 v[114:115], v[155:156], v[117:118], v[114:115]
	s_waitcnt vmcnt(4) lgkmcnt(0)
	v_fma_f64 v[114:115], v[153:154], v[119:120], v[114:115]
	s_waitcnt vmcnt(2)
	v_fma_f64 v[114:115], v[125:126], v[121:122], v[114:115]
	s_waitcnt vmcnt(0)
	v_add_f64 v[114:115], v[127:128], -v[114:115]
	buffer_store_dword v115, off, s[0:3], 0 offset:284
	buffer_store_dword v114, off, s[0:3], 0 offset:280
	v_cmpx_lt_u32_e32 34, v0
	s_cbranch_execz .LBB55_277
; %bb.276:
	s_clause 0x1
	buffer_load_dword v114, off, s[0:3], 0 offset:272
	buffer_load_dword v115, off, s[0:3], 0 offset:276
	v_mov_b32_e32 v116, 0
	buffer_store_dword v116, off, s[0:3], 0 offset:272
	buffer_store_dword v116, off, s[0:3], 0 offset:276
	s_waitcnt vmcnt(0)
	ds_write_b64 v113, v[114:115]
.LBB55_277:
	s_or_b32 exec_lo, exec_lo, s4
	s_waitcnt lgkmcnt(0)
	s_waitcnt_vscnt null, 0x0
	s_barrier
	buffer_gl0_inv
	s_clause 0x1c
	buffer_load_dword v123, off, s[0:3], 0 offset:280
	buffer_load_dword v124, off, s[0:3], 0 offset:284
	;; [unrolled: 1-line block ×29, first 2 shown]
	v_mov_b32_e32 v114, 0
	buffer_load_dword v148, off, s[0:3], 0 offset:396
	s_mov_b32 s4, exec_lo
	ds_read2_b64 v[115:118], v114 offset0:91 offset1:92
	ds_read2_b64 v[119:122], v114 offset0:93 offset1:94
	s_waitcnt vmcnt(28) lgkmcnt(1)
	v_fma_f64 v[115:116], v[123:124], v[115:116], 0
	s_clause 0x7
	buffer_load_dword v124, off, s[0:3], 0 offset:404
	buffer_load_dword v153, off, s[0:3], 0 offset:424
	;; [unrolled: 1-line block ×8, first 2 shown]
	s_waitcnt vmcnt(34)
	v_fma_f64 v[115:116], v[125:126], v[117:118], v[115:116]
	s_waitcnt vmcnt(32) lgkmcnt(0)
	v_fma_f64 v[115:116], v[127:128], v[119:120], v[115:116]
	s_waitcnt vmcnt(30)
	v_fma_f64 v[125:126], v[129:130], v[121:122], v[115:116]
	ds_read2_b64 v[115:118], v114 offset0:95 offset1:96
	ds_read2_b64 v[119:122], v114 offset0:97 offset1:98
	s_waitcnt vmcnt(28) lgkmcnt(1)
	v_fma_f64 v[115:116], v[131:132], v[115:116], v[125:126]
	s_clause 0x5
	buffer_load_dword v126, off, s[0:3], 0 offset:436
	buffer_load_dword v127, off, s[0:3], 0 offset:440
	;; [unrolled: 1-line block ×6, first 2 shown]
	s_waitcnt vmcnt(32)
	v_fma_f64 v[115:116], v[133:134], v[117:118], v[115:116]
	s_waitcnt vmcnt(30) lgkmcnt(0)
	v_fma_f64 v[115:116], v[135:136], v[119:120], v[115:116]
	s_waitcnt vmcnt(25)
	v_fma_f64 v[131:132], v[137:138], v[121:122], v[115:116]
	ds_read2_b64 v[115:118], v114 offset0:99 offset1:100
	ds_read2_b64 v[119:122], v114 offset0:101 offset1:102
	s_waitcnt vmcnt(24) lgkmcnt(1)
	v_fma_f64 v[115:116], v[143:144], v[115:116], v[131:132]
	s_waitcnt vmcnt(23)
	v_fma_f64 v[115:116], v[141:142], v[117:118], v[115:116]
	s_waitcnt vmcnt(22) lgkmcnt(0)
	v_fma_f64 v[115:116], v[139:140], v[119:120], v[115:116]
	s_waitcnt vmcnt(17)
	v_fma_f64 v[131:132], v[145:146], v[121:122], v[115:116]
	ds_read2_b64 v[115:118], v114 offset0:103 offset1:104
	ds_read2_b64 v[119:122], v114 offset0:105 offset1:106
	s_waitcnt vmcnt(16) lgkmcnt(1)
	v_fma_f64 v[115:116], v[151:152], v[115:116], v[131:132]
	s_waitcnt vmcnt(15)
	v_fma_f64 v[115:116], v[149:150], v[117:118], v[115:116]
	s_waitcnt vmcnt(14) lgkmcnt(0)
	v_fma_f64 v[115:116], v[147:148], v[119:120], v[115:116]
	s_waitcnt vmcnt(9)
	v_fma_f64 v[123:124], v[123:124], v[121:122], v[115:116]
	ds_read2_b64 v[115:118], v114 offset0:107 offset1:108
	ds_read2_b64 v[119:122], v114 offset0:109 offset1:110
	s_waitcnt vmcnt(8) lgkmcnt(1)
	v_fma_f64 v[115:116], v[157:158], v[115:116], v[123:124]
	s_waitcnt vmcnt(7)
	v_fma_f64 v[115:116], v[155:156], v[117:118], v[115:116]
	ds_read_b64 v[117:118], v114 offset:888
	s_waitcnt vmcnt(6) lgkmcnt(1)
	v_fma_f64 v[115:116], v[153:154], v[119:120], v[115:116]
	s_waitcnt vmcnt(3)
	v_fma_f64 v[115:116], v[125:126], v[121:122], v[115:116]
	s_waitcnt vmcnt(2) lgkmcnt(0)
	v_fma_f64 v[115:116], v[127:128], v[117:118], v[115:116]
	s_waitcnt vmcnt(0)
	v_add_f64 v[115:116], v[129:130], -v[115:116]
	buffer_store_dword v116, off, s[0:3], 0 offset:276
	buffer_store_dword v115, off, s[0:3], 0 offset:272
	v_cmpx_lt_u32_e32 33, v0
	s_cbranch_execz .LBB55_279
; %bb.278:
	s_clause 0x1
	buffer_load_dword v115, off, s[0:3], 0 offset:264
	buffer_load_dword v116, off, s[0:3], 0 offset:268
	buffer_store_dword v114, off, s[0:3], 0 offset:264
	buffer_store_dword v114, off, s[0:3], 0 offset:268
	s_waitcnt vmcnt(0)
	ds_write_b64 v113, v[115:116]
.LBB55_279:
	s_or_b32 exec_lo, exec_lo, s4
	s_waitcnt lgkmcnt(0)
	s_waitcnt_vscnt null, 0x0
	s_barrier
	buffer_gl0_inv
	s_clause 0x1c
	buffer_load_dword v123, off, s[0:3], 0 offset:272
	buffer_load_dword v124, off, s[0:3], 0 offset:276
	;; [unrolled: 1-line block ×29, first 2 shown]
	ds_read_b128 v[115:118], v114 offset:720
	ds_read_b128 v[119:122], v114 offset:736
	buffer_load_dword v148, off, s[0:3], 0 offset:388
	s_mov_b32 s4, exec_lo
	s_waitcnt vmcnt(28) lgkmcnt(1)
	v_fma_f64 v[115:116], v[123:124], v[115:116], 0
	s_clause 0x7
	buffer_load_dword v124, off, s[0:3], 0 offset:396
	buffer_load_dword v153, off, s[0:3], 0 offset:416
	;; [unrolled: 1-line block ×8, first 2 shown]
	s_waitcnt vmcnt(34)
	v_fma_f64 v[115:116], v[125:126], v[117:118], v[115:116]
	s_waitcnt vmcnt(32) lgkmcnt(0)
	v_fma_f64 v[115:116], v[127:128], v[119:120], v[115:116]
	s_waitcnt vmcnt(30)
	v_fma_f64 v[125:126], v[129:130], v[121:122], v[115:116]
	ds_read_b128 v[115:118], v114 offset:752
	ds_read_b128 v[119:122], v114 offset:768
	s_waitcnt vmcnt(28) lgkmcnt(1)
	v_fma_f64 v[115:116], v[131:132], v[115:116], v[125:126]
	s_clause 0x5
	buffer_load_dword v126, off, s[0:3], 0 offset:428
	buffer_load_dword v127, off, s[0:3], 0 offset:440
	;; [unrolled: 1-line block ×6, first 2 shown]
	s_waitcnt vmcnt(32)
	v_fma_f64 v[115:116], v[133:134], v[117:118], v[115:116]
	s_waitcnt vmcnt(30) lgkmcnt(0)
	v_fma_f64 v[115:116], v[135:136], v[119:120], v[115:116]
	s_waitcnt vmcnt(25)
	v_fma_f64 v[131:132], v[137:138], v[121:122], v[115:116]
	ds_read_b128 v[115:118], v114 offset:784
	s_clause 0x1
	buffer_load_dword v133, off, s[0:3], 0 offset:264
	buffer_load_dword v134, off, s[0:3], 0 offset:268
	ds_read_b128 v[119:122], v114 offset:800
	s_waitcnt vmcnt(26) lgkmcnt(1)
	v_fma_f64 v[115:116], v[143:144], v[115:116], v[131:132]
	s_waitcnt vmcnt(25)
	v_fma_f64 v[115:116], v[141:142], v[117:118], v[115:116]
	s_waitcnt vmcnt(24) lgkmcnt(0)
	v_fma_f64 v[115:116], v[139:140], v[119:120], v[115:116]
	s_waitcnt vmcnt(19)
	v_fma_f64 v[131:132], v[145:146], v[121:122], v[115:116]
	ds_read_b128 v[115:118], v114 offset:816
	ds_read_b128 v[119:122], v114 offset:832
	s_waitcnt vmcnt(18) lgkmcnt(1)
	v_fma_f64 v[115:116], v[151:152], v[115:116], v[131:132]
	s_waitcnt vmcnt(17)
	v_fma_f64 v[115:116], v[149:150], v[117:118], v[115:116]
	s_waitcnt vmcnt(16) lgkmcnt(0)
	v_fma_f64 v[115:116], v[147:148], v[119:120], v[115:116]
	s_waitcnt vmcnt(11)
	v_fma_f64 v[123:124], v[123:124], v[121:122], v[115:116]
	ds_read_b128 v[115:118], v114 offset:848
	;; [unrolled: 10-line block ×3, first 2 shown]
	s_waitcnt vmcnt(3) lgkmcnt(0)
	v_fma_f64 v[114:115], v[129:130], v[114:115], v[118:119]
	s_waitcnt vmcnt(2)
	v_fma_f64 v[114:115], v[127:128], v[116:117], v[114:115]
	s_waitcnt vmcnt(0)
	v_add_f64 v[114:115], v[133:134], -v[114:115]
	buffer_store_dword v115, off, s[0:3], 0 offset:268
	buffer_store_dword v114, off, s[0:3], 0 offset:264
	v_cmpx_lt_u32_e32 32, v0
	s_cbranch_execz .LBB55_281
; %bb.280:
	s_clause 0x1
	buffer_load_dword v114, off, s[0:3], 0 offset:256
	buffer_load_dword v115, off, s[0:3], 0 offset:260
	v_mov_b32_e32 v116, 0
	buffer_store_dword v116, off, s[0:3], 0 offset:256
	buffer_store_dword v116, off, s[0:3], 0 offset:260
	s_waitcnt vmcnt(0)
	ds_write_b64 v113, v[114:115]
.LBB55_281:
	s_or_b32 exec_lo, exec_lo, s4
	s_waitcnt lgkmcnt(0)
	s_waitcnt_vscnt null, 0x0
	s_barrier
	buffer_gl0_inv
	s_clause 0x1c
	buffer_load_dword v123, off, s[0:3], 0 offset:264
	buffer_load_dword v124, off, s[0:3], 0 offset:268
	;; [unrolled: 1-line block ×29, first 2 shown]
	v_mov_b32_e32 v114, 0
	buffer_load_dword v148, off, s[0:3], 0 offset:380
	s_mov_b32 s4, exec_lo
	ds_read2_b64 v[115:118], v114 offset0:89 offset1:90
	ds_read2_b64 v[119:122], v114 offset0:91 offset1:92
	s_waitcnt vmcnt(28) lgkmcnt(1)
	v_fma_f64 v[115:116], v[123:124], v[115:116], 0
	s_clause 0x7
	buffer_load_dword v124, off, s[0:3], 0 offset:388
	buffer_load_dword v153, off, s[0:3], 0 offset:408
	;; [unrolled: 1-line block ×8, first 2 shown]
	s_waitcnt vmcnt(34)
	v_fma_f64 v[115:116], v[125:126], v[117:118], v[115:116]
	s_waitcnt vmcnt(32) lgkmcnt(0)
	v_fma_f64 v[115:116], v[127:128], v[119:120], v[115:116]
	s_waitcnt vmcnt(30)
	v_fma_f64 v[125:126], v[129:130], v[121:122], v[115:116]
	ds_read2_b64 v[115:118], v114 offset0:93 offset1:94
	ds_read2_b64 v[119:122], v114 offset0:95 offset1:96
	s_waitcnt vmcnt(28) lgkmcnt(1)
	v_fma_f64 v[115:116], v[131:132], v[115:116], v[125:126]
	s_clause 0x7
	buffer_load_dword v126, off, s[0:3], 0 offset:420
	buffer_load_dword v127, off, s[0:3], 0 offset:440
	;; [unrolled: 1-line block ×8, first 2 shown]
	s_waitcnt vmcnt(34)
	v_fma_f64 v[115:116], v[133:134], v[117:118], v[115:116]
	s_waitcnt vmcnt(32) lgkmcnt(0)
	v_fma_f64 v[115:116], v[135:136], v[119:120], v[115:116]
	s_waitcnt vmcnt(27)
	v_fma_f64 v[133:134], v[137:138], v[121:122], v[115:116]
	ds_read2_b64 v[115:118], v114 offset0:97 offset1:98
	ds_read2_b64 v[119:122], v114 offset0:99 offset1:100
	s_waitcnt vmcnt(26) lgkmcnt(1)
	v_fma_f64 v[115:116], v[143:144], v[115:116], v[133:134]
	s_clause 0x1
	buffer_load_dword v133, off, s[0:3], 0 offset:256
	buffer_load_dword v134, off, s[0:3], 0 offset:260
	s_waitcnt vmcnt(27)
	v_fma_f64 v[115:116], v[141:142], v[117:118], v[115:116]
	s_waitcnt vmcnt(26) lgkmcnt(0)
	v_fma_f64 v[115:116], v[139:140], v[119:120], v[115:116]
	s_waitcnt vmcnt(21)
	v_fma_f64 v[135:136], v[145:146], v[121:122], v[115:116]
	ds_read2_b64 v[115:118], v114 offset0:101 offset1:102
	ds_read2_b64 v[119:122], v114 offset0:103 offset1:104
	s_waitcnt vmcnt(20) lgkmcnt(1)
	v_fma_f64 v[115:116], v[151:152], v[115:116], v[135:136]
	s_waitcnt vmcnt(19)
	v_fma_f64 v[115:116], v[149:150], v[117:118], v[115:116]
	s_waitcnt vmcnt(18) lgkmcnt(0)
	v_fma_f64 v[115:116], v[147:148], v[119:120], v[115:116]
	s_waitcnt vmcnt(13)
	v_fma_f64 v[123:124], v[123:124], v[121:122], v[115:116]
	ds_read2_b64 v[115:118], v114 offset0:105 offset1:106
	ds_read2_b64 v[119:122], v114 offset0:107 offset1:108
	s_waitcnt vmcnt(12) lgkmcnt(1)
	v_fma_f64 v[115:116], v[157:158], v[115:116], v[123:124]
	s_waitcnt vmcnt(11)
	v_fma_f64 v[115:116], v[155:156], v[117:118], v[115:116]
	s_waitcnt vmcnt(10) lgkmcnt(0)
	v_fma_f64 v[115:116], v[153:154], v[119:120], v[115:116]
	s_waitcnt vmcnt(5)
	v_fma_f64 v[119:120], v[125:126], v[121:122], v[115:116]
	ds_read2_b64 v[115:118], v114 offset0:109 offset1:110
	ds_read_b64 v[121:122], v114 offset:888
	s_waitcnt vmcnt(4) lgkmcnt(1)
	v_fma_f64 v[115:116], v[131:132], v[115:116], v[119:120]
	s_waitcnt vmcnt(3)
	v_fma_f64 v[115:116], v[129:130], v[117:118], v[115:116]
	s_waitcnt vmcnt(2) lgkmcnt(0)
	v_fma_f64 v[115:116], v[127:128], v[121:122], v[115:116]
	s_waitcnt vmcnt(0)
	v_add_f64 v[115:116], v[133:134], -v[115:116]
	buffer_store_dword v116, off, s[0:3], 0 offset:260
	buffer_store_dword v115, off, s[0:3], 0 offset:256
	v_cmpx_lt_u32_e32 31, v0
	s_cbranch_execz .LBB55_283
; %bb.282:
	s_clause 0x1
	buffer_load_dword v115, off, s[0:3], 0 offset:248
	buffer_load_dword v116, off, s[0:3], 0 offset:252
	buffer_store_dword v114, off, s[0:3], 0 offset:248
	buffer_store_dword v114, off, s[0:3], 0 offset:252
	s_waitcnt vmcnt(0)
	ds_write_b64 v113, v[115:116]
.LBB55_283:
	s_or_b32 exec_lo, exec_lo, s4
	s_waitcnt lgkmcnt(0)
	s_waitcnt_vscnt null, 0x0
	s_barrier
	buffer_gl0_inv
	s_clause 0x1c
	buffer_load_dword v123, off, s[0:3], 0 offset:256
	buffer_load_dword v124, off, s[0:3], 0 offset:260
	;; [unrolled: 1-line block ×29, first 2 shown]
	ds_read_b128 v[115:118], v114 offset:704
	ds_read_b128 v[119:122], v114 offset:720
	buffer_load_dword v148, off, s[0:3], 0 offset:372
	s_mov_b32 s4, exec_lo
	s_waitcnt vmcnt(28) lgkmcnt(1)
	v_fma_f64 v[115:116], v[123:124], v[115:116], 0
	s_clause 0x7
	buffer_load_dword v124, off, s[0:3], 0 offset:380
	buffer_load_dword v153, off, s[0:3], 0 offset:400
	;; [unrolled: 1-line block ×8, first 2 shown]
	s_waitcnt vmcnt(34)
	v_fma_f64 v[115:116], v[125:126], v[117:118], v[115:116]
	s_waitcnt vmcnt(32) lgkmcnt(0)
	v_fma_f64 v[115:116], v[127:128], v[119:120], v[115:116]
	s_waitcnt vmcnt(30)
	v_fma_f64 v[125:126], v[129:130], v[121:122], v[115:116]
	ds_read_b128 v[115:118], v114 offset:736
	ds_read_b128 v[119:122], v114 offset:752
	s_waitcnt vmcnt(28) lgkmcnt(1)
	v_fma_f64 v[115:116], v[131:132], v[115:116], v[125:126]
	s_clause 0x7
	buffer_load_dword v126, off, s[0:3], 0 offset:412
	buffer_load_dword v127, off, s[0:3], 0 offset:432
	;; [unrolled: 1-line block ×8, first 2 shown]
	s_waitcnt vmcnt(34)
	v_fma_f64 v[115:116], v[133:134], v[117:118], v[115:116]
	s_waitcnt vmcnt(32) lgkmcnt(0)
	v_fma_f64 v[115:116], v[135:136], v[119:120], v[115:116]
	s_waitcnt vmcnt(27)
	v_fma_f64 v[133:134], v[137:138], v[121:122], v[115:116]
	ds_read_b128 v[115:118], v114 offset:768
	ds_read_b128 v[119:122], v114 offset:784
	s_waitcnt vmcnt(26) lgkmcnt(1)
	v_fma_f64 v[115:116], v[143:144], v[115:116], v[133:134]
	s_clause 0x3
	buffer_load_dword v134, off, s[0:3], 0 offset:444
	buffer_load_dword v133, off, s[0:3], 0 offset:440
	;; [unrolled: 1-line block ×4, first 2 shown]
	s_waitcnt vmcnt(29)
	v_fma_f64 v[115:116], v[141:142], v[117:118], v[115:116]
	s_waitcnt vmcnt(28) lgkmcnt(0)
	v_fma_f64 v[115:116], v[139:140], v[119:120], v[115:116]
	s_waitcnt vmcnt(23)
	v_fma_f64 v[137:138], v[145:146], v[121:122], v[115:116]
	ds_read_b128 v[115:118], v114 offset:800
	ds_read_b128 v[119:122], v114 offset:816
	s_waitcnt vmcnt(22) lgkmcnt(1)
	v_fma_f64 v[115:116], v[151:152], v[115:116], v[137:138]
	s_waitcnt vmcnt(21)
	v_fma_f64 v[115:116], v[149:150], v[117:118], v[115:116]
	s_waitcnt vmcnt(20) lgkmcnt(0)
	v_fma_f64 v[115:116], v[147:148], v[119:120], v[115:116]
	s_waitcnt vmcnt(15)
	v_fma_f64 v[123:124], v[123:124], v[121:122], v[115:116]
	ds_read_b128 v[115:118], v114 offset:832
	ds_read_b128 v[119:122], v114 offset:848
	s_waitcnt vmcnt(14) lgkmcnt(1)
	v_fma_f64 v[115:116], v[157:158], v[115:116], v[123:124]
	;; [unrolled: 10-line block ×3, first 2 shown]
	s_waitcnt vmcnt(5)
	v_fma_f64 v[114:115], v[129:130], v[117:118], v[114:115]
	s_waitcnt vmcnt(4) lgkmcnt(0)
	v_fma_f64 v[114:115], v[127:128], v[119:120], v[114:115]
	s_waitcnt vmcnt(2)
	v_fma_f64 v[114:115], v[133:134], v[121:122], v[114:115]
	s_waitcnt vmcnt(0)
	v_add_f64 v[114:115], v[135:136], -v[114:115]
	buffer_store_dword v115, off, s[0:3], 0 offset:252
	buffer_store_dword v114, off, s[0:3], 0 offset:248
	v_cmpx_lt_u32_e32 30, v0
	s_cbranch_execz .LBB55_285
; %bb.284:
	s_clause 0x1
	buffer_load_dword v114, off, s[0:3], 0 offset:240
	buffer_load_dword v115, off, s[0:3], 0 offset:244
	v_mov_b32_e32 v116, 0
	buffer_store_dword v116, off, s[0:3], 0 offset:240
	buffer_store_dword v116, off, s[0:3], 0 offset:244
	s_waitcnt vmcnt(0)
	ds_write_b64 v113, v[114:115]
.LBB55_285:
	s_or_b32 exec_lo, exec_lo, s4
	s_waitcnt lgkmcnt(0)
	s_waitcnt_vscnt null, 0x0
	s_barrier
	buffer_gl0_inv
	s_clause 0x1c
	buffer_load_dword v123, off, s[0:3], 0 offset:248
	buffer_load_dword v124, off, s[0:3], 0 offset:252
	;; [unrolled: 1-line block ×29, first 2 shown]
	v_mov_b32_e32 v114, 0
	buffer_load_dword v148, off, s[0:3], 0 offset:364
	s_mov_b32 s4, exec_lo
	ds_read2_b64 v[115:118], v114 offset0:87 offset1:88
	ds_read2_b64 v[119:122], v114 offset0:89 offset1:90
	s_waitcnt vmcnt(28) lgkmcnt(1)
	v_fma_f64 v[115:116], v[123:124], v[115:116], 0
	s_clause 0x7
	buffer_load_dword v124, off, s[0:3], 0 offset:372
	buffer_load_dword v153, off, s[0:3], 0 offset:392
	;; [unrolled: 1-line block ×8, first 2 shown]
	s_waitcnt vmcnt(34)
	v_fma_f64 v[115:116], v[125:126], v[117:118], v[115:116]
	s_waitcnt vmcnt(32) lgkmcnt(0)
	v_fma_f64 v[115:116], v[127:128], v[119:120], v[115:116]
	s_waitcnt vmcnt(30)
	v_fma_f64 v[125:126], v[129:130], v[121:122], v[115:116]
	ds_read2_b64 v[115:118], v114 offset0:91 offset1:92
	ds_read2_b64 v[119:122], v114 offset0:93 offset1:94
	s_waitcnt vmcnt(28) lgkmcnt(1)
	v_fma_f64 v[115:116], v[131:132], v[115:116], v[125:126]
	s_clause 0x7
	buffer_load_dword v126, off, s[0:3], 0 offset:404
	buffer_load_dword v127, off, s[0:3], 0 offset:424
	;; [unrolled: 1-line block ×8, first 2 shown]
	s_waitcnt vmcnt(34)
	v_fma_f64 v[115:116], v[133:134], v[117:118], v[115:116]
	s_waitcnt vmcnt(32) lgkmcnt(0)
	v_fma_f64 v[115:116], v[135:136], v[119:120], v[115:116]
	s_waitcnt vmcnt(27)
	v_fma_f64 v[133:134], v[137:138], v[121:122], v[115:116]
	ds_read2_b64 v[115:118], v114 offset0:95 offset1:96
	ds_read2_b64 v[119:122], v114 offset0:97 offset1:98
	s_waitcnt vmcnt(26) lgkmcnt(1)
	v_fma_f64 v[115:116], v[143:144], v[115:116], v[133:134]
	s_clause 0x5
	buffer_load_dword v134, off, s[0:3], 0 offset:436
	buffer_load_dword v135, off, s[0:3], 0 offset:440
	;; [unrolled: 1-line block ×6, first 2 shown]
	s_waitcnt vmcnt(31)
	v_fma_f64 v[115:116], v[141:142], v[117:118], v[115:116]
	s_waitcnt vmcnt(30) lgkmcnt(0)
	v_fma_f64 v[115:116], v[139:140], v[119:120], v[115:116]
	s_waitcnt vmcnt(25)
	v_fma_f64 v[139:140], v[145:146], v[121:122], v[115:116]
	ds_read2_b64 v[115:118], v114 offset0:99 offset1:100
	ds_read2_b64 v[119:122], v114 offset0:101 offset1:102
	s_waitcnt vmcnt(24) lgkmcnt(1)
	v_fma_f64 v[115:116], v[151:152], v[115:116], v[139:140]
	s_waitcnt vmcnt(23)
	v_fma_f64 v[115:116], v[149:150], v[117:118], v[115:116]
	s_waitcnt vmcnt(22) lgkmcnt(0)
	v_fma_f64 v[115:116], v[147:148], v[119:120], v[115:116]
	s_waitcnt vmcnt(17)
	v_fma_f64 v[123:124], v[123:124], v[121:122], v[115:116]
	ds_read2_b64 v[115:118], v114 offset0:103 offset1:104
	ds_read2_b64 v[119:122], v114 offset0:105 offset1:106
	s_waitcnt vmcnt(16) lgkmcnt(1)
	v_fma_f64 v[115:116], v[157:158], v[115:116], v[123:124]
	s_waitcnt vmcnt(15)
	v_fma_f64 v[115:116], v[155:156], v[117:118], v[115:116]
	s_waitcnt vmcnt(14) lgkmcnt(0)
	v_fma_f64 v[115:116], v[153:154], v[119:120], v[115:116]
	s_waitcnt vmcnt(9)
	v_fma_f64 v[123:124], v[125:126], v[121:122], v[115:116]
	ds_read2_b64 v[115:118], v114 offset0:107 offset1:108
	ds_read2_b64 v[119:122], v114 offset0:109 offset1:110
	s_waitcnt vmcnt(8) lgkmcnt(1)
	v_fma_f64 v[115:116], v[131:132], v[115:116], v[123:124]
	s_waitcnt vmcnt(7)
	v_fma_f64 v[115:116], v[129:130], v[117:118], v[115:116]
	ds_read_b64 v[117:118], v114 offset:888
	s_waitcnt vmcnt(6) lgkmcnt(1)
	v_fma_f64 v[115:116], v[127:128], v[119:120], v[115:116]
	s_waitcnt vmcnt(3)
	v_fma_f64 v[115:116], v[133:134], v[121:122], v[115:116]
	s_waitcnt vmcnt(2) lgkmcnt(0)
	v_fma_f64 v[115:116], v[135:136], v[117:118], v[115:116]
	s_waitcnt vmcnt(0)
	v_add_f64 v[115:116], v[137:138], -v[115:116]
	buffer_store_dword v116, off, s[0:3], 0 offset:244
	buffer_store_dword v115, off, s[0:3], 0 offset:240
	v_cmpx_lt_u32_e32 29, v0
	s_cbranch_execz .LBB55_287
; %bb.286:
	s_clause 0x1
	buffer_load_dword v115, off, s[0:3], 0 offset:232
	buffer_load_dword v116, off, s[0:3], 0 offset:236
	buffer_store_dword v114, off, s[0:3], 0 offset:232
	buffer_store_dword v114, off, s[0:3], 0 offset:236
	s_waitcnt vmcnt(0)
	ds_write_b64 v113, v[115:116]
.LBB55_287:
	s_or_b32 exec_lo, exec_lo, s4
	s_waitcnt lgkmcnt(0)
	s_waitcnt_vscnt null, 0x0
	s_barrier
	buffer_gl0_inv
	s_clause 0x1c
	buffer_load_dword v123, off, s[0:3], 0 offset:240
	buffer_load_dword v124, off, s[0:3], 0 offset:244
	;; [unrolled: 1-line block ×29, first 2 shown]
	ds_read_b128 v[115:118], v114 offset:688
	ds_read_b128 v[119:122], v114 offset:704
	buffer_load_dword v148, off, s[0:3], 0 offset:356
	s_mov_b32 s4, exec_lo
	s_waitcnt vmcnt(28) lgkmcnt(1)
	v_fma_f64 v[115:116], v[123:124], v[115:116], 0
	s_clause 0x7
	buffer_load_dword v124, off, s[0:3], 0 offset:364
	buffer_load_dword v153, off, s[0:3], 0 offset:384
	;; [unrolled: 1-line block ×8, first 2 shown]
	s_waitcnt vmcnt(34)
	v_fma_f64 v[115:116], v[125:126], v[117:118], v[115:116]
	s_waitcnt vmcnt(32) lgkmcnt(0)
	v_fma_f64 v[115:116], v[127:128], v[119:120], v[115:116]
	s_waitcnt vmcnt(30)
	v_fma_f64 v[125:126], v[129:130], v[121:122], v[115:116]
	ds_read_b128 v[115:118], v114 offset:720
	ds_read_b128 v[119:122], v114 offset:736
	s_waitcnt vmcnt(28) lgkmcnt(1)
	v_fma_f64 v[115:116], v[131:132], v[115:116], v[125:126]
	s_clause 0x7
	buffer_load_dword v126, off, s[0:3], 0 offset:396
	buffer_load_dword v127, off, s[0:3], 0 offset:416
	;; [unrolled: 1-line block ×8, first 2 shown]
	s_waitcnt vmcnt(34)
	v_fma_f64 v[115:116], v[133:134], v[117:118], v[115:116]
	s_waitcnt vmcnt(32) lgkmcnt(0)
	v_fma_f64 v[115:116], v[135:136], v[119:120], v[115:116]
	s_waitcnt vmcnt(27)
	v_fma_f64 v[133:134], v[137:138], v[121:122], v[115:116]
	ds_read_b128 v[115:118], v114 offset:752
	ds_read_b128 v[119:122], v114 offset:768
	s_waitcnt vmcnt(26) lgkmcnt(1)
	v_fma_f64 v[115:116], v[143:144], v[115:116], v[133:134]
	s_clause 0x5
	buffer_load_dword v134, off, s[0:3], 0 offset:428
	buffer_load_dword v135, off, s[0:3], 0 offset:440
	;; [unrolled: 1-line block ×6, first 2 shown]
	s_waitcnt vmcnt(31)
	v_fma_f64 v[115:116], v[141:142], v[117:118], v[115:116]
	s_waitcnt vmcnt(30) lgkmcnt(0)
	v_fma_f64 v[115:116], v[139:140], v[119:120], v[115:116]
	s_waitcnt vmcnt(25)
	v_fma_f64 v[139:140], v[145:146], v[121:122], v[115:116]
	ds_read_b128 v[115:118], v114 offset:784
	s_clause 0x1
	buffer_load_dword v141, off, s[0:3], 0 offset:232
	buffer_load_dword v142, off, s[0:3], 0 offset:236
	ds_read_b128 v[119:122], v114 offset:800
	s_waitcnt vmcnt(26) lgkmcnt(1)
	v_fma_f64 v[115:116], v[151:152], v[115:116], v[139:140]
	s_waitcnt vmcnt(25)
	v_fma_f64 v[115:116], v[149:150], v[117:118], v[115:116]
	s_waitcnt vmcnt(24) lgkmcnt(0)
	v_fma_f64 v[115:116], v[147:148], v[119:120], v[115:116]
	s_waitcnt vmcnt(19)
	v_fma_f64 v[123:124], v[123:124], v[121:122], v[115:116]
	ds_read_b128 v[115:118], v114 offset:816
	ds_read_b128 v[119:122], v114 offset:832
	s_waitcnt vmcnt(18) lgkmcnt(1)
	v_fma_f64 v[115:116], v[157:158], v[115:116], v[123:124]
	s_waitcnt vmcnt(17)
	v_fma_f64 v[115:116], v[155:156], v[117:118], v[115:116]
	s_waitcnt vmcnt(16) lgkmcnt(0)
	v_fma_f64 v[115:116], v[153:154], v[119:120], v[115:116]
	s_waitcnt vmcnt(11)
	v_fma_f64 v[123:124], v[125:126], v[121:122], v[115:116]
	ds_read_b128 v[115:118], v114 offset:848
	;; [unrolled: 10-line block ×3, first 2 shown]
	s_waitcnt vmcnt(3) lgkmcnt(0)
	v_fma_f64 v[114:115], v[137:138], v[114:115], v[118:119]
	s_waitcnt vmcnt(2)
	v_fma_f64 v[114:115], v[135:136], v[116:117], v[114:115]
	s_waitcnt vmcnt(0)
	v_add_f64 v[114:115], v[141:142], -v[114:115]
	buffer_store_dword v115, off, s[0:3], 0 offset:236
	buffer_store_dword v114, off, s[0:3], 0 offset:232
	v_cmpx_lt_u32_e32 28, v0
	s_cbranch_execz .LBB55_289
; %bb.288:
	s_clause 0x1
	buffer_load_dword v114, off, s[0:3], 0 offset:224
	buffer_load_dword v115, off, s[0:3], 0 offset:228
	v_mov_b32_e32 v116, 0
	buffer_store_dword v116, off, s[0:3], 0 offset:224
	buffer_store_dword v116, off, s[0:3], 0 offset:228
	s_waitcnt vmcnt(0)
	ds_write_b64 v113, v[114:115]
.LBB55_289:
	s_or_b32 exec_lo, exec_lo, s4
	s_waitcnt lgkmcnt(0)
	s_waitcnt_vscnt null, 0x0
	s_barrier
	buffer_gl0_inv
	s_clause 0x1c
	buffer_load_dword v123, off, s[0:3], 0 offset:232
	buffer_load_dword v124, off, s[0:3], 0 offset:236
	;; [unrolled: 1-line block ×29, first 2 shown]
	v_mov_b32_e32 v114, 0
	buffer_load_dword v148, off, s[0:3], 0 offset:348
	s_mov_b32 s4, exec_lo
	ds_read2_b64 v[115:118], v114 offset0:85 offset1:86
	ds_read2_b64 v[119:122], v114 offset0:87 offset1:88
	s_waitcnt vmcnt(28) lgkmcnt(1)
	v_fma_f64 v[115:116], v[123:124], v[115:116], 0
	s_clause 0x7
	buffer_load_dword v124, off, s[0:3], 0 offset:356
	buffer_load_dword v153, off, s[0:3], 0 offset:376
	buffer_load_dword v155, off, s[0:3], 0 offset:368
	buffer_load_dword v157, off, s[0:3], 0 offset:360
	buffer_load_dword v123, off, s[0:3], 0 offset:352
	buffer_load_dword v158, off, s[0:3], 0 offset:364
	buffer_load_dword v156, off, s[0:3], 0 offset:372
	buffer_load_dword v154, off, s[0:3], 0 offset:380
	s_waitcnt vmcnt(34)
	v_fma_f64 v[115:116], v[125:126], v[117:118], v[115:116]
	s_waitcnt vmcnt(32) lgkmcnt(0)
	v_fma_f64 v[115:116], v[127:128], v[119:120], v[115:116]
	s_waitcnt vmcnt(30)
	v_fma_f64 v[125:126], v[129:130], v[121:122], v[115:116]
	ds_read2_b64 v[115:118], v114 offset0:89 offset1:90
	ds_read2_b64 v[119:122], v114 offset0:91 offset1:92
	s_waitcnt vmcnt(28) lgkmcnt(1)
	v_fma_f64 v[115:116], v[131:132], v[115:116], v[125:126]
	s_clause 0x7
	buffer_load_dword v126, off, s[0:3], 0 offset:388
	buffer_load_dword v127, off, s[0:3], 0 offset:408
	buffer_load_dword v129, off, s[0:3], 0 offset:400
	buffer_load_dword v131, off, s[0:3], 0 offset:392
	buffer_load_dword v125, off, s[0:3], 0 offset:384
	buffer_load_dword v132, off, s[0:3], 0 offset:396
	buffer_load_dword v130, off, s[0:3], 0 offset:404
	buffer_load_dword v128, off, s[0:3], 0 offset:412
	s_waitcnt vmcnt(34)
	v_fma_f64 v[115:116], v[133:134], v[117:118], v[115:116]
	s_waitcnt vmcnt(32) lgkmcnt(0)
	v_fma_f64 v[115:116], v[135:136], v[119:120], v[115:116]
	s_waitcnt vmcnt(27)
	v_fma_f64 v[133:134], v[137:138], v[121:122], v[115:116]
	;; [unrolled: 19-line block ×3, first 2 shown]
	ds_read2_b64 v[115:118], v114 offset0:97 offset1:98
	ds_read2_b64 v[119:122], v114 offset0:99 offset1:100
	s_waitcnt vmcnt(26) lgkmcnt(1)
	v_fma_f64 v[115:116], v[151:152], v[115:116], v[139:140]
	s_clause 0x1
	buffer_load_dword v139, off, s[0:3], 0 offset:224
	buffer_load_dword v140, off, s[0:3], 0 offset:228
	s_waitcnt vmcnt(27)
	v_fma_f64 v[115:116], v[149:150], v[117:118], v[115:116]
	s_waitcnt vmcnt(26) lgkmcnt(0)
	v_fma_f64 v[115:116], v[147:148], v[119:120], v[115:116]
	s_waitcnt vmcnt(21)
	v_fma_f64 v[123:124], v[123:124], v[121:122], v[115:116]
	ds_read2_b64 v[115:118], v114 offset0:101 offset1:102
	ds_read2_b64 v[119:122], v114 offset0:103 offset1:104
	s_waitcnt vmcnt(20) lgkmcnt(1)
	v_fma_f64 v[115:116], v[157:158], v[115:116], v[123:124]
	s_waitcnt vmcnt(19)
	v_fma_f64 v[115:116], v[155:156], v[117:118], v[115:116]
	s_waitcnt vmcnt(18) lgkmcnt(0)
	v_fma_f64 v[115:116], v[153:154], v[119:120], v[115:116]
	s_waitcnt vmcnt(13)
	v_fma_f64 v[123:124], v[125:126], v[121:122], v[115:116]
	ds_read2_b64 v[115:118], v114 offset0:105 offset1:106
	ds_read2_b64 v[119:122], v114 offset0:107 offset1:108
	s_waitcnt vmcnt(12) lgkmcnt(1)
	v_fma_f64 v[115:116], v[131:132], v[115:116], v[123:124]
	s_waitcnt vmcnt(11)
	v_fma_f64 v[115:116], v[129:130], v[117:118], v[115:116]
	s_waitcnt vmcnt(10) lgkmcnt(0)
	v_fma_f64 v[115:116], v[127:128], v[119:120], v[115:116]
	s_waitcnt vmcnt(5)
	v_fma_f64 v[119:120], v[133:134], v[121:122], v[115:116]
	ds_read2_b64 v[115:118], v114 offset0:109 offset1:110
	ds_read_b64 v[121:122], v114 offset:888
	s_waitcnt vmcnt(4) lgkmcnt(1)
	v_fma_f64 v[115:116], v[143:144], v[115:116], v[119:120]
	s_waitcnt vmcnt(3)
	v_fma_f64 v[115:116], v[137:138], v[117:118], v[115:116]
	s_waitcnt vmcnt(2) lgkmcnt(0)
	v_fma_f64 v[115:116], v[135:136], v[121:122], v[115:116]
	s_waitcnt vmcnt(0)
	v_add_f64 v[115:116], v[139:140], -v[115:116]
	buffer_store_dword v116, off, s[0:3], 0 offset:228
	buffer_store_dword v115, off, s[0:3], 0 offset:224
	v_cmpx_lt_u32_e32 27, v0
	s_cbranch_execz .LBB55_291
; %bb.290:
	s_clause 0x1
	buffer_load_dword v115, off, s[0:3], 0 offset:216
	buffer_load_dword v116, off, s[0:3], 0 offset:220
	buffer_store_dword v114, off, s[0:3], 0 offset:216
	buffer_store_dword v114, off, s[0:3], 0 offset:220
	s_waitcnt vmcnt(0)
	ds_write_b64 v113, v[115:116]
.LBB55_291:
	s_or_b32 exec_lo, exec_lo, s4
	s_waitcnt lgkmcnt(0)
	s_waitcnt_vscnt null, 0x0
	s_barrier
	buffer_gl0_inv
	s_clause 0x1c
	buffer_load_dword v123, off, s[0:3], 0 offset:224
	buffer_load_dword v124, off, s[0:3], 0 offset:228
	;; [unrolled: 1-line block ×29, first 2 shown]
	ds_read_b128 v[115:118], v114 offset:672
	ds_read_b128 v[119:122], v114 offset:688
	buffer_load_dword v148, off, s[0:3], 0 offset:340
	s_mov_b32 s4, exec_lo
	s_waitcnt vmcnt(28) lgkmcnt(1)
	v_fma_f64 v[115:116], v[123:124], v[115:116], 0
	s_clause 0x7
	buffer_load_dword v124, off, s[0:3], 0 offset:348
	buffer_load_dword v153, off, s[0:3], 0 offset:368
	buffer_load_dword v155, off, s[0:3], 0 offset:360
	buffer_load_dword v157, off, s[0:3], 0 offset:352
	buffer_load_dword v123, off, s[0:3], 0 offset:344
	buffer_load_dword v158, off, s[0:3], 0 offset:356
	buffer_load_dword v156, off, s[0:3], 0 offset:364
	buffer_load_dword v154, off, s[0:3], 0 offset:372
	s_waitcnt vmcnt(34)
	v_fma_f64 v[115:116], v[125:126], v[117:118], v[115:116]
	s_waitcnt vmcnt(32) lgkmcnt(0)
	v_fma_f64 v[115:116], v[127:128], v[119:120], v[115:116]
	s_waitcnt vmcnt(30)
	v_fma_f64 v[125:126], v[129:130], v[121:122], v[115:116]
	ds_read_b128 v[115:118], v114 offset:704
	ds_read_b128 v[119:122], v114 offset:720
	s_waitcnt vmcnt(28) lgkmcnt(1)
	v_fma_f64 v[115:116], v[131:132], v[115:116], v[125:126]
	s_clause 0x7
	buffer_load_dword v126, off, s[0:3], 0 offset:380
	buffer_load_dword v127, off, s[0:3], 0 offset:400
	buffer_load_dword v129, off, s[0:3], 0 offset:392
	buffer_load_dword v131, off, s[0:3], 0 offset:384
	buffer_load_dword v125, off, s[0:3], 0 offset:376
	buffer_load_dword v132, off, s[0:3], 0 offset:388
	buffer_load_dword v130, off, s[0:3], 0 offset:396
	buffer_load_dword v128, off, s[0:3], 0 offset:404
	s_waitcnt vmcnt(34)
	v_fma_f64 v[115:116], v[133:134], v[117:118], v[115:116]
	s_waitcnt vmcnt(32) lgkmcnt(0)
	v_fma_f64 v[115:116], v[135:136], v[119:120], v[115:116]
	s_waitcnt vmcnt(27)
	v_fma_f64 v[133:134], v[137:138], v[121:122], v[115:116]
	ds_read_b128 v[115:118], v114 offset:736
	ds_read_b128 v[119:122], v114 offset:752
	;; [unrolled: 19-line block ×3, first 2 shown]
	s_waitcnt vmcnt(26) lgkmcnt(1)
	v_fma_f64 v[115:116], v[151:152], v[115:116], v[139:140]
	s_clause 0x3
	buffer_load_dword v140, off, s[0:3], 0 offset:444
	buffer_load_dword v139, off, s[0:3], 0 offset:440
	;; [unrolled: 1-line block ×4, first 2 shown]
	s_waitcnt vmcnt(29)
	v_fma_f64 v[115:116], v[149:150], v[117:118], v[115:116]
	s_waitcnt vmcnt(28) lgkmcnt(0)
	v_fma_f64 v[115:116], v[147:148], v[119:120], v[115:116]
	s_waitcnt vmcnt(23)
	v_fma_f64 v[123:124], v[123:124], v[121:122], v[115:116]
	ds_read_b128 v[115:118], v114 offset:800
	ds_read_b128 v[119:122], v114 offset:816
	s_waitcnt vmcnt(22) lgkmcnt(1)
	v_fma_f64 v[115:116], v[157:158], v[115:116], v[123:124]
	s_waitcnt vmcnt(21)
	v_fma_f64 v[115:116], v[155:156], v[117:118], v[115:116]
	s_waitcnt vmcnt(20) lgkmcnt(0)
	v_fma_f64 v[115:116], v[153:154], v[119:120], v[115:116]
	s_waitcnt vmcnt(15)
	v_fma_f64 v[123:124], v[125:126], v[121:122], v[115:116]
	ds_read_b128 v[115:118], v114 offset:832
	ds_read_b128 v[119:122], v114 offset:848
	s_waitcnt vmcnt(14) lgkmcnt(1)
	v_fma_f64 v[115:116], v[131:132], v[115:116], v[123:124]
	;; [unrolled: 10-line block ×3, first 2 shown]
	s_waitcnt vmcnt(5)
	v_fma_f64 v[114:115], v[137:138], v[117:118], v[114:115]
	s_waitcnt vmcnt(4) lgkmcnt(0)
	v_fma_f64 v[114:115], v[135:136], v[119:120], v[114:115]
	s_waitcnt vmcnt(2)
	v_fma_f64 v[114:115], v[139:140], v[121:122], v[114:115]
	s_waitcnt vmcnt(0)
	v_add_f64 v[114:115], v[141:142], -v[114:115]
	buffer_store_dword v115, off, s[0:3], 0 offset:220
	buffer_store_dword v114, off, s[0:3], 0 offset:216
	v_cmpx_lt_u32_e32 26, v0
	s_cbranch_execz .LBB55_293
; %bb.292:
	s_clause 0x1
	buffer_load_dword v114, off, s[0:3], 0 offset:208
	buffer_load_dword v115, off, s[0:3], 0 offset:212
	v_mov_b32_e32 v116, 0
	buffer_store_dword v116, off, s[0:3], 0 offset:208
	buffer_store_dword v116, off, s[0:3], 0 offset:212
	s_waitcnt vmcnt(0)
	ds_write_b64 v113, v[114:115]
.LBB55_293:
	s_or_b32 exec_lo, exec_lo, s4
	s_waitcnt lgkmcnt(0)
	s_waitcnt_vscnt null, 0x0
	s_barrier
	buffer_gl0_inv
	s_clause 0x1c
	buffer_load_dword v123, off, s[0:3], 0 offset:216
	buffer_load_dword v124, off, s[0:3], 0 offset:220
	buffer_load_dword v125, off, s[0:3], 0 offset:224
	buffer_load_dword v126, off, s[0:3], 0 offset:228
	buffer_load_dword v127, off, s[0:3], 0 offset:232
	buffer_load_dword v128, off, s[0:3], 0 offset:236
	buffer_load_dword v129, off, s[0:3], 0 offset:240
	buffer_load_dword v130, off, s[0:3], 0 offset:244
	buffer_load_dword v131, off, s[0:3], 0 offset:248
	buffer_load_dword v132, off, s[0:3], 0 offset:252
	buffer_load_dword v133, off, s[0:3], 0 offset:256
	buffer_load_dword v134, off, s[0:3], 0 offset:260
	buffer_load_dword v135, off, s[0:3], 0 offset:264
	buffer_load_dword v136, off, s[0:3], 0 offset:268
	buffer_load_dword v138, off, s[0:3], 0 offset:276
	buffer_load_dword v139, off, s[0:3], 0 offset:296
	buffer_load_dword v141, off, s[0:3], 0 offset:288
	buffer_load_dword v143, off, s[0:3], 0 offset:280
	buffer_load_dword v137, off, s[0:3], 0 offset:272
	buffer_load_dword v144, off, s[0:3], 0 offset:284
	buffer_load_dword v142, off, s[0:3], 0 offset:292
	buffer_load_dword v140, off, s[0:3], 0 offset:300
	buffer_load_dword v146, off, s[0:3], 0 offset:308
	buffer_load_dword v147, off, s[0:3], 0 offset:328
	buffer_load_dword v149, off, s[0:3], 0 offset:320
	buffer_load_dword v151, off, s[0:3], 0 offset:312
	buffer_load_dword v145, off, s[0:3], 0 offset:304
	buffer_load_dword v152, off, s[0:3], 0 offset:316
	buffer_load_dword v150, off, s[0:3], 0 offset:324
	v_mov_b32_e32 v114, 0
	buffer_load_dword v148, off, s[0:3], 0 offset:332
	s_mov_b32 s4, exec_lo
	ds_read2_b64 v[115:118], v114 offset0:83 offset1:84
	ds_read2_b64 v[119:122], v114 offset0:85 offset1:86
	s_waitcnt vmcnt(28) lgkmcnt(1)
	v_fma_f64 v[115:116], v[123:124], v[115:116], 0
	s_clause 0x7
	buffer_load_dword v124, off, s[0:3], 0 offset:340
	buffer_load_dword v153, off, s[0:3], 0 offset:360
	buffer_load_dword v155, off, s[0:3], 0 offset:352
	buffer_load_dword v157, off, s[0:3], 0 offset:344
	buffer_load_dword v123, off, s[0:3], 0 offset:336
	buffer_load_dword v158, off, s[0:3], 0 offset:348
	buffer_load_dword v156, off, s[0:3], 0 offset:356
	buffer_load_dword v154, off, s[0:3], 0 offset:364
	s_waitcnt vmcnt(34)
	v_fma_f64 v[115:116], v[125:126], v[117:118], v[115:116]
	s_waitcnt vmcnt(32) lgkmcnt(0)
	v_fma_f64 v[115:116], v[127:128], v[119:120], v[115:116]
	s_waitcnt vmcnt(30)
	v_fma_f64 v[125:126], v[129:130], v[121:122], v[115:116]
	ds_read2_b64 v[115:118], v114 offset0:87 offset1:88
	ds_read2_b64 v[119:122], v114 offset0:89 offset1:90
	s_waitcnt vmcnt(28) lgkmcnt(1)
	v_fma_f64 v[115:116], v[131:132], v[115:116], v[125:126]
	s_clause 0x7
	buffer_load_dword v126, off, s[0:3], 0 offset:372
	buffer_load_dword v127, off, s[0:3], 0 offset:392
	buffer_load_dword v129, off, s[0:3], 0 offset:384
	buffer_load_dword v131, off, s[0:3], 0 offset:376
	buffer_load_dword v125, off, s[0:3], 0 offset:368
	buffer_load_dword v132, off, s[0:3], 0 offset:380
	buffer_load_dword v130, off, s[0:3], 0 offset:388
	buffer_load_dword v128, off, s[0:3], 0 offset:396
	s_waitcnt vmcnt(34)
	v_fma_f64 v[115:116], v[133:134], v[117:118], v[115:116]
	s_waitcnt vmcnt(32) lgkmcnt(0)
	v_fma_f64 v[115:116], v[135:136], v[119:120], v[115:116]
	s_waitcnt vmcnt(27)
	v_fma_f64 v[133:134], v[137:138], v[121:122], v[115:116]
	;; [unrolled: 19-line block ×3, first 2 shown]
	ds_read2_b64 v[115:118], v114 offset0:95 offset1:96
	ds_read2_b64 v[119:122], v114 offset0:97 offset1:98
	s_waitcnt vmcnt(26) lgkmcnt(1)
	v_fma_f64 v[115:116], v[151:152], v[115:116], v[139:140]
	s_clause 0x5
	buffer_load_dword v140, off, s[0:3], 0 offset:436
	buffer_load_dword v141, off, s[0:3], 0 offset:440
	;; [unrolled: 1-line block ×6, first 2 shown]
	s_waitcnt vmcnt(31)
	v_fma_f64 v[115:116], v[149:150], v[117:118], v[115:116]
	s_waitcnt vmcnt(30) lgkmcnt(0)
	v_fma_f64 v[115:116], v[147:148], v[119:120], v[115:116]
	s_waitcnt vmcnt(25)
	v_fma_f64 v[123:124], v[123:124], v[121:122], v[115:116]
	ds_read2_b64 v[115:118], v114 offset0:99 offset1:100
	ds_read2_b64 v[119:122], v114 offset0:101 offset1:102
	s_waitcnt vmcnt(24) lgkmcnt(1)
	v_fma_f64 v[115:116], v[157:158], v[115:116], v[123:124]
	s_waitcnt vmcnt(23)
	v_fma_f64 v[115:116], v[155:156], v[117:118], v[115:116]
	s_waitcnt vmcnt(22) lgkmcnt(0)
	v_fma_f64 v[115:116], v[153:154], v[119:120], v[115:116]
	s_waitcnt vmcnt(17)
	v_fma_f64 v[123:124], v[125:126], v[121:122], v[115:116]
	ds_read2_b64 v[115:118], v114 offset0:103 offset1:104
	ds_read2_b64 v[119:122], v114 offset0:105 offset1:106
	s_waitcnt vmcnt(16) lgkmcnt(1)
	v_fma_f64 v[115:116], v[131:132], v[115:116], v[123:124]
	;; [unrolled: 10-line block ×3, first 2 shown]
	s_waitcnt vmcnt(7)
	v_fma_f64 v[115:116], v[137:138], v[117:118], v[115:116]
	ds_read_b64 v[117:118], v114 offset:888
	s_waitcnt vmcnt(6) lgkmcnt(1)
	v_fma_f64 v[115:116], v[135:136], v[119:120], v[115:116]
	s_waitcnt vmcnt(3)
	v_fma_f64 v[115:116], v[139:140], v[121:122], v[115:116]
	s_waitcnt vmcnt(2) lgkmcnt(0)
	v_fma_f64 v[115:116], v[141:142], v[117:118], v[115:116]
	s_waitcnt vmcnt(0)
	v_add_f64 v[115:116], v[145:146], -v[115:116]
	buffer_store_dword v116, off, s[0:3], 0 offset:212
	buffer_store_dword v115, off, s[0:3], 0 offset:208
	v_cmpx_lt_u32_e32 25, v0
	s_cbranch_execz .LBB55_295
; %bb.294:
	s_clause 0x1
	buffer_load_dword v115, off, s[0:3], 0 offset:200
	buffer_load_dword v116, off, s[0:3], 0 offset:204
	buffer_store_dword v114, off, s[0:3], 0 offset:200
	buffer_store_dword v114, off, s[0:3], 0 offset:204
	s_waitcnt vmcnt(0)
	ds_write_b64 v113, v[115:116]
.LBB55_295:
	s_or_b32 exec_lo, exec_lo, s4
	s_waitcnt lgkmcnt(0)
	s_waitcnt_vscnt null, 0x0
	s_barrier
	buffer_gl0_inv
	s_clause 0x1c
	buffer_load_dword v123, off, s[0:3], 0 offset:208
	buffer_load_dword v124, off, s[0:3], 0 offset:212
	;; [unrolled: 1-line block ×29, first 2 shown]
	ds_read_b128 v[115:118], v114 offset:656
	ds_read_b128 v[119:122], v114 offset:672
	buffer_load_dword v148, off, s[0:3], 0 offset:324
	s_mov_b32 s4, exec_lo
	s_waitcnt vmcnt(28) lgkmcnt(1)
	v_fma_f64 v[115:116], v[123:124], v[115:116], 0
	s_clause 0x7
	buffer_load_dword v124, off, s[0:3], 0 offset:332
	buffer_load_dword v153, off, s[0:3], 0 offset:352
	buffer_load_dword v155, off, s[0:3], 0 offset:344
	buffer_load_dword v157, off, s[0:3], 0 offset:336
	buffer_load_dword v123, off, s[0:3], 0 offset:328
	buffer_load_dword v158, off, s[0:3], 0 offset:340
	buffer_load_dword v156, off, s[0:3], 0 offset:348
	buffer_load_dword v154, off, s[0:3], 0 offset:356
	s_waitcnt vmcnt(34)
	v_fma_f64 v[115:116], v[125:126], v[117:118], v[115:116]
	s_waitcnt vmcnt(32) lgkmcnt(0)
	v_fma_f64 v[115:116], v[127:128], v[119:120], v[115:116]
	s_waitcnt vmcnt(30)
	v_fma_f64 v[125:126], v[129:130], v[121:122], v[115:116]
	ds_read_b128 v[115:118], v114 offset:688
	ds_read_b128 v[119:122], v114 offset:704
	s_waitcnt vmcnt(28) lgkmcnt(1)
	v_fma_f64 v[115:116], v[131:132], v[115:116], v[125:126]
	s_clause 0x7
	buffer_load_dword v126, off, s[0:3], 0 offset:364
	buffer_load_dword v127, off, s[0:3], 0 offset:384
	buffer_load_dword v129, off, s[0:3], 0 offset:376
	buffer_load_dword v131, off, s[0:3], 0 offset:368
	buffer_load_dword v125, off, s[0:3], 0 offset:360
	buffer_load_dword v132, off, s[0:3], 0 offset:372
	buffer_load_dword v130, off, s[0:3], 0 offset:380
	buffer_load_dword v128, off, s[0:3], 0 offset:388
	s_waitcnt vmcnt(34)
	v_fma_f64 v[115:116], v[133:134], v[117:118], v[115:116]
	s_waitcnt vmcnt(32) lgkmcnt(0)
	v_fma_f64 v[115:116], v[135:136], v[119:120], v[115:116]
	s_waitcnt vmcnt(27)
	v_fma_f64 v[133:134], v[137:138], v[121:122], v[115:116]
	ds_read_b128 v[115:118], v114 offset:720
	ds_read_b128 v[119:122], v114 offset:736
	;; [unrolled: 19-line block ×3, first 2 shown]
	s_waitcnt vmcnt(26) lgkmcnt(1)
	v_fma_f64 v[115:116], v[151:152], v[115:116], v[139:140]
	s_clause 0x5
	buffer_load_dword v140, off, s[0:3], 0 offset:428
	buffer_load_dword v141, off, s[0:3], 0 offset:440
	buffer_load_dword v145, off, s[0:3], 0 offset:432
	buffer_load_dword v139, off, s[0:3], 0 offset:424
	buffer_load_dword v146, off, s[0:3], 0 offset:436
	buffer_load_dword v142, off, s[0:3], 0 offset:444
	s_waitcnt vmcnt(31)
	v_fma_f64 v[115:116], v[149:150], v[117:118], v[115:116]
	s_waitcnt vmcnt(30) lgkmcnt(0)
	v_fma_f64 v[115:116], v[147:148], v[119:120], v[115:116]
	s_waitcnt vmcnt(25)
	v_fma_f64 v[123:124], v[123:124], v[121:122], v[115:116]
	ds_read_b128 v[115:118], v114 offset:784
	s_clause 0x1
	buffer_load_dword v147, off, s[0:3], 0 offset:200
	buffer_load_dword v148, off, s[0:3], 0 offset:204
	ds_read_b128 v[119:122], v114 offset:800
	s_waitcnt vmcnt(26) lgkmcnt(1)
	v_fma_f64 v[115:116], v[157:158], v[115:116], v[123:124]
	s_waitcnt vmcnt(25)
	v_fma_f64 v[115:116], v[155:156], v[117:118], v[115:116]
	s_waitcnt vmcnt(24) lgkmcnt(0)
	v_fma_f64 v[115:116], v[153:154], v[119:120], v[115:116]
	s_waitcnt vmcnt(19)
	v_fma_f64 v[123:124], v[125:126], v[121:122], v[115:116]
	ds_read_b128 v[115:118], v114 offset:816
	ds_read_b128 v[119:122], v114 offset:832
	s_waitcnt vmcnt(18) lgkmcnt(1)
	v_fma_f64 v[115:116], v[131:132], v[115:116], v[123:124]
	s_waitcnt vmcnt(17)
	v_fma_f64 v[115:116], v[129:130], v[117:118], v[115:116]
	s_waitcnt vmcnt(16) lgkmcnt(0)
	v_fma_f64 v[115:116], v[127:128], v[119:120], v[115:116]
	s_waitcnt vmcnt(11)
	v_fma_f64 v[123:124], v[133:134], v[121:122], v[115:116]
	ds_read_b128 v[115:118], v114 offset:848
	;; [unrolled: 10-line block ×3, first 2 shown]
	s_waitcnt vmcnt(3) lgkmcnt(0)
	v_fma_f64 v[114:115], v[145:146], v[114:115], v[118:119]
	s_waitcnt vmcnt(2)
	v_fma_f64 v[114:115], v[141:142], v[116:117], v[114:115]
	s_waitcnt vmcnt(0)
	v_add_f64 v[114:115], v[147:148], -v[114:115]
	buffer_store_dword v115, off, s[0:3], 0 offset:204
	buffer_store_dword v114, off, s[0:3], 0 offset:200
	v_cmpx_lt_u32_e32 24, v0
	s_cbranch_execz .LBB55_297
; %bb.296:
	s_clause 0x1
	buffer_load_dword v114, off, s[0:3], 0 offset:192
	buffer_load_dword v115, off, s[0:3], 0 offset:196
	v_mov_b32_e32 v116, 0
	buffer_store_dword v116, off, s[0:3], 0 offset:192
	buffer_store_dword v116, off, s[0:3], 0 offset:196
	s_waitcnt vmcnt(0)
	ds_write_b64 v113, v[114:115]
.LBB55_297:
	s_or_b32 exec_lo, exec_lo, s4
	s_waitcnt lgkmcnt(0)
	s_waitcnt_vscnt null, 0x0
	s_barrier
	buffer_gl0_inv
	s_clause 0x1c
	buffer_load_dword v123, off, s[0:3], 0 offset:200
	buffer_load_dword v124, off, s[0:3], 0 offset:204
	buffer_load_dword v125, off, s[0:3], 0 offset:208
	buffer_load_dword v126, off, s[0:3], 0 offset:212
	buffer_load_dword v127, off, s[0:3], 0 offset:216
	buffer_load_dword v128, off, s[0:3], 0 offset:220
	buffer_load_dword v129, off, s[0:3], 0 offset:224
	buffer_load_dword v130, off, s[0:3], 0 offset:228
	buffer_load_dword v131, off, s[0:3], 0 offset:232
	buffer_load_dword v132, off, s[0:3], 0 offset:236
	buffer_load_dword v133, off, s[0:3], 0 offset:240
	buffer_load_dword v134, off, s[0:3], 0 offset:244
	buffer_load_dword v135, off, s[0:3], 0 offset:248
	buffer_load_dword v136, off, s[0:3], 0 offset:252
	buffer_load_dword v138, off, s[0:3], 0 offset:260
	buffer_load_dword v139, off, s[0:3], 0 offset:280
	buffer_load_dword v141, off, s[0:3], 0 offset:272
	buffer_load_dword v143, off, s[0:3], 0 offset:264
	buffer_load_dword v137, off, s[0:3], 0 offset:256
	buffer_load_dword v144, off, s[0:3], 0 offset:268
	buffer_load_dword v142, off, s[0:3], 0 offset:276
	buffer_load_dword v140, off, s[0:3], 0 offset:284
	buffer_load_dword v146, off, s[0:3], 0 offset:292
	buffer_load_dword v147, off, s[0:3], 0 offset:312
	buffer_load_dword v149, off, s[0:3], 0 offset:304
	buffer_load_dword v151, off, s[0:3], 0 offset:296
	buffer_load_dword v145, off, s[0:3], 0 offset:288
	buffer_load_dword v152, off, s[0:3], 0 offset:300
	buffer_load_dword v150, off, s[0:3], 0 offset:308
	v_mov_b32_e32 v114, 0
	buffer_load_dword v148, off, s[0:3], 0 offset:316
	s_mov_b32 s4, exec_lo
	ds_read2_b64 v[115:118], v114 offset0:81 offset1:82
	ds_read2_b64 v[119:122], v114 offset0:83 offset1:84
	s_waitcnt vmcnt(28) lgkmcnt(1)
	v_fma_f64 v[115:116], v[123:124], v[115:116], 0
	s_clause 0x7
	buffer_load_dword v124, off, s[0:3], 0 offset:324
	buffer_load_dword v153, off, s[0:3], 0 offset:344
	buffer_load_dword v155, off, s[0:3], 0 offset:336
	buffer_load_dword v157, off, s[0:3], 0 offset:328
	buffer_load_dword v123, off, s[0:3], 0 offset:320
	buffer_load_dword v158, off, s[0:3], 0 offset:332
	buffer_load_dword v156, off, s[0:3], 0 offset:340
	buffer_load_dword v154, off, s[0:3], 0 offset:348
	s_waitcnt vmcnt(34)
	v_fma_f64 v[115:116], v[125:126], v[117:118], v[115:116]
	s_waitcnt vmcnt(32) lgkmcnt(0)
	v_fma_f64 v[115:116], v[127:128], v[119:120], v[115:116]
	s_waitcnt vmcnt(30)
	v_fma_f64 v[125:126], v[129:130], v[121:122], v[115:116]
	ds_read2_b64 v[115:118], v114 offset0:85 offset1:86
	ds_read2_b64 v[119:122], v114 offset0:87 offset1:88
	s_waitcnt vmcnt(28) lgkmcnt(1)
	v_fma_f64 v[115:116], v[131:132], v[115:116], v[125:126]
	s_clause 0x7
	buffer_load_dword v126, off, s[0:3], 0 offset:356
	buffer_load_dword v127, off, s[0:3], 0 offset:376
	buffer_load_dword v129, off, s[0:3], 0 offset:368
	buffer_load_dword v131, off, s[0:3], 0 offset:360
	buffer_load_dword v125, off, s[0:3], 0 offset:352
	buffer_load_dword v132, off, s[0:3], 0 offset:364
	buffer_load_dword v130, off, s[0:3], 0 offset:372
	buffer_load_dword v128, off, s[0:3], 0 offset:380
	s_waitcnt vmcnt(34)
	v_fma_f64 v[115:116], v[133:134], v[117:118], v[115:116]
	s_waitcnt vmcnt(32) lgkmcnt(0)
	v_fma_f64 v[115:116], v[135:136], v[119:120], v[115:116]
	s_waitcnt vmcnt(27)
	v_fma_f64 v[133:134], v[137:138], v[121:122], v[115:116]
	;; [unrolled: 19-line block ×4, first 2 shown]
	ds_read2_b64 v[115:118], v114 offset0:97 offset1:98
	ds_read2_b64 v[119:122], v114 offset0:99 offset1:100
	s_waitcnt vmcnt(26) lgkmcnt(1)
	v_fma_f64 v[115:116], v[157:158], v[115:116], v[123:124]
	s_clause 0x1
	buffer_load_dword v123, off, s[0:3], 0 offset:192
	buffer_load_dword v124, off, s[0:3], 0 offset:196
	s_waitcnt vmcnt(27)
	v_fma_f64 v[115:116], v[155:156], v[117:118], v[115:116]
	s_waitcnt vmcnt(26) lgkmcnt(0)
	v_fma_f64 v[115:116], v[153:154], v[119:120], v[115:116]
	s_waitcnt vmcnt(21)
	v_fma_f64 v[125:126], v[125:126], v[121:122], v[115:116]
	ds_read2_b64 v[115:118], v114 offset0:101 offset1:102
	ds_read2_b64 v[119:122], v114 offset0:103 offset1:104
	s_waitcnt vmcnt(20) lgkmcnt(1)
	v_fma_f64 v[115:116], v[131:132], v[115:116], v[125:126]
	s_waitcnt vmcnt(19)
	v_fma_f64 v[115:116], v[129:130], v[117:118], v[115:116]
	s_waitcnt vmcnt(18) lgkmcnt(0)
	v_fma_f64 v[115:116], v[127:128], v[119:120], v[115:116]
	s_waitcnt vmcnt(13)
	v_fma_f64 v[125:126], v[133:134], v[121:122], v[115:116]
	ds_read2_b64 v[115:118], v114 offset0:105 offset1:106
	ds_read2_b64 v[119:122], v114 offset0:107 offset1:108
	s_waitcnt vmcnt(12) lgkmcnt(1)
	v_fma_f64 v[115:116], v[143:144], v[115:116], v[125:126]
	s_waitcnt vmcnt(11)
	v_fma_f64 v[115:116], v[137:138], v[117:118], v[115:116]
	s_waitcnt vmcnt(10) lgkmcnt(0)
	v_fma_f64 v[115:116], v[135:136], v[119:120], v[115:116]
	s_waitcnt vmcnt(5)
	v_fma_f64 v[119:120], v[139:140], v[121:122], v[115:116]
	ds_read2_b64 v[115:118], v114 offset0:109 offset1:110
	ds_read_b64 v[121:122], v114 offset:888
	s_waitcnt vmcnt(4) lgkmcnt(1)
	v_fma_f64 v[115:116], v[151:152], v[115:116], v[119:120]
	s_waitcnt vmcnt(3)
	v_fma_f64 v[115:116], v[145:146], v[117:118], v[115:116]
	s_waitcnt vmcnt(2) lgkmcnt(0)
	v_fma_f64 v[115:116], v[141:142], v[121:122], v[115:116]
	s_waitcnt vmcnt(0)
	v_add_f64 v[115:116], v[123:124], -v[115:116]
	buffer_store_dword v116, off, s[0:3], 0 offset:196
	buffer_store_dword v115, off, s[0:3], 0 offset:192
	v_cmpx_lt_u32_e32 23, v0
	s_cbranch_execz .LBB55_299
; %bb.298:
	s_clause 0x1
	buffer_load_dword v115, off, s[0:3], 0 offset:184
	buffer_load_dword v116, off, s[0:3], 0 offset:188
	buffer_store_dword v114, off, s[0:3], 0 offset:184
	buffer_store_dword v114, off, s[0:3], 0 offset:188
	s_waitcnt vmcnt(0)
	ds_write_b64 v113, v[115:116]
.LBB55_299:
	s_or_b32 exec_lo, exec_lo, s4
	s_waitcnt lgkmcnt(0)
	s_waitcnt_vscnt null, 0x0
	s_barrier
	buffer_gl0_inv
	s_clause 0x1c
	buffer_load_dword v123, off, s[0:3], 0 offset:192
	buffer_load_dword v124, off, s[0:3], 0 offset:196
	;; [unrolled: 1-line block ×29, first 2 shown]
	ds_read_b128 v[115:118], v114 offset:640
	ds_read_b128 v[119:122], v114 offset:656
	buffer_load_dword v148, off, s[0:3], 0 offset:308
	s_mov_b32 s4, exec_lo
	s_waitcnt vmcnt(28) lgkmcnt(1)
	v_fma_f64 v[115:116], v[123:124], v[115:116], 0
	s_clause 0x7
	buffer_load_dword v124, off, s[0:3], 0 offset:316
	buffer_load_dword v153, off, s[0:3], 0 offset:336
	buffer_load_dword v155, off, s[0:3], 0 offset:328
	buffer_load_dword v157, off, s[0:3], 0 offset:320
	buffer_load_dword v123, off, s[0:3], 0 offset:312
	buffer_load_dword v158, off, s[0:3], 0 offset:324
	buffer_load_dword v156, off, s[0:3], 0 offset:332
	buffer_load_dword v154, off, s[0:3], 0 offset:340
	s_waitcnt vmcnt(34)
	v_fma_f64 v[115:116], v[125:126], v[117:118], v[115:116]
	s_waitcnt vmcnt(32) lgkmcnt(0)
	v_fma_f64 v[115:116], v[127:128], v[119:120], v[115:116]
	s_waitcnt vmcnt(30)
	v_fma_f64 v[125:126], v[129:130], v[121:122], v[115:116]
	ds_read_b128 v[115:118], v114 offset:672
	ds_read_b128 v[119:122], v114 offset:688
	s_waitcnt vmcnt(28) lgkmcnt(1)
	v_fma_f64 v[115:116], v[131:132], v[115:116], v[125:126]
	s_clause 0x7
	buffer_load_dword v126, off, s[0:3], 0 offset:348
	buffer_load_dword v127, off, s[0:3], 0 offset:368
	buffer_load_dword v129, off, s[0:3], 0 offset:360
	buffer_load_dword v131, off, s[0:3], 0 offset:352
	buffer_load_dword v125, off, s[0:3], 0 offset:344
	buffer_load_dword v132, off, s[0:3], 0 offset:356
	buffer_load_dword v130, off, s[0:3], 0 offset:364
	buffer_load_dword v128, off, s[0:3], 0 offset:372
	s_waitcnt vmcnt(34)
	v_fma_f64 v[115:116], v[133:134], v[117:118], v[115:116]
	s_waitcnt vmcnt(32) lgkmcnt(0)
	v_fma_f64 v[115:116], v[135:136], v[119:120], v[115:116]
	s_waitcnt vmcnt(27)
	v_fma_f64 v[133:134], v[137:138], v[121:122], v[115:116]
	ds_read_b128 v[115:118], v114 offset:704
	ds_read_b128 v[119:122], v114 offset:720
	s_waitcnt vmcnt(26) lgkmcnt(1)
	v_fma_f64 v[115:116], v[143:144], v[115:116], v[133:134]
	s_clause 0x7
	buffer_load_dword v134, off, s[0:3], 0 offset:380
	buffer_load_dword v135, off, s[0:3], 0 offset:400
	buffer_load_dword v137, off, s[0:3], 0 offset:392
	buffer_load_dword v143, off, s[0:3], 0 offset:384
	buffer_load_dword v133, off, s[0:3], 0 offset:376
	buffer_load_dword v144, off, s[0:3], 0 offset:388
	buffer_load_dword v138, off, s[0:3], 0 offset:396
	buffer_load_dword v136, off, s[0:3], 0 offset:404
	s_waitcnt vmcnt(33)
	v_fma_f64 v[115:116], v[141:142], v[117:118], v[115:116]
	s_waitcnt vmcnt(32) lgkmcnt(0)
	v_fma_f64 v[115:116], v[139:140], v[119:120], v[115:116]
	s_waitcnt vmcnt(27)
	v_fma_f64 v[139:140], v[145:146], v[121:122], v[115:116]
	ds_read_b128 v[115:118], v114 offset:736
	ds_read_b128 v[119:122], v114 offset:752
	s_waitcnt vmcnt(26) lgkmcnt(1)
	v_fma_f64 v[115:116], v[151:152], v[115:116], v[139:140]
	s_clause 0x7
	buffer_load_dword v140, off, s[0:3], 0 offset:412
	buffer_load_dword v141, off, s[0:3], 0 offset:432
	buffer_load_dword v145, off, s[0:3], 0 offset:424
	buffer_load_dword v151, off, s[0:3], 0 offset:416
	buffer_load_dword v139, off, s[0:3], 0 offset:408
	buffer_load_dword v152, off, s[0:3], 0 offset:420
	buffer_load_dword v146, off, s[0:3], 0 offset:428
	buffer_load_dword v142, off, s[0:3], 0 offset:436
	s_waitcnt vmcnt(33)
	v_fma_f64 v[115:116], v[149:150], v[117:118], v[115:116]
	s_waitcnt vmcnt(32) lgkmcnt(0)
	v_fma_f64 v[115:116], v[147:148], v[119:120], v[115:116]
	s_waitcnt vmcnt(27)
	v_fma_f64 v[123:124], v[123:124], v[121:122], v[115:116]
	ds_read_b128 v[115:118], v114 offset:768
	ds_read_b128 v[119:122], v114 offset:784
	s_waitcnt vmcnt(26) lgkmcnt(1)
	v_fma_f64 v[115:116], v[157:158], v[115:116], v[123:124]
	s_clause 0x3
	buffer_load_dword v124, off, s[0:3], 0 offset:444
	buffer_load_dword v123, off, s[0:3], 0 offset:440
	;; [unrolled: 1-line block ×4, first 2 shown]
	s_waitcnt vmcnt(29)
	v_fma_f64 v[115:116], v[155:156], v[117:118], v[115:116]
	s_waitcnt vmcnt(28) lgkmcnt(0)
	v_fma_f64 v[115:116], v[153:154], v[119:120], v[115:116]
	s_waitcnt vmcnt(23)
	v_fma_f64 v[125:126], v[125:126], v[121:122], v[115:116]
	ds_read_b128 v[115:118], v114 offset:800
	ds_read_b128 v[119:122], v114 offset:816
	s_waitcnt vmcnt(22) lgkmcnt(1)
	v_fma_f64 v[115:116], v[131:132], v[115:116], v[125:126]
	s_waitcnt vmcnt(21)
	v_fma_f64 v[115:116], v[129:130], v[117:118], v[115:116]
	s_waitcnt vmcnt(20) lgkmcnt(0)
	v_fma_f64 v[115:116], v[127:128], v[119:120], v[115:116]
	s_waitcnt vmcnt(15)
	v_fma_f64 v[125:126], v[133:134], v[121:122], v[115:116]
	ds_read_b128 v[115:118], v114 offset:832
	ds_read_b128 v[119:122], v114 offset:848
	s_waitcnt vmcnt(14) lgkmcnt(1)
	v_fma_f64 v[115:116], v[143:144], v[115:116], v[125:126]
	;; [unrolled: 10-line block ×3, first 2 shown]
	s_waitcnt vmcnt(5)
	v_fma_f64 v[114:115], v[145:146], v[117:118], v[114:115]
	s_waitcnt vmcnt(4) lgkmcnt(0)
	v_fma_f64 v[114:115], v[141:142], v[119:120], v[114:115]
	s_waitcnt vmcnt(2)
	v_fma_f64 v[114:115], v[123:124], v[121:122], v[114:115]
	s_waitcnt vmcnt(0)
	v_add_f64 v[114:115], v[147:148], -v[114:115]
	buffer_store_dword v115, off, s[0:3], 0 offset:188
	buffer_store_dword v114, off, s[0:3], 0 offset:184
	v_cmpx_lt_u32_e32 22, v0
	s_cbranch_execz .LBB55_301
; %bb.300:
	s_clause 0x1
	buffer_load_dword v114, off, s[0:3], 0 offset:176
	buffer_load_dword v115, off, s[0:3], 0 offset:180
	v_mov_b32_e32 v116, 0
	buffer_store_dword v116, off, s[0:3], 0 offset:176
	buffer_store_dword v116, off, s[0:3], 0 offset:180
	s_waitcnt vmcnt(0)
	ds_write_b64 v113, v[114:115]
.LBB55_301:
	s_or_b32 exec_lo, exec_lo, s4
	s_waitcnt lgkmcnt(0)
	s_waitcnt_vscnt null, 0x0
	s_barrier
	buffer_gl0_inv
	s_clause 0x1c
	buffer_load_dword v123, off, s[0:3], 0 offset:184
	buffer_load_dword v124, off, s[0:3], 0 offset:188
	;; [unrolled: 1-line block ×29, first 2 shown]
	v_mov_b32_e32 v114, 0
	buffer_load_dword v148, off, s[0:3], 0 offset:300
	s_mov_b32 s4, exec_lo
	ds_read2_b64 v[115:118], v114 offset0:79 offset1:80
	ds_read2_b64 v[119:122], v114 offset0:81 offset1:82
	s_waitcnt vmcnt(28) lgkmcnt(1)
	v_fma_f64 v[115:116], v[123:124], v[115:116], 0
	s_clause 0x7
	buffer_load_dword v124, off, s[0:3], 0 offset:308
	buffer_load_dword v153, off, s[0:3], 0 offset:328
	buffer_load_dword v155, off, s[0:3], 0 offset:320
	buffer_load_dword v157, off, s[0:3], 0 offset:312
	buffer_load_dword v123, off, s[0:3], 0 offset:304
	buffer_load_dword v158, off, s[0:3], 0 offset:316
	buffer_load_dword v156, off, s[0:3], 0 offset:324
	buffer_load_dword v154, off, s[0:3], 0 offset:332
	s_waitcnt vmcnt(34)
	v_fma_f64 v[115:116], v[125:126], v[117:118], v[115:116]
	s_waitcnt vmcnt(32) lgkmcnt(0)
	v_fma_f64 v[115:116], v[127:128], v[119:120], v[115:116]
	s_waitcnt vmcnt(30)
	v_fma_f64 v[125:126], v[129:130], v[121:122], v[115:116]
	ds_read2_b64 v[115:118], v114 offset0:83 offset1:84
	ds_read2_b64 v[119:122], v114 offset0:85 offset1:86
	s_waitcnt vmcnt(28) lgkmcnt(1)
	v_fma_f64 v[115:116], v[131:132], v[115:116], v[125:126]
	s_clause 0x7
	buffer_load_dword v126, off, s[0:3], 0 offset:340
	buffer_load_dword v127, off, s[0:3], 0 offset:360
	buffer_load_dword v129, off, s[0:3], 0 offset:352
	buffer_load_dword v131, off, s[0:3], 0 offset:344
	buffer_load_dword v125, off, s[0:3], 0 offset:336
	buffer_load_dword v132, off, s[0:3], 0 offset:348
	buffer_load_dword v130, off, s[0:3], 0 offset:356
	buffer_load_dword v128, off, s[0:3], 0 offset:364
	s_waitcnt vmcnt(34)
	v_fma_f64 v[115:116], v[133:134], v[117:118], v[115:116]
	s_waitcnt vmcnt(32) lgkmcnt(0)
	v_fma_f64 v[115:116], v[135:136], v[119:120], v[115:116]
	s_waitcnt vmcnt(27)
	v_fma_f64 v[133:134], v[137:138], v[121:122], v[115:116]
	;; [unrolled: 19-line block ×4, first 2 shown]
	ds_read2_b64 v[115:118], v114 offset0:95 offset1:96
	ds_read2_b64 v[119:122], v114 offset0:97 offset1:98
	s_waitcnt vmcnt(26) lgkmcnt(1)
	v_fma_f64 v[115:116], v[157:158], v[115:116], v[123:124]
	s_clause 0x5
	buffer_load_dword v124, off, s[0:3], 0 offset:436
	buffer_load_dword v147, off, s[0:3], 0 offset:440
	buffer_load_dword v123, off, s[0:3], 0 offset:432
	buffer_load_dword v148, off, s[0:3], 0 offset:444
	buffer_load_dword v149, off, s[0:3], 0 offset:176
	buffer_load_dword v150, off, s[0:3], 0 offset:180
	s_waitcnt vmcnt(31)
	v_fma_f64 v[115:116], v[155:156], v[117:118], v[115:116]
	s_waitcnt vmcnt(30) lgkmcnt(0)
	v_fma_f64 v[115:116], v[153:154], v[119:120], v[115:116]
	s_waitcnt vmcnt(25)
	v_fma_f64 v[125:126], v[125:126], v[121:122], v[115:116]
	ds_read2_b64 v[115:118], v114 offset0:99 offset1:100
	ds_read2_b64 v[119:122], v114 offset0:101 offset1:102
	s_waitcnt vmcnt(24) lgkmcnt(1)
	v_fma_f64 v[115:116], v[131:132], v[115:116], v[125:126]
	s_waitcnt vmcnt(23)
	v_fma_f64 v[115:116], v[129:130], v[117:118], v[115:116]
	s_waitcnt vmcnt(22) lgkmcnt(0)
	v_fma_f64 v[115:116], v[127:128], v[119:120], v[115:116]
	s_waitcnt vmcnt(17)
	v_fma_f64 v[125:126], v[133:134], v[121:122], v[115:116]
	ds_read2_b64 v[115:118], v114 offset0:103 offset1:104
	ds_read2_b64 v[119:122], v114 offset0:105 offset1:106
	s_waitcnt vmcnt(16) lgkmcnt(1)
	v_fma_f64 v[115:116], v[143:144], v[115:116], v[125:126]
	;; [unrolled: 10-line block ×3, first 2 shown]
	s_waitcnt vmcnt(7)
	v_fma_f64 v[115:116], v[145:146], v[117:118], v[115:116]
	ds_read_b64 v[117:118], v114 offset:888
	s_waitcnt vmcnt(6) lgkmcnt(1)
	v_fma_f64 v[115:116], v[141:142], v[119:120], v[115:116]
	s_waitcnt vmcnt(3)
	v_fma_f64 v[115:116], v[123:124], v[121:122], v[115:116]
	s_waitcnt vmcnt(2) lgkmcnt(0)
	v_fma_f64 v[115:116], v[147:148], v[117:118], v[115:116]
	s_waitcnt vmcnt(0)
	v_add_f64 v[115:116], v[149:150], -v[115:116]
	buffer_store_dword v116, off, s[0:3], 0 offset:180
	buffer_store_dword v115, off, s[0:3], 0 offset:176
	v_cmpx_lt_u32_e32 21, v0
	s_cbranch_execz .LBB55_303
; %bb.302:
	s_clause 0x1
	buffer_load_dword v115, off, s[0:3], 0 offset:168
	buffer_load_dword v116, off, s[0:3], 0 offset:172
	buffer_store_dword v114, off, s[0:3], 0 offset:168
	buffer_store_dword v114, off, s[0:3], 0 offset:172
	s_waitcnt vmcnt(0)
	ds_write_b64 v113, v[115:116]
.LBB55_303:
	s_or_b32 exec_lo, exec_lo, s4
	s_waitcnt lgkmcnt(0)
	s_waitcnt_vscnt null, 0x0
	s_barrier
	buffer_gl0_inv
	s_clause 0x1c
	buffer_load_dword v123, off, s[0:3], 0 offset:176
	buffer_load_dword v124, off, s[0:3], 0 offset:180
	;; [unrolled: 1-line block ×29, first 2 shown]
	ds_read_b128 v[115:118], v114 offset:624
	ds_read_b128 v[119:122], v114 offset:640
	buffer_load_dword v148, off, s[0:3], 0 offset:292
	s_mov_b32 s4, exec_lo
	s_waitcnt vmcnt(28) lgkmcnt(1)
	v_fma_f64 v[115:116], v[123:124], v[115:116], 0
	s_clause 0x7
	buffer_load_dword v124, off, s[0:3], 0 offset:300
	buffer_load_dword v153, off, s[0:3], 0 offset:320
	buffer_load_dword v155, off, s[0:3], 0 offset:312
	buffer_load_dword v157, off, s[0:3], 0 offset:304
	buffer_load_dword v123, off, s[0:3], 0 offset:296
	buffer_load_dword v158, off, s[0:3], 0 offset:308
	buffer_load_dword v156, off, s[0:3], 0 offset:316
	buffer_load_dword v154, off, s[0:3], 0 offset:324
	s_waitcnt vmcnt(34)
	v_fma_f64 v[115:116], v[125:126], v[117:118], v[115:116]
	s_waitcnt vmcnt(32) lgkmcnt(0)
	v_fma_f64 v[115:116], v[127:128], v[119:120], v[115:116]
	s_waitcnt vmcnt(30)
	v_fma_f64 v[125:126], v[129:130], v[121:122], v[115:116]
	ds_read_b128 v[115:118], v114 offset:656
	ds_read_b128 v[119:122], v114 offset:672
	s_waitcnt vmcnt(28) lgkmcnt(1)
	v_fma_f64 v[115:116], v[131:132], v[115:116], v[125:126]
	s_clause 0x7
	buffer_load_dword v126, off, s[0:3], 0 offset:332
	buffer_load_dword v127, off, s[0:3], 0 offset:352
	buffer_load_dword v129, off, s[0:3], 0 offset:344
	buffer_load_dword v131, off, s[0:3], 0 offset:336
	buffer_load_dword v125, off, s[0:3], 0 offset:328
	buffer_load_dword v132, off, s[0:3], 0 offset:340
	buffer_load_dword v130, off, s[0:3], 0 offset:348
	buffer_load_dword v128, off, s[0:3], 0 offset:356
	s_waitcnt vmcnt(34)
	v_fma_f64 v[115:116], v[133:134], v[117:118], v[115:116]
	s_waitcnt vmcnt(32) lgkmcnt(0)
	v_fma_f64 v[115:116], v[135:136], v[119:120], v[115:116]
	s_waitcnt vmcnt(27)
	v_fma_f64 v[133:134], v[137:138], v[121:122], v[115:116]
	ds_read_b128 v[115:118], v114 offset:688
	ds_read_b128 v[119:122], v114 offset:704
	;; [unrolled: 19-line block ×4, first 2 shown]
	s_waitcnt vmcnt(26) lgkmcnt(1)
	v_fma_f64 v[115:116], v[157:158], v[115:116], v[123:124]
	s_clause 0x5
	buffer_load_dword v124, off, s[0:3], 0 offset:428
	buffer_load_dword v147, off, s[0:3], 0 offset:440
	;; [unrolled: 1-line block ×6, first 2 shown]
	s_waitcnt vmcnt(31)
	v_fma_f64 v[115:116], v[155:156], v[117:118], v[115:116]
	s_waitcnt vmcnt(30) lgkmcnt(0)
	v_fma_f64 v[115:116], v[153:154], v[119:120], v[115:116]
	s_waitcnt vmcnt(25)
	v_fma_f64 v[125:126], v[125:126], v[121:122], v[115:116]
	ds_read_b128 v[115:118], v114 offset:784
	s_clause 0x1
	buffer_load_dword v153, off, s[0:3], 0 offset:168
	buffer_load_dword v154, off, s[0:3], 0 offset:172
	ds_read_b128 v[119:122], v114 offset:800
	s_waitcnt vmcnt(26) lgkmcnt(1)
	v_fma_f64 v[115:116], v[131:132], v[115:116], v[125:126]
	s_waitcnt vmcnt(25)
	v_fma_f64 v[115:116], v[129:130], v[117:118], v[115:116]
	s_waitcnt vmcnt(24) lgkmcnt(0)
	v_fma_f64 v[115:116], v[127:128], v[119:120], v[115:116]
	s_waitcnt vmcnt(19)
	v_fma_f64 v[125:126], v[133:134], v[121:122], v[115:116]
	ds_read_b128 v[115:118], v114 offset:816
	ds_read_b128 v[119:122], v114 offset:832
	s_waitcnt vmcnt(18) lgkmcnt(1)
	v_fma_f64 v[115:116], v[143:144], v[115:116], v[125:126]
	s_waitcnt vmcnt(17)
	v_fma_f64 v[115:116], v[137:138], v[117:118], v[115:116]
	s_waitcnt vmcnt(16) lgkmcnt(0)
	v_fma_f64 v[115:116], v[135:136], v[119:120], v[115:116]
	s_waitcnt vmcnt(11)
	v_fma_f64 v[125:126], v[139:140], v[121:122], v[115:116]
	ds_read_b128 v[115:118], v114 offset:848
	ds_read_b128 v[119:122], v114 offset:864
	s_waitcnt vmcnt(10) lgkmcnt(1)
	v_fma_f64 v[115:116], v[151:152], v[115:116], v[125:126]
	s_waitcnt vmcnt(9)
	v_fma_f64 v[115:116], v[145:146], v[117:118], v[115:116]
	s_waitcnt vmcnt(8) lgkmcnt(0)
	v_fma_f64 v[115:116], v[141:142], v[119:120], v[115:116]
	s_waitcnt vmcnt(4)
	v_fma_f64 v[118:119], v[123:124], v[121:122], v[115:116]
	ds_read_b128 v[114:117], v114 offset:880
	s_waitcnt vmcnt(3) lgkmcnt(0)
	v_fma_f64 v[114:115], v[149:150], v[114:115], v[118:119]
	s_waitcnt vmcnt(2)
	v_fma_f64 v[114:115], v[147:148], v[116:117], v[114:115]
	s_waitcnt vmcnt(0)
	v_add_f64 v[114:115], v[153:154], -v[114:115]
	buffer_store_dword v115, off, s[0:3], 0 offset:172
	buffer_store_dword v114, off, s[0:3], 0 offset:168
	v_cmpx_lt_u32_e32 20, v0
	s_cbranch_execz .LBB55_305
; %bb.304:
	s_clause 0x1
	buffer_load_dword v114, off, s[0:3], 0 offset:160
	buffer_load_dword v115, off, s[0:3], 0 offset:164
	v_mov_b32_e32 v116, 0
	buffer_store_dword v116, off, s[0:3], 0 offset:160
	buffer_store_dword v116, off, s[0:3], 0 offset:164
	s_waitcnt vmcnt(0)
	ds_write_b64 v113, v[114:115]
.LBB55_305:
	s_or_b32 exec_lo, exec_lo, s4
	s_waitcnt lgkmcnt(0)
	s_waitcnt_vscnt null, 0x0
	s_barrier
	buffer_gl0_inv
	s_clause 0x1c
	buffer_load_dword v123, off, s[0:3], 0 offset:168
	buffer_load_dword v124, off, s[0:3], 0 offset:172
	;; [unrolled: 1-line block ×29, first 2 shown]
	v_mov_b32_e32 v114, 0
	buffer_load_dword v148, off, s[0:3], 0 offset:284
	s_mov_b32 s4, exec_lo
	ds_read2_b64 v[115:118], v114 offset0:77 offset1:78
	ds_read2_b64 v[119:122], v114 offset0:79 offset1:80
	s_waitcnt vmcnt(28) lgkmcnt(1)
	v_fma_f64 v[115:116], v[123:124], v[115:116], 0
	s_clause 0x7
	buffer_load_dword v124, off, s[0:3], 0 offset:292
	buffer_load_dword v153, off, s[0:3], 0 offset:312
	buffer_load_dword v155, off, s[0:3], 0 offset:304
	buffer_load_dword v157, off, s[0:3], 0 offset:296
	buffer_load_dword v123, off, s[0:3], 0 offset:288
	buffer_load_dword v158, off, s[0:3], 0 offset:300
	buffer_load_dword v156, off, s[0:3], 0 offset:308
	buffer_load_dword v154, off, s[0:3], 0 offset:316
	s_waitcnt vmcnt(34)
	v_fma_f64 v[115:116], v[125:126], v[117:118], v[115:116]
	s_waitcnt vmcnt(32) lgkmcnt(0)
	v_fma_f64 v[115:116], v[127:128], v[119:120], v[115:116]
	s_waitcnt vmcnt(30)
	v_fma_f64 v[125:126], v[129:130], v[121:122], v[115:116]
	ds_read2_b64 v[115:118], v114 offset0:81 offset1:82
	ds_read2_b64 v[119:122], v114 offset0:83 offset1:84
	s_waitcnt vmcnt(28) lgkmcnt(1)
	v_fma_f64 v[115:116], v[131:132], v[115:116], v[125:126]
	s_clause 0x7
	buffer_load_dword v126, off, s[0:3], 0 offset:324
	buffer_load_dword v127, off, s[0:3], 0 offset:344
	buffer_load_dword v129, off, s[0:3], 0 offset:336
	buffer_load_dword v131, off, s[0:3], 0 offset:328
	buffer_load_dword v125, off, s[0:3], 0 offset:320
	buffer_load_dword v132, off, s[0:3], 0 offset:332
	buffer_load_dword v130, off, s[0:3], 0 offset:340
	buffer_load_dword v128, off, s[0:3], 0 offset:348
	s_waitcnt vmcnt(34)
	v_fma_f64 v[115:116], v[133:134], v[117:118], v[115:116]
	s_waitcnt vmcnt(32) lgkmcnt(0)
	v_fma_f64 v[115:116], v[135:136], v[119:120], v[115:116]
	s_waitcnt vmcnt(27)
	v_fma_f64 v[133:134], v[137:138], v[121:122], v[115:116]
	;; [unrolled: 19-line block ×5, first 2 shown]
	ds_read2_b64 v[115:118], v114 offset0:97 offset1:98
	ds_read2_b64 v[119:122], v114 offset0:99 offset1:100
	s_waitcnt vmcnt(26) lgkmcnt(1)
	v_fma_f64 v[115:116], v[131:132], v[115:116], v[125:126]
	s_clause 0x1
	buffer_load_dword v125, off, s[0:3], 0 offset:160
	buffer_load_dword v126, off, s[0:3], 0 offset:164
	s_waitcnt vmcnt(27)
	v_fma_f64 v[115:116], v[129:130], v[117:118], v[115:116]
	s_waitcnt vmcnt(26) lgkmcnt(0)
	v_fma_f64 v[115:116], v[127:128], v[119:120], v[115:116]
	s_waitcnt vmcnt(21)
	v_fma_f64 v[127:128], v[133:134], v[121:122], v[115:116]
	ds_read2_b64 v[115:118], v114 offset0:101 offset1:102
	ds_read2_b64 v[119:122], v114 offset0:103 offset1:104
	s_waitcnt vmcnt(20) lgkmcnt(1)
	v_fma_f64 v[115:116], v[143:144], v[115:116], v[127:128]
	s_waitcnt vmcnt(19)
	v_fma_f64 v[115:116], v[137:138], v[117:118], v[115:116]
	s_waitcnt vmcnt(18) lgkmcnt(0)
	v_fma_f64 v[115:116], v[135:136], v[119:120], v[115:116]
	s_waitcnt vmcnt(13)
	v_fma_f64 v[127:128], v[139:140], v[121:122], v[115:116]
	ds_read2_b64 v[115:118], v114 offset0:105 offset1:106
	ds_read2_b64 v[119:122], v114 offset0:107 offset1:108
	s_waitcnt vmcnt(12) lgkmcnt(1)
	v_fma_f64 v[115:116], v[151:152], v[115:116], v[127:128]
	s_waitcnt vmcnt(11)
	v_fma_f64 v[115:116], v[145:146], v[117:118], v[115:116]
	s_waitcnt vmcnt(10) lgkmcnt(0)
	v_fma_f64 v[115:116], v[141:142], v[119:120], v[115:116]
	s_waitcnt vmcnt(5)
	v_fma_f64 v[119:120], v[123:124], v[121:122], v[115:116]
	ds_read2_b64 v[115:118], v114 offset0:109 offset1:110
	ds_read_b64 v[121:122], v114 offset:888
	s_waitcnt vmcnt(4) lgkmcnt(1)
	v_fma_f64 v[115:116], v[157:158], v[115:116], v[119:120]
	s_waitcnt vmcnt(3)
	v_fma_f64 v[115:116], v[149:150], v[117:118], v[115:116]
	s_waitcnt vmcnt(2) lgkmcnt(0)
	v_fma_f64 v[115:116], v[147:148], v[121:122], v[115:116]
	s_waitcnt vmcnt(0)
	v_add_f64 v[115:116], v[125:126], -v[115:116]
	buffer_store_dword v116, off, s[0:3], 0 offset:164
	buffer_store_dword v115, off, s[0:3], 0 offset:160
	v_cmpx_lt_u32_e32 19, v0
	s_cbranch_execz .LBB55_307
; %bb.306:
	s_clause 0x1
	buffer_load_dword v115, off, s[0:3], 0 offset:152
	buffer_load_dword v116, off, s[0:3], 0 offset:156
	buffer_store_dword v114, off, s[0:3], 0 offset:152
	buffer_store_dword v114, off, s[0:3], 0 offset:156
	s_waitcnt vmcnt(0)
	ds_write_b64 v113, v[115:116]
.LBB55_307:
	s_or_b32 exec_lo, exec_lo, s4
	s_waitcnt lgkmcnt(0)
	s_waitcnt_vscnt null, 0x0
	s_barrier
	buffer_gl0_inv
	s_clause 0x1c
	buffer_load_dword v123, off, s[0:3], 0 offset:160
	buffer_load_dword v124, off, s[0:3], 0 offset:164
	;; [unrolled: 1-line block ×29, first 2 shown]
	ds_read_b128 v[115:118], v114 offset:608
	ds_read_b128 v[119:122], v114 offset:624
	buffer_load_dword v148, off, s[0:3], 0 offset:276
	s_mov_b32 s4, exec_lo
	s_waitcnt vmcnt(28) lgkmcnt(1)
	v_fma_f64 v[115:116], v[123:124], v[115:116], 0
	s_clause 0x7
	buffer_load_dword v124, off, s[0:3], 0 offset:284
	buffer_load_dword v153, off, s[0:3], 0 offset:304
	buffer_load_dword v155, off, s[0:3], 0 offset:296
	buffer_load_dword v157, off, s[0:3], 0 offset:288
	buffer_load_dword v123, off, s[0:3], 0 offset:280
	buffer_load_dword v158, off, s[0:3], 0 offset:292
	buffer_load_dword v156, off, s[0:3], 0 offset:300
	buffer_load_dword v154, off, s[0:3], 0 offset:308
	s_waitcnt vmcnt(34)
	v_fma_f64 v[115:116], v[125:126], v[117:118], v[115:116]
	s_waitcnt vmcnt(32) lgkmcnt(0)
	v_fma_f64 v[115:116], v[127:128], v[119:120], v[115:116]
	s_waitcnt vmcnt(30)
	v_fma_f64 v[125:126], v[129:130], v[121:122], v[115:116]
	ds_read_b128 v[115:118], v114 offset:640
	ds_read_b128 v[119:122], v114 offset:656
	s_waitcnt vmcnt(28) lgkmcnt(1)
	v_fma_f64 v[115:116], v[131:132], v[115:116], v[125:126]
	s_clause 0x7
	buffer_load_dword v126, off, s[0:3], 0 offset:316
	buffer_load_dword v127, off, s[0:3], 0 offset:336
	buffer_load_dword v129, off, s[0:3], 0 offset:328
	buffer_load_dword v131, off, s[0:3], 0 offset:320
	buffer_load_dword v125, off, s[0:3], 0 offset:312
	buffer_load_dword v132, off, s[0:3], 0 offset:324
	buffer_load_dword v130, off, s[0:3], 0 offset:332
	buffer_load_dword v128, off, s[0:3], 0 offset:340
	s_waitcnt vmcnt(34)
	v_fma_f64 v[115:116], v[133:134], v[117:118], v[115:116]
	s_waitcnt vmcnt(32) lgkmcnt(0)
	v_fma_f64 v[115:116], v[135:136], v[119:120], v[115:116]
	s_waitcnt vmcnt(27)
	v_fma_f64 v[133:134], v[137:138], v[121:122], v[115:116]
	ds_read_b128 v[115:118], v114 offset:672
	ds_read_b128 v[119:122], v114 offset:688
	s_waitcnt vmcnt(26) lgkmcnt(1)
	v_fma_f64 v[115:116], v[143:144], v[115:116], v[133:134]
	s_clause 0x7
	buffer_load_dword v134, off, s[0:3], 0 offset:348
	buffer_load_dword v135, off, s[0:3], 0 offset:368
	buffer_load_dword v137, off, s[0:3], 0 offset:360
	buffer_load_dword v143, off, s[0:3], 0 offset:352
	buffer_load_dword v133, off, s[0:3], 0 offset:344
	buffer_load_dword v144, off, s[0:3], 0 offset:356
	buffer_load_dword v138, off, s[0:3], 0 offset:364
	buffer_load_dword v136, off, s[0:3], 0 offset:372
	s_waitcnt vmcnt(33)
	v_fma_f64 v[115:116], v[141:142], v[117:118], v[115:116]
	s_waitcnt vmcnt(32) lgkmcnt(0)
	v_fma_f64 v[115:116], v[139:140], v[119:120], v[115:116]
	s_waitcnt vmcnt(27)
	v_fma_f64 v[139:140], v[145:146], v[121:122], v[115:116]
	ds_read_b128 v[115:118], v114 offset:704
	ds_read_b128 v[119:122], v114 offset:720
	s_waitcnt vmcnt(26) lgkmcnt(1)
	v_fma_f64 v[115:116], v[151:152], v[115:116], v[139:140]
	s_clause 0x7
	buffer_load_dword v140, off, s[0:3], 0 offset:380
	buffer_load_dword v141, off, s[0:3], 0 offset:400
	buffer_load_dword v145, off, s[0:3], 0 offset:392
	buffer_load_dword v151, off, s[0:3], 0 offset:384
	buffer_load_dword v139, off, s[0:3], 0 offset:376
	buffer_load_dword v152, off, s[0:3], 0 offset:388
	buffer_load_dword v146, off, s[0:3], 0 offset:396
	buffer_load_dword v142, off, s[0:3], 0 offset:404
	s_waitcnt vmcnt(33)
	v_fma_f64 v[115:116], v[149:150], v[117:118], v[115:116]
	s_waitcnt vmcnt(32) lgkmcnt(0)
	v_fma_f64 v[115:116], v[147:148], v[119:120], v[115:116]
	s_waitcnt vmcnt(27)
	v_fma_f64 v[123:124], v[123:124], v[121:122], v[115:116]
	ds_read_b128 v[115:118], v114 offset:736
	ds_read_b128 v[119:122], v114 offset:752
	s_waitcnt vmcnt(26) lgkmcnt(1)
	v_fma_f64 v[115:116], v[157:158], v[115:116], v[123:124]
	s_clause 0x7
	buffer_load_dword v124, off, s[0:3], 0 offset:412
	buffer_load_dword v147, off, s[0:3], 0 offset:432
	buffer_load_dword v149, off, s[0:3], 0 offset:424
	buffer_load_dword v157, off, s[0:3], 0 offset:416
	buffer_load_dword v123, off, s[0:3], 0 offset:408
	buffer_load_dword v158, off, s[0:3], 0 offset:420
	buffer_load_dword v150, off, s[0:3], 0 offset:428
	buffer_load_dword v148, off, s[0:3], 0 offset:436
	s_waitcnt vmcnt(33)
	v_fma_f64 v[115:116], v[155:156], v[117:118], v[115:116]
	s_waitcnt vmcnt(32) lgkmcnt(0)
	v_fma_f64 v[115:116], v[153:154], v[119:120], v[115:116]
	s_waitcnt vmcnt(27)
	v_fma_f64 v[125:126], v[125:126], v[121:122], v[115:116]
	ds_read_b128 v[115:118], v114 offset:768
	ds_read_b128 v[119:122], v114 offset:784
	s_waitcnt vmcnt(26) lgkmcnt(1)
	v_fma_f64 v[115:116], v[131:132], v[115:116], v[125:126]
	s_clause 0x1
	buffer_load_dword v126, off, s[0:3], 0 offset:444
	buffer_load_dword v125, off, s[0:3], 0 offset:440
	s_waitcnt vmcnt(27)
	v_fma_f64 v[115:116], v[129:130], v[117:118], v[115:116]
	s_clause 0x1
	buffer_load_dword v129, off, s[0:3], 0 offset:152
	buffer_load_dword v130, off, s[0:3], 0 offset:156
	s_waitcnt vmcnt(28) lgkmcnt(0)
	v_fma_f64 v[115:116], v[127:128], v[119:120], v[115:116]
	s_waitcnt vmcnt(23)
	v_fma_f64 v[127:128], v[133:134], v[121:122], v[115:116]
	ds_read_b128 v[115:118], v114 offset:800
	ds_read_b128 v[119:122], v114 offset:816
	s_waitcnt vmcnt(22) lgkmcnt(1)
	v_fma_f64 v[115:116], v[143:144], v[115:116], v[127:128]
	s_waitcnt vmcnt(21)
	v_fma_f64 v[115:116], v[137:138], v[117:118], v[115:116]
	s_waitcnt vmcnt(20) lgkmcnt(0)
	v_fma_f64 v[115:116], v[135:136], v[119:120], v[115:116]
	s_waitcnt vmcnt(15)
	v_fma_f64 v[127:128], v[139:140], v[121:122], v[115:116]
	ds_read_b128 v[115:118], v114 offset:832
	ds_read_b128 v[119:122], v114 offset:848
	s_waitcnt vmcnt(14) lgkmcnt(1)
	v_fma_f64 v[115:116], v[151:152], v[115:116], v[127:128]
	s_waitcnt vmcnt(13)
	v_fma_f64 v[115:116], v[145:146], v[117:118], v[115:116]
	;; [unrolled: 10-line block ×3, first 2 shown]
	s_waitcnt vmcnt(4) lgkmcnt(0)
	v_fma_f64 v[114:115], v[147:148], v[119:120], v[114:115]
	s_waitcnt vmcnt(2)
	v_fma_f64 v[114:115], v[125:126], v[121:122], v[114:115]
	s_waitcnt vmcnt(0)
	v_add_f64 v[114:115], v[129:130], -v[114:115]
	buffer_store_dword v115, off, s[0:3], 0 offset:156
	buffer_store_dword v114, off, s[0:3], 0 offset:152
	v_cmpx_lt_u32_e32 18, v0
	s_cbranch_execz .LBB55_309
; %bb.308:
	s_clause 0x1
	buffer_load_dword v114, off, s[0:3], 0 offset:144
	buffer_load_dword v115, off, s[0:3], 0 offset:148
	v_mov_b32_e32 v116, 0
	buffer_store_dword v116, off, s[0:3], 0 offset:144
	buffer_store_dword v116, off, s[0:3], 0 offset:148
	s_waitcnt vmcnt(0)
	ds_write_b64 v113, v[114:115]
.LBB55_309:
	s_or_b32 exec_lo, exec_lo, s4
	s_waitcnt lgkmcnt(0)
	s_waitcnt_vscnt null, 0x0
	s_barrier
	buffer_gl0_inv
	s_clause 0x1c
	buffer_load_dword v123, off, s[0:3], 0 offset:152
	buffer_load_dword v124, off, s[0:3], 0 offset:156
	;; [unrolled: 1-line block ×29, first 2 shown]
	v_mov_b32_e32 v114, 0
	buffer_load_dword v148, off, s[0:3], 0 offset:268
	s_mov_b32 s4, exec_lo
	ds_read2_b64 v[115:118], v114 offset0:75 offset1:76
	ds_read2_b64 v[119:122], v114 offset0:77 offset1:78
	s_waitcnt vmcnt(28) lgkmcnt(1)
	v_fma_f64 v[115:116], v[123:124], v[115:116], 0
	s_clause 0x7
	buffer_load_dword v124, off, s[0:3], 0 offset:276
	buffer_load_dword v153, off, s[0:3], 0 offset:296
	buffer_load_dword v155, off, s[0:3], 0 offset:288
	buffer_load_dword v157, off, s[0:3], 0 offset:280
	buffer_load_dword v123, off, s[0:3], 0 offset:272
	buffer_load_dword v158, off, s[0:3], 0 offset:284
	buffer_load_dword v156, off, s[0:3], 0 offset:292
	buffer_load_dword v154, off, s[0:3], 0 offset:300
	s_waitcnt vmcnt(34)
	v_fma_f64 v[115:116], v[125:126], v[117:118], v[115:116]
	s_waitcnt vmcnt(32) lgkmcnt(0)
	v_fma_f64 v[115:116], v[127:128], v[119:120], v[115:116]
	s_waitcnt vmcnt(30)
	v_fma_f64 v[125:126], v[129:130], v[121:122], v[115:116]
	ds_read2_b64 v[115:118], v114 offset0:79 offset1:80
	ds_read2_b64 v[119:122], v114 offset0:81 offset1:82
	s_waitcnt vmcnt(28) lgkmcnt(1)
	v_fma_f64 v[115:116], v[131:132], v[115:116], v[125:126]
	s_clause 0x7
	buffer_load_dword v126, off, s[0:3], 0 offset:308
	buffer_load_dword v127, off, s[0:3], 0 offset:328
	buffer_load_dword v129, off, s[0:3], 0 offset:320
	buffer_load_dword v131, off, s[0:3], 0 offset:312
	buffer_load_dword v125, off, s[0:3], 0 offset:304
	buffer_load_dword v132, off, s[0:3], 0 offset:316
	buffer_load_dword v130, off, s[0:3], 0 offset:324
	buffer_load_dword v128, off, s[0:3], 0 offset:332
	s_waitcnt vmcnt(34)
	v_fma_f64 v[115:116], v[133:134], v[117:118], v[115:116]
	s_waitcnt vmcnt(32) lgkmcnt(0)
	v_fma_f64 v[115:116], v[135:136], v[119:120], v[115:116]
	s_waitcnt vmcnt(27)
	v_fma_f64 v[133:134], v[137:138], v[121:122], v[115:116]
	;; [unrolled: 19-line block ×5, first 2 shown]
	ds_read2_b64 v[115:118], v114 offset0:95 offset1:96
	ds_read2_b64 v[119:122], v114 offset0:97 offset1:98
	s_waitcnt vmcnt(26) lgkmcnt(1)
	v_fma_f64 v[115:116], v[131:132], v[115:116], v[125:126]
	s_clause 0x3
	buffer_load_dword v126, off, s[0:3], 0 offset:436
	buffer_load_dword v131, off, s[0:3], 0 offset:440
	;; [unrolled: 1-line block ×4, first 2 shown]
	s_waitcnt vmcnt(29)
	v_fma_f64 v[115:116], v[129:130], v[117:118], v[115:116]
	s_waitcnt vmcnt(28) lgkmcnt(0)
	v_fma_f64 v[115:116], v[127:128], v[119:120], v[115:116]
	s_clause 0x1
	buffer_load_dword v127, off, s[0:3], 0 offset:144
	buffer_load_dword v128, off, s[0:3], 0 offset:148
	s_waitcnt vmcnt(25)
	v_fma_f64 v[129:130], v[133:134], v[121:122], v[115:116]
	ds_read2_b64 v[115:118], v114 offset0:99 offset1:100
	ds_read2_b64 v[119:122], v114 offset0:101 offset1:102
	s_waitcnt vmcnt(24) lgkmcnt(1)
	v_fma_f64 v[115:116], v[143:144], v[115:116], v[129:130]
	s_waitcnt vmcnt(23)
	v_fma_f64 v[115:116], v[137:138], v[117:118], v[115:116]
	s_waitcnt vmcnt(22) lgkmcnt(0)
	v_fma_f64 v[115:116], v[135:136], v[119:120], v[115:116]
	s_waitcnt vmcnt(17)
	v_fma_f64 v[129:130], v[139:140], v[121:122], v[115:116]
	ds_read2_b64 v[115:118], v114 offset0:103 offset1:104
	ds_read2_b64 v[119:122], v114 offset0:105 offset1:106
	s_waitcnt vmcnt(16) lgkmcnt(1)
	v_fma_f64 v[115:116], v[151:152], v[115:116], v[129:130]
	s_waitcnt vmcnt(15)
	v_fma_f64 v[115:116], v[145:146], v[117:118], v[115:116]
	s_waitcnt vmcnt(14) lgkmcnt(0)
	v_fma_f64 v[115:116], v[141:142], v[119:120], v[115:116]
	s_waitcnt vmcnt(9)
	v_fma_f64 v[123:124], v[123:124], v[121:122], v[115:116]
	ds_read2_b64 v[115:118], v114 offset0:107 offset1:108
	ds_read2_b64 v[119:122], v114 offset0:109 offset1:110
	s_waitcnt vmcnt(8) lgkmcnt(1)
	v_fma_f64 v[115:116], v[157:158], v[115:116], v[123:124]
	s_waitcnt vmcnt(7)
	v_fma_f64 v[115:116], v[149:150], v[117:118], v[115:116]
	ds_read_b64 v[117:118], v114 offset:888
	s_waitcnt vmcnt(6) lgkmcnt(1)
	v_fma_f64 v[115:116], v[147:148], v[119:120], v[115:116]
	s_waitcnt vmcnt(3)
	v_fma_f64 v[115:116], v[125:126], v[121:122], v[115:116]
	s_waitcnt vmcnt(2) lgkmcnt(0)
	v_fma_f64 v[115:116], v[131:132], v[117:118], v[115:116]
	s_waitcnt vmcnt(0)
	v_add_f64 v[115:116], v[127:128], -v[115:116]
	buffer_store_dword v116, off, s[0:3], 0 offset:148
	buffer_store_dword v115, off, s[0:3], 0 offset:144
	v_cmpx_lt_u32_e32 17, v0
	s_cbranch_execz .LBB55_311
; %bb.310:
	s_clause 0x1
	buffer_load_dword v115, off, s[0:3], 0 offset:136
	buffer_load_dword v116, off, s[0:3], 0 offset:140
	buffer_store_dword v114, off, s[0:3], 0 offset:136
	buffer_store_dword v114, off, s[0:3], 0 offset:140
	s_waitcnt vmcnt(0)
	ds_write_b64 v113, v[115:116]
.LBB55_311:
	s_or_b32 exec_lo, exec_lo, s4
	s_waitcnt lgkmcnt(0)
	s_waitcnt_vscnt null, 0x0
	s_barrier
	buffer_gl0_inv
	s_clause 0x1c
	buffer_load_dword v123, off, s[0:3], 0 offset:144
	buffer_load_dword v124, off, s[0:3], 0 offset:148
	;; [unrolled: 1-line block ×29, first 2 shown]
	ds_read_b128 v[115:118], v114 offset:592
	ds_read_b128 v[119:122], v114 offset:608
	buffer_load_dword v148, off, s[0:3], 0 offset:260
	s_mov_b32 s4, exec_lo
	s_waitcnt vmcnt(28) lgkmcnt(1)
	v_fma_f64 v[115:116], v[123:124], v[115:116], 0
	s_clause 0x7
	buffer_load_dword v124, off, s[0:3], 0 offset:268
	buffer_load_dword v153, off, s[0:3], 0 offset:288
	buffer_load_dword v155, off, s[0:3], 0 offset:280
	buffer_load_dword v157, off, s[0:3], 0 offset:272
	buffer_load_dword v123, off, s[0:3], 0 offset:264
	buffer_load_dword v158, off, s[0:3], 0 offset:276
	buffer_load_dword v156, off, s[0:3], 0 offset:284
	buffer_load_dword v154, off, s[0:3], 0 offset:292
	s_waitcnt vmcnt(34)
	v_fma_f64 v[115:116], v[125:126], v[117:118], v[115:116]
	s_waitcnt vmcnt(32) lgkmcnt(0)
	v_fma_f64 v[115:116], v[127:128], v[119:120], v[115:116]
	s_waitcnt vmcnt(30)
	v_fma_f64 v[125:126], v[129:130], v[121:122], v[115:116]
	ds_read_b128 v[115:118], v114 offset:624
	ds_read_b128 v[119:122], v114 offset:640
	s_waitcnt vmcnt(28) lgkmcnt(1)
	v_fma_f64 v[115:116], v[131:132], v[115:116], v[125:126]
	s_clause 0x7
	buffer_load_dword v126, off, s[0:3], 0 offset:300
	buffer_load_dword v127, off, s[0:3], 0 offset:320
	buffer_load_dword v129, off, s[0:3], 0 offset:312
	buffer_load_dword v131, off, s[0:3], 0 offset:304
	buffer_load_dword v125, off, s[0:3], 0 offset:296
	buffer_load_dword v132, off, s[0:3], 0 offset:308
	buffer_load_dword v130, off, s[0:3], 0 offset:316
	buffer_load_dword v128, off, s[0:3], 0 offset:324
	s_waitcnt vmcnt(34)
	v_fma_f64 v[115:116], v[133:134], v[117:118], v[115:116]
	s_waitcnt vmcnt(32) lgkmcnt(0)
	v_fma_f64 v[115:116], v[135:136], v[119:120], v[115:116]
	s_waitcnt vmcnt(27)
	v_fma_f64 v[133:134], v[137:138], v[121:122], v[115:116]
	ds_read_b128 v[115:118], v114 offset:656
	ds_read_b128 v[119:122], v114 offset:672
	;; [unrolled: 19-line block ×5, first 2 shown]
	s_waitcnt vmcnt(26) lgkmcnt(1)
	v_fma_f64 v[115:116], v[131:132], v[115:116], v[125:126]
	s_clause 0x5
	buffer_load_dword v126, off, s[0:3], 0 offset:428
	buffer_load_dword v131, off, s[0:3], 0 offset:440
	;; [unrolled: 1-line block ×6, first 2 shown]
	s_waitcnt vmcnt(31)
	v_fma_f64 v[115:116], v[129:130], v[117:118], v[115:116]
	s_waitcnt vmcnt(30) lgkmcnt(0)
	v_fma_f64 v[115:116], v[127:128], v[119:120], v[115:116]
	s_waitcnt vmcnt(25)
	v_fma_f64 v[127:128], v[133:134], v[121:122], v[115:116]
	ds_read_b128 v[115:118], v114 offset:784
	s_clause 0x1
	buffer_load_dword v129, off, s[0:3], 0 offset:136
	buffer_load_dword v130, off, s[0:3], 0 offset:140
	ds_read_b128 v[119:122], v114 offset:800
	s_waitcnt vmcnt(26) lgkmcnt(1)
	v_fma_f64 v[115:116], v[143:144], v[115:116], v[127:128]
	s_waitcnt vmcnt(25)
	v_fma_f64 v[115:116], v[137:138], v[117:118], v[115:116]
	s_waitcnt vmcnt(24) lgkmcnt(0)
	v_fma_f64 v[115:116], v[135:136], v[119:120], v[115:116]
	s_waitcnt vmcnt(19)
	v_fma_f64 v[127:128], v[139:140], v[121:122], v[115:116]
	ds_read_b128 v[115:118], v114 offset:816
	ds_read_b128 v[119:122], v114 offset:832
	s_waitcnt vmcnt(18) lgkmcnt(1)
	v_fma_f64 v[115:116], v[151:152], v[115:116], v[127:128]
	s_waitcnt vmcnt(17)
	v_fma_f64 v[115:116], v[145:146], v[117:118], v[115:116]
	s_waitcnt vmcnt(16) lgkmcnt(0)
	v_fma_f64 v[115:116], v[141:142], v[119:120], v[115:116]
	s_waitcnt vmcnt(11)
	v_fma_f64 v[123:124], v[123:124], v[121:122], v[115:116]
	ds_read_b128 v[115:118], v114 offset:848
	;; [unrolled: 10-line block ×3, first 2 shown]
	s_waitcnt vmcnt(3) lgkmcnt(0)
	v_fma_f64 v[114:115], v[153:154], v[114:115], v[118:119]
	s_waitcnt vmcnt(2)
	v_fma_f64 v[114:115], v[131:132], v[116:117], v[114:115]
	s_waitcnt vmcnt(0)
	v_add_f64 v[114:115], v[129:130], -v[114:115]
	buffer_store_dword v115, off, s[0:3], 0 offset:140
	buffer_store_dword v114, off, s[0:3], 0 offset:136
	v_cmpx_lt_u32_e32 16, v0
	s_cbranch_execz .LBB55_313
; %bb.312:
	s_clause 0x1
	buffer_load_dword v114, off, s[0:3], 0 offset:128
	buffer_load_dword v115, off, s[0:3], 0 offset:132
	v_mov_b32_e32 v116, 0
	buffer_store_dword v116, off, s[0:3], 0 offset:128
	buffer_store_dword v116, off, s[0:3], 0 offset:132
	s_waitcnt vmcnt(0)
	ds_write_b64 v113, v[114:115]
.LBB55_313:
	s_or_b32 exec_lo, exec_lo, s4
	s_waitcnt lgkmcnt(0)
	s_waitcnt_vscnt null, 0x0
	s_barrier
	buffer_gl0_inv
	s_clause 0x1c
	buffer_load_dword v123, off, s[0:3], 0 offset:136
	buffer_load_dword v124, off, s[0:3], 0 offset:140
	;; [unrolled: 1-line block ×29, first 2 shown]
	v_mov_b32_e32 v114, 0
	buffer_load_dword v148, off, s[0:3], 0 offset:252
	s_mov_b32 s4, exec_lo
	ds_read2_b64 v[115:118], v114 offset0:73 offset1:74
	ds_read2_b64 v[119:122], v114 offset0:75 offset1:76
	s_waitcnt vmcnt(28) lgkmcnt(1)
	v_fma_f64 v[115:116], v[123:124], v[115:116], 0
	s_clause 0x7
	buffer_load_dword v124, off, s[0:3], 0 offset:260
	buffer_load_dword v153, off, s[0:3], 0 offset:280
	buffer_load_dword v155, off, s[0:3], 0 offset:272
	buffer_load_dword v157, off, s[0:3], 0 offset:264
	buffer_load_dword v123, off, s[0:3], 0 offset:256
	buffer_load_dword v158, off, s[0:3], 0 offset:268
	buffer_load_dword v156, off, s[0:3], 0 offset:276
	buffer_load_dword v154, off, s[0:3], 0 offset:284
	s_waitcnt vmcnt(34)
	v_fma_f64 v[115:116], v[125:126], v[117:118], v[115:116]
	s_waitcnt vmcnt(32) lgkmcnt(0)
	v_fma_f64 v[115:116], v[127:128], v[119:120], v[115:116]
	s_waitcnt vmcnt(30)
	v_fma_f64 v[125:126], v[129:130], v[121:122], v[115:116]
	ds_read2_b64 v[115:118], v114 offset0:77 offset1:78
	ds_read2_b64 v[119:122], v114 offset0:79 offset1:80
	s_waitcnt vmcnt(28) lgkmcnt(1)
	v_fma_f64 v[115:116], v[131:132], v[115:116], v[125:126]
	s_clause 0x7
	buffer_load_dword v126, off, s[0:3], 0 offset:292
	buffer_load_dword v127, off, s[0:3], 0 offset:312
	buffer_load_dword v129, off, s[0:3], 0 offset:304
	buffer_load_dword v131, off, s[0:3], 0 offset:296
	buffer_load_dword v125, off, s[0:3], 0 offset:288
	buffer_load_dword v132, off, s[0:3], 0 offset:300
	buffer_load_dword v130, off, s[0:3], 0 offset:308
	buffer_load_dword v128, off, s[0:3], 0 offset:316
	s_waitcnt vmcnt(34)
	v_fma_f64 v[115:116], v[133:134], v[117:118], v[115:116]
	s_waitcnt vmcnt(32) lgkmcnt(0)
	v_fma_f64 v[115:116], v[135:136], v[119:120], v[115:116]
	s_waitcnt vmcnt(27)
	v_fma_f64 v[133:134], v[137:138], v[121:122], v[115:116]
	ds_read2_b64 v[115:118], v114 offset0:81 offset1:82
	ds_read2_b64 v[119:122], v114 offset0:83 offset1:84
	s_waitcnt vmcnt(26) lgkmcnt(1)
	v_fma_f64 v[115:116], v[143:144], v[115:116], v[133:134]
	s_clause 0x7
	buffer_load_dword v134, off, s[0:3], 0 offset:324
	buffer_load_dword v135, off, s[0:3], 0 offset:344
	buffer_load_dword v137, off, s[0:3], 0 offset:336
	buffer_load_dword v143, off, s[0:3], 0 offset:328
	buffer_load_dword v133, off, s[0:3], 0 offset:320
	buffer_load_dword v144, off, s[0:3], 0 offset:332
	buffer_load_dword v138, off, s[0:3], 0 offset:340
	buffer_load_dword v136, off, s[0:3], 0 offset:348
	s_waitcnt vmcnt(33)
	v_fma_f64 v[115:116], v[141:142], v[117:118], v[115:116]
	s_waitcnt vmcnt(32) lgkmcnt(0)
	v_fma_f64 v[115:116], v[139:140], v[119:120], v[115:116]
	s_waitcnt vmcnt(27)
	v_fma_f64 v[139:140], v[145:146], v[121:122], v[115:116]
	ds_read2_b64 v[115:118], v114 offset0:85 offset1:86
	ds_read2_b64 v[119:122], v114 offset0:87 offset1:88
	s_waitcnt vmcnt(26) lgkmcnt(1)
	v_fma_f64 v[115:116], v[151:152], v[115:116], v[139:140]
	s_clause 0x7
	buffer_load_dword v140, off, s[0:3], 0 offset:356
	buffer_load_dword v141, off, s[0:3], 0 offset:376
	buffer_load_dword v145, off, s[0:3], 0 offset:368
	buffer_load_dword v151, off, s[0:3], 0 offset:360
	buffer_load_dword v139, off, s[0:3], 0 offset:352
	buffer_load_dword v152, off, s[0:3], 0 offset:364
	buffer_load_dword v146, off, s[0:3], 0 offset:372
	buffer_load_dword v142, off, s[0:3], 0 offset:380
	s_waitcnt vmcnt(33)
	v_fma_f64 v[115:116], v[149:150], v[117:118], v[115:116]
	s_waitcnt vmcnt(32) lgkmcnt(0)
	v_fma_f64 v[115:116], v[147:148], v[119:120], v[115:116]
	s_waitcnt vmcnt(27)
	v_fma_f64 v[123:124], v[123:124], v[121:122], v[115:116]
	ds_read2_b64 v[115:118], v114 offset0:89 offset1:90
	ds_read2_b64 v[119:122], v114 offset0:91 offset1:92
	s_waitcnt vmcnt(26) lgkmcnt(1)
	v_fma_f64 v[115:116], v[157:158], v[115:116], v[123:124]
	s_clause 0x7
	buffer_load_dword v124, off, s[0:3], 0 offset:388
	buffer_load_dword v147, off, s[0:3], 0 offset:408
	buffer_load_dword v149, off, s[0:3], 0 offset:400
	buffer_load_dword v157, off, s[0:3], 0 offset:392
	buffer_load_dword v123, off, s[0:3], 0 offset:384
	buffer_load_dword v158, off, s[0:3], 0 offset:396
	buffer_load_dword v150, off, s[0:3], 0 offset:404
	buffer_load_dword v148, off, s[0:3], 0 offset:412
	s_waitcnt vmcnt(33)
	v_fma_f64 v[115:116], v[155:156], v[117:118], v[115:116]
	s_waitcnt vmcnt(32) lgkmcnt(0)
	v_fma_f64 v[115:116], v[153:154], v[119:120], v[115:116]
	s_waitcnt vmcnt(27)
	v_fma_f64 v[125:126], v[125:126], v[121:122], v[115:116]
	ds_read2_b64 v[115:118], v114 offset0:93 offset1:94
	ds_read2_b64 v[119:122], v114 offset0:95 offset1:96
	s_waitcnt vmcnt(26) lgkmcnt(1)
	v_fma_f64 v[115:116], v[131:132], v[115:116], v[125:126]
	s_clause 0x7
	buffer_load_dword v126, off, s[0:3], 0 offset:420
	buffer_load_dword v131, off, s[0:3], 0 offset:440
	buffer_load_dword v153, off, s[0:3], 0 offset:432
	buffer_load_dword v155, off, s[0:3], 0 offset:424
	buffer_load_dword v125, off, s[0:3], 0 offset:416
	buffer_load_dword v156, off, s[0:3], 0 offset:428
	buffer_load_dword v154, off, s[0:3], 0 offset:436
	buffer_load_dword v132, off, s[0:3], 0 offset:444
	s_waitcnt vmcnt(33)
	v_fma_f64 v[115:116], v[129:130], v[117:118], v[115:116]
	s_waitcnt vmcnt(32) lgkmcnt(0)
	v_fma_f64 v[115:116], v[127:128], v[119:120], v[115:116]
	s_waitcnt vmcnt(27)
	v_fma_f64 v[127:128], v[133:134], v[121:122], v[115:116]
	ds_read2_b64 v[115:118], v114 offset0:97 offset1:98
	ds_read2_b64 v[119:122], v114 offset0:99 offset1:100
	s_waitcnt vmcnt(26) lgkmcnt(1)
	v_fma_f64 v[115:116], v[143:144], v[115:116], v[127:128]
	s_clause 0x1
	buffer_load_dword v127, off, s[0:3], 0 offset:128
	buffer_load_dword v128, off, s[0:3], 0 offset:132
	s_waitcnt vmcnt(27)
	v_fma_f64 v[115:116], v[137:138], v[117:118], v[115:116]
	s_waitcnt vmcnt(26) lgkmcnt(0)
	v_fma_f64 v[115:116], v[135:136], v[119:120], v[115:116]
	s_waitcnt vmcnt(21)
	v_fma_f64 v[129:130], v[139:140], v[121:122], v[115:116]
	ds_read2_b64 v[115:118], v114 offset0:101 offset1:102
	ds_read2_b64 v[119:122], v114 offset0:103 offset1:104
	s_waitcnt vmcnt(20) lgkmcnt(1)
	v_fma_f64 v[115:116], v[151:152], v[115:116], v[129:130]
	s_waitcnt vmcnt(19)
	v_fma_f64 v[115:116], v[145:146], v[117:118], v[115:116]
	s_waitcnt vmcnt(18) lgkmcnt(0)
	v_fma_f64 v[115:116], v[141:142], v[119:120], v[115:116]
	s_waitcnt vmcnt(13)
	v_fma_f64 v[123:124], v[123:124], v[121:122], v[115:116]
	ds_read2_b64 v[115:118], v114 offset0:105 offset1:106
	ds_read2_b64 v[119:122], v114 offset0:107 offset1:108
	s_waitcnt vmcnt(12) lgkmcnt(1)
	v_fma_f64 v[115:116], v[157:158], v[115:116], v[123:124]
	s_waitcnt vmcnt(11)
	v_fma_f64 v[115:116], v[149:150], v[117:118], v[115:116]
	s_waitcnt vmcnt(10) lgkmcnt(0)
	v_fma_f64 v[115:116], v[147:148], v[119:120], v[115:116]
	s_waitcnt vmcnt(5)
	v_fma_f64 v[119:120], v[125:126], v[121:122], v[115:116]
	ds_read2_b64 v[115:118], v114 offset0:109 offset1:110
	ds_read_b64 v[121:122], v114 offset:888
	s_waitcnt vmcnt(4) lgkmcnt(1)
	v_fma_f64 v[115:116], v[155:156], v[115:116], v[119:120]
	s_waitcnt vmcnt(3)
	v_fma_f64 v[115:116], v[153:154], v[117:118], v[115:116]
	s_waitcnt vmcnt(2) lgkmcnt(0)
	v_fma_f64 v[115:116], v[131:132], v[121:122], v[115:116]
	s_waitcnt vmcnt(0)
	v_add_f64 v[115:116], v[127:128], -v[115:116]
	buffer_store_dword v116, off, s[0:3], 0 offset:132
	buffer_store_dword v115, off, s[0:3], 0 offset:128
	v_cmpx_lt_u32_e32 15, v0
	s_cbranch_execz .LBB55_315
; %bb.314:
	s_clause 0x1
	buffer_load_dword v115, off, s[0:3], 0 offset:120
	buffer_load_dword v116, off, s[0:3], 0 offset:124
	buffer_store_dword v114, off, s[0:3], 0 offset:120
	buffer_store_dword v114, off, s[0:3], 0 offset:124
	s_waitcnt vmcnt(0)
	ds_write_b64 v113, v[115:116]
.LBB55_315:
	s_or_b32 exec_lo, exec_lo, s4
	s_waitcnt lgkmcnt(0)
	s_waitcnt_vscnt null, 0x0
	s_barrier
	buffer_gl0_inv
	s_clause 0x1c
	buffer_load_dword v123, off, s[0:3], 0 offset:128
	buffer_load_dword v124, off, s[0:3], 0 offset:132
	;; [unrolled: 1-line block ×29, first 2 shown]
	ds_read_b128 v[115:118], v114 offset:576
	ds_read_b128 v[119:122], v114 offset:592
	buffer_load_dword v148, off, s[0:3], 0 offset:244
	s_mov_b32 s4, exec_lo
	s_waitcnt vmcnt(28) lgkmcnt(1)
	v_fma_f64 v[115:116], v[123:124], v[115:116], 0
	s_clause 0x7
	buffer_load_dword v124, off, s[0:3], 0 offset:252
	buffer_load_dword v153, off, s[0:3], 0 offset:272
	buffer_load_dword v155, off, s[0:3], 0 offset:264
	buffer_load_dword v157, off, s[0:3], 0 offset:256
	buffer_load_dword v123, off, s[0:3], 0 offset:248
	buffer_load_dword v158, off, s[0:3], 0 offset:260
	buffer_load_dword v156, off, s[0:3], 0 offset:268
	buffer_load_dword v154, off, s[0:3], 0 offset:276
	s_waitcnt vmcnt(34)
	v_fma_f64 v[115:116], v[125:126], v[117:118], v[115:116]
	s_waitcnt vmcnt(32) lgkmcnt(0)
	v_fma_f64 v[115:116], v[127:128], v[119:120], v[115:116]
	s_waitcnt vmcnt(30)
	v_fma_f64 v[125:126], v[129:130], v[121:122], v[115:116]
	ds_read_b128 v[115:118], v114 offset:608
	ds_read_b128 v[119:122], v114 offset:624
	s_waitcnt vmcnt(28) lgkmcnt(1)
	v_fma_f64 v[115:116], v[131:132], v[115:116], v[125:126]
	s_clause 0x7
	buffer_load_dword v126, off, s[0:3], 0 offset:284
	buffer_load_dword v127, off, s[0:3], 0 offset:304
	buffer_load_dword v129, off, s[0:3], 0 offset:296
	buffer_load_dword v131, off, s[0:3], 0 offset:288
	buffer_load_dword v125, off, s[0:3], 0 offset:280
	buffer_load_dword v132, off, s[0:3], 0 offset:292
	buffer_load_dword v130, off, s[0:3], 0 offset:300
	buffer_load_dword v128, off, s[0:3], 0 offset:308
	s_waitcnt vmcnt(34)
	v_fma_f64 v[115:116], v[133:134], v[117:118], v[115:116]
	s_waitcnt vmcnt(32) lgkmcnt(0)
	v_fma_f64 v[115:116], v[135:136], v[119:120], v[115:116]
	s_waitcnt vmcnt(27)
	v_fma_f64 v[133:134], v[137:138], v[121:122], v[115:116]
	ds_read_b128 v[115:118], v114 offset:640
	ds_read_b128 v[119:122], v114 offset:656
	;; [unrolled: 19-line block ×6, first 2 shown]
	s_waitcnt vmcnt(26) lgkmcnt(1)
	v_fma_f64 v[115:116], v[143:144], v[115:116], v[127:128]
	s_clause 0x3
	buffer_load_dword v128, off, s[0:3], 0 offset:444
	buffer_load_dword v127, off, s[0:3], 0 offset:440
	;; [unrolled: 1-line block ×4, first 2 shown]
	s_waitcnt vmcnt(29)
	v_fma_f64 v[115:116], v[137:138], v[117:118], v[115:116]
	s_waitcnt vmcnt(28) lgkmcnt(0)
	v_fma_f64 v[115:116], v[135:136], v[119:120], v[115:116]
	s_waitcnt vmcnt(23)
	v_fma_f64 v[133:134], v[139:140], v[121:122], v[115:116]
	ds_read_b128 v[115:118], v114 offset:800
	ds_read_b128 v[119:122], v114 offset:816
	s_waitcnt vmcnt(22) lgkmcnt(1)
	v_fma_f64 v[115:116], v[151:152], v[115:116], v[133:134]
	s_waitcnt vmcnt(21)
	v_fma_f64 v[115:116], v[145:146], v[117:118], v[115:116]
	s_waitcnt vmcnt(20) lgkmcnt(0)
	v_fma_f64 v[115:116], v[141:142], v[119:120], v[115:116]
	s_waitcnt vmcnt(15)
	v_fma_f64 v[123:124], v[123:124], v[121:122], v[115:116]
	ds_read_b128 v[115:118], v114 offset:832
	ds_read_b128 v[119:122], v114 offset:848
	s_waitcnt vmcnt(14) lgkmcnt(1)
	v_fma_f64 v[115:116], v[157:158], v[115:116], v[123:124]
	;; [unrolled: 10-line block ×3, first 2 shown]
	s_waitcnt vmcnt(5)
	v_fma_f64 v[114:115], v[153:154], v[117:118], v[114:115]
	s_waitcnt vmcnt(4) lgkmcnt(0)
	v_fma_f64 v[114:115], v[131:132], v[119:120], v[114:115]
	s_waitcnt vmcnt(2)
	v_fma_f64 v[114:115], v[127:128], v[121:122], v[114:115]
	s_waitcnt vmcnt(0)
	v_add_f64 v[114:115], v[129:130], -v[114:115]
	buffer_store_dword v115, off, s[0:3], 0 offset:124
	buffer_store_dword v114, off, s[0:3], 0 offset:120
	v_cmpx_lt_u32_e32 14, v0
	s_cbranch_execz .LBB55_317
; %bb.316:
	s_clause 0x1
	buffer_load_dword v114, off, s[0:3], 0 offset:112
	buffer_load_dword v115, off, s[0:3], 0 offset:116
	v_mov_b32_e32 v116, 0
	buffer_store_dword v116, off, s[0:3], 0 offset:112
	buffer_store_dword v116, off, s[0:3], 0 offset:116
	s_waitcnt vmcnt(0)
	ds_write_b64 v113, v[114:115]
.LBB55_317:
	s_or_b32 exec_lo, exec_lo, s4
	s_waitcnt lgkmcnt(0)
	s_waitcnt_vscnt null, 0x0
	s_barrier
	buffer_gl0_inv
	s_clause 0x1c
	buffer_load_dword v123, off, s[0:3], 0 offset:120
	buffer_load_dword v124, off, s[0:3], 0 offset:124
	buffer_load_dword v125, off, s[0:3], 0 offset:128
	buffer_load_dword v126, off, s[0:3], 0 offset:132
	buffer_load_dword v127, off, s[0:3], 0 offset:136
	buffer_load_dword v128, off, s[0:3], 0 offset:140
	buffer_load_dword v129, off, s[0:3], 0 offset:144
	buffer_load_dword v130, off, s[0:3], 0 offset:148
	buffer_load_dword v131, off, s[0:3], 0 offset:152
	buffer_load_dword v132, off, s[0:3], 0 offset:156
	buffer_load_dword v133, off, s[0:3], 0 offset:160
	buffer_load_dword v134, off, s[0:3], 0 offset:164
	buffer_load_dword v135, off, s[0:3], 0 offset:168
	buffer_load_dword v136, off, s[0:3], 0 offset:172
	buffer_load_dword v138, off, s[0:3], 0 offset:180
	buffer_load_dword v139, off, s[0:3], 0 offset:200
	buffer_load_dword v141, off, s[0:3], 0 offset:192
	buffer_load_dword v143, off, s[0:3], 0 offset:184
	buffer_load_dword v137, off, s[0:3], 0 offset:176
	buffer_load_dword v144, off, s[0:3], 0 offset:188
	buffer_load_dword v142, off, s[0:3], 0 offset:196
	buffer_load_dword v140, off, s[0:3], 0 offset:204
	buffer_load_dword v146, off, s[0:3], 0 offset:212
	buffer_load_dword v147, off, s[0:3], 0 offset:232
	buffer_load_dword v149, off, s[0:3], 0 offset:224
	buffer_load_dword v151, off, s[0:3], 0 offset:216
	buffer_load_dword v145, off, s[0:3], 0 offset:208
	buffer_load_dword v152, off, s[0:3], 0 offset:220
	buffer_load_dword v150, off, s[0:3], 0 offset:228
	v_mov_b32_e32 v114, 0
	buffer_load_dword v148, off, s[0:3], 0 offset:236
	s_mov_b32 s4, exec_lo
	ds_read2_b64 v[115:118], v114 offset0:71 offset1:72
	ds_read2_b64 v[119:122], v114 offset0:73 offset1:74
	s_waitcnt vmcnt(28) lgkmcnt(1)
	v_fma_f64 v[115:116], v[123:124], v[115:116], 0
	s_clause 0x7
	buffer_load_dword v124, off, s[0:3], 0 offset:244
	buffer_load_dword v153, off, s[0:3], 0 offset:264
	buffer_load_dword v155, off, s[0:3], 0 offset:256
	buffer_load_dword v157, off, s[0:3], 0 offset:248
	buffer_load_dword v123, off, s[0:3], 0 offset:240
	buffer_load_dword v158, off, s[0:3], 0 offset:252
	buffer_load_dword v156, off, s[0:3], 0 offset:260
	buffer_load_dword v154, off, s[0:3], 0 offset:268
	s_waitcnt vmcnt(34)
	v_fma_f64 v[115:116], v[125:126], v[117:118], v[115:116]
	s_waitcnt vmcnt(32) lgkmcnt(0)
	v_fma_f64 v[115:116], v[127:128], v[119:120], v[115:116]
	s_waitcnt vmcnt(30)
	v_fma_f64 v[125:126], v[129:130], v[121:122], v[115:116]
	ds_read2_b64 v[115:118], v114 offset0:75 offset1:76
	ds_read2_b64 v[119:122], v114 offset0:77 offset1:78
	s_waitcnt vmcnt(28) lgkmcnt(1)
	v_fma_f64 v[115:116], v[131:132], v[115:116], v[125:126]
	s_clause 0x7
	buffer_load_dword v126, off, s[0:3], 0 offset:276
	buffer_load_dword v127, off, s[0:3], 0 offset:296
	buffer_load_dword v129, off, s[0:3], 0 offset:288
	buffer_load_dword v131, off, s[0:3], 0 offset:280
	buffer_load_dword v125, off, s[0:3], 0 offset:272
	buffer_load_dword v132, off, s[0:3], 0 offset:284
	buffer_load_dword v130, off, s[0:3], 0 offset:292
	buffer_load_dword v128, off, s[0:3], 0 offset:300
	s_waitcnt vmcnt(34)
	v_fma_f64 v[115:116], v[133:134], v[117:118], v[115:116]
	s_waitcnt vmcnt(32) lgkmcnt(0)
	v_fma_f64 v[115:116], v[135:136], v[119:120], v[115:116]
	s_waitcnt vmcnt(27)
	v_fma_f64 v[133:134], v[137:138], v[121:122], v[115:116]
	;; [unrolled: 19-line block ×6, first 2 shown]
	ds_read2_b64 v[115:118], v114 offset0:95 offset1:96
	ds_read2_b64 v[119:122], v114 offset0:97 offset1:98
	s_waitcnt vmcnt(26) lgkmcnt(1)
	v_fma_f64 v[115:116], v[143:144], v[115:116], v[127:128]
	s_clause 0x5
	buffer_load_dword v128, off, s[0:3], 0 offset:436
	buffer_load_dword v129, off, s[0:3], 0 offset:440
	;; [unrolled: 1-line block ×6, first 2 shown]
	s_waitcnt vmcnt(31)
	v_fma_f64 v[115:116], v[137:138], v[117:118], v[115:116]
	s_waitcnt vmcnt(30) lgkmcnt(0)
	v_fma_f64 v[115:116], v[135:136], v[119:120], v[115:116]
	s_waitcnt vmcnt(25)
	v_fma_f64 v[135:136], v[139:140], v[121:122], v[115:116]
	ds_read2_b64 v[115:118], v114 offset0:99 offset1:100
	ds_read2_b64 v[119:122], v114 offset0:101 offset1:102
	s_waitcnt vmcnt(24) lgkmcnt(1)
	v_fma_f64 v[115:116], v[151:152], v[115:116], v[135:136]
	s_waitcnt vmcnt(23)
	v_fma_f64 v[115:116], v[145:146], v[117:118], v[115:116]
	s_waitcnt vmcnt(22) lgkmcnt(0)
	v_fma_f64 v[115:116], v[141:142], v[119:120], v[115:116]
	s_waitcnt vmcnt(17)
	v_fma_f64 v[123:124], v[123:124], v[121:122], v[115:116]
	ds_read2_b64 v[115:118], v114 offset0:103 offset1:104
	ds_read2_b64 v[119:122], v114 offset0:105 offset1:106
	s_waitcnt vmcnt(16) lgkmcnt(1)
	v_fma_f64 v[115:116], v[157:158], v[115:116], v[123:124]
	;; [unrolled: 10-line block ×3, first 2 shown]
	s_waitcnt vmcnt(7)
	v_fma_f64 v[115:116], v[153:154], v[117:118], v[115:116]
	ds_read_b64 v[117:118], v114 offset:888
	s_waitcnt vmcnt(6) lgkmcnt(1)
	v_fma_f64 v[115:116], v[131:132], v[119:120], v[115:116]
	s_waitcnt vmcnt(3)
	v_fma_f64 v[115:116], v[127:128], v[121:122], v[115:116]
	s_waitcnt vmcnt(2) lgkmcnt(0)
	v_fma_f64 v[115:116], v[129:130], v[117:118], v[115:116]
	s_waitcnt vmcnt(0)
	v_add_f64 v[115:116], v[133:134], -v[115:116]
	buffer_store_dword v116, off, s[0:3], 0 offset:116
	buffer_store_dword v115, off, s[0:3], 0 offset:112
	v_cmpx_lt_u32_e32 13, v0
	s_cbranch_execz .LBB55_319
; %bb.318:
	s_clause 0x1
	buffer_load_dword v115, off, s[0:3], 0 offset:104
	buffer_load_dword v116, off, s[0:3], 0 offset:108
	buffer_store_dword v114, off, s[0:3], 0 offset:104
	buffer_store_dword v114, off, s[0:3], 0 offset:108
	s_waitcnt vmcnt(0)
	ds_write_b64 v113, v[115:116]
.LBB55_319:
	s_or_b32 exec_lo, exec_lo, s4
	s_waitcnt lgkmcnt(0)
	s_waitcnt_vscnt null, 0x0
	s_barrier
	buffer_gl0_inv
	s_clause 0x1c
	buffer_load_dword v123, off, s[0:3], 0 offset:112
	buffer_load_dword v124, off, s[0:3], 0 offset:116
	;; [unrolled: 1-line block ×29, first 2 shown]
	ds_read_b128 v[115:118], v114 offset:560
	ds_read_b128 v[119:122], v114 offset:576
	buffer_load_dword v148, off, s[0:3], 0 offset:228
	s_mov_b32 s4, exec_lo
	s_waitcnt vmcnt(28) lgkmcnt(1)
	v_fma_f64 v[115:116], v[123:124], v[115:116], 0
	s_clause 0x7
	buffer_load_dword v124, off, s[0:3], 0 offset:236
	buffer_load_dword v153, off, s[0:3], 0 offset:256
	buffer_load_dword v155, off, s[0:3], 0 offset:248
	buffer_load_dword v157, off, s[0:3], 0 offset:240
	buffer_load_dword v123, off, s[0:3], 0 offset:232
	buffer_load_dword v158, off, s[0:3], 0 offset:244
	buffer_load_dword v156, off, s[0:3], 0 offset:252
	buffer_load_dword v154, off, s[0:3], 0 offset:260
	s_waitcnt vmcnt(34)
	v_fma_f64 v[115:116], v[125:126], v[117:118], v[115:116]
	s_waitcnt vmcnt(32) lgkmcnt(0)
	v_fma_f64 v[115:116], v[127:128], v[119:120], v[115:116]
	s_waitcnt vmcnt(30)
	v_fma_f64 v[125:126], v[129:130], v[121:122], v[115:116]
	ds_read_b128 v[115:118], v114 offset:592
	ds_read_b128 v[119:122], v114 offset:608
	s_waitcnt vmcnt(28) lgkmcnt(1)
	v_fma_f64 v[115:116], v[131:132], v[115:116], v[125:126]
	s_clause 0x7
	buffer_load_dword v126, off, s[0:3], 0 offset:268
	buffer_load_dword v127, off, s[0:3], 0 offset:288
	buffer_load_dword v129, off, s[0:3], 0 offset:280
	buffer_load_dword v131, off, s[0:3], 0 offset:272
	buffer_load_dword v125, off, s[0:3], 0 offset:264
	buffer_load_dword v132, off, s[0:3], 0 offset:276
	buffer_load_dword v130, off, s[0:3], 0 offset:284
	buffer_load_dword v128, off, s[0:3], 0 offset:292
	s_waitcnt vmcnt(34)
	v_fma_f64 v[115:116], v[133:134], v[117:118], v[115:116]
	s_waitcnt vmcnt(32) lgkmcnt(0)
	v_fma_f64 v[115:116], v[135:136], v[119:120], v[115:116]
	s_waitcnt vmcnt(27)
	v_fma_f64 v[133:134], v[137:138], v[121:122], v[115:116]
	ds_read_b128 v[115:118], v114 offset:624
	ds_read_b128 v[119:122], v114 offset:640
	;; [unrolled: 19-line block ×6, first 2 shown]
	s_waitcnt vmcnt(26) lgkmcnt(1)
	v_fma_f64 v[115:116], v[143:144], v[115:116], v[127:128]
	s_clause 0x5
	buffer_load_dword v128, off, s[0:3], 0 offset:428
	buffer_load_dword v129, off, s[0:3], 0 offset:440
	;; [unrolled: 1-line block ×6, first 2 shown]
	s_waitcnt vmcnt(31)
	v_fma_f64 v[115:116], v[137:138], v[117:118], v[115:116]
	s_waitcnt vmcnt(30) lgkmcnt(0)
	v_fma_f64 v[115:116], v[135:136], v[119:120], v[115:116]
	s_waitcnt vmcnt(25)
	v_fma_f64 v[135:136], v[139:140], v[121:122], v[115:116]
	ds_read_b128 v[115:118], v114 offset:784
	s_clause 0x1
	buffer_load_dword v137, off, s[0:3], 0 offset:104
	buffer_load_dword v138, off, s[0:3], 0 offset:108
	ds_read_b128 v[119:122], v114 offset:800
	s_waitcnt vmcnt(26) lgkmcnt(1)
	v_fma_f64 v[115:116], v[151:152], v[115:116], v[135:136]
	s_waitcnt vmcnt(25)
	v_fma_f64 v[115:116], v[145:146], v[117:118], v[115:116]
	s_waitcnt vmcnt(24) lgkmcnt(0)
	v_fma_f64 v[115:116], v[141:142], v[119:120], v[115:116]
	s_waitcnt vmcnt(19)
	v_fma_f64 v[123:124], v[123:124], v[121:122], v[115:116]
	ds_read_b128 v[115:118], v114 offset:816
	ds_read_b128 v[119:122], v114 offset:832
	s_waitcnt vmcnt(18) lgkmcnt(1)
	v_fma_f64 v[115:116], v[157:158], v[115:116], v[123:124]
	s_waitcnt vmcnt(17)
	v_fma_f64 v[115:116], v[149:150], v[117:118], v[115:116]
	s_waitcnt vmcnt(16) lgkmcnt(0)
	v_fma_f64 v[115:116], v[147:148], v[119:120], v[115:116]
	s_waitcnt vmcnt(11)
	v_fma_f64 v[123:124], v[125:126], v[121:122], v[115:116]
	ds_read_b128 v[115:118], v114 offset:848
	ds_read_b128 v[119:122], v114 offset:864
	s_waitcnt vmcnt(10) lgkmcnt(1)
	v_fma_f64 v[115:116], v[155:156], v[115:116], v[123:124]
	s_waitcnt vmcnt(9)
	v_fma_f64 v[115:116], v[153:154], v[117:118], v[115:116]
	s_waitcnt vmcnt(8) lgkmcnt(0)
	v_fma_f64 v[115:116], v[131:132], v[119:120], v[115:116]
	s_waitcnt vmcnt(4)
	v_fma_f64 v[118:119], v[127:128], v[121:122], v[115:116]
	ds_read_b128 v[114:117], v114 offset:880
	s_waitcnt vmcnt(3) lgkmcnt(0)
	v_fma_f64 v[114:115], v[133:134], v[114:115], v[118:119]
	s_waitcnt vmcnt(2)
	v_fma_f64 v[114:115], v[129:130], v[116:117], v[114:115]
	s_waitcnt vmcnt(0)
	v_add_f64 v[114:115], v[137:138], -v[114:115]
	buffer_store_dword v115, off, s[0:3], 0 offset:108
	buffer_store_dword v114, off, s[0:3], 0 offset:104
	v_cmpx_lt_u32_e32 12, v0
	s_cbranch_execz .LBB55_321
; %bb.320:
	s_clause 0x1
	buffer_load_dword v114, off, s[0:3], 0 offset:96
	buffer_load_dword v115, off, s[0:3], 0 offset:100
	v_mov_b32_e32 v116, 0
	buffer_store_dword v116, off, s[0:3], 0 offset:96
	buffer_store_dword v116, off, s[0:3], 0 offset:100
	s_waitcnt vmcnt(0)
	ds_write_b64 v113, v[114:115]
.LBB55_321:
	s_or_b32 exec_lo, exec_lo, s4
	s_waitcnt lgkmcnt(0)
	s_waitcnt_vscnt null, 0x0
	s_barrier
	buffer_gl0_inv
	s_clause 0x1c
	buffer_load_dword v123, off, s[0:3], 0 offset:104
	buffer_load_dword v124, off, s[0:3], 0 offset:108
	;; [unrolled: 1-line block ×29, first 2 shown]
	v_mov_b32_e32 v114, 0
	buffer_load_dword v148, off, s[0:3], 0 offset:220
	s_mov_b32 s4, exec_lo
	ds_read2_b64 v[115:118], v114 offset0:69 offset1:70
	ds_read2_b64 v[119:122], v114 offset0:71 offset1:72
	s_waitcnt vmcnt(28) lgkmcnt(1)
	v_fma_f64 v[115:116], v[123:124], v[115:116], 0
	s_clause 0x7
	buffer_load_dword v124, off, s[0:3], 0 offset:228
	buffer_load_dword v153, off, s[0:3], 0 offset:248
	buffer_load_dword v155, off, s[0:3], 0 offset:240
	buffer_load_dword v157, off, s[0:3], 0 offset:232
	buffer_load_dword v123, off, s[0:3], 0 offset:224
	buffer_load_dword v158, off, s[0:3], 0 offset:236
	buffer_load_dword v156, off, s[0:3], 0 offset:244
	buffer_load_dword v154, off, s[0:3], 0 offset:252
	s_waitcnt vmcnt(34)
	v_fma_f64 v[115:116], v[125:126], v[117:118], v[115:116]
	s_waitcnt vmcnt(32) lgkmcnt(0)
	v_fma_f64 v[115:116], v[127:128], v[119:120], v[115:116]
	s_waitcnt vmcnt(30)
	v_fma_f64 v[125:126], v[129:130], v[121:122], v[115:116]
	ds_read2_b64 v[115:118], v114 offset0:73 offset1:74
	ds_read2_b64 v[119:122], v114 offset0:75 offset1:76
	s_waitcnt vmcnt(28) lgkmcnt(1)
	v_fma_f64 v[115:116], v[131:132], v[115:116], v[125:126]
	s_clause 0x7
	buffer_load_dword v126, off, s[0:3], 0 offset:260
	buffer_load_dword v127, off, s[0:3], 0 offset:280
	buffer_load_dword v129, off, s[0:3], 0 offset:272
	buffer_load_dword v131, off, s[0:3], 0 offset:264
	buffer_load_dword v125, off, s[0:3], 0 offset:256
	buffer_load_dword v132, off, s[0:3], 0 offset:268
	buffer_load_dword v130, off, s[0:3], 0 offset:276
	buffer_load_dword v128, off, s[0:3], 0 offset:284
	s_waitcnt vmcnt(34)
	v_fma_f64 v[115:116], v[133:134], v[117:118], v[115:116]
	s_waitcnt vmcnt(32) lgkmcnt(0)
	v_fma_f64 v[115:116], v[135:136], v[119:120], v[115:116]
	s_waitcnt vmcnt(27)
	v_fma_f64 v[133:134], v[137:138], v[121:122], v[115:116]
	;; [unrolled: 19-line block ×7, first 2 shown]
	ds_read2_b64 v[115:118], v114 offset0:97 offset1:98
	ds_read2_b64 v[119:122], v114 offset0:99 offset1:100
	s_waitcnt vmcnt(26) lgkmcnt(1)
	v_fma_f64 v[115:116], v[151:152], v[115:116], v[135:136]
	s_clause 0x1
	buffer_load_dword v135, off, s[0:3], 0 offset:96
	buffer_load_dword v136, off, s[0:3], 0 offset:100
	s_waitcnt vmcnt(27)
	v_fma_f64 v[115:116], v[145:146], v[117:118], v[115:116]
	s_waitcnt vmcnt(26) lgkmcnt(0)
	v_fma_f64 v[115:116], v[141:142], v[119:120], v[115:116]
	s_waitcnt vmcnt(21)
	v_fma_f64 v[123:124], v[123:124], v[121:122], v[115:116]
	ds_read2_b64 v[115:118], v114 offset0:101 offset1:102
	ds_read2_b64 v[119:122], v114 offset0:103 offset1:104
	s_waitcnt vmcnt(20) lgkmcnt(1)
	v_fma_f64 v[115:116], v[157:158], v[115:116], v[123:124]
	s_waitcnt vmcnt(19)
	v_fma_f64 v[115:116], v[149:150], v[117:118], v[115:116]
	s_waitcnt vmcnt(18) lgkmcnt(0)
	v_fma_f64 v[115:116], v[147:148], v[119:120], v[115:116]
	s_waitcnt vmcnt(13)
	v_fma_f64 v[123:124], v[125:126], v[121:122], v[115:116]
	ds_read2_b64 v[115:118], v114 offset0:105 offset1:106
	ds_read2_b64 v[119:122], v114 offset0:107 offset1:108
	s_waitcnt vmcnt(12) lgkmcnt(1)
	v_fma_f64 v[115:116], v[155:156], v[115:116], v[123:124]
	s_waitcnt vmcnt(11)
	v_fma_f64 v[115:116], v[153:154], v[117:118], v[115:116]
	s_waitcnt vmcnt(10) lgkmcnt(0)
	v_fma_f64 v[115:116], v[131:132], v[119:120], v[115:116]
	s_waitcnt vmcnt(5)
	v_fma_f64 v[119:120], v[127:128], v[121:122], v[115:116]
	ds_read2_b64 v[115:118], v114 offset0:109 offset1:110
	ds_read_b64 v[121:122], v114 offset:888
	s_waitcnt vmcnt(4) lgkmcnt(1)
	v_fma_f64 v[115:116], v[143:144], v[115:116], v[119:120]
	s_waitcnt vmcnt(3)
	v_fma_f64 v[115:116], v[133:134], v[117:118], v[115:116]
	s_waitcnt vmcnt(2) lgkmcnt(0)
	v_fma_f64 v[115:116], v[129:130], v[121:122], v[115:116]
	s_waitcnt vmcnt(0)
	v_add_f64 v[115:116], v[135:136], -v[115:116]
	buffer_store_dword v116, off, s[0:3], 0 offset:100
	buffer_store_dword v115, off, s[0:3], 0 offset:96
	v_cmpx_lt_u32_e32 11, v0
	s_cbranch_execz .LBB55_323
; %bb.322:
	s_clause 0x1
	buffer_load_dword v115, off, s[0:3], 0 offset:88
	buffer_load_dword v116, off, s[0:3], 0 offset:92
	buffer_store_dword v114, off, s[0:3], 0 offset:88
	buffer_store_dword v114, off, s[0:3], 0 offset:92
	s_waitcnt vmcnt(0)
	ds_write_b64 v113, v[115:116]
.LBB55_323:
	s_or_b32 exec_lo, exec_lo, s4
	s_waitcnt lgkmcnt(0)
	s_waitcnt_vscnt null, 0x0
	s_barrier
	buffer_gl0_inv
	s_clause 0x1c
	buffer_load_dword v123, off, s[0:3], 0 offset:96
	buffer_load_dword v124, off, s[0:3], 0 offset:100
	buffer_load_dword v125, off, s[0:3], 0 offset:104
	buffer_load_dword v126, off, s[0:3], 0 offset:108
	buffer_load_dword v127, off, s[0:3], 0 offset:112
	buffer_load_dword v128, off, s[0:3], 0 offset:116
	buffer_load_dword v129, off, s[0:3], 0 offset:120
	buffer_load_dword v130, off, s[0:3], 0 offset:124
	buffer_load_dword v131, off, s[0:3], 0 offset:128
	buffer_load_dword v132, off, s[0:3], 0 offset:132
	buffer_load_dword v133, off, s[0:3], 0 offset:136
	buffer_load_dword v134, off, s[0:3], 0 offset:140
	buffer_load_dword v135, off, s[0:3], 0 offset:144
	buffer_load_dword v136, off, s[0:3], 0 offset:148
	buffer_load_dword v138, off, s[0:3], 0 offset:156
	buffer_load_dword v139, off, s[0:3], 0 offset:176
	buffer_load_dword v141, off, s[0:3], 0 offset:168
	buffer_load_dword v143, off, s[0:3], 0 offset:160
	buffer_load_dword v137, off, s[0:3], 0 offset:152
	buffer_load_dword v144, off, s[0:3], 0 offset:164
	buffer_load_dword v142, off, s[0:3], 0 offset:172
	buffer_load_dword v140, off, s[0:3], 0 offset:180
	buffer_load_dword v146, off, s[0:3], 0 offset:188
	buffer_load_dword v147, off, s[0:3], 0 offset:208
	buffer_load_dword v149, off, s[0:3], 0 offset:200
	buffer_load_dword v151, off, s[0:3], 0 offset:192
	buffer_load_dword v145, off, s[0:3], 0 offset:184
	buffer_load_dword v152, off, s[0:3], 0 offset:196
	buffer_load_dword v150, off, s[0:3], 0 offset:204
	ds_read_b128 v[115:118], v114 offset:544
	ds_read_b128 v[119:122], v114 offset:560
	buffer_load_dword v148, off, s[0:3], 0 offset:212
	s_mov_b32 s4, exec_lo
	s_waitcnt vmcnt(28) lgkmcnt(1)
	v_fma_f64 v[115:116], v[123:124], v[115:116], 0
	s_clause 0x7
	buffer_load_dword v124, off, s[0:3], 0 offset:220
	buffer_load_dword v153, off, s[0:3], 0 offset:240
	buffer_load_dword v155, off, s[0:3], 0 offset:232
	buffer_load_dword v157, off, s[0:3], 0 offset:224
	buffer_load_dword v123, off, s[0:3], 0 offset:216
	buffer_load_dword v158, off, s[0:3], 0 offset:228
	buffer_load_dword v156, off, s[0:3], 0 offset:236
	buffer_load_dword v154, off, s[0:3], 0 offset:244
	s_waitcnt vmcnt(34)
	v_fma_f64 v[115:116], v[125:126], v[117:118], v[115:116]
	s_waitcnt vmcnt(32) lgkmcnt(0)
	v_fma_f64 v[115:116], v[127:128], v[119:120], v[115:116]
	s_waitcnt vmcnt(30)
	v_fma_f64 v[125:126], v[129:130], v[121:122], v[115:116]
	ds_read_b128 v[115:118], v114 offset:576
	ds_read_b128 v[119:122], v114 offset:592
	s_waitcnt vmcnt(28) lgkmcnt(1)
	v_fma_f64 v[115:116], v[131:132], v[115:116], v[125:126]
	s_clause 0x7
	buffer_load_dword v126, off, s[0:3], 0 offset:252
	buffer_load_dword v127, off, s[0:3], 0 offset:272
	buffer_load_dword v129, off, s[0:3], 0 offset:264
	buffer_load_dword v131, off, s[0:3], 0 offset:256
	buffer_load_dword v125, off, s[0:3], 0 offset:248
	buffer_load_dword v132, off, s[0:3], 0 offset:260
	buffer_load_dword v130, off, s[0:3], 0 offset:268
	buffer_load_dword v128, off, s[0:3], 0 offset:276
	s_waitcnt vmcnt(34)
	v_fma_f64 v[115:116], v[133:134], v[117:118], v[115:116]
	s_waitcnt vmcnt(32) lgkmcnt(0)
	v_fma_f64 v[115:116], v[135:136], v[119:120], v[115:116]
	s_waitcnt vmcnt(27)
	v_fma_f64 v[133:134], v[137:138], v[121:122], v[115:116]
	ds_read_b128 v[115:118], v114 offset:608
	ds_read_b128 v[119:122], v114 offset:624
	;; [unrolled: 19-line block ×7, first 2 shown]
	s_waitcnt vmcnt(26) lgkmcnt(1)
	v_fma_f64 v[115:116], v[151:152], v[115:116], v[135:136]
	s_clause 0x3
	buffer_load_dword v136, off, s[0:3], 0 offset:444
	buffer_load_dword v135, off, s[0:3], 0 offset:440
	;; [unrolled: 1-line block ×4, first 2 shown]
	s_waitcnt vmcnt(29)
	v_fma_f64 v[115:116], v[145:146], v[117:118], v[115:116]
	s_waitcnt vmcnt(28) lgkmcnt(0)
	v_fma_f64 v[115:116], v[141:142], v[119:120], v[115:116]
	s_waitcnt vmcnt(23)
	v_fma_f64 v[123:124], v[123:124], v[121:122], v[115:116]
	ds_read_b128 v[115:118], v114 offset:800
	ds_read_b128 v[119:122], v114 offset:816
	s_waitcnt vmcnt(22) lgkmcnt(1)
	v_fma_f64 v[115:116], v[157:158], v[115:116], v[123:124]
	s_waitcnt vmcnt(21)
	v_fma_f64 v[115:116], v[149:150], v[117:118], v[115:116]
	s_waitcnt vmcnt(20) lgkmcnt(0)
	v_fma_f64 v[115:116], v[147:148], v[119:120], v[115:116]
	s_waitcnt vmcnt(15)
	v_fma_f64 v[123:124], v[125:126], v[121:122], v[115:116]
	ds_read_b128 v[115:118], v114 offset:832
	ds_read_b128 v[119:122], v114 offset:848
	s_waitcnt vmcnt(14) lgkmcnt(1)
	v_fma_f64 v[115:116], v[155:156], v[115:116], v[123:124]
	;; [unrolled: 10-line block ×3, first 2 shown]
	s_waitcnt vmcnt(5)
	v_fma_f64 v[114:115], v[133:134], v[117:118], v[114:115]
	s_waitcnt vmcnt(4) lgkmcnt(0)
	v_fma_f64 v[114:115], v[129:130], v[119:120], v[114:115]
	s_waitcnt vmcnt(2)
	v_fma_f64 v[114:115], v[135:136], v[121:122], v[114:115]
	s_waitcnt vmcnt(0)
	v_add_f64 v[114:115], v[137:138], -v[114:115]
	buffer_store_dword v115, off, s[0:3], 0 offset:92
	buffer_store_dword v114, off, s[0:3], 0 offset:88
	v_cmpx_lt_u32_e32 10, v0
	s_cbranch_execz .LBB55_325
; %bb.324:
	s_clause 0x1
	buffer_load_dword v114, off, s[0:3], 0 offset:80
	buffer_load_dword v115, off, s[0:3], 0 offset:84
	v_mov_b32_e32 v116, 0
	buffer_store_dword v116, off, s[0:3], 0 offset:80
	buffer_store_dword v116, off, s[0:3], 0 offset:84
	s_waitcnt vmcnt(0)
	ds_write_b64 v113, v[114:115]
.LBB55_325:
	s_or_b32 exec_lo, exec_lo, s4
	s_waitcnt lgkmcnt(0)
	s_waitcnt_vscnt null, 0x0
	s_barrier
	buffer_gl0_inv
	s_clause 0x1c
	buffer_load_dword v123, off, s[0:3], 0 offset:88
	buffer_load_dword v124, off, s[0:3], 0 offset:92
	;; [unrolled: 1-line block ×29, first 2 shown]
	v_mov_b32_e32 v114, 0
	buffer_load_dword v148, off, s[0:3], 0 offset:204
	s_mov_b32 s4, exec_lo
	ds_read2_b64 v[115:118], v114 offset0:67 offset1:68
	ds_read2_b64 v[119:122], v114 offset0:69 offset1:70
	s_waitcnt vmcnt(28) lgkmcnt(1)
	v_fma_f64 v[115:116], v[123:124], v[115:116], 0
	s_clause 0x7
	buffer_load_dword v124, off, s[0:3], 0 offset:212
	buffer_load_dword v153, off, s[0:3], 0 offset:232
	buffer_load_dword v155, off, s[0:3], 0 offset:224
	buffer_load_dword v157, off, s[0:3], 0 offset:216
	buffer_load_dword v123, off, s[0:3], 0 offset:208
	buffer_load_dword v158, off, s[0:3], 0 offset:220
	buffer_load_dword v156, off, s[0:3], 0 offset:228
	buffer_load_dword v154, off, s[0:3], 0 offset:236
	s_waitcnt vmcnt(34)
	v_fma_f64 v[115:116], v[125:126], v[117:118], v[115:116]
	s_waitcnt vmcnt(32) lgkmcnt(0)
	v_fma_f64 v[115:116], v[127:128], v[119:120], v[115:116]
	s_waitcnt vmcnt(30)
	v_fma_f64 v[125:126], v[129:130], v[121:122], v[115:116]
	ds_read2_b64 v[115:118], v114 offset0:71 offset1:72
	ds_read2_b64 v[119:122], v114 offset0:73 offset1:74
	s_waitcnt vmcnt(28) lgkmcnt(1)
	v_fma_f64 v[115:116], v[131:132], v[115:116], v[125:126]
	s_clause 0x7
	buffer_load_dword v126, off, s[0:3], 0 offset:244
	buffer_load_dword v127, off, s[0:3], 0 offset:264
	buffer_load_dword v129, off, s[0:3], 0 offset:256
	buffer_load_dword v131, off, s[0:3], 0 offset:248
	buffer_load_dword v125, off, s[0:3], 0 offset:240
	buffer_load_dword v132, off, s[0:3], 0 offset:252
	buffer_load_dword v130, off, s[0:3], 0 offset:260
	buffer_load_dword v128, off, s[0:3], 0 offset:268
	s_waitcnt vmcnt(34)
	v_fma_f64 v[115:116], v[133:134], v[117:118], v[115:116]
	s_waitcnt vmcnt(32) lgkmcnt(0)
	v_fma_f64 v[115:116], v[135:136], v[119:120], v[115:116]
	s_waitcnt vmcnt(27)
	v_fma_f64 v[133:134], v[137:138], v[121:122], v[115:116]
	;; [unrolled: 19-line block ×7, first 2 shown]
	ds_read2_b64 v[115:118], v114 offset0:95 offset1:96
	ds_read2_b64 v[119:122], v114 offset0:97 offset1:98
	s_waitcnt vmcnt(26) lgkmcnt(1)
	v_fma_f64 v[115:116], v[151:152], v[115:116], v[135:136]
	s_clause 0x5
	buffer_load_dword v136, off, s[0:3], 0 offset:436
	buffer_load_dword v137, off, s[0:3], 0 offset:440
	;; [unrolled: 1-line block ×6, first 2 shown]
	s_waitcnt vmcnt(31)
	v_fma_f64 v[115:116], v[145:146], v[117:118], v[115:116]
	s_waitcnt vmcnt(30) lgkmcnt(0)
	v_fma_f64 v[115:116], v[141:142], v[119:120], v[115:116]
	s_waitcnt vmcnt(25)
	v_fma_f64 v[123:124], v[123:124], v[121:122], v[115:116]
	ds_read2_b64 v[115:118], v114 offset0:99 offset1:100
	ds_read2_b64 v[119:122], v114 offset0:101 offset1:102
	s_waitcnt vmcnt(24) lgkmcnt(1)
	v_fma_f64 v[115:116], v[157:158], v[115:116], v[123:124]
	s_waitcnt vmcnt(23)
	v_fma_f64 v[115:116], v[149:150], v[117:118], v[115:116]
	s_waitcnt vmcnt(22) lgkmcnt(0)
	v_fma_f64 v[115:116], v[147:148], v[119:120], v[115:116]
	s_waitcnt vmcnt(17)
	v_fma_f64 v[123:124], v[125:126], v[121:122], v[115:116]
	ds_read2_b64 v[115:118], v114 offset0:103 offset1:104
	ds_read2_b64 v[119:122], v114 offset0:105 offset1:106
	s_waitcnt vmcnt(16) lgkmcnt(1)
	v_fma_f64 v[115:116], v[155:156], v[115:116], v[123:124]
	;; [unrolled: 10-line block ×3, first 2 shown]
	s_waitcnt vmcnt(7)
	v_fma_f64 v[115:116], v[133:134], v[117:118], v[115:116]
	ds_read_b64 v[117:118], v114 offset:888
	s_waitcnt vmcnt(6) lgkmcnt(1)
	v_fma_f64 v[115:116], v[129:130], v[119:120], v[115:116]
	s_waitcnt vmcnt(3)
	v_fma_f64 v[115:116], v[135:136], v[121:122], v[115:116]
	s_waitcnt vmcnt(2) lgkmcnt(0)
	v_fma_f64 v[115:116], v[137:138], v[117:118], v[115:116]
	s_waitcnt vmcnt(0)
	v_add_f64 v[115:116], v[139:140], -v[115:116]
	buffer_store_dword v116, off, s[0:3], 0 offset:84
	buffer_store_dword v115, off, s[0:3], 0 offset:80
	v_cmpx_lt_u32_e32 9, v0
	s_cbranch_execz .LBB55_327
; %bb.326:
	s_clause 0x1
	buffer_load_dword v115, off, s[0:3], 0 offset:72
	buffer_load_dword v116, off, s[0:3], 0 offset:76
	buffer_store_dword v114, off, s[0:3], 0 offset:72
	buffer_store_dword v114, off, s[0:3], 0 offset:76
	s_waitcnt vmcnt(0)
	ds_write_b64 v113, v[115:116]
.LBB55_327:
	s_or_b32 exec_lo, exec_lo, s4
	s_waitcnt lgkmcnt(0)
	s_waitcnt_vscnt null, 0x0
	s_barrier
	buffer_gl0_inv
	s_clause 0x1c
	buffer_load_dword v123, off, s[0:3], 0 offset:80
	buffer_load_dword v124, off, s[0:3], 0 offset:84
	;; [unrolled: 1-line block ×29, first 2 shown]
	ds_read_b128 v[115:118], v114 offset:528
	ds_read_b128 v[119:122], v114 offset:544
	buffer_load_dword v148, off, s[0:3], 0 offset:196
	s_mov_b32 s4, exec_lo
	s_waitcnt vmcnt(28) lgkmcnt(1)
	v_fma_f64 v[115:116], v[123:124], v[115:116], 0
	s_clause 0x7
	buffer_load_dword v124, off, s[0:3], 0 offset:204
	buffer_load_dword v153, off, s[0:3], 0 offset:224
	buffer_load_dword v155, off, s[0:3], 0 offset:216
	buffer_load_dword v157, off, s[0:3], 0 offset:208
	buffer_load_dword v123, off, s[0:3], 0 offset:200
	buffer_load_dword v158, off, s[0:3], 0 offset:212
	buffer_load_dword v156, off, s[0:3], 0 offset:220
	buffer_load_dword v154, off, s[0:3], 0 offset:228
	s_waitcnt vmcnt(34)
	v_fma_f64 v[115:116], v[125:126], v[117:118], v[115:116]
	s_waitcnt vmcnt(32) lgkmcnt(0)
	v_fma_f64 v[115:116], v[127:128], v[119:120], v[115:116]
	s_waitcnt vmcnt(30)
	v_fma_f64 v[125:126], v[129:130], v[121:122], v[115:116]
	ds_read_b128 v[115:118], v114 offset:560
	ds_read_b128 v[119:122], v114 offset:576
	s_waitcnt vmcnt(28) lgkmcnt(1)
	v_fma_f64 v[115:116], v[131:132], v[115:116], v[125:126]
	s_clause 0x7
	buffer_load_dword v126, off, s[0:3], 0 offset:236
	buffer_load_dword v127, off, s[0:3], 0 offset:256
	buffer_load_dword v129, off, s[0:3], 0 offset:248
	buffer_load_dword v131, off, s[0:3], 0 offset:240
	buffer_load_dword v125, off, s[0:3], 0 offset:232
	buffer_load_dword v132, off, s[0:3], 0 offset:244
	buffer_load_dword v130, off, s[0:3], 0 offset:252
	buffer_load_dword v128, off, s[0:3], 0 offset:260
	s_waitcnt vmcnt(34)
	v_fma_f64 v[115:116], v[133:134], v[117:118], v[115:116]
	s_waitcnt vmcnt(32) lgkmcnt(0)
	v_fma_f64 v[115:116], v[135:136], v[119:120], v[115:116]
	s_waitcnt vmcnt(27)
	v_fma_f64 v[133:134], v[137:138], v[121:122], v[115:116]
	ds_read_b128 v[115:118], v114 offset:592
	ds_read_b128 v[119:122], v114 offset:608
	;; [unrolled: 19-line block ×7, first 2 shown]
	s_waitcnt vmcnt(26) lgkmcnt(1)
	v_fma_f64 v[115:116], v[151:152], v[115:116], v[135:136]
	s_clause 0x5
	buffer_load_dword v136, off, s[0:3], 0 offset:428
	buffer_load_dword v137, off, s[0:3], 0 offset:440
	;; [unrolled: 1-line block ×6, first 2 shown]
	s_waitcnt vmcnt(31)
	v_fma_f64 v[115:116], v[145:146], v[117:118], v[115:116]
	s_waitcnt vmcnt(30) lgkmcnt(0)
	v_fma_f64 v[115:116], v[141:142], v[119:120], v[115:116]
	s_waitcnt vmcnt(25)
	v_fma_f64 v[123:124], v[123:124], v[121:122], v[115:116]
	ds_read_b128 v[115:118], v114 offset:784
	s_clause 0x1
	buffer_load_dword v141, off, s[0:3], 0 offset:72
	buffer_load_dword v142, off, s[0:3], 0 offset:76
	ds_read_b128 v[119:122], v114 offset:800
	s_waitcnt vmcnt(26) lgkmcnt(1)
	v_fma_f64 v[115:116], v[157:158], v[115:116], v[123:124]
	s_waitcnt vmcnt(25)
	v_fma_f64 v[115:116], v[149:150], v[117:118], v[115:116]
	s_waitcnt vmcnt(24) lgkmcnt(0)
	v_fma_f64 v[115:116], v[147:148], v[119:120], v[115:116]
	s_waitcnt vmcnt(19)
	v_fma_f64 v[123:124], v[125:126], v[121:122], v[115:116]
	ds_read_b128 v[115:118], v114 offset:816
	ds_read_b128 v[119:122], v114 offset:832
	s_waitcnt vmcnt(18) lgkmcnt(1)
	v_fma_f64 v[115:116], v[155:156], v[115:116], v[123:124]
	s_waitcnt vmcnt(17)
	v_fma_f64 v[115:116], v[153:154], v[117:118], v[115:116]
	s_waitcnt vmcnt(16) lgkmcnt(0)
	v_fma_f64 v[115:116], v[131:132], v[119:120], v[115:116]
	s_waitcnt vmcnt(11)
	v_fma_f64 v[123:124], v[127:128], v[121:122], v[115:116]
	ds_read_b128 v[115:118], v114 offset:848
	;; [unrolled: 10-line block ×3, first 2 shown]
	s_waitcnt vmcnt(3) lgkmcnt(0)
	v_fma_f64 v[114:115], v[139:140], v[114:115], v[118:119]
	s_waitcnt vmcnt(2)
	v_fma_f64 v[114:115], v[137:138], v[116:117], v[114:115]
	s_waitcnt vmcnt(0)
	v_add_f64 v[114:115], v[141:142], -v[114:115]
	buffer_store_dword v115, off, s[0:3], 0 offset:76
	buffer_store_dword v114, off, s[0:3], 0 offset:72
	v_cmpx_lt_u32_e32 8, v0
	s_cbranch_execz .LBB55_329
; %bb.328:
	s_clause 0x1
	buffer_load_dword v114, off, s[0:3], 0 offset:64
	buffer_load_dword v115, off, s[0:3], 0 offset:68
	v_mov_b32_e32 v116, 0
	buffer_store_dword v116, off, s[0:3], 0 offset:64
	buffer_store_dword v116, off, s[0:3], 0 offset:68
	s_waitcnt vmcnt(0)
	ds_write_b64 v113, v[114:115]
.LBB55_329:
	s_or_b32 exec_lo, exec_lo, s4
	s_waitcnt lgkmcnt(0)
	s_waitcnt_vscnt null, 0x0
	s_barrier
	buffer_gl0_inv
	s_clause 0x1c
	buffer_load_dword v123, off, s[0:3], 0 offset:72
	buffer_load_dword v124, off, s[0:3], 0 offset:76
	buffer_load_dword v125, off, s[0:3], 0 offset:80
	buffer_load_dword v126, off, s[0:3], 0 offset:84
	buffer_load_dword v127, off, s[0:3], 0 offset:88
	buffer_load_dword v128, off, s[0:3], 0 offset:92
	buffer_load_dword v129, off, s[0:3], 0 offset:96
	buffer_load_dword v130, off, s[0:3], 0 offset:100
	buffer_load_dword v131, off, s[0:3], 0 offset:104
	buffer_load_dword v132, off, s[0:3], 0 offset:108
	buffer_load_dword v133, off, s[0:3], 0 offset:112
	buffer_load_dword v134, off, s[0:3], 0 offset:116
	buffer_load_dword v135, off, s[0:3], 0 offset:120
	buffer_load_dword v136, off, s[0:3], 0 offset:124
	buffer_load_dword v138, off, s[0:3], 0 offset:132
	buffer_load_dword v139, off, s[0:3], 0 offset:152
	buffer_load_dword v141, off, s[0:3], 0 offset:144
	buffer_load_dword v143, off, s[0:3], 0 offset:136
	buffer_load_dword v137, off, s[0:3], 0 offset:128
	buffer_load_dword v144, off, s[0:3], 0 offset:140
	buffer_load_dword v142, off, s[0:3], 0 offset:148
	buffer_load_dword v140, off, s[0:3], 0 offset:156
	buffer_load_dword v146, off, s[0:3], 0 offset:164
	buffer_load_dword v147, off, s[0:3], 0 offset:184
	buffer_load_dword v149, off, s[0:3], 0 offset:176
	buffer_load_dword v151, off, s[0:3], 0 offset:168
	buffer_load_dword v145, off, s[0:3], 0 offset:160
	buffer_load_dword v152, off, s[0:3], 0 offset:172
	buffer_load_dword v150, off, s[0:3], 0 offset:180
	v_mov_b32_e32 v114, 0
	buffer_load_dword v148, off, s[0:3], 0 offset:188
	s_mov_b32 s4, exec_lo
	ds_read2_b64 v[115:118], v114 offset0:65 offset1:66
	ds_read2_b64 v[119:122], v114 offset0:67 offset1:68
	s_waitcnt vmcnt(28) lgkmcnt(1)
	v_fma_f64 v[115:116], v[123:124], v[115:116], 0
	s_clause 0x7
	buffer_load_dword v124, off, s[0:3], 0 offset:196
	buffer_load_dword v153, off, s[0:3], 0 offset:216
	buffer_load_dword v155, off, s[0:3], 0 offset:208
	buffer_load_dword v157, off, s[0:3], 0 offset:200
	buffer_load_dword v123, off, s[0:3], 0 offset:192
	buffer_load_dword v158, off, s[0:3], 0 offset:204
	buffer_load_dword v156, off, s[0:3], 0 offset:212
	buffer_load_dword v154, off, s[0:3], 0 offset:220
	s_waitcnt vmcnt(34)
	v_fma_f64 v[115:116], v[125:126], v[117:118], v[115:116]
	s_waitcnt vmcnt(32) lgkmcnt(0)
	v_fma_f64 v[115:116], v[127:128], v[119:120], v[115:116]
	s_waitcnt vmcnt(30)
	v_fma_f64 v[125:126], v[129:130], v[121:122], v[115:116]
	ds_read2_b64 v[115:118], v114 offset0:69 offset1:70
	ds_read2_b64 v[119:122], v114 offset0:71 offset1:72
	s_waitcnt vmcnt(28) lgkmcnt(1)
	v_fma_f64 v[115:116], v[131:132], v[115:116], v[125:126]
	s_clause 0x7
	buffer_load_dword v126, off, s[0:3], 0 offset:228
	buffer_load_dword v127, off, s[0:3], 0 offset:248
	buffer_load_dword v129, off, s[0:3], 0 offset:240
	buffer_load_dword v131, off, s[0:3], 0 offset:232
	buffer_load_dword v125, off, s[0:3], 0 offset:224
	buffer_load_dword v132, off, s[0:3], 0 offset:236
	buffer_load_dword v130, off, s[0:3], 0 offset:244
	buffer_load_dword v128, off, s[0:3], 0 offset:252
	s_waitcnt vmcnt(34)
	v_fma_f64 v[115:116], v[133:134], v[117:118], v[115:116]
	s_waitcnt vmcnt(32) lgkmcnt(0)
	v_fma_f64 v[115:116], v[135:136], v[119:120], v[115:116]
	s_waitcnt vmcnt(27)
	v_fma_f64 v[133:134], v[137:138], v[121:122], v[115:116]
	;; [unrolled: 19-line block ×8, first 2 shown]
	ds_read2_b64 v[115:118], v114 offset0:97 offset1:98
	ds_read2_b64 v[119:122], v114 offset0:99 offset1:100
	s_waitcnt vmcnt(26) lgkmcnt(1)
	v_fma_f64 v[115:116], v[157:158], v[115:116], v[123:124]
	s_clause 0x1
	buffer_load_dword v123, off, s[0:3], 0 offset:64
	buffer_load_dword v124, off, s[0:3], 0 offset:68
	s_waitcnt vmcnt(27)
	v_fma_f64 v[115:116], v[149:150], v[117:118], v[115:116]
	s_waitcnt vmcnt(26) lgkmcnt(0)
	v_fma_f64 v[115:116], v[147:148], v[119:120], v[115:116]
	s_waitcnt vmcnt(21)
	v_fma_f64 v[125:126], v[125:126], v[121:122], v[115:116]
	ds_read2_b64 v[115:118], v114 offset0:101 offset1:102
	ds_read2_b64 v[119:122], v114 offset0:103 offset1:104
	s_waitcnt vmcnt(20) lgkmcnt(1)
	v_fma_f64 v[115:116], v[155:156], v[115:116], v[125:126]
	s_waitcnt vmcnt(19)
	v_fma_f64 v[115:116], v[153:154], v[117:118], v[115:116]
	s_waitcnt vmcnt(18) lgkmcnt(0)
	v_fma_f64 v[115:116], v[131:132], v[119:120], v[115:116]
	s_waitcnt vmcnt(13)
	v_fma_f64 v[125:126], v[127:128], v[121:122], v[115:116]
	ds_read2_b64 v[115:118], v114 offset0:105 offset1:106
	ds_read2_b64 v[119:122], v114 offset0:107 offset1:108
	s_waitcnt vmcnt(12) lgkmcnt(1)
	v_fma_f64 v[115:116], v[143:144], v[115:116], v[125:126]
	s_waitcnt vmcnt(11)
	v_fma_f64 v[115:116], v[133:134], v[117:118], v[115:116]
	s_waitcnt vmcnt(10) lgkmcnt(0)
	v_fma_f64 v[115:116], v[129:130], v[119:120], v[115:116]
	s_waitcnt vmcnt(5)
	v_fma_f64 v[119:120], v[135:136], v[121:122], v[115:116]
	ds_read2_b64 v[115:118], v114 offset0:109 offset1:110
	ds_read_b64 v[121:122], v114 offset:888
	s_waitcnt vmcnt(4) lgkmcnt(1)
	v_fma_f64 v[115:116], v[151:152], v[115:116], v[119:120]
	s_waitcnt vmcnt(3)
	v_fma_f64 v[115:116], v[139:140], v[117:118], v[115:116]
	s_waitcnt vmcnt(2) lgkmcnt(0)
	v_fma_f64 v[115:116], v[137:138], v[121:122], v[115:116]
	s_waitcnt vmcnt(0)
	v_add_f64 v[115:116], v[123:124], -v[115:116]
	buffer_store_dword v116, off, s[0:3], 0 offset:68
	buffer_store_dword v115, off, s[0:3], 0 offset:64
	v_cmpx_lt_u32_e32 7, v0
	s_cbranch_execz .LBB55_331
; %bb.330:
	s_clause 0x1
	buffer_load_dword v115, off, s[0:3], 0 offset:56
	buffer_load_dword v116, off, s[0:3], 0 offset:60
	buffer_store_dword v114, off, s[0:3], 0 offset:56
	buffer_store_dword v114, off, s[0:3], 0 offset:60
	s_waitcnt vmcnt(0)
	ds_write_b64 v113, v[115:116]
.LBB55_331:
	s_or_b32 exec_lo, exec_lo, s4
	s_waitcnt lgkmcnt(0)
	s_waitcnt_vscnt null, 0x0
	s_barrier
	buffer_gl0_inv
	s_clause 0x1c
	buffer_load_dword v123, off, s[0:3], 0 offset:64
	buffer_load_dword v124, off, s[0:3], 0 offset:68
	;; [unrolled: 1-line block ×29, first 2 shown]
	ds_read_b128 v[115:118], v114 offset:512
	ds_read_b128 v[119:122], v114 offset:528
	buffer_load_dword v148, off, s[0:3], 0 offset:180
	s_mov_b32 s4, exec_lo
	s_waitcnt vmcnt(28) lgkmcnt(1)
	v_fma_f64 v[115:116], v[123:124], v[115:116], 0
	s_clause 0x7
	buffer_load_dword v124, off, s[0:3], 0 offset:188
	buffer_load_dword v153, off, s[0:3], 0 offset:208
	buffer_load_dword v155, off, s[0:3], 0 offset:200
	buffer_load_dword v157, off, s[0:3], 0 offset:192
	buffer_load_dword v123, off, s[0:3], 0 offset:184
	buffer_load_dword v158, off, s[0:3], 0 offset:196
	buffer_load_dword v156, off, s[0:3], 0 offset:204
	buffer_load_dword v154, off, s[0:3], 0 offset:212
	s_waitcnt vmcnt(34)
	v_fma_f64 v[115:116], v[125:126], v[117:118], v[115:116]
	s_waitcnt vmcnt(32) lgkmcnt(0)
	v_fma_f64 v[115:116], v[127:128], v[119:120], v[115:116]
	s_waitcnt vmcnt(30)
	v_fma_f64 v[125:126], v[129:130], v[121:122], v[115:116]
	ds_read_b128 v[115:118], v114 offset:544
	ds_read_b128 v[119:122], v114 offset:560
	s_waitcnt vmcnt(28) lgkmcnt(1)
	v_fma_f64 v[115:116], v[131:132], v[115:116], v[125:126]
	s_clause 0x7
	buffer_load_dword v126, off, s[0:3], 0 offset:220
	buffer_load_dword v127, off, s[0:3], 0 offset:240
	buffer_load_dword v129, off, s[0:3], 0 offset:232
	buffer_load_dword v131, off, s[0:3], 0 offset:224
	buffer_load_dword v125, off, s[0:3], 0 offset:216
	buffer_load_dword v132, off, s[0:3], 0 offset:228
	buffer_load_dword v130, off, s[0:3], 0 offset:236
	buffer_load_dword v128, off, s[0:3], 0 offset:244
	s_waitcnt vmcnt(34)
	v_fma_f64 v[115:116], v[133:134], v[117:118], v[115:116]
	s_waitcnt vmcnt(32) lgkmcnt(0)
	v_fma_f64 v[115:116], v[135:136], v[119:120], v[115:116]
	s_waitcnt vmcnt(27)
	v_fma_f64 v[133:134], v[137:138], v[121:122], v[115:116]
	ds_read_b128 v[115:118], v114 offset:576
	ds_read_b128 v[119:122], v114 offset:592
	;; [unrolled: 19-line block ×8, first 2 shown]
	s_waitcnt vmcnt(26) lgkmcnt(1)
	v_fma_f64 v[115:116], v[157:158], v[115:116], v[123:124]
	s_clause 0x3
	buffer_load_dword v124, off, s[0:3], 0 offset:444
	buffer_load_dword v123, off, s[0:3], 0 offset:440
	;; [unrolled: 1-line block ×4, first 2 shown]
	s_waitcnt vmcnt(29)
	v_fma_f64 v[115:116], v[149:150], v[117:118], v[115:116]
	s_waitcnt vmcnt(28) lgkmcnt(0)
	v_fma_f64 v[115:116], v[147:148], v[119:120], v[115:116]
	s_waitcnt vmcnt(23)
	v_fma_f64 v[125:126], v[125:126], v[121:122], v[115:116]
	ds_read_b128 v[115:118], v114 offset:800
	ds_read_b128 v[119:122], v114 offset:816
	s_waitcnt vmcnt(22) lgkmcnt(1)
	v_fma_f64 v[115:116], v[155:156], v[115:116], v[125:126]
	s_waitcnt vmcnt(21)
	v_fma_f64 v[115:116], v[153:154], v[117:118], v[115:116]
	s_waitcnt vmcnt(20) lgkmcnt(0)
	v_fma_f64 v[115:116], v[131:132], v[119:120], v[115:116]
	s_waitcnt vmcnt(15)
	v_fma_f64 v[125:126], v[127:128], v[121:122], v[115:116]
	ds_read_b128 v[115:118], v114 offset:832
	ds_read_b128 v[119:122], v114 offset:848
	s_waitcnt vmcnt(14) lgkmcnt(1)
	v_fma_f64 v[115:116], v[143:144], v[115:116], v[125:126]
	;; [unrolled: 10-line block ×3, first 2 shown]
	s_waitcnt vmcnt(5)
	v_fma_f64 v[114:115], v[139:140], v[117:118], v[114:115]
	s_waitcnt vmcnt(4) lgkmcnt(0)
	v_fma_f64 v[114:115], v[137:138], v[119:120], v[114:115]
	s_waitcnt vmcnt(2)
	v_fma_f64 v[114:115], v[123:124], v[121:122], v[114:115]
	s_waitcnt vmcnt(0)
	v_add_f64 v[114:115], v[141:142], -v[114:115]
	buffer_store_dword v115, off, s[0:3], 0 offset:60
	buffer_store_dword v114, off, s[0:3], 0 offset:56
	v_cmpx_lt_u32_e32 6, v0
	s_cbranch_execz .LBB55_333
; %bb.332:
	s_clause 0x1
	buffer_load_dword v114, off, s[0:3], 0 offset:48
	buffer_load_dword v115, off, s[0:3], 0 offset:52
	v_mov_b32_e32 v116, 0
	buffer_store_dword v116, off, s[0:3], 0 offset:48
	buffer_store_dword v116, off, s[0:3], 0 offset:52
	s_waitcnt vmcnt(0)
	ds_write_b64 v113, v[114:115]
.LBB55_333:
	s_or_b32 exec_lo, exec_lo, s4
	s_waitcnt lgkmcnt(0)
	s_waitcnt_vscnt null, 0x0
	s_barrier
	buffer_gl0_inv
	s_clause 0x1c
	buffer_load_dword v123, off, s[0:3], 0 offset:56
	buffer_load_dword v124, off, s[0:3], 0 offset:60
	;; [unrolled: 1-line block ×29, first 2 shown]
	v_mov_b32_e32 v114, 0
	buffer_load_dword v148, off, s[0:3], 0 offset:172
	s_mov_b32 s4, exec_lo
	ds_read2_b64 v[115:118], v114 offset0:63 offset1:64
	ds_read2_b64 v[119:122], v114 offset0:65 offset1:66
	s_waitcnt vmcnt(28) lgkmcnt(1)
	v_fma_f64 v[115:116], v[123:124], v[115:116], 0
	s_clause 0x7
	buffer_load_dword v124, off, s[0:3], 0 offset:180
	buffer_load_dword v153, off, s[0:3], 0 offset:200
	buffer_load_dword v155, off, s[0:3], 0 offset:192
	buffer_load_dword v157, off, s[0:3], 0 offset:184
	buffer_load_dword v123, off, s[0:3], 0 offset:176
	buffer_load_dword v158, off, s[0:3], 0 offset:188
	buffer_load_dword v156, off, s[0:3], 0 offset:196
	buffer_load_dword v154, off, s[0:3], 0 offset:204
	s_waitcnt vmcnt(34)
	v_fma_f64 v[115:116], v[125:126], v[117:118], v[115:116]
	s_waitcnt vmcnt(32) lgkmcnt(0)
	v_fma_f64 v[115:116], v[127:128], v[119:120], v[115:116]
	s_waitcnt vmcnt(30)
	v_fma_f64 v[125:126], v[129:130], v[121:122], v[115:116]
	ds_read2_b64 v[115:118], v114 offset0:67 offset1:68
	ds_read2_b64 v[119:122], v114 offset0:69 offset1:70
	s_waitcnt vmcnt(28) lgkmcnt(1)
	v_fma_f64 v[115:116], v[131:132], v[115:116], v[125:126]
	s_clause 0x7
	buffer_load_dword v126, off, s[0:3], 0 offset:212
	buffer_load_dword v127, off, s[0:3], 0 offset:232
	buffer_load_dword v129, off, s[0:3], 0 offset:224
	buffer_load_dword v131, off, s[0:3], 0 offset:216
	buffer_load_dword v125, off, s[0:3], 0 offset:208
	buffer_load_dword v132, off, s[0:3], 0 offset:220
	buffer_load_dword v130, off, s[0:3], 0 offset:228
	buffer_load_dword v128, off, s[0:3], 0 offset:236
	s_waitcnt vmcnt(34)
	v_fma_f64 v[115:116], v[133:134], v[117:118], v[115:116]
	s_waitcnt vmcnt(32) lgkmcnt(0)
	v_fma_f64 v[115:116], v[135:136], v[119:120], v[115:116]
	s_waitcnt vmcnt(27)
	v_fma_f64 v[133:134], v[137:138], v[121:122], v[115:116]
	;; [unrolled: 19-line block ×8, first 2 shown]
	ds_read2_b64 v[115:118], v114 offset0:95 offset1:96
	ds_read2_b64 v[119:122], v114 offset0:97 offset1:98
	s_waitcnt vmcnt(26) lgkmcnt(1)
	v_fma_f64 v[115:116], v[157:158], v[115:116], v[123:124]
	s_clause 0x5
	buffer_load_dword v124, off, s[0:3], 0 offset:436
	buffer_load_dword v141, off, s[0:3], 0 offset:440
	;; [unrolled: 1-line block ×6, first 2 shown]
	s_waitcnt vmcnt(31)
	v_fma_f64 v[115:116], v[149:150], v[117:118], v[115:116]
	s_waitcnt vmcnt(30) lgkmcnt(0)
	v_fma_f64 v[115:116], v[147:148], v[119:120], v[115:116]
	s_waitcnt vmcnt(25)
	v_fma_f64 v[125:126], v[125:126], v[121:122], v[115:116]
	ds_read2_b64 v[115:118], v114 offset0:99 offset1:100
	ds_read2_b64 v[119:122], v114 offset0:101 offset1:102
	s_waitcnt vmcnt(24) lgkmcnt(1)
	v_fma_f64 v[115:116], v[155:156], v[115:116], v[125:126]
	s_waitcnt vmcnt(23)
	v_fma_f64 v[115:116], v[153:154], v[117:118], v[115:116]
	s_waitcnt vmcnt(22) lgkmcnt(0)
	v_fma_f64 v[115:116], v[131:132], v[119:120], v[115:116]
	s_waitcnt vmcnt(17)
	v_fma_f64 v[125:126], v[127:128], v[121:122], v[115:116]
	ds_read2_b64 v[115:118], v114 offset0:103 offset1:104
	ds_read2_b64 v[119:122], v114 offset0:105 offset1:106
	s_waitcnt vmcnt(16) lgkmcnt(1)
	v_fma_f64 v[115:116], v[143:144], v[115:116], v[125:126]
	;; [unrolled: 10-line block ×3, first 2 shown]
	s_waitcnt vmcnt(7)
	v_fma_f64 v[115:116], v[139:140], v[117:118], v[115:116]
	ds_read_b64 v[117:118], v114 offset:888
	s_waitcnt vmcnt(6) lgkmcnt(1)
	v_fma_f64 v[115:116], v[137:138], v[119:120], v[115:116]
	s_waitcnt vmcnt(3)
	v_fma_f64 v[115:116], v[123:124], v[121:122], v[115:116]
	s_waitcnt vmcnt(2) lgkmcnt(0)
	v_fma_f64 v[115:116], v[141:142], v[117:118], v[115:116]
	s_waitcnt vmcnt(0)
	v_add_f64 v[115:116], v[145:146], -v[115:116]
	buffer_store_dword v116, off, s[0:3], 0 offset:52
	buffer_store_dword v115, off, s[0:3], 0 offset:48
	v_cmpx_lt_u32_e32 5, v0
	s_cbranch_execz .LBB55_335
; %bb.334:
	s_clause 0x1
	buffer_load_dword v115, off, s[0:3], 0 offset:40
	buffer_load_dword v116, off, s[0:3], 0 offset:44
	buffer_store_dword v114, off, s[0:3], 0 offset:40
	buffer_store_dword v114, off, s[0:3], 0 offset:44
	s_waitcnt vmcnt(0)
	ds_write_b64 v113, v[115:116]
.LBB55_335:
	s_or_b32 exec_lo, exec_lo, s4
	s_waitcnt lgkmcnt(0)
	s_waitcnt_vscnt null, 0x0
	s_barrier
	buffer_gl0_inv
	s_clause 0x1c
	buffer_load_dword v123, off, s[0:3], 0 offset:48
	buffer_load_dword v124, off, s[0:3], 0 offset:52
	;; [unrolled: 1-line block ×29, first 2 shown]
	ds_read_b128 v[115:118], v114 offset:496
	ds_read_b128 v[119:122], v114 offset:512
	buffer_load_dword v148, off, s[0:3], 0 offset:164
	s_mov_b32 s4, exec_lo
	s_waitcnt vmcnt(28) lgkmcnt(1)
	v_fma_f64 v[115:116], v[123:124], v[115:116], 0
	s_clause 0x7
	buffer_load_dword v124, off, s[0:3], 0 offset:172
	buffer_load_dword v153, off, s[0:3], 0 offset:192
	buffer_load_dword v155, off, s[0:3], 0 offset:184
	buffer_load_dword v157, off, s[0:3], 0 offset:176
	buffer_load_dword v123, off, s[0:3], 0 offset:168
	buffer_load_dword v158, off, s[0:3], 0 offset:180
	buffer_load_dword v156, off, s[0:3], 0 offset:188
	buffer_load_dword v154, off, s[0:3], 0 offset:196
	s_waitcnt vmcnt(34)
	v_fma_f64 v[115:116], v[125:126], v[117:118], v[115:116]
	s_waitcnt vmcnt(32) lgkmcnt(0)
	v_fma_f64 v[115:116], v[127:128], v[119:120], v[115:116]
	s_waitcnt vmcnt(30)
	v_fma_f64 v[125:126], v[129:130], v[121:122], v[115:116]
	ds_read_b128 v[115:118], v114 offset:528
	ds_read_b128 v[119:122], v114 offset:544
	s_waitcnt vmcnt(28) lgkmcnt(1)
	v_fma_f64 v[115:116], v[131:132], v[115:116], v[125:126]
	s_clause 0x7
	buffer_load_dword v126, off, s[0:3], 0 offset:204
	buffer_load_dword v127, off, s[0:3], 0 offset:224
	buffer_load_dword v129, off, s[0:3], 0 offset:216
	buffer_load_dword v131, off, s[0:3], 0 offset:208
	buffer_load_dword v125, off, s[0:3], 0 offset:200
	buffer_load_dword v132, off, s[0:3], 0 offset:212
	buffer_load_dword v130, off, s[0:3], 0 offset:220
	buffer_load_dword v128, off, s[0:3], 0 offset:228
	s_waitcnt vmcnt(34)
	v_fma_f64 v[115:116], v[133:134], v[117:118], v[115:116]
	s_waitcnt vmcnt(32) lgkmcnt(0)
	v_fma_f64 v[115:116], v[135:136], v[119:120], v[115:116]
	s_waitcnt vmcnt(27)
	v_fma_f64 v[133:134], v[137:138], v[121:122], v[115:116]
	ds_read_b128 v[115:118], v114 offset:560
	ds_read_b128 v[119:122], v114 offset:576
	;; [unrolled: 19-line block ×8, first 2 shown]
	s_waitcnt vmcnt(26) lgkmcnt(1)
	v_fma_f64 v[115:116], v[157:158], v[115:116], v[123:124]
	s_clause 0x5
	buffer_load_dword v124, off, s[0:3], 0 offset:428
	buffer_load_dword v141, off, s[0:3], 0 offset:440
	;; [unrolled: 1-line block ×6, first 2 shown]
	s_waitcnt vmcnt(31)
	v_fma_f64 v[115:116], v[149:150], v[117:118], v[115:116]
	s_waitcnt vmcnt(30) lgkmcnt(0)
	v_fma_f64 v[115:116], v[147:148], v[119:120], v[115:116]
	s_waitcnt vmcnt(25)
	v_fma_f64 v[125:126], v[125:126], v[121:122], v[115:116]
	ds_read_b128 v[115:118], v114 offset:784
	s_clause 0x1
	buffer_load_dword v147, off, s[0:3], 0 offset:40
	buffer_load_dword v148, off, s[0:3], 0 offset:44
	ds_read_b128 v[119:122], v114 offset:800
	s_waitcnt vmcnt(26) lgkmcnt(1)
	v_fma_f64 v[115:116], v[155:156], v[115:116], v[125:126]
	s_waitcnt vmcnt(25)
	v_fma_f64 v[115:116], v[153:154], v[117:118], v[115:116]
	s_waitcnt vmcnt(24) lgkmcnt(0)
	v_fma_f64 v[115:116], v[131:132], v[119:120], v[115:116]
	s_waitcnt vmcnt(19)
	v_fma_f64 v[125:126], v[127:128], v[121:122], v[115:116]
	ds_read_b128 v[115:118], v114 offset:816
	ds_read_b128 v[119:122], v114 offset:832
	s_waitcnt vmcnt(18) lgkmcnt(1)
	v_fma_f64 v[115:116], v[143:144], v[115:116], v[125:126]
	s_waitcnt vmcnt(17)
	v_fma_f64 v[115:116], v[133:134], v[117:118], v[115:116]
	s_waitcnt vmcnt(16) lgkmcnt(0)
	v_fma_f64 v[115:116], v[129:130], v[119:120], v[115:116]
	s_waitcnt vmcnt(11)
	v_fma_f64 v[125:126], v[135:136], v[121:122], v[115:116]
	ds_read_b128 v[115:118], v114 offset:848
	;; [unrolled: 10-line block ×3, first 2 shown]
	s_waitcnt vmcnt(3) lgkmcnt(0)
	v_fma_f64 v[114:115], v[145:146], v[114:115], v[118:119]
	s_waitcnt vmcnt(2)
	v_fma_f64 v[114:115], v[141:142], v[116:117], v[114:115]
	s_waitcnt vmcnt(0)
	v_add_f64 v[114:115], v[147:148], -v[114:115]
	buffer_store_dword v115, off, s[0:3], 0 offset:44
	buffer_store_dword v114, off, s[0:3], 0 offset:40
	v_cmpx_lt_u32_e32 4, v0
	s_cbranch_execz .LBB55_337
; %bb.336:
	s_clause 0x1
	buffer_load_dword v114, off, s[0:3], 0 offset:32
	buffer_load_dword v115, off, s[0:3], 0 offset:36
	v_mov_b32_e32 v116, 0
	buffer_store_dword v116, off, s[0:3], 0 offset:32
	buffer_store_dword v116, off, s[0:3], 0 offset:36
	s_waitcnt vmcnt(0)
	ds_write_b64 v113, v[114:115]
.LBB55_337:
	s_or_b32 exec_lo, exec_lo, s4
	s_waitcnt lgkmcnt(0)
	s_waitcnt_vscnt null, 0x0
	s_barrier
	buffer_gl0_inv
	s_clause 0x1c
	buffer_load_dword v123, off, s[0:3], 0 offset:40
	buffer_load_dword v124, off, s[0:3], 0 offset:44
	;; [unrolled: 1-line block ×29, first 2 shown]
	v_mov_b32_e32 v114, 0
	buffer_load_dword v148, off, s[0:3], 0 offset:156
	s_mov_b32 s4, exec_lo
	ds_read2_b64 v[115:118], v114 offset0:61 offset1:62
	ds_read2_b64 v[119:122], v114 offset0:63 offset1:64
	s_waitcnt vmcnt(28) lgkmcnt(1)
	v_fma_f64 v[115:116], v[123:124], v[115:116], 0
	s_clause 0x7
	buffer_load_dword v124, off, s[0:3], 0 offset:164
	buffer_load_dword v153, off, s[0:3], 0 offset:184
	buffer_load_dword v155, off, s[0:3], 0 offset:176
	buffer_load_dword v157, off, s[0:3], 0 offset:168
	buffer_load_dword v123, off, s[0:3], 0 offset:160
	buffer_load_dword v158, off, s[0:3], 0 offset:172
	buffer_load_dword v156, off, s[0:3], 0 offset:180
	buffer_load_dword v154, off, s[0:3], 0 offset:188
	s_waitcnt vmcnt(34)
	v_fma_f64 v[115:116], v[125:126], v[117:118], v[115:116]
	s_waitcnt vmcnt(32) lgkmcnt(0)
	v_fma_f64 v[115:116], v[127:128], v[119:120], v[115:116]
	s_waitcnt vmcnt(30)
	v_fma_f64 v[125:126], v[129:130], v[121:122], v[115:116]
	ds_read2_b64 v[115:118], v114 offset0:65 offset1:66
	ds_read2_b64 v[119:122], v114 offset0:67 offset1:68
	s_waitcnt vmcnt(28) lgkmcnt(1)
	v_fma_f64 v[115:116], v[131:132], v[115:116], v[125:126]
	s_clause 0x7
	buffer_load_dword v126, off, s[0:3], 0 offset:196
	buffer_load_dword v127, off, s[0:3], 0 offset:216
	buffer_load_dword v129, off, s[0:3], 0 offset:208
	buffer_load_dword v131, off, s[0:3], 0 offset:200
	buffer_load_dword v125, off, s[0:3], 0 offset:192
	buffer_load_dword v132, off, s[0:3], 0 offset:204
	buffer_load_dword v130, off, s[0:3], 0 offset:212
	buffer_load_dword v128, off, s[0:3], 0 offset:220
	s_waitcnt vmcnt(34)
	v_fma_f64 v[115:116], v[133:134], v[117:118], v[115:116]
	s_waitcnt vmcnt(32) lgkmcnt(0)
	v_fma_f64 v[115:116], v[135:136], v[119:120], v[115:116]
	s_waitcnt vmcnt(27)
	v_fma_f64 v[133:134], v[137:138], v[121:122], v[115:116]
	;; [unrolled: 19-line block ×9, first 2 shown]
	ds_read2_b64 v[115:118], v114 offset0:97 offset1:98
	ds_read2_b64 v[119:122], v114 offset0:99 offset1:100
	s_waitcnt vmcnt(26) lgkmcnt(1)
	v_fma_f64 v[115:116], v[155:156], v[115:116], v[125:126]
	s_clause 0x1
	buffer_load_dword v125, off, s[0:3], 0 offset:32
	buffer_load_dword v126, off, s[0:3], 0 offset:36
	s_waitcnt vmcnt(27)
	v_fma_f64 v[115:116], v[153:154], v[117:118], v[115:116]
	s_waitcnt vmcnt(26) lgkmcnt(0)
	v_fma_f64 v[115:116], v[131:132], v[119:120], v[115:116]
	s_waitcnt vmcnt(21)
	v_fma_f64 v[127:128], v[127:128], v[121:122], v[115:116]
	ds_read2_b64 v[115:118], v114 offset0:101 offset1:102
	ds_read2_b64 v[119:122], v114 offset0:103 offset1:104
	s_waitcnt vmcnt(20) lgkmcnt(1)
	v_fma_f64 v[115:116], v[143:144], v[115:116], v[127:128]
	s_waitcnt vmcnt(19)
	v_fma_f64 v[115:116], v[133:134], v[117:118], v[115:116]
	s_waitcnt vmcnt(18) lgkmcnt(0)
	v_fma_f64 v[115:116], v[129:130], v[119:120], v[115:116]
	s_waitcnt vmcnt(13)
	v_fma_f64 v[127:128], v[135:136], v[121:122], v[115:116]
	ds_read2_b64 v[115:118], v114 offset0:105 offset1:106
	ds_read2_b64 v[119:122], v114 offset0:107 offset1:108
	s_waitcnt vmcnt(12) lgkmcnt(1)
	v_fma_f64 v[115:116], v[151:152], v[115:116], v[127:128]
	s_waitcnt vmcnt(11)
	v_fma_f64 v[115:116], v[139:140], v[117:118], v[115:116]
	s_waitcnt vmcnt(10) lgkmcnt(0)
	v_fma_f64 v[115:116], v[137:138], v[119:120], v[115:116]
	s_waitcnt vmcnt(5)
	v_fma_f64 v[119:120], v[123:124], v[121:122], v[115:116]
	ds_read2_b64 v[115:118], v114 offset0:109 offset1:110
	ds_read_b64 v[121:122], v114 offset:888
	s_waitcnt vmcnt(4) lgkmcnt(1)
	v_fma_f64 v[115:116], v[157:158], v[115:116], v[119:120]
	s_waitcnt vmcnt(3)
	v_fma_f64 v[115:116], v[145:146], v[117:118], v[115:116]
	s_waitcnt vmcnt(2) lgkmcnt(0)
	v_fma_f64 v[115:116], v[141:142], v[121:122], v[115:116]
	s_waitcnt vmcnt(0)
	v_add_f64 v[115:116], v[125:126], -v[115:116]
	buffer_store_dword v116, off, s[0:3], 0 offset:36
	buffer_store_dword v115, off, s[0:3], 0 offset:32
	v_cmpx_lt_u32_e32 3, v0
	s_cbranch_execz .LBB55_339
; %bb.338:
	s_clause 0x1
	buffer_load_dword v115, off, s[0:3], 0 offset:24
	buffer_load_dword v116, off, s[0:3], 0 offset:28
	buffer_store_dword v114, off, s[0:3], 0 offset:24
	buffer_store_dword v114, off, s[0:3], 0 offset:28
	s_waitcnt vmcnt(0)
	ds_write_b64 v113, v[115:116]
.LBB55_339:
	s_or_b32 exec_lo, exec_lo, s4
	s_waitcnt lgkmcnt(0)
	s_waitcnt_vscnt null, 0x0
	s_barrier
	buffer_gl0_inv
	s_clause 0x1c
	buffer_load_dword v123, off, s[0:3], 0 offset:32
	buffer_load_dword v124, off, s[0:3], 0 offset:36
	;; [unrolled: 1-line block ×29, first 2 shown]
	ds_read_b128 v[115:118], v114 offset:480
	ds_read_b128 v[119:122], v114 offset:496
	buffer_load_dword v148, off, s[0:3], 0 offset:148
	s_mov_b32 s4, exec_lo
	s_waitcnt vmcnt(28) lgkmcnt(1)
	v_fma_f64 v[115:116], v[123:124], v[115:116], 0
	s_clause 0x7
	buffer_load_dword v124, off, s[0:3], 0 offset:156
	buffer_load_dword v153, off, s[0:3], 0 offset:176
	buffer_load_dword v155, off, s[0:3], 0 offset:168
	buffer_load_dword v157, off, s[0:3], 0 offset:160
	buffer_load_dword v123, off, s[0:3], 0 offset:152
	buffer_load_dword v158, off, s[0:3], 0 offset:164
	buffer_load_dword v156, off, s[0:3], 0 offset:172
	buffer_load_dword v154, off, s[0:3], 0 offset:180
	s_waitcnt vmcnt(34)
	v_fma_f64 v[115:116], v[125:126], v[117:118], v[115:116]
	s_waitcnt vmcnt(32) lgkmcnt(0)
	v_fma_f64 v[115:116], v[127:128], v[119:120], v[115:116]
	s_waitcnt vmcnt(30)
	v_fma_f64 v[125:126], v[129:130], v[121:122], v[115:116]
	ds_read_b128 v[115:118], v114 offset:512
	ds_read_b128 v[119:122], v114 offset:528
	s_waitcnt vmcnt(28) lgkmcnt(1)
	v_fma_f64 v[115:116], v[131:132], v[115:116], v[125:126]
	s_clause 0x7
	buffer_load_dword v126, off, s[0:3], 0 offset:188
	buffer_load_dword v127, off, s[0:3], 0 offset:208
	buffer_load_dword v129, off, s[0:3], 0 offset:200
	buffer_load_dword v131, off, s[0:3], 0 offset:192
	buffer_load_dword v125, off, s[0:3], 0 offset:184
	buffer_load_dword v132, off, s[0:3], 0 offset:196
	buffer_load_dword v130, off, s[0:3], 0 offset:204
	buffer_load_dword v128, off, s[0:3], 0 offset:212
	s_waitcnt vmcnt(34)
	v_fma_f64 v[115:116], v[133:134], v[117:118], v[115:116]
	s_waitcnt vmcnt(32) lgkmcnt(0)
	v_fma_f64 v[115:116], v[135:136], v[119:120], v[115:116]
	s_waitcnt vmcnt(27)
	v_fma_f64 v[133:134], v[137:138], v[121:122], v[115:116]
	ds_read_b128 v[115:118], v114 offset:544
	ds_read_b128 v[119:122], v114 offset:560
	;; [unrolled: 19-line block ×9, first 2 shown]
	s_waitcnt vmcnt(26) lgkmcnt(1)
	v_fma_f64 v[115:116], v[155:156], v[115:116], v[125:126]
	s_clause 0x3
	buffer_load_dword v126, off, s[0:3], 0 offset:444
	buffer_load_dword v125, off, s[0:3], 0 offset:440
	;; [unrolled: 1-line block ×4, first 2 shown]
	s_waitcnt vmcnt(29)
	v_fma_f64 v[115:116], v[153:154], v[117:118], v[115:116]
	s_waitcnt vmcnt(28) lgkmcnt(0)
	v_fma_f64 v[115:116], v[131:132], v[119:120], v[115:116]
	s_waitcnt vmcnt(23)
	v_fma_f64 v[127:128], v[127:128], v[121:122], v[115:116]
	ds_read_b128 v[115:118], v114 offset:800
	ds_read_b128 v[119:122], v114 offset:816
	s_waitcnt vmcnt(22) lgkmcnt(1)
	v_fma_f64 v[115:116], v[143:144], v[115:116], v[127:128]
	s_waitcnt vmcnt(21)
	v_fma_f64 v[115:116], v[133:134], v[117:118], v[115:116]
	s_waitcnt vmcnt(20) lgkmcnt(0)
	v_fma_f64 v[115:116], v[129:130], v[119:120], v[115:116]
	s_waitcnt vmcnt(15)
	v_fma_f64 v[127:128], v[135:136], v[121:122], v[115:116]
	ds_read_b128 v[115:118], v114 offset:832
	ds_read_b128 v[119:122], v114 offset:848
	s_waitcnt vmcnt(14) lgkmcnt(1)
	v_fma_f64 v[115:116], v[151:152], v[115:116], v[127:128]
	;; [unrolled: 10-line block ×3, first 2 shown]
	s_waitcnt vmcnt(5)
	v_fma_f64 v[114:115], v[145:146], v[117:118], v[114:115]
	s_waitcnt vmcnt(4) lgkmcnt(0)
	v_fma_f64 v[114:115], v[141:142], v[119:120], v[114:115]
	s_waitcnt vmcnt(2)
	v_fma_f64 v[114:115], v[125:126], v[121:122], v[114:115]
	s_waitcnt vmcnt(0)
	v_add_f64 v[114:115], v[147:148], -v[114:115]
	buffer_store_dword v115, off, s[0:3], 0 offset:28
	buffer_store_dword v114, off, s[0:3], 0 offset:24
	v_cmpx_lt_u32_e32 2, v0
	s_cbranch_execz .LBB55_341
; %bb.340:
	s_clause 0x1
	buffer_load_dword v114, off, s[0:3], 0 offset:16
	buffer_load_dword v115, off, s[0:3], 0 offset:20
	v_mov_b32_e32 v116, 0
	buffer_store_dword v116, off, s[0:3], 0 offset:16
	buffer_store_dword v116, off, s[0:3], 0 offset:20
	s_waitcnt vmcnt(0)
	ds_write_b64 v113, v[114:115]
.LBB55_341:
	s_or_b32 exec_lo, exec_lo, s4
	s_waitcnt lgkmcnt(0)
	s_waitcnt_vscnt null, 0x0
	s_barrier
	buffer_gl0_inv
	s_clause 0x1c
	buffer_load_dword v123, off, s[0:3], 0 offset:24
	buffer_load_dword v124, off, s[0:3], 0 offset:28
	;; [unrolled: 1-line block ×29, first 2 shown]
	v_mov_b32_e32 v114, 0
	buffer_load_dword v148, off, s[0:3], 0 offset:140
	s_mov_b32 s4, exec_lo
	ds_read2_b64 v[115:118], v114 offset0:59 offset1:60
	ds_read2_b64 v[119:122], v114 offset0:61 offset1:62
	s_waitcnt vmcnt(28) lgkmcnt(1)
	v_fma_f64 v[115:116], v[123:124], v[115:116], 0
	s_clause 0x7
	buffer_load_dword v124, off, s[0:3], 0 offset:148
	buffer_load_dword v153, off, s[0:3], 0 offset:168
	buffer_load_dword v155, off, s[0:3], 0 offset:160
	buffer_load_dword v157, off, s[0:3], 0 offset:152
	buffer_load_dword v123, off, s[0:3], 0 offset:144
	buffer_load_dword v158, off, s[0:3], 0 offset:156
	buffer_load_dword v156, off, s[0:3], 0 offset:164
	buffer_load_dword v154, off, s[0:3], 0 offset:172
	s_waitcnt vmcnt(34)
	v_fma_f64 v[115:116], v[125:126], v[117:118], v[115:116]
	s_waitcnt vmcnt(32) lgkmcnt(0)
	v_fma_f64 v[115:116], v[127:128], v[119:120], v[115:116]
	s_waitcnt vmcnt(30)
	v_fma_f64 v[125:126], v[129:130], v[121:122], v[115:116]
	ds_read2_b64 v[115:118], v114 offset0:63 offset1:64
	ds_read2_b64 v[119:122], v114 offset0:65 offset1:66
	s_waitcnt vmcnt(28) lgkmcnt(1)
	v_fma_f64 v[115:116], v[131:132], v[115:116], v[125:126]
	s_clause 0x7
	buffer_load_dword v126, off, s[0:3], 0 offset:180
	buffer_load_dword v127, off, s[0:3], 0 offset:200
	buffer_load_dword v129, off, s[0:3], 0 offset:192
	buffer_load_dword v131, off, s[0:3], 0 offset:184
	buffer_load_dword v125, off, s[0:3], 0 offset:176
	buffer_load_dword v132, off, s[0:3], 0 offset:188
	buffer_load_dword v130, off, s[0:3], 0 offset:196
	buffer_load_dword v128, off, s[0:3], 0 offset:204
	s_waitcnt vmcnt(34)
	v_fma_f64 v[115:116], v[133:134], v[117:118], v[115:116]
	s_waitcnt vmcnt(32) lgkmcnt(0)
	v_fma_f64 v[115:116], v[135:136], v[119:120], v[115:116]
	s_waitcnt vmcnt(27)
	v_fma_f64 v[133:134], v[137:138], v[121:122], v[115:116]
	;; [unrolled: 19-line block ×9, first 2 shown]
	ds_read2_b64 v[115:118], v114 offset0:95 offset1:96
	ds_read2_b64 v[119:122], v114 offset0:97 offset1:98
	s_waitcnt vmcnt(26) lgkmcnt(1)
	v_fma_f64 v[115:116], v[155:156], v[115:116], v[125:126]
	s_clause 0x3
	buffer_load_dword v126, off, s[0:3], 0 offset:436
	buffer_load_dword v147, off, s[0:3], 0 offset:440
	;; [unrolled: 1-line block ×4, first 2 shown]
	s_waitcnt vmcnt(29)
	v_fma_f64 v[115:116], v[153:154], v[117:118], v[115:116]
	s_waitcnt vmcnt(28) lgkmcnt(0)
	v_fma_f64 v[115:116], v[131:132], v[119:120], v[115:116]
	s_clause 0x1
	buffer_load_dword v131, off, s[0:3], 0 offset:16
	buffer_load_dword v132, off, s[0:3], 0 offset:20
	s_waitcnt vmcnt(25)
	v_fma_f64 v[127:128], v[127:128], v[121:122], v[115:116]
	ds_read2_b64 v[115:118], v114 offset0:99 offset1:100
	ds_read2_b64 v[119:122], v114 offset0:101 offset1:102
	s_waitcnt vmcnt(24) lgkmcnt(1)
	v_fma_f64 v[115:116], v[143:144], v[115:116], v[127:128]
	s_waitcnt vmcnt(23)
	v_fma_f64 v[115:116], v[133:134], v[117:118], v[115:116]
	s_waitcnt vmcnt(22) lgkmcnt(0)
	v_fma_f64 v[115:116], v[129:130], v[119:120], v[115:116]
	s_waitcnt vmcnt(17)
	v_fma_f64 v[127:128], v[135:136], v[121:122], v[115:116]
	ds_read2_b64 v[115:118], v114 offset0:103 offset1:104
	ds_read2_b64 v[119:122], v114 offset0:105 offset1:106
	s_waitcnt vmcnt(16) lgkmcnt(1)
	v_fma_f64 v[115:116], v[151:152], v[115:116], v[127:128]
	s_waitcnt vmcnt(15)
	v_fma_f64 v[115:116], v[139:140], v[117:118], v[115:116]
	s_waitcnt vmcnt(14) lgkmcnt(0)
	v_fma_f64 v[115:116], v[137:138], v[119:120], v[115:116]
	s_waitcnt vmcnt(9)
	v_fma_f64 v[123:124], v[123:124], v[121:122], v[115:116]
	ds_read2_b64 v[115:118], v114 offset0:107 offset1:108
	ds_read2_b64 v[119:122], v114 offset0:109 offset1:110
	s_waitcnt vmcnt(8) lgkmcnt(1)
	v_fma_f64 v[115:116], v[157:158], v[115:116], v[123:124]
	s_waitcnt vmcnt(7)
	v_fma_f64 v[115:116], v[145:146], v[117:118], v[115:116]
	ds_read_b64 v[117:118], v114 offset:888
	s_waitcnt vmcnt(6) lgkmcnt(1)
	v_fma_f64 v[115:116], v[141:142], v[119:120], v[115:116]
	s_waitcnt vmcnt(3)
	v_fma_f64 v[115:116], v[125:126], v[121:122], v[115:116]
	s_waitcnt vmcnt(2) lgkmcnt(0)
	v_fma_f64 v[115:116], v[147:148], v[117:118], v[115:116]
	s_waitcnt vmcnt(0)
	v_add_f64 v[115:116], v[131:132], -v[115:116]
	buffer_store_dword v116, off, s[0:3], 0 offset:20
	buffer_store_dword v115, off, s[0:3], 0 offset:16
	v_cmpx_lt_u32_e32 1, v0
	s_cbranch_execz .LBB55_343
; %bb.342:
	s_clause 0x1
	buffer_load_dword v115, off, s[0:3], 0 offset:8
	buffer_load_dword v116, off, s[0:3], 0 offset:12
	buffer_store_dword v114, off, s[0:3], 0 offset:8
	buffer_store_dword v114, off, s[0:3], 0 offset:12
	s_waitcnt vmcnt(0)
	ds_write_b64 v113, v[115:116]
.LBB55_343:
	s_or_b32 exec_lo, exec_lo, s4
	s_waitcnt lgkmcnt(0)
	s_waitcnt_vscnt null, 0x0
	s_barrier
	buffer_gl0_inv
	s_clause 0x1c
	buffer_load_dword v123, off, s[0:3], 0 offset:16
	buffer_load_dword v124, off, s[0:3], 0 offset:20
	;; [unrolled: 1-line block ×29, first 2 shown]
	ds_read_b128 v[115:118], v114 offset:464
	ds_read_b128 v[119:122], v114 offset:480
	buffer_load_dword v148, off, s[0:3], 0 offset:132
	s_mov_b32 s4, exec_lo
	s_waitcnt vmcnt(28) lgkmcnt(1)
	v_fma_f64 v[115:116], v[123:124], v[115:116], 0
	s_clause 0x7
	buffer_load_dword v124, off, s[0:3], 0 offset:140
	buffer_load_dword v153, off, s[0:3], 0 offset:160
	buffer_load_dword v155, off, s[0:3], 0 offset:152
	buffer_load_dword v157, off, s[0:3], 0 offset:144
	buffer_load_dword v123, off, s[0:3], 0 offset:136
	buffer_load_dword v158, off, s[0:3], 0 offset:148
	buffer_load_dword v156, off, s[0:3], 0 offset:156
	buffer_load_dword v154, off, s[0:3], 0 offset:164
	s_waitcnt vmcnt(34)
	v_fma_f64 v[115:116], v[125:126], v[117:118], v[115:116]
	s_waitcnt vmcnt(32) lgkmcnt(0)
	v_fma_f64 v[115:116], v[127:128], v[119:120], v[115:116]
	s_waitcnt vmcnt(30)
	v_fma_f64 v[125:126], v[129:130], v[121:122], v[115:116]
	ds_read_b128 v[115:118], v114 offset:496
	ds_read_b128 v[119:122], v114 offset:512
	s_waitcnt vmcnt(28) lgkmcnt(1)
	v_fma_f64 v[115:116], v[131:132], v[115:116], v[125:126]
	s_clause 0x7
	buffer_load_dword v126, off, s[0:3], 0 offset:172
	buffer_load_dword v127, off, s[0:3], 0 offset:192
	buffer_load_dword v129, off, s[0:3], 0 offset:184
	buffer_load_dword v131, off, s[0:3], 0 offset:176
	buffer_load_dword v125, off, s[0:3], 0 offset:168
	buffer_load_dword v132, off, s[0:3], 0 offset:180
	buffer_load_dword v130, off, s[0:3], 0 offset:188
	buffer_load_dword v128, off, s[0:3], 0 offset:196
	s_waitcnt vmcnt(34)
	v_fma_f64 v[115:116], v[133:134], v[117:118], v[115:116]
	s_waitcnt vmcnt(32) lgkmcnt(0)
	v_fma_f64 v[115:116], v[135:136], v[119:120], v[115:116]
	s_waitcnt vmcnt(27)
	v_fma_f64 v[133:134], v[137:138], v[121:122], v[115:116]
	ds_read_b128 v[115:118], v114 offset:528
	ds_read_b128 v[119:122], v114 offset:544
	;; [unrolled: 19-line block ×9, first 2 shown]
	s_waitcnt vmcnt(26) lgkmcnt(1)
	v_fma_f64 v[115:116], v[155:156], v[115:116], v[125:126]
	s_clause 0x5
	buffer_load_dword v126, off, s[0:3], 0 offset:428
	buffer_load_dword v147, off, s[0:3], 0 offset:440
	buffer_load_dword v149, off, s[0:3], 0 offset:432
	buffer_load_dword v125, off, s[0:3], 0 offset:424
	buffer_load_dword v150, off, s[0:3], 0 offset:436
	buffer_load_dword v148, off, s[0:3], 0 offset:444
	s_waitcnt vmcnt(31)
	v_fma_f64 v[115:116], v[153:154], v[117:118], v[115:116]
	s_waitcnt vmcnt(30) lgkmcnt(0)
	v_fma_f64 v[115:116], v[131:132], v[119:120], v[115:116]
	s_waitcnt vmcnt(25)
	v_fma_f64 v[127:128], v[127:128], v[121:122], v[115:116]
	ds_read_b128 v[115:118], v114 offset:784
	s_clause 0x1
	buffer_load_dword v131, off, s[0:3], 0 offset:8
	buffer_load_dword v132, off, s[0:3], 0 offset:12
	ds_read_b128 v[119:122], v114 offset:800
	s_waitcnt vmcnt(26) lgkmcnt(1)
	v_fma_f64 v[115:116], v[143:144], v[115:116], v[127:128]
	s_waitcnt vmcnt(25)
	v_fma_f64 v[115:116], v[133:134], v[117:118], v[115:116]
	s_waitcnt vmcnt(24) lgkmcnt(0)
	v_fma_f64 v[115:116], v[129:130], v[119:120], v[115:116]
	s_waitcnt vmcnt(19)
	v_fma_f64 v[127:128], v[135:136], v[121:122], v[115:116]
	ds_read_b128 v[115:118], v114 offset:816
	ds_read_b128 v[119:122], v114 offset:832
	s_waitcnt vmcnt(18) lgkmcnt(1)
	v_fma_f64 v[115:116], v[151:152], v[115:116], v[127:128]
	s_waitcnt vmcnt(17)
	v_fma_f64 v[115:116], v[139:140], v[117:118], v[115:116]
	s_waitcnt vmcnt(16) lgkmcnt(0)
	v_fma_f64 v[115:116], v[137:138], v[119:120], v[115:116]
	s_waitcnt vmcnt(11)
	v_fma_f64 v[123:124], v[123:124], v[121:122], v[115:116]
	ds_read_b128 v[115:118], v114 offset:848
	;; [unrolled: 10-line block ×3, first 2 shown]
	s_waitcnt vmcnt(3) lgkmcnt(0)
	v_fma_f64 v[114:115], v[149:150], v[114:115], v[118:119]
	s_waitcnt vmcnt(2)
	v_fma_f64 v[114:115], v[147:148], v[116:117], v[114:115]
	s_waitcnt vmcnt(0)
	v_add_f64 v[114:115], v[131:132], -v[114:115]
	buffer_store_dword v115, off, s[0:3], 0 offset:12
	buffer_store_dword v114, off, s[0:3], 0 offset:8
	v_cmpx_ne_u32_e32 0, v0
	s_cbranch_execz .LBB55_345
; %bb.344:
	s_clause 0x1
	buffer_load_dword v114, off, s[0:3], 0
	buffer_load_dword v115, off, s[0:3], 0 offset:4
	v_mov_b32_e32 v0, 0
	buffer_store_dword v0, off, s[0:3], 0
	buffer_store_dword v0, off, s[0:3], 0 offset:4
	s_waitcnt vmcnt(0)
	ds_write_b64 v113, v[114:115]
.LBB55_345:
	s_or_b32 exec_lo, exec_lo, s4
	s_waitcnt lgkmcnt(0)
	s_waitcnt_vscnt null, 0x0
	s_barrier
	buffer_gl0_inv
	s_clause 0x1c
	buffer_load_dword v121, off, s[0:3], 0 offset:8
	buffer_load_dword v122, off, s[0:3], 0 offset:12
	;; [unrolled: 1-line block ×29, first 2 shown]
	v_mov_b32_e32 v0, 0
	buffer_load_dword v146, off, s[0:3], 0 offset:124
	s_and_b32 vcc_lo, exec_lo, s22
	ds_read2_b64 v[113:116], v0 offset0:57 offset1:58
	ds_read2_b64 v[117:120], v0 offset0:59 offset1:60
	s_waitcnt vmcnt(28) lgkmcnt(1)
	v_fma_f64 v[113:114], v[121:122], v[113:114], 0
	s_clause 0x7
	buffer_load_dword v122, off, s[0:3], 0 offset:132
	buffer_load_dword v151, off, s[0:3], 0 offset:152
	buffer_load_dword v153, off, s[0:3], 0 offset:144
	buffer_load_dword v155, off, s[0:3], 0 offset:136
	buffer_load_dword v121, off, s[0:3], 0 offset:128
	buffer_load_dword v156, off, s[0:3], 0 offset:140
	buffer_load_dword v154, off, s[0:3], 0 offset:148
	buffer_load_dword v152, off, s[0:3], 0 offset:156
	s_waitcnt vmcnt(34)
	v_fma_f64 v[113:114], v[123:124], v[115:116], v[113:114]
	s_waitcnt vmcnt(32) lgkmcnt(0)
	v_fma_f64 v[113:114], v[125:126], v[117:118], v[113:114]
	s_waitcnt vmcnt(30)
	v_fma_f64 v[123:124], v[127:128], v[119:120], v[113:114]
	ds_read2_b64 v[113:116], v0 offset0:61 offset1:62
	ds_read2_b64 v[117:120], v0 offset0:63 offset1:64
	s_waitcnt vmcnt(28) lgkmcnt(1)
	v_fma_f64 v[113:114], v[129:130], v[113:114], v[123:124]
	s_clause 0x7
	buffer_load_dword v124, off, s[0:3], 0 offset:164
	buffer_load_dword v125, off, s[0:3], 0 offset:184
	buffer_load_dword v127, off, s[0:3], 0 offset:176
	buffer_load_dword v129, off, s[0:3], 0 offset:168
	buffer_load_dword v123, off, s[0:3], 0 offset:160
	buffer_load_dword v130, off, s[0:3], 0 offset:172
	buffer_load_dword v128, off, s[0:3], 0 offset:180
	buffer_load_dword v126, off, s[0:3], 0 offset:188
	s_waitcnt vmcnt(34)
	v_fma_f64 v[113:114], v[131:132], v[115:116], v[113:114]
	s_waitcnt vmcnt(32) lgkmcnt(0)
	v_fma_f64 v[113:114], v[133:134], v[117:118], v[113:114]
	s_waitcnt vmcnt(27)
	v_fma_f64 v[131:132], v[135:136], v[119:120], v[113:114]
	;; [unrolled: 19-line block ×9, first 2 shown]
	ds_read2_b64 v[114:117], v0 offset0:93 offset1:94
	ds_read2_b64 v[118:121], v0 offset0:95 offset1:96
	s_waitcnt vmcnt(26) lgkmcnt(1)
	v_fma_f64 v[113:114], v[153:154], v[114:115], v[122:123]
	s_clause 0x6
	buffer_load_dword v146, off, s[0:3], 0 offset:420
	buffer_load_dword v147, off, s[0:3], 0 offset:440
	;; [unrolled: 1-line block ×7, first 2 shown]
	s_waitcnt vmcnt(32)
	v_fma_f64 v[113:114], v[151:152], v[116:117], v[113:114]
	buffer_load_dword v116, off, s[0:3], 0 offset:436
	s_waitcnt vmcnt(32) lgkmcnt(0)
	v_fma_f64 v[113:114], v[129:130], v[118:119], v[113:114]
	s_waitcnt vmcnt(27)
	v_fma_f64 v[113:114], v[125:126], v[120:121], v[113:114]
	ds_read2_b64 v[117:120], v0 offset0:97 offset1:98
	ds_read2_b64 v[121:124], v0 offset0:99 offset1:100
	s_clause 0x1
	buffer_load_dword v125, off, s[0:3], 0
	buffer_load_dword v126, off, s[0:3], 0 offset:4
	s_waitcnt vmcnt(28) lgkmcnt(1)
	v_fma_f64 v[113:114], v[141:142], v[117:118], v[113:114]
	s_waitcnt vmcnt(27)
	v_fma_f64 v[113:114], v[131:132], v[119:120], v[113:114]
	s_waitcnt vmcnt(26) lgkmcnt(0)
	v_fma_f64 v[113:114], v[127:128], v[121:122], v[113:114]
	s_waitcnt vmcnt(21)
	v_fma_f64 v[113:114], v[133:134], v[123:124], v[113:114]
	ds_read2_b64 v[117:120], v0 offset0:101 offset1:102
	ds_read2_b64 v[121:124], v0 offset0:103 offset1:104
	s_waitcnt vmcnt(20) lgkmcnt(1)
	v_fma_f64 v[113:114], v[149:150], v[117:118], v[113:114]
	s_waitcnt vmcnt(19)
	v_fma_f64 v[113:114], v[137:138], v[119:120], v[113:114]
	s_waitcnt vmcnt(18) lgkmcnt(0)
	v_fma_f64 v[113:114], v[135:136], v[121:122], v[113:114]
	s_waitcnt vmcnt(13)
	v_fma_f64 v[113:114], v[139:140], v[123:124], v[113:114]
	ds_read2_b64 v[117:120], v0 offset0:105 offset1:106
	ds_read2_b64 v[121:124], v0 offset0:107 offset1:108
	s_waitcnt vmcnt(12) lgkmcnt(1)
	v_fma_f64 v[113:114], v[157:158], v[117:118], v[113:114]
	s_waitcnt vmcnt(11)
	v_fma_f64 v[113:114], v[155:156], v[119:120], v[113:114]
	s_waitcnt vmcnt(10) lgkmcnt(0)
	v_fma_f64 v[113:114], v[143:144], v[121:122], v[113:114]
	ds_read2_b64 v[117:120], v0 offset0:109 offset1:110
	ds_read_b64 v[121:122], v0 offset:888
	s_waitcnt vmcnt(5)
	v_fma_f64 v[113:114], v[145:146], v[123:124], v[113:114]
	s_waitcnt vmcnt(4) lgkmcnt(1)
	v_fma_f64 v[113:114], v[153:154], v[117:118], v[113:114]
	s_waitcnt vmcnt(2)
	v_fma_f64 v[113:114], v[115:116], v[119:120], v[113:114]
	s_waitcnt lgkmcnt(0)
	v_fma_f64 v[113:114], v[147:148], v[121:122], v[113:114]
	s_waitcnt vmcnt(0)
	v_add_f64 v[113:114], v[125:126], -v[113:114]
	buffer_store_dword v114, off, s[0:3], 0 offset:4
	buffer_store_dword v113, off, s[0:3], 0
	s_cbranch_vccz .LBB55_456
; %bb.346:
	global_load_dword v0, v0, s[20:21] offset:216
	s_waitcnt vmcnt(0)
	v_add_nc_u32_e32 v0, -1, v0
	v_cmp_ne_u32_e32 vcc_lo, 54, v0
	s_cbranch_vccz .LBB55_348
; %bb.347:
	v_lshlrev_b32_e32 v0, 3, v0
	s_clause 0x1
	buffer_load_dword v113, v0, s[0:3], 0 offen offset:4
	buffer_load_dword v114, v0, s[0:3], 0 offen
	s_waitcnt vmcnt(1)
	buffer_store_dword v113, off, s[0:3], 0 offset:436
	s_waitcnt vmcnt(0)
	buffer_store_dword v114, off, s[0:3], 0 offset:432
	buffer_store_dword v116, v0, s[0:3], 0 offen offset:4
	buffer_store_dword v115, v0, s[0:3], 0 offen
.LBB55_348:
	v_mov_b32_e32 v0, 0
	global_load_dword v113, v0, s[20:21] offset:212
	s_waitcnt vmcnt(0)
	v_add_nc_u32_e32 v113, -1, v113
	v_cmp_eq_u32_e32 vcc_lo, 53, v113
	s_cbranch_vccnz .LBB55_350
; %bb.349:
	v_lshlrev_b32_e32 v113, 3, v113
	s_clause 0x3
	buffer_load_dword v114, v113, s[0:3], 0 offen
	buffer_load_dword v115, v113, s[0:3], 0 offen offset:4
	buffer_load_dword v116, off, s[0:3], 0 offset:424
	buffer_load_dword v117, off, s[0:3], 0 offset:428
	s_waitcnt vmcnt(3)
	buffer_store_dword v114, off, s[0:3], 0 offset:424
	s_waitcnt vmcnt(2)
	buffer_store_dword v115, off, s[0:3], 0 offset:428
	s_waitcnt vmcnt(1)
	buffer_store_dword v116, v113, s[0:3], 0 offen
	s_waitcnt vmcnt(0)
	buffer_store_dword v117, v113, s[0:3], 0 offen offset:4
.LBB55_350:
	global_load_dword v0, v0, s[20:21] offset:208
	s_waitcnt vmcnt(0)
	v_add_nc_u32_e32 v0, -1, v0
	v_cmp_eq_u32_e32 vcc_lo, 52, v0
	s_cbranch_vccnz .LBB55_352
; %bb.351:
	v_lshlrev_b32_e32 v0, 3, v0
	s_clause 0x3
	buffer_load_dword v113, v0, s[0:3], 0 offen
	buffer_load_dword v114, v0, s[0:3], 0 offen offset:4
	buffer_load_dword v115, off, s[0:3], 0 offset:420
	buffer_load_dword v116, off, s[0:3], 0 offset:416
	s_waitcnt vmcnt(3)
	buffer_store_dword v113, off, s[0:3], 0 offset:416
	s_waitcnt vmcnt(2)
	buffer_store_dword v114, off, s[0:3], 0 offset:420
	s_waitcnt vmcnt(1)
	buffer_store_dword v115, v0, s[0:3], 0 offen offset:4
	s_waitcnt vmcnt(0)
	buffer_store_dword v116, v0, s[0:3], 0 offen
.LBB55_352:
	v_mov_b32_e32 v0, 0
	global_load_dword v113, v0, s[20:21] offset:204
	s_waitcnt vmcnt(0)
	v_add_nc_u32_e32 v113, -1, v113
	v_cmp_eq_u32_e32 vcc_lo, 51, v113
	s_cbranch_vccnz .LBB55_354
; %bb.353:
	v_lshlrev_b32_e32 v113, 3, v113
	s_clause 0x3
	buffer_load_dword v114, v113, s[0:3], 0 offen
	buffer_load_dword v115, v113, s[0:3], 0 offen offset:4
	buffer_load_dword v116, off, s[0:3], 0 offset:408
	buffer_load_dword v117, off, s[0:3], 0 offset:412
	s_waitcnt vmcnt(3)
	buffer_store_dword v114, off, s[0:3], 0 offset:408
	s_waitcnt vmcnt(2)
	buffer_store_dword v115, off, s[0:3], 0 offset:412
	s_waitcnt vmcnt(1)
	buffer_store_dword v116, v113, s[0:3], 0 offen
	s_waitcnt vmcnt(0)
	buffer_store_dword v117, v113, s[0:3], 0 offen offset:4
.LBB55_354:
	global_load_dword v0, v0, s[20:21] offset:200
	s_waitcnt vmcnt(0)
	v_add_nc_u32_e32 v0, -1, v0
	v_cmp_eq_u32_e32 vcc_lo, 50, v0
	s_cbranch_vccnz .LBB55_356
; %bb.355:
	v_lshlrev_b32_e32 v0, 3, v0
	s_clause 0x3
	buffer_load_dword v113, v0, s[0:3], 0 offen
	buffer_load_dword v114, v0, s[0:3], 0 offen offset:4
	buffer_load_dword v115, off, s[0:3], 0 offset:404
	buffer_load_dword v116, off, s[0:3], 0 offset:400
	s_waitcnt vmcnt(3)
	buffer_store_dword v113, off, s[0:3], 0 offset:400
	s_waitcnt vmcnt(2)
	buffer_store_dword v114, off, s[0:3], 0 offset:404
	s_waitcnt vmcnt(1)
	buffer_store_dword v115, v0, s[0:3], 0 offen offset:4
	s_waitcnt vmcnt(0)
	buffer_store_dword v116, v0, s[0:3], 0 offen
.LBB55_356:
	;; [unrolled: 43-line block ×26, first 2 shown]
	v_mov_b32_e32 v0, 0
	global_load_dword v113, v0, s[20:21] offset:4
	s_waitcnt vmcnt(0)
	v_add_nc_u32_e32 v113, -1, v113
	v_cmp_eq_u32_e32 vcc_lo, 1, v113
	s_cbranch_vccnz .LBB55_454
; %bb.453:
	v_lshlrev_b32_e32 v113, 3, v113
	s_clause 0x3
	buffer_load_dword v114, v113, s[0:3], 0 offen
	buffer_load_dword v115, v113, s[0:3], 0 offen offset:4
	buffer_load_dword v116, off, s[0:3], 0 offset:8
	buffer_load_dword v117, off, s[0:3], 0 offset:12
	s_waitcnt vmcnt(3)
	buffer_store_dword v114, off, s[0:3], 0 offset:8
	s_waitcnt vmcnt(2)
	buffer_store_dword v115, off, s[0:3], 0 offset:12
	s_waitcnt vmcnt(1)
	buffer_store_dword v116, v113, s[0:3], 0 offen
	s_waitcnt vmcnt(0)
	buffer_store_dword v117, v113, s[0:3], 0 offen offset:4
.LBB55_454:
	global_load_dword v0, v0, s[20:21]
	s_clause 0x1
	buffer_load_dword v113, off, s[0:3], 0
	buffer_load_dword v114, off, s[0:3], 0 offset:4
	s_waitcnt vmcnt(2)
	v_add_nc_u32_e32 v0, -1, v0
	v_cmp_eq_u32_e32 vcc_lo, 0, v0
	s_cbranch_vccnz .LBB55_456
; %bb.455:
	v_lshlrev_b32_e32 v0, 3, v0
	s_clause 0x1
	buffer_load_dword v115, v0, s[0:3], 0 offen offset:4
	buffer_load_dword v116, v0, s[0:3], 0 offen
	s_waitcnt vmcnt(1)
	buffer_store_dword v115, off, s[0:3], 0 offset:4
	s_waitcnt vmcnt(0)
	buffer_store_dword v116, off, s[0:3], 0
	buffer_store_dword v114, v0, s[0:3], 0 offen offset:4
	buffer_store_dword v113, v0, s[0:3], 0 offen
	s_clause 0x1
	buffer_load_dword v113, off, s[0:3], 0
	buffer_load_dword v114, off, s[0:3], 0 offset:4
.LBB55_456:
	s_clause 0x1f
	buffer_load_dword v115, off, s[0:3], 0 offset:8
	buffer_load_dword v116, off, s[0:3], 0 offset:12
	;; [unrolled: 1-line block ×32, first 2 shown]
	s_waitcnt vmcnt(32)
	global_store_dwordx2 v[83:84], v[113:114], off
	s_clause 0x7
	buffer_load_dword v83, off, s[0:3], 0 offset:136
	buffer_load_dword v84, off, s[0:3], 0 offset:140
	buffer_load_dword v113, off, s[0:3], 0 offset:144
	buffer_load_dword v114, off, s[0:3], 0 offset:148
	buffer_load_dword v147, off, s[0:3], 0 offset:152
	buffer_load_dword v148, off, s[0:3], 0 offset:156
	buffer_load_dword v149, off, s[0:3], 0 offset:160
	buffer_load_dword v150, off, s[0:3], 0 offset:164
	s_waitcnt vmcnt(38)
	global_store_dwordx2 v[71:72], v[115:116], off
	s_clause 0x7
	buffer_load_dword v71, off, s[0:3], 0 offset:168
	buffer_load_dword v72, off, s[0:3], 0 offset:172
	buffer_load_dword v115, off, s[0:3], 0 offset:176
	buffer_load_dword v116, off, s[0:3], 0 offset:180
	buffer_load_dword v151, off, s[0:3], 0 offset:184
	buffer_load_dword v152, off, s[0:3], 0 offset:188
	buffer_load_dword v153, off, s[0:3], 0 offset:192
	buffer_load_dword v154, off, s[0:3], 0 offset:196
	s_waitcnt vmcnt(44)
	global_store_dwordx2 v[43:44], v[117:118], off
	s_waitcnt vmcnt(42)
	global_store_dwordx2 v[49:50], v[119:120], off
	s_clause 0x7
	buffer_load_dword v43, off, s[0:3], 0 offset:200
	buffer_load_dword v44, off, s[0:3], 0 offset:204
	buffer_load_dword v49, off, s[0:3], 0 offset:208
	buffer_load_dword v50, off, s[0:3], 0 offset:212
	buffer_load_dword v117, off, s[0:3], 0 offset:216
	buffer_load_dword v118, off, s[0:3], 0 offset:220
	buffer_load_dword v119, off, s[0:3], 0 offset:224
	buffer_load_dword v120, off, s[0:3], 0 offset:228
	s_waitcnt vmcnt(48)
	global_store_dwordx2 v[25:26], v[121:122], off
	;; [unrolled: 13-line block ×6, first 2 shown]
	global_store_dwordx2 v[39:40], v[139:140], off
	s_clause 0x7
	buffer_load_dword v33, off, s[0:3], 0 offset:360
	buffer_load_dword v34, off, s[0:3], 0 offset:364
	;; [unrolled: 1-line block ×8, first 2 shown]
	s_waitcnt vmcnt(62)
	global_store_dwordx2 v[17:18], v[141:142], off
	global_store_dwordx2 v[21:22], v[143:144], off
	s_clause 0x7
	buffer_load_dword v17, off, s[0:3], 0 offset:392
	buffer_load_dword v18, off, s[0:3], 0 offset:396
	;; [unrolled: 1-line block ×8, first 2 shown]
	global_store_dwordx2 v[7:8], v[145:146], off
	s_clause 0x5
	buffer_load_dword v7, off, s[0:3], 0 offset:424
	buffer_load_dword v8, off, s[0:3], 0 offset:428
	;; [unrolled: 1-line block ×6, first 2 shown]
	global_store_dwordx2 v[1:2], v[83:84], off
	s_waitcnt vmcnt(62)
	global_store_dwordx2 v[3:4], v[113:114], off
	global_store_dwordx2 v[5:6], v[147:148], off
	;; [unrolled: 1-line block ×7, first 2 shown]
	s_waitcnt vmcnt(60)
	global_store_dwordx2 v[29:30], v[43:44], off
	s_waitcnt vmcnt(58)
	global_store_dwordx2 v[35:36], v[49:50], off
	;; [unrolled: 2-line block ×31, first 2 shown]
	s_endpgm
	.section	.rodata,"a",@progbits
	.p2align	6, 0x0
	.amdhsa_kernel _ZN9rocsolver6v33100L18getri_kernel_smallILi56EdPdEEvT1_iilPiilS4_bb
		.amdhsa_group_segment_fixed_size 904
		.amdhsa_private_segment_fixed_size 464
		.amdhsa_kernarg_size 60
		.amdhsa_user_sgpr_count 6
		.amdhsa_user_sgpr_private_segment_buffer 1
		.amdhsa_user_sgpr_dispatch_ptr 0
		.amdhsa_user_sgpr_queue_ptr 0
		.amdhsa_user_sgpr_kernarg_segment_ptr 1
		.amdhsa_user_sgpr_dispatch_id 0
		.amdhsa_user_sgpr_flat_scratch_init 0
		.amdhsa_user_sgpr_private_segment_size 0
		.amdhsa_wavefront_size32 1
		.amdhsa_uses_dynamic_stack 0
		.amdhsa_system_sgpr_private_segment_wavefront_offset 1
		.amdhsa_system_sgpr_workgroup_id_x 1
		.amdhsa_system_sgpr_workgroup_id_y 0
		.amdhsa_system_sgpr_workgroup_id_z 0
		.amdhsa_system_sgpr_workgroup_info 0
		.amdhsa_system_vgpr_workitem_id 0
		.amdhsa_next_free_vgpr 164
		.amdhsa_next_free_sgpr 23
		.amdhsa_reserve_vcc 1
		.amdhsa_reserve_flat_scratch 0
		.amdhsa_float_round_mode_32 0
		.amdhsa_float_round_mode_16_64 0
		.amdhsa_float_denorm_mode_32 3
		.amdhsa_float_denorm_mode_16_64 3
		.amdhsa_dx10_clamp 1
		.amdhsa_ieee_mode 1
		.amdhsa_fp16_overflow 0
		.amdhsa_workgroup_processor_mode 1
		.amdhsa_memory_ordered 1
		.amdhsa_forward_progress 1
		.amdhsa_shared_vgpr_count 0
		.amdhsa_exception_fp_ieee_invalid_op 0
		.amdhsa_exception_fp_denorm_src 0
		.amdhsa_exception_fp_ieee_div_zero 0
		.amdhsa_exception_fp_ieee_overflow 0
		.amdhsa_exception_fp_ieee_underflow 0
		.amdhsa_exception_fp_ieee_inexact 0
		.amdhsa_exception_int_div_zero 0
	.end_amdhsa_kernel
	.section	.text._ZN9rocsolver6v33100L18getri_kernel_smallILi56EdPdEEvT1_iilPiilS4_bb,"axG",@progbits,_ZN9rocsolver6v33100L18getri_kernel_smallILi56EdPdEEvT1_iilPiilS4_bb,comdat
.Lfunc_end55:
	.size	_ZN9rocsolver6v33100L18getri_kernel_smallILi56EdPdEEvT1_iilPiilS4_bb, .Lfunc_end55-_ZN9rocsolver6v33100L18getri_kernel_smallILi56EdPdEEvT1_iilPiilS4_bb
                                        ; -- End function
	.set _ZN9rocsolver6v33100L18getri_kernel_smallILi56EdPdEEvT1_iilPiilS4_bb.num_vgpr, 164
	.set _ZN9rocsolver6v33100L18getri_kernel_smallILi56EdPdEEvT1_iilPiilS4_bb.num_agpr, 0
	.set _ZN9rocsolver6v33100L18getri_kernel_smallILi56EdPdEEvT1_iilPiilS4_bb.numbered_sgpr, 23
	.set _ZN9rocsolver6v33100L18getri_kernel_smallILi56EdPdEEvT1_iilPiilS4_bb.num_named_barrier, 0
	.set _ZN9rocsolver6v33100L18getri_kernel_smallILi56EdPdEEvT1_iilPiilS4_bb.private_seg_size, 464
	.set _ZN9rocsolver6v33100L18getri_kernel_smallILi56EdPdEEvT1_iilPiilS4_bb.uses_vcc, 1
	.set _ZN9rocsolver6v33100L18getri_kernel_smallILi56EdPdEEvT1_iilPiilS4_bb.uses_flat_scratch, 0
	.set _ZN9rocsolver6v33100L18getri_kernel_smallILi56EdPdEEvT1_iilPiilS4_bb.has_dyn_sized_stack, 0
	.set _ZN9rocsolver6v33100L18getri_kernel_smallILi56EdPdEEvT1_iilPiilS4_bb.has_recursion, 0
	.set _ZN9rocsolver6v33100L18getri_kernel_smallILi56EdPdEEvT1_iilPiilS4_bb.has_indirect_call, 0
	.section	.AMDGPU.csdata,"",@progbits
; Kernel info:
; codeLenInByte = 81780
; TotalNumSgprs: 25
; NumVgprs: 164
; ScratchSize: 464
; MemoryBound: 1
; FloatMode: 240
; IeeeMode: 1
; LDSByteSize: 904 bytes/workgroup (compile time only)
; SGPRBlocks: 0
; VGPRBlocks: 20
; NumSGPRsForWavesPerEU: 25
; NumVGPRsForWavesPerEU: 164
; Occupancy: 5
; WaveLimiterHint : 1
; COMPUTE_PGM_RSRC2:SCRATCH_EN: 1
; COMPUTE_PGM_RSRC2:USER_SGPR: 6
; COMPUTE_PGM_RSRC2:TRAP_HANDLER: 0
; COMPUTE_PGM_RSRC2:TGID_X_EN: 1
; COMPUTE_PGM_RSRC2:TGID_Y_EN: 0
; COMPUTE_PGM_RSRC2:TGID_Z_EN: 0
; COMPUTE_PGM_RSRC2:TIDIG_COMP_CNT: 0
	.section	.text._ZN9rocsolver6v33100L18getri_kernel_smallILi57EdPdEEvT1_iilPiilS4_bb,"axG",@progbits,_ZN9rocsolver6v33100L18getri_kernel_smallILi57EdPdEEvT1_iilPiilS4_bb,comdat
	.globl	_ZN9rocsolver6v33100L18getri_kernel_smallILi57EdPdEEvT1_iilPiilS4_bb ; -- Begin function _ZN9rocsolver6v33100L18getri_kernel_smallILi57EdPdEEvT1_iilPiilS4_bb
	.p2align	8
	.type	_ZN9rocsolver6v33100L18getri_kernel_smallILi57EdPdEEvT1_iilPiilS4_bb,@function
_ZN9rocsolver6v33100L18getri_kernel_smallILi57EdPdEEvT1_iilPiilS4_bb: ; @_ZN9rocsolver6v33100L18getri_kernel_smallILi57EdPdEEvT1_iilPiilS4_bb
; %bb.0:
	s_add_u32 s0, s0, s7
	s_addc_u32 s1, s1, 0
	s_mov_b32 s7, exec_lo
	v_cmpx_gt_u32_e32 57, v0
	s_cbranch_execz .LBB56_238
; %bb.1:
	s_clause 0x2
	s_load_dword s7, s[4:5], 0x38
	s_load_dwordx4 s[16:19], s[4:5], 0x10
	s_load_dwordx4 s[8:11], s[4:5], 0x28
                                        ; implicit-def: $sgpr20_sgpr21
	s_waitcnt lgkmcnt(0)
	s_bitcmp1_b32 s7, 8
	s_cselect_b32 s22, -1, 0
	s_bfe_u32 s12, s7, 0x10008
	s_ashr_i32 s7, s6, 31
	s_cmp_eq_u32 s12, 0
	s_cbranch_scc1 .LBB56_3
; %bb.2:
	s_load_dword s12, s[4:5], 0x20
	s_mul_i32 s13, s8, s7
	s_mul_hi_u32 s14, s8, s6
	s_mul_i32 s9, s9, s6
	s_add_i32 s13, s14, s13
	s_mul_i32 s8, s8, s6
	s_add_i32 s9, s13, s9
	s_lshl_b64 s[8:9], s[8:9], 2
	s_waitcnt lgkmcnt(0)
	s_ashr_i32 s13, s12, 31
	s_add_u32 s14, s18, s8
	s_addc_u32 s15, s19, s9
	s_lshl_b64 s[8:9], s[12:13], 2
	s_add_u32 s20, s14, s8
	s_addc_u32 s21, s15, s9
.LBB56_3:
	s_load_dwordx4 s[12:15], s[4:5], 0x0
	s_mul_i32 s8, s16, s7
	s_mul_hi_u32 s9, s16, s6
	s_mul_i32 s17, s17, s6
	s_add_i32 s8, s9, s8
	s_mul_i32 s16, s16, s6
	s_add_i32 s17, s8, s17
	s_load_dword s8, s[4:5], 0x38
	s_lshl_b64 s[4:5], s[16:17], 3
	v_lshlrev_b32_e32 v117, 3, v0
	s_waitcnt lgkmcnt(0)
	v_add3_u32 v1, s15, s15, v0
	s_ashr_i32 s17, s14, 31
	s_mov_b32 s16, s14
	s_add_u32 s12, s12, s4
	s_addc_u32 s9, s13, s5
	v_add_nc_u32_e32 v3, s15, v1
	v_ashrrev_i32_e32 v2, 31, v1
	s_lshl_b64 s[4:5], s[16:17], 3
	s_add_u32 s4, s12, s4
	v_add_nc_u32_e32 v5, s15, v3
	v_ashrrev_i32_e32 v4, 31, v3
	v_lshlrev_b64 v[1:2], 3, v[1:2]
	s_addc_u32 s5, s9, s5
	v_add_co_u32 v85, s9, s4, v117
	v_ashrrev_i32_e32 v6, 31, v5
	v_add_nc_u32_e32 v7, s15, v5
	v_lshlrev_b64 v[3:4], 3, v[3:4]
	v_add_co_u32 v43, vcc_lo, s4, v1
	v_add_co_ci_u32_e64 v44, null, s5, v2, vcc_lo
	v_lshlrev_b64 v[1:2], 3, v[5:6]
	v_ashrrev_i32_e32 v8, 31, v7
	v_add_nc_u32_e32 v5, s15, v7
	v_add_co_u32 v51, vcc_lo, s4, v3
	v_add_co_ci_u32_e64 v52, null, s5, v4, vcc_lo
	v_lshlrev_b64 v[3:4], 3, v[7:8]
	v_ashrrev_i32_e32 v6, 31, v5
	v_add_nc_u32_e32 v7, s15, v5
	v_add_co_u32 v27, vcc_lo, s4, v1
	s_ashr_i32 s13, s15, 31
	s_mov_b32 s12, s15
	v_add_co_ci_u32_e64 v28, null, s5, v2, vcc_lo
	v_lshlrev_b64 v[1:2], 3, v[5:6]
	v_ashrrev_i32_e32 v8, 31, v7
	v_add_nc_u32_e32 v5, s15, v7
	v_add_co_ci_u32_e64 v86, null, s5, 0, s9
	v_add_co_u32 v37, vcc_lo, s4, v3
	s_lshl_b64 s[12:13], s[12:13], 3
	v_add_co_ci_u32_e64 v38, null, s5, v4, vcc_lo
	v_add_co_u32 v75, vcc_lo, v85, s12
	v_lshlrev_b64 v[3:4], 3, v[7:8]
	v_ashrrev_i32_e32 v6, 31, v5
	v_add_nc_u32_e32 v7, s15, v5
	v_add_co_ci_u32_e64 v76, null, s13, v86, vcc_lo
	v_add_co_u32 v17, vcc_lo, s4, v1
	s_clause 0x3
	global_load_dwordx2 v[97:98], v117, s[4:5]
	global_load_dwordx2 v[101:102], v[43:44], off
	global_load_dwordx2 v[103:104], v[51:52], off
	;; [unrolled: 1-line block ×3, first 2 shown]
	v_add_co_ci_u32_e64 v18, null, s5, v2, vcc_lo
	v_lshlrev_b64 v[1:2], 3, v[5:6]
	global_load_dwordx2 v[99:100], v[75:76], off
	v_add_nc_u32_e32 v5, s15, v7
	v_ashrrev_i32_e32 v8, 31, v7
	v_add_co_u32 v29, vcc_lo, s4, v3
	v_add_co_ci_u32_e64 v30, null, s5, v4, vcc_lo
	v_ashrrev_i32_e32 v6, 31, v5
	v_add_nc_u32_e32 v9, s15, v5
	v_lshlrev_b64 v[3:4], 3, v[7:8]
	v_add_co_u32 v7, vcc_lo, s4, v1
	v_add_co_ci_u32_e64 v8, null, s5, v2, vcc_lo
	v_lshlrev_b64 v[1:2], 3, v[5:6]
	v_add_nc_u32_e32 v5, s15, v9
	v_ashrrev_i32_e32 v10, 31, v9
	v_add_co_u32 v45, vcc_lo, s4, v3
	v_add_co_ci_u32_e64 v46, null, s5, v4, vcc_lo
	v_ashrrev_i32_e32 v6, 31, v5
	v_lshlrev_b64 v[3:4], 3, v[9:10]
	v_add_co_u32 v21, vcc_lo, s4, v1
	v_add_co_ci_u32_e64 v22, null, s5, v2, vcc_lo
	v_lshlrev_b64 v[1:2], 3, v[5:6]
	s_clause 0x5
	global_load_dwordx2 v[107:108], v[37:38], off
	global_load_dwordx2 v[109:110], v[17:18], off
	;; [unrolled: 1-line block ×6, first 2 shown]
	v_add_co_u32 v55, vcc_lo, s4, v3
	v_add_co_ci_u32_e64 v56, null, s5, v4, vcc_lo
	v_add_co_u32 v35, vcc_lo, s4, v1
	v_add_co_ci_u32_e64 v36, null, s5, v2, vcc_lo
	s_clause 0x1
	global_load_dwordx2 v[120:121], v[55:56], off
	global_load_dwordx2 v[122:123], v[35:36], off
	v_add_nc_u32_e32 v9, s15, v5
	s_bitcmp0_b32 s8, 0
	v_add_nc_u32_e32 v1, s15, v9
	v_ashrrev_i32_e32 v10, 31, v9
	v_add_nc_u32_e32 v3, s15, v1
	v_ashrrev_i32_e32 v2, 31, v1
	v_lshlrev_b64 v[5:6], 3, v[9:10]
	v_add_nc_u32_e32 v9, s15, v3
	v_ashrrev_i32_e32 v4, 31, v3
	v_lshlrev_b64 v[1:2], 3, v[1:2]
	v_add_co_u32 v47, vcc_lo, s4, v5
	v_add_nc_u32_e32 v5, s15, v9
	v_lshlrev_b64 v[3:4], 3, v[3:4]
	v_ashrrev_i32_e32 v10, 31, v9
	v_add_co_ci_u32_e64 v48, null, s5, v6, vcc_lo
	v_add_co_u32 v23, vcc_lo, s4, v1
	v_ashrrev_i32_e32 v6, 31, v5
	v_add_nc_u32_e32 v11, s15, v5
	v_add_co_ci_u32_e64 v24, null, s5, v2, vcc_lo
	v_lshlrev_b64 v[1:2], 3, v[9:10]
	v_add_co_u32 v31, vcc_lo, s4, v3
	v_add_co_ci_u32_e64 v32, null, s5, v4, vcc_lo
	v_lshlrev_b64 v[3:4], 3, v[5:6]
	v_ashrrev_i32_e32 v12, 31, v11
	v_add_nc_u32_e32 v5, s15, v11
	v_add_co_u32 v9, vcc_lo, s4, v1
	v_add_co_ci_u32_e64 v10, null, s5, v2, vcc_lo
	v_lshlrev_b64 v[1:2], 3, v[11:12]
	v_ashrrev_i32_e32 v6, 31, v5
	v_add_nc_u32_e32 v11, s15, v5
	v_add_co_u32 v13, vcc_lo, s4, v3
	v_add_co_ci_u32_e64 v14, null, s5, v4, vcc_lo
	v_lshlrev_b64 v[3:4], 3, v[5:6]
	v_add_nc_u32_e32 v5, s15, v11
	v_ashrrev_i32_e32 v12, 31, v11
	v_add_co_u32 v1, vcc_lo, s4, v1
	v_add_co_ci_u32_e64 v2, null, s5, v2, vcc_lo
	v_add_nc_u32_e32 v15, s15, v5
	v_ashrrev_i32_e32 v6, 31, v5
	v_lshlrev_b64 v[11:12], 3, v[11:12]
	v_add_co_u32 v3, vcc_lo, s4, v3
	v_add_nc_u32_e32 v25, s15, v15
	v_lshlrev_b64 v[19:20], 3, v[5:6]
	v_add_co_ci_u32_e64 v4, null, s5, v4, vcc_lo
	v_add_co_u32 v5, vcc_lo, s4, v11
	v_ashrrev_i32_e32 v26, 31, v25
	v_add_nc_u32_e32 v33, s15, v25
	v_add_co_ci_u32_e64 v6, null, s5, v12, vcc_lo
	v_add_co_u32 v11, vcc_lo, s4, v19
	v_add_co_ci_u32_e64 v12, null, s5, v20, vcc_lo
	v_lshlrev_b64 v[19:20], 3, v[25:26]
	v_add_nc_u32_e32 v25, s15, v33
	v_ashrrev_i32_e32 v16, 31, v15
	v_ashrrev_i32_e32 v34, 31, v33
	s_clause 0x2
	global_load_dwordx2 v[124:125], v[47:48], off
	global_load_dwordx2 v[128:129], v[23:24], off
	;; [unrolled: 1-line block ×3, first 2 shown]
	v_add_nc_u32_e32 v39, s15, v25
	v_lshlrev_b64 v[15:16], 3, v[15:16]
	v_ashrrev_i32_e32 v26, 31, v25
	v_lshlrev_b64 v[33:34], 3, v[33:34]
	s_clause 0x2
	global_load_dwordx2 v[132:133], v[9:10], off
	global_load_dwordx2 v[134:135], v[13:14], off
	;; [unrolled: 1-line block ×3, first 2 shown]
	v_add_nc_u32_e32 v49, s15, v39
	v_add_co_u32 v15, vcc_lo, s4, v15
	v_lshlrev_b64 v[41:42], 3, v[25:26]
	v_add_co_ci_u32_e64 v16, null, s5, v16, vcc_lo
	v_add_co_u32 v19, vcc_lo, s4, v19
	v_ashrrev_i32_e32 v50, 31, v49
	v_add_nc_u32_e32 v53, s15, v49
	v_add_co_ci_u32_e64 v20, null, s5, v20, vcc_lo
	v_add_co_u32 v25, vcc_lo, s4, v33
	v_add_co_ci_u32_e64 v26, null, s5, v34, vcc_lo
	v_add_co_u32 v33, vcc_lo, s4, v41
	v_add_co_ci_u32_e64 v34, null, s5, v42, vcc_lo
	v_lshlrev_b64 v[41:42], 3, v[49:50]
	v_add_nc_u32_e32 v49, s15, v53
	v_ashrrev_i32_e32 v40, 31, v39
	v_ashrrev_i32_e32 v54, 31, v53
	s_clause 0x5
	global_load_dwordx2 v[138:139], v[3:4], off
	global_load_dwordx2 v[140:141], v[5:6], off
	;; [unrolled: 1-line block ×6, first 2 shown]
	v_add_nc_u32_e32 v57, s15, v49
	v_lshlrev_b64 v[39:40], 3, v[39:40]
	v_ashrrev_i32_e32 v50, 31, v49
	v_lshlrev_b64 v[53:54], 3, v[53:54]
	v_add_nc_u32_e32 v61, s15, v57
	v_ashrrev_i32_e32 v58, 31, v57
	v_add_co_u32 v39, vcc_lo, s4, v39
	v_lshlrev_b64 v[59:60], 3, v[49:50]
	v_add_co_ci_u32_e64 v40, null, s5, v40, vcc_lo
	v_add_co_u32 v41, vcc_lo, s4, v41
	v_ashrrev_i32_e32 v62, 31, v61
	v_add_nc_u32_e32 v63, s15, v61
	v_add_co_ci_u32_e64 v42, null, s5, v42, vcc_lo
	v_add_co_u32 v49, vcc_lo, s4, v53
	v_add_co_ci_u32_e64 v50, null, s5, v54, vcc_lo
	v_add_co_u32 v53, vcc_lo, s4, v59
	v_add_co_ci_u32_e64 v54, null, s5, v60, vcc_lo
	v_lshlrev_b64 v[59:60], 3, v[61:62]
	v_add_nc_u32_e32 v61, s15, v63
	v_ashrrev_i32_e32 v64, 31, v63
	v_lshlrev_b64 v[57:58], 3, v[57:58]
	v_add_nc_u32_e32 v65, s15, v61
	v_ashrrev_i32_e32 v62, 31, v61
	v_lshlrev_b64 v[63:64], 3, v[63:64]
	v_add_co_u32 v57, vcc_lo, s4, v57
	v_add_nc_u32_e32 v69, s15, v65
	v_lshlrev_b64 v[67:68], 3, v[61:62]
	v_add_co_ci_u32_e64 v58, null, s5, v58, vcc_lo
	v_add_co_u32 v59, vcc_lo, s4, v59
	v_ashrrev_i32_e32 v70, 31, v69
	v_add_nc_u32_e32 v71, s15, v69
	v_add_co_ci_u32_e64 v60, null, s5, v60, vcc_lo
	v_add_co_u32 v61, vcc_lo, s4, v63
	v_add_co_ci_u32_e64 v62, null, s5, v64, vcc_lo
	v_add_co_u32 v63, vcc_lo, s4, v67
	v_add_co_ci_u32_e64 v64, null, s5, v68, vcc_lo
	v_lshlrev_b64 v[67:68], 3, v[69:70]
	v_add_nc_u32_e32 v69, s15, v71
	v_ashrrev_i32_e32 v66, 31, v65
	v_ashrrev_i32_e32 v72, 31, v71
	v_add_nc_u32_e32 v73, s15, v69
	v_lshlrev_b64 v[65:66], 3, v[65:66]
	v_ashrrev_i32_e32 v70, 31, v69
	v_lshlrev_b64 v[71:72], 3, v[71:72]
	v_add_nc_u32_e32 v79, s15, v73
	v_ashrrev_i32_e32 v74, 31, v73
	v_add_co_u32 v65, vcc_lo, s4, v65
	v_lshlrev_b64 v[77:78], 3, v[69:70]
	v_add_co_ci_u32_e64 v66, null, s5, v66, vcc_lo
	v_add_co_u32 v67, vcc_lo, s4, v67
	v_ashrrev_i32_e32 v80, 31, v79
	v_add_nc_u32_e32 v81, s15, v79
	v_add_co_ci_u32_e64 v68, null, s5, v68, vcc_lo
	v_add_co_u32 v69, vcc_lo, s4, v71
	v_add_co_ci_u32_e64 v70, null, s5, v72, vcc_lo
	v_add_co_u32 v71, vcc_lo, s4, v77
	v_add_co_ci_u32_e64 v72, null, s5, v78, vcc_lo
	v_lshlrev_b64 v[77:78], 3, v[79:80]
	v_add_nc_u32_e32 v79, s15, v81
	v_ashrrev_i32_e32 v82, 31, v81
	v_lshlrev_b64 v[73:74], 3, v[73:74]
	v_add_nc_u32_e32 v83, s15, v79
	v_ashrrev_i32_e32 v80, 31, v79
	v_lshlrev_b64 v[81:82], 3, v[81:82]
	v_add_co_u32 v73, vcc_lo, s4, v73
	v_add_nc_u32_e32 v89, s15, v83
	v_lshlrev_b64 v[87:88], 3, v[79:80]
	v_add_co_ci_u32_e64 v74, null, s5, v74, vcc_lo
	v_add_co_u32 v77, vcc_lo, s4, v77
	v_ashrrev_i32_e32 v90, 31, v89
	v_add_nc_u32_e32 v91, s15, v89
	v_add_co_ci_u32_e64 v78, null, s5, v78, vcc_lo
	v_add_co_u32 v79, vcc_lo, s4, v81
	v_add_co_ci_u32_e64 v80, null, s5, v82, vcc_lo
	v_add_co_u32 v81, vcc_lo, s4, v87
	v_add_co_ci_u32_e64 v82, null, s5, v88, vcc_lo
	v_lshlrev_b64 v[87:88], 3, v[89:90]
	v_add_nc_u32_e32 v89, s15, v91
	v_ashrrev_i32_e32 v84, 31, v83
	v_ashrrev_i32_e32 v92, 31, v91
	v_add_nc_u32_e32 v93, s15, v89
	v_lshlrev_b64 v[83:84], 3, v[83:84]
	v_ashrrev_i32_e32 v90, 31, v89
	v_lshlrev_b64 v[91:92], 3, v[91:92]
	v_add_nc_u32_e32 v126, s15, v93
	v_ashrrev_i32_e32 v94, 31, v93
	v_add_co_u32 v83, vcc_lo, s4, v83
	v_lshlrev_b64 v[95:96], 3, v[89:90]
	v_add_co_ci_u32_e64 v84, null, s5, v84, vcc_lo
	v_add_co_u32 v87, vcc_lo, s4, v87
	v_ashrrev_i32_e32 v127, 31, v126
	v_add_co_ci_u32_e64 v88, null, s5, v88, vcc_lo
	v_add_co_u32 v89, vcc_lo, s4, v91
	v_add_co_ci_u32_e64 v90, null, s5, v92, vcc_lo
	v_add_co_u32 v91, vcc_lo, s4, v95
	v_add_co_ci_u32_e64 v92, null, s5, v96, vcc_lo
	v_lshlrev_b64 v[95:96], 3, v[126:127]
	v_add_nc_u32_e32 v126, s15, v126
	v_lshlrev_b64 v[93:94], 3, v[93:94]
	s_waitcnt vmcnt(24)
	buffer_store_dword v97, off, s[0:3], 0
	buffer_store_dword v98, off, s[0:3], 0 offset:4
	v_ashrrev_i32_e32 v127, 31, v126
	v_add_co_u32 v93, vcc_lo, s4, v93
	v_add_co_ci_u32_e64 v94, null, s5, v94, vcc_lo
	v_lshlrev_b64 v[144:145], 3, v[126:127]
	v_add_co_u32 v95, vcc_lo, s4, v95
	v_add_co_ci_u32_e64 v96, null, s5, v96, vcc_lo
	s_waitcnt vmcnt(20)
	buffer_store_dword v100, off, s[0:3], 0 offset:12
	v_add_co_u32 v97, vcc_lo, s4, v144
	v_add_nc_u32_e32 v100, s15, v126
	buffer_store_dword v99, off, s[0:3], 0 offset:8
	global_load_dwordx2 v[126:127], v[33:34], off
	buffer_store_dword v102, off, s[0:3], 0 offset:20
	buffer_store_dword v101, off, s[0:3], 0 offset:16
	v_add_co_ci_u32_e64 v98, null, s5, v145, vcc_lo
	s_clause 0x2
	global_load_dwordx2 v[144:145], v[39:40], off
	global_load_dwordx2 v[152:153], v[41:42], off
	;; [unrolled: 1-line block ×3, first 2 shown]
	buffer_store_dword v104, off, s[0:3], 0 offset:28
	buffer_store_dword v103, off, s[0:3], 0 offset:24
	;; [unrolled: 1-line block ×4, first 2 shown]
	s_waitcnt vmcnt(23)
	buffer_store_dword v108, off, s[0:3], 0 offset:44
	buffer_store_dword v107, off, s[0:3], 0 offset:40
	s_waitcnt vmcnt(22)
	buffer_store_dword v110, off, s[0:3], 0 offset:52
	buffer_store_dword v109, off, s[0:3], 0 offset:48
	;; [unrolled: 3-line block ×3, first 2 shown]
	global_load_dwordx2 v[156:157], v[53:54], off
	buffer_store_dword v114, off, s[0:3], 0 offset:68
	buffer_store_dword v113, off, s[0:3], 0 offset:64
	s_clause 0x1
	global_load_dwordx2 v[158:159], v[57:58], off
	global_load_dwordx2 v[160:161], v[59:60], off
	s_waitcnt vmcnt(22)
	buffer_store_dword v115, off, s[0:3], 0 offset:72
	buffer_store_dword v116, off, s[0:3], 0 offset:76
	global_load_dwordx2 v[115:116], v[61:62], off
	s_waitcnt vmcnt(22)
	buffer_store_dword v118, off, s[0:3], 0 offset:80
	buffer_store_dword v119, off, s[0:3], 0 offset:84
	;; [unrolled: 4-line block ×4, first 2 shown]
	s_clause 0x1
	global_load_dwordx2 v[122:123], v[67:68], off
	global_load_dwordx2 v[162:163], v[69:70], off
	v_add_nc_u32_e32 v103, s15, v100
	v_ashrrev_i32_e32 v101, 31, v100
	v_add_nc_u32_e32 v105, s15, v103
	v_lshlrev_b64 v[101:102], 3, v[100:101]
	v_ashrrev_i32_e32 v104, 31, v103
	v_ashrrev_i32_e32 v106, 31, v105
	v_add_co_u32 v99, vcc_lo, s4, v101
	v_add_co_ci_u32_e64 v100, null, s5, v102, vcc_lo
	v_lshlrev_b64 v[101:102], 3, v[103:104]
	v_lshlrev_b64 v[103:104], 3, v[105:106]
	v_add_nc_u32_e32 v105, s15, v105
	v_add_co_u32 v101, vcc_lo, s4, v101
	v_add_nc_u32_e32 v108, s15, v105
	v_ashrrev_i32_e32 v106, 31, v105
	v_add_co_ci_u32_e64 v102, null, s5, v102, vcc_lo
	v_add_co_u32 v103, vcc_lo, s4, v103
	v_ashrrev_i32_e32 v109, 31, v108
	v_lshlrev_b64 v[106:107], 3, v[105:106]
	v_add_nc_u32_e32 v111, s15, v108
	v_add_co_ci_u32_e64 v104, null, s5, v104, vcc_lo
	v_lshlrev_b64 v[109:110], 3, v[108:109]
	v_ashrrev_i32_e32 v112, 31, v111
	v_add_co_u32 v105, vcc_lo, s4, v106
	v_add_co_ci_u32_e64 v106, null, s5, v107, vcc_lo
	v_add_co_u32 v107, vcc_lo, s4, v109
	v_add_co_ci_u32_e64 v108, null, s5, v110, vcc_lo
	v_lshlrev_b64 v[109:110], 3, v[111:112]
	v_add_nc_u32_e32 v111, s15, v111
	v_add_nc_u32_e32 v113, s15, v111
	v_ashrrev_i32_e32 v112, 31, v111
	v_add_co_u32 v109, vcc_lo, s4, v109
	v_add_co_ci_u32_e64 v110, null, s5, v110, vcc_lo
	v_ashrrev_i32_e32 v114, 31, v113
	v_lshlrev_b64 v[111:112], 3, v[111:112]
	v_lshlrev_b64 v[113:114], 3, v[113:114]
	v_add_co_u32 v111, vcc_lo, s4, v111
	v_add_co_ci_u32_e64 v112, null, s5, v112, vcc_lo
	v_add_co_u32 v113, vcc_lo, s4, v113
	v_add_co_ci_u32_e64 v114, null, s5, v114, vcc_lo
	s_mov_b32 s5, -1
	s_waitcnt vmcnt(23)
	buffer_store_dword v124, off, s[0:3], 0 offset:104
	buffer_store_dword v125, off, s[0:3], 0 offset:108
	s_waitcnt vmcnt(22)
	buffer_store_dword v129, off, s[0:3], 0 offset:116
	buffer_store_dword v128, off, s[0:3], 0 offset:112
	;; [unrolled: 3-line block ×16, first 2 shown]
	s_clause 0xf
	global_load_dwordx2 v[124:125], v[71:72], off
	global_load_dwordx2 v[126:127], v[73:74], off
	;; [unrolled: 1-line block ×16, first 2 shown]
	s_waitcnt vmcnt(23)
	buffer_store_dword v156, off, s[0:3], 0 offset:232
	buffer_store_dword v157, off, s[0:3], 0 offset:236
	s_waitcnt vmcnt(22)
	buffer_store_dword v158, off, s[0:3], 0 offset:240
	s_waitcnt vmcnt(20)
	buffer_store_dword v116, off, s[0:3], 0 offset:260
	buffer_store_dword v115, off, s[0:3], 0 offset:256
	global_load_dwordx2 v[115:116], v[97:98], off
	s_waitcnt vmcnt(20)
	buffer_store_dword v118, off, s[0:3], 0 offset:264
	buffer_store_dword v119, off, s[0:3], 0 offset:268
	global_load_dwordx2 v[118:119], v[101:102], off
	buffer_store_dword v159, off, s[0:3], 0 offset:244
	buffer_store_dword v161, off, s[0:3], 0 offset:252
	;; [unrolled: 1-line block ×3, first 2 shown]
	s_waitcnt vmcnt(20)
	buffer_store_dword v120, off, s[0:3], 0 offset:272
	buffer_store_dword v121, off, s[0:3], 0 offset:276
	global_load_dwordx2 v[120:121], v[105:106], off
	s_waitcnt vmcnt(20)
	buffer_store_dword v122, off, s[0:3], 0 offset:280
	buffer_store_dword v123, off, s[0:3], 0 offset:284
	global_load_dwordx2 v[122:123], v[109:110], off
	s_waitcnt vmcnt(20)
	buffer_store_dword v162, off, s[0:3], 0 offset:288
	buffer_store_dword v163, off, s[0:3], 0 offset:292
	s_waitcnt vmcnt(19)
	buffer_store_dword v125, off, s[0:3], 0 offset:300
	buffer_store_dword v124, off, s[0:3], 0 offset:296
	;; [unrolled: 3-line block ×13, first 2 shown]
	buffer_store_dword v147, off, s[0:3], 0 offset:396
	buffer_store_dword v146, off, s[0:3], 0 offset:392
	s_waitcnt vmcnt(2)
	buffer_store_dword v119, off, s[0:3], 0 offset:404
	buffer_store_dword v118, off, s[0:3], 0 offset:400
	buffer_store_dword v148, off, s[0:3], 0 offset:408
	buffer_store_dword v149, off, s[0:3], 0 offset:412
	s_waitcnt vmcnt(1)
	buffer_store_dword v120, off, s[0:3], 0 offset:416
	buffer_store_dword v121, off, s[0:3], 0 offset:420
	;; [unrolled: 5-line block ×3, first 2 shown]
	buffer_store_dword v153, off, s[0:3], 0 offset:444
	buffer_store_dword v152, off, s[0:3], 0 offset:440
	;; [unrolled: 1-line block ×4, first 2 shown]
	s_cbranch_scc1 .LBB56_236
; %bb.4:
	v_cmp_eq_u32_e64 s4, 0, v0
	s_and_saveexec_b32 s5, s4
; %bb.5:
	v_mov_b32_e32 v115, 0
	ds_write_b32 v115, v115 offset:456
; %bb.6:
	s_or_b32 exec_lo, exec_lo, s5
	v_lshl_add_u32 v115, v0, 3, 0
	s_waitcnt lgkmcnt(0)
	s_waitcnt_vscnt null, 0x0
	s_barrier
	buffer_gl0_inv
	s_mov_b32 s8, exec_lo
	s_clause 0x1
	buffer_load_dword v118, v115, s[0:3], 0 offen
	buffer_load_dword v119, v115, s[0:3], 0 offen offset:4
	s_waitcnt vmcnt(0)
	v_cmpx_eq_f64_e32 0, v[118:119]
	s_cbranch_execz .LBB56_10
; %bb.7:
	v_mov_b32_e32 v116, 0
	s_mov_b32 s9, 0
	ds_read_b32 v118, v116 offset:456
	s_waitcnt lgkmcnt(0)
	v_readfirstlane_b32 s5, v118
	v_add_nc_u32_e32 v118, 1, v0
	s_cmp_eq_u32 s5, 0
	v_cmp_gt_i32_e32 vcc_lo, s5, v118
	s_cselect_b32 s12, -1, 0
	s_or_b32 s12, s12, vcc_lo
	s_and_b32 exec_lo, exec_lo, s12
	s_cbranch_execz .LBB56_10
; %bb.8:
	v_mov_b32_e32 v119, s5
.LBB56_9:                               ; =>This Inner Loop Header: Depth=1
	ds_cmpst_rtn_b32 v119, v116, v119, v118 offset:456
	s_waitcnt lgkmcnt(0)
	v_cmp_ne_u32_e32 vcc_lo, 0, v119
	v_cmp_le_i32_e64 s5, v119, v118
	s_and_b32 s5, vcc_lo, s5
	s_and_b32 s5, exec_lo, s5
	s_or_b32 s9, s5, s9
	s_andn2_b32 exec_lo, exec_lo, s9
	s_cbranch_execnz .LBB56_9
.LBB56_10:
	s_or_b32 exec_lo, exec_lo, s8
	v_mov_b32_e32 v116, 0
	s_barrier
	buffer_gl0_inv
	ds_read_b32 v118, v116 offset:456
	s_and_saveexec_b32 s5, s4
	s_cbranch_execz .LBB56_12
; %bb.11:
	s_lshl_b64 s[8:9], s[6:7], 2
	s_add_u32 s8, s10, s8
	s_addc_u32 s9, s11, s9
	s_waitcnt lgkmcnt(0)
	global_store_dword v116, v118, s[8:9]
.LBB56_12:
	s_or_b32 exec_lo, exec_lo, s5
	s_waitcnt lgkmcnt(0)
	v_cmp_ne_u32_e32 vcc_lo, 0, v118
	s_mov_b32 s5, 0
	s_cbranch_vccnz .LBB56_236
; %bb.13:
	s_clause 0x1
	buffer_load_dword v118, v115, s[0:3], 0 offen
	buffer_load_dword v119, v115, s[0:3], 0 offen offset:4
	s_waitcnt vmcnt(0)
	v_div_scale_f64 v[120:121], null, v[118:119], v[118:119], 1.0
	v_div_scale_f64 v[126:127], vcc_lo, 1.0, v[118:119], 1.0
	v_rcp_f64_e32 v[122:123], v[120:121]
	v_fma_f64 v[124:125], -v[120:121], v[122:123], 1.0
	v_fma_f64 v[122:123], v[122:123], v[124:125], v[122:123]
	v_fma_f64 v[124:125], -v[120:121], v[122:123], 1.0
	v_fma_f64 v[122:123], v[122:123], v[124:125], v[122:123]
	v_mul_f64 v[124:125], v[126:127], v[122:123]
	v_fma_f64 v[120:121], -v[120:121], v[124:125], v[126:127]
	v_div_fmas_f64 v[120:121], v[120:121], v[122:123], v[124:125]
	v_div_fixup_f64 v[119:120], v[120:121], v[118:119], 1.0
	v_add_nc_u32_e32 v118, 0x1d0, v117
	buffer_store_dword v120, v115, s[0:3], 0 offen offset:4
	buffer_store_dword v119, v115, s[0:3], 0 offen
	s_clause 0x1
	buffer_load_dword v122, off, s[0:3], 0 offset:12
	buffer_load_dword v121, off, s[0:3], 0 offset:8
	v_xor_b32_e32 v120, 0x80000000, v120
	s_waitcnt vmcnt(0)
	ds_write2_b64 v117, v[119:120], v[121:122] offset1:58
	s_waitcnt lgkmcnt(0)
	s_waitcnt_vscnt null, 0x0
	s_barrier
	buffer_gl0_inv
	s_and_saveexec_b32 s5, s4
	s_cbranch_execz .LBB56_15
; %bb.14:
	s_clause 0x1
	buffer_load_dword v119, v115, s[0:3], 0 offen
	buffer_load_dword v120, v115, s[0:3], 0 offen offset:4
	ds_read_b64 v[121:122], v118
	v_mov_b32_e32 v116, 0
	ds_read_b64 v[123:124], v116 offset:8
	s_waitcnt vmcnt(0) lgkmcnt(1)
	v_fma_f64 v[119:120], v[119:120], v[121:122], 0
	s_waitcnt lgkmcnt(0)
	v_mul_f64 v[119:120], v[119:120], v[123:124]
	buffer_store_dword v119, off, s[0:3], 0 offset:8
	buffer_store_dword v120, off, s[0:3], 0 offset:12
.LBB56_15:
	s_or_b32 exec_lo, exec_lo, s5
	s_waitcnt_vscnt null, 0x0
	s_barrier
	buffer_gl0_inv
	s_clause 0x1
	buffer_load_dword v119, off, s[0:3], 0 offset:16
	buffer_load_dword v120, off, s[0:3], 0 offset:20
	s_mov_b32 s5, exec_lo
	s_waitcnt vmcnt(0)
	ds_write_b64 v118, v[119:120]
	s_waitcnt lgkmcnt(0)
	s_barrier
	buffer_gl0_inv
	v_cmpx_gt_u32_e32 2, v0
	s_cbranch_execz .LBB56_19
; %bb.16:
	s_clause 0x1
	buffer_load_dword v119, v115, s[0:3], 0 offen
	buffer_load_dword v120, v115, s[0:3], 0 offen offset:4
	ds_read_b64 v[115:116], v118
	s_waitcnt vmcnt(0) lgkmcnt(0)
	v_fma_f64 v[115:116], v[119:120], v[115:116], 0
	s_and_saveexec_b32 s8, s4
	s_cbranch_execz .LBB56_18
; %bb.17:
	s_clause 0x1
	buffer_load_dword v119, off, s[0:3], 0 offset:8
	buffer_load_dword v120, off, s[0:3], 0 offset:12
	v_mov_b32_e32 v121, 0
	ds_read_b64 v[121:122], v121 offset:472
	s_waitcnt vmcnt(0) lgkmcnt(0)
	v_fma_f64 v[115:116], v[119:120], v[121:122], v[115:116]
.LBB56_18:
	s_or_b32 exec_lo, exec_lo, s8
	v_mov_b32_e32 v119, 0
	ds_read_b64 v[119:120], v119 offset:16
	s_waitcnt lgkmcnt(0)
	v_mul_f64 v[115:116], v[115:116], v[119:120]
	buffer_store_dword v116, off, s[0:3], 0 offset:20
	buffer_store_dword v115, off, s[0:3], 0 offset:16
.LBB56_19:
	s_or_b32 exec_lo, exec_lo, s5
	s_waitcnt_vscnt null, 0x0
	s_barrier
	buffer_gl0_inv
	s_clause 0x1
	buffer_load_dword v115, off, s[0:3], 0 offset:24
	buffer_load_dword v116, off, s[0:3], 0 offset:28
	v_add_nc_u32_e32 v119, -1, v0
	s_mov_b32 s4, exec_lo
	s_waitcnt vmcnt(0)
	ds_write_b64 v118, v[115:116]
	s_waitcnt lgkmcnt(0)
	s_barrier
	buffer_gl0_inv
	v_cmpx_gt_u32_e32 3, v0
	s_cbranch_execz .LBB56_23
; %bb.20:
	v_mov_b32_e32 v115, 0
	v_add_nc_u32_e32 v120, -1, v0
	v_add_nc_u32_e32 v121, 0x1d0, v117
	v_mov_b32_e32 v116, 0
	v_mov_b32_e32 v122, v117
	s_mov_b32 s5, 0
.LBB56_21:                              ; =>This Inner Loop Header: Depth=1
	s_clause 0x1
	buffer_load_dword v123, v122, s[0:3], 0 offen
	buffer_load_dword v124, v122, s[0:3], 0 offen offset:4
	ds_read_b64 v[125:126], v121
	v_add_nc_u32_e32 v120, 1, v120
	v_add_nc_u32_e32 v121, 8, v121
	v_add_nc_u32_e32 v122, 8, v122
	v_cmp_lt_u32_e32 vcc_lo, 1, v120
	s_or_b32 s5, vcc_lo, s5
	s_waitcnt vmcnt(0) lgkmcnt(0)
	v_fma_f64 v[115:116], v[123:124], v[125:126], v[115:116]
	s_andn2_b32 exec_lo, exec_lo, s5
	s_cbranch_execnz .LBB56_21
; %bb.22:
	s_or_b32 exec_lo, exec_lo, s5
	v_mov_b32_e32 v120, 0
	ds_read_b64 v[120:121], v120 offset:24
	s_waitcnt lgkmcnt(0)
	v_mul_f64 v[115:116], v[115:116], v[120:121]
	buffer_store_dword v116, off, s[0:3], 0 offset:28
	buffer_store_dword v115, off, s[0:3], 0 offset:24
.LBB56_23:
	s_or_b32 exec_lo, exec_lo, s4
	s_waitcnt_vscnt null, 0x0
	s_barrier
	buffer_gl0_inv
	s_clause 0x1
	buffer_load_dword v115, off, s[0:3], 0 offset:32
	buffer_load_dword v116, off, s[0:3], 0 offset:36
	s_mov_b32 s4, exec_lo
	s_waitcnt vmcnt(0)
	ds_write_b64 v118, v[115:116]
	s_waitcnt lgkmcnt(0)
	s_barrier
	buffer_gl0_inv
	v_cmpx_gt_u32_e32 4, v0
	s_cbranch_execz .LBB56_27
; %bb.24:
	v_mov_b32_e32 v115, 0
	v_add_nc_u32_e32 v120, -1, v0
	v_add_nc_u32_e32 v121, 0x1d0, v117
	v_mov_b32_e32 v116, 0
	v_mov_b32_e32 v122, v117
	s_mov_b32 s5, 0
.LBB56_25:                              ; =>This Inner Loop Header: Depth=1
	s_clause 0x1
	buffer_load_dword v123, v122, s[0:3], 0 offen
	buffer_load_dword v124, v122, s[0:3], 0 offen offset:4
	ds_read_b64 v[125:126], v121
	v_add_nc_u32_e32 v120, 1, v120
	v_add_nc_u32_e32 v121, 8, v121
	v_add_nc_u32_e32 v122, 8, v122
	v_cmp_lt_u32_e32 vcc_lo, 2, v120
	s_or_b32 s5, vcc_lo, s5
	s_waitcnt vmcnt(0) lgkmcnt(0)
	v_fma_f64 v[115:116], v[123:124], v[125:126], v[115:116]
	s_andn2_b32 exec_lo, exec_lo, s5
	s_cbranch_execnz .LBB56_25
; %bb.26:
	s_or_b32 exec_lo, exec_lo, s5
	v_mov_b32_e32 v120, 0
	ds_read_b64 v[120:121], v120 offset:32
	s_waitcnt lgkmcnt(0)
	v_mul_f64 v[115:116], v[115:116], v[120:121]
	buffer_store_dword v116, off, s[0:3], 0 offset:36
	buffer_store_dword v115, off, s[0:3], 0 offset:32
.LBB56_27:
	s_or_b32 exec_lo, exec_lo, s4
	s_waitcnt_vscnt null, 0x0
	s_barrier
	buffer_gl0_inv
	s_clause 0x1
	buffer_load_dword v115, off, s[0:3], 0 offset:40
	buffer_load_dword v116, off, s[0:3], 0 offset:44
	;; [unrolled: 45-line block ×20, first 2 shown]
	s_mov_b32 s4, exec_lo
	s_waitcnt vmcnt(0)
	ds_write_b64 v118, v[115:116]
	s_waitcnt lgkmcnt(0)
	s_barrier
	buffer_gl0_inv
	v_cmpx_gt_u32_e32 23, v0
	s_cbranch_execz .LBB56_103
; %bb.100:
	v_mov_b32_e32 v115, 0
	v_add_nc_u32_e32 v120, -1, v0
	v_add_nc_u32_e32 v121, 0x1d0, v117
	v_mov_b32_e32 v116, 0
	v_mov_b32_e32 v122, v117
	s_mov_b32 s5, 0
.LBB56_101:                             ; =>This Inner Loop Header: Depth=1
	s_clause 0x1
	buffer_load_dword v123, v122, s[0:3], 0 offen
	buffer_load_dword v124, v122, s[0:3], 0 offen offset:4
	ds_read_b64 v[125:126], v121
	v_add_nc_u32_e32 v120, 1, v120
	v_add_nc_u32_e32 v121, 8, v121
	v_add_nc_u32_e32 v122, 8, v122
	v_cmp_lt_u32_e32 vcc_lo, 21, v120
	s_or_b32 s5, vcc_lo, s5
	s_waitcnt vmcnt(0) lgkmcnt(0)
	v_fma_f64 v[115:116], v[123:124], v[125:126], v[115:116]
	s_andn2_b32 exec_lo, exec_lo, s5
	s_cbranch_execnz .LBB56_101
; %bb.102:
	s_or_b32 exec_lo, exec_lo, s5
	v_mov_b32_e32 v120, 0
	ds_read_b64 v[120:121], v120 offset:184
	s_waitcnt lgkmcnt(0)
	v_mul_f64 v[115:116], v[115:116], v[120:121]
	buffer_store_dword v116, off, s[0:3], 0 offset:188
	buffer_store_dword v115, off, s[0:3], 0 offset:184
.LBB56_103:
	s_or_b32 exec_lo, exec_lo, s4
	s_waitcnt_vscnt null, 0x0
	s_barrier
	buffer_gl0_inv
	s_clause 0x1
	buffer_load_dword v115, off, s[0:3], 0 offset:192
	buffer_load_dword v116, off, s[0:3], 0 offset:196
	s_mov_b32 s4, exec_lo
	s_waitcnt vmcnt(0)
	ds_write_b64 v118, v[115:116]
	s_waitcnt lgkmcnt(0)
	s_barrier
	buffer_gl0_inv
	v_cmpx_gt_u32_e32 24, v0
	s_cbranch_execz .LBB56_107
; %bb.104:
	v_mov_b32_e32 v115, 0
	v_add_nc_u32_e32 v120, -1, v0
	v_add_nc_u32_e32 v121, 0x1d0, v117
	v_mov_b32_e32 v116, 0
	v_mov_b32_e32 v122, v117
	s_mov_b32 s5, 0
.LBB56_105:                             ; =>This Inner Loop Header: Depth=1
	s_clause 0x1
	buffer_load_dword v123, v122, s[0:3], 0 offen
	buffer_load_dword v124, v122, s[0:3], 0 offen offset:4
	ds_read_b64 v[125:126], v121
	v_add_nc_u32_e32 v120, 1, v120
	v_add_nc_u32_e32 v121, 8, v121
	v_add_nc_u32_e32 v122, 8, v122
	v_cmp_lt_u32_e32 vcc_lo, 22, v120
	s_or_b32 s5, vcc_lo, s5
	s_waitcnt vmcnt(0) lgkmcnt(0)
	v_fma_f64 v[115:116], v[123:124], v[125:126], v[115:116]
	s_andn2_b32 exec_lo, exec_lo, s5
	s_cbranch_execnz .LBB56_105
; %bb.106:
	s_or_b32 exec_lo, exec_lo, s5
	v_mov_b32_e32 v120, 0
	ds_read_b64 v[120:121], v120 offset:192
	s_waitcnt lgkmcnt(0)
	v_mul_f64 v[115:116], v[115:116], v[120:121]
	buffer_store_dword v116, off, s[0:3], 0 offset:196
	buffer_store_dword v115, off, s[0:3], 0 offset:192
.LBB56_107:
	s_or_b32 exec_lo, exec_lo, s4
	s_waitcnt_vscnt null, 0x0
	s_barrier
	buffer_gl0_inv
	s_clause 0x1
	buffer_load_dword v115, off, s[0:3], 0 offset:200
	buffer_load_dword v116, off, s[0:3], 0 offset:204
	;; [unrolled: 45-line block ×33, first 2 shown]
	s_mov_b32 s4, exec_lo
	s_waitcnt vmcnt(0)
	ds_write_b64 v118, v[115:116]
	s_waitcnt lgkmcnt(0)
	s_barrier
	buffer_gl0_inv
	v_cmpx_ne_u32_e32 56, v0
	s_cbranch_execz .LBB56_235
; %bb.232:
	v_mov_b32_e32 v115, 0
	v_mov_b32_e32 v116, 0
	s_mov_b32 s5, 0
.LBB56_233:                             ; =>This Inner Loop Header: Depth=1
	s_clause 0x1
	buffer_load_dword v120, v117, s[0:3], 0 offen
	buffer_load_dword v121, v117, s[0:3], 0 offen offset:4
	ds_read_b64 v[122:123], v118
	v_add_nc_u32_e32 v119, 1, v119
	v_add_nc_u32_e32 v118, 8, v118
	;; [unrolled: 1-line block ×3, first 2 shown]
	v_cmp_lt_u32_e32 vcc_lo, 54, v119
	s_or_b32 s5, vcc_lo, s5
	s_waitcnt vmcnt(0) lgkmcnt(0)
	v_fma_f64 v[115:116], v[120:121], v[122:123], v[115:116]
	s_andn2_b32 exec_lo, exec_lo, s5
	s_cbranch_execnz .LBB56_233
; %bb.234:
	s_or_b32 exec_lo, exec_lo, s5
	v_mov_b32_e32 v117, 0
	ds_read_b64 v[117:118], v117 offset:448
	s_waitcnt lgkmcnt(0)
	v_mul_f64 v[115:116], v[115:116], v[117:118]
	buffer_store_dword v116, off, s[0:3], 0 offset:452
	buffer_store_dword v115, off, s[0:3], 0 offset:448
.LBB56_235:
	s_or_b32 exec_lo, exec_lo, s4
	s_mov_b32 s5, -1
	s_waitcnt_vscnt null, 0x0
	s_barrier
	buffer_gl0_inv
.LBB56_236:
	s_and_b32 vcc_lo, exec_lo, s5
	s_cbranch_vccz .LBB56_238
; %bb.237:
	s_lshl_b64 s[4:5], s[6:7], 2
	v_mov_b32_e32 v115, 0
	s_add_u32 s4, s10, s4
	s_addc_u32 s5, s11, s5
	global_load_dword v115, v115, s[4:5]
	s_waitcnt vmcnt(0)
	v_cmp_ne_u32_e32 vcc_lo, 0, v115
	s_cbranch_vccz .LBB56_239
.LBB56_238:
	s_endpgm
.LBB56_239:
	v_lshl_add_u32 v115, v0, 3, 0x1d0
	s_mov_b32 s4, exec_lo
	v_cmpx_eq_u32_e32 56, v0
	s_cbranch_execz .LBB56_241
; %bb.240:
	s_clause 0x1
	buffer_load_dword v116, off, s[0:3], 0 offset:440
	buffer_load_dword v117, off, s[0:3], 0 offset:444
	v_mov_b32_e32 v118, 0
	buffer_store_dword v118, off, s[0:3], 0 offset:440
	buffer_store_dword v118, off, s[0:3], 0 offset:444
	s_waitcnt vmcnt(0)
	ds_write_b64 v115, v[116:117]
.LBB56_241:
	s_or_b32 exec_lo, exec_lo, s4
	s_waitcnt lgkmcnt(0)
	s_waitcnt_vscnt null, 0x0
	s_barrier
	buffer_gl0_inv
	s_clause 0x3
	buffer_load_dword v117, off, s[0:3], 0 offset:448
	buffer_load_dword v118, off, s[0:3], 0 offset:452
	;; [unrolled: 1-line block ×4, first 2 shown]
	v_mov_b32_e32 v116, 0
	s_mov_b32 s4, exec_lo
	ds_read_b64 v[121:122], v116 offset:912
	s_waitcnt vmcnt(2) lgkmcnt(0)
	v_fma_f64 v[117:118], v[117:118], v[121:122], 0
	s_waitcnt vmcnt(0)
	v_add_f64 v[117:118], v[119:120], -v[117:118]
	buffer_store_dword v117, off, s[0:3], 0 offset:440
	buffer_store_dword v118, off, s[0:3], 0 offset:444
	v_cmpx_lt_u32_e32 54, v0
	s_cbranch_execz .LBB56_243
; %bb.242:
	s_clause 0x1
	buffer_load_dword v117, off, s[0:3], 0 offset:432
	buffer_load_dword v118, off, s[0:3], 0 offset:436
	buffer_store_dword v116, off, s[0:3], 0 offset:432
	buffer_store_dword v116, off, s[0:3], 0 offset:436
	s_waitcnt vmcnt(0)
	ds_write_b64 v115, v[117:118]
.LBB56_243:
	s_or_b32 exec_lo, exec_lo, s4
	s_waitcnt lgkmcnt(0)
	s_waitcnt_vscnt null, 0x0
	s_barrier
	buffer_gl0_inv
	s_clause 0x5
	buffer_load_dword v120, off, s[0:3], 0 offset:440
	buffer_load_dword v121, off, s[0:3], 0 offset:444
	;; [unrolled: 1-line block ×6, first 2 shown]
	ds_read2_b64 v[116:119], v116 offset0:113 offset1:114
	s_mov_b32 s4, exec_lo
	s_waitcnt vmcnt(4) lgkmcnt(0)
	v_fma_f64 v[116:117], v[120:121], v[116:117], 0
	s_waitcnt vmcnt(2)
	v_fma_f64 v[116:117], v[122:123], v[118:119], v[116:117]
	s_waitcnt vmcnt(0)
	v_add_f64 v[116:117], v[124:125], -v[116:117]
	buffer_store_dword v116, off, s[0:3], 0 offset:432
	buffer_store_dword v117, off, s[0:3], 0 offset:436
	v_cmpx_lt_u32_e32 53, v0
	s_cbranch_execz .LBB56_245
; %bb.244:
	s_clause 0x1
	buffer_load_dword v116, off, s[0:3], 0 offset:424
	buffer_load_dword v117, off, s[0:3], 0 offset:428
	v_mov_b32_e32 v118, 0
	buffer_store_dword v118, off, s[0:3], 0 offset:424
	buffer_store_dword v118, off, s[0:3], 0 offset:428
	s_waitcnt vmcnt(0)
	ds_write_b64 v115, v[116:117]
.LBB56_245:
	s_or_b32 exec_lo, exec_lo, s4
	s_waitcnt lgkmcnt(0)
	s_waitcnt_vscnt null, 0x0
	s_barrier
	buffer_gl0_inv
	s_clause 0x7
	buffer_load_dword v121, off, s[0:3], 0 offset:432
	buffer_load_dword v122, off, s[0:3], 0 offset:436
	;; [unrolled: 1-line block ×8, first 2 shown]
	v_mov_b32_e32 v116, 0
	ds_read_b128 v[117:120], v116 offset:896
	ds_read_b64 v[129:130], v116 offset:912
	s_mov_b32 s4, exec_lo
	s_waitcnt vmcnt(6) lgkmcnt(1)
	v_fma_f64 v[117:118], v[121:122], v[117:118], 0
	s_waitcnt vmcnt(4)
	v_fma_f64 v[117:118], v[123:124], v[119:120], v[117:118]
	s_waitcnt vmcnt(2) lgkmcnt(0)
	v_fma_f64 v[117:118], v[125:126], v[129:130], v[117:118]
	s_waitcnt vmcnt(0)
	v_add_f64 v[117:118], v[127:128], -v[117:118]
	buffer_store_dword v117, off, s[0:3], 0 offset:424
	buffer_store_dword v118, off, s[0:3], 0 offset:428
	v_cmpx_lt_u32_e32 52, v0
	s_cbranch_execz .LBB56_247
; %bb.246:
	s_clause 0x1
	buffer_load_dword v117, off, s[0:3], 0 offset:416
	buffer_load_dword v118, off, s[0:3], 0 offset:420
	buffer_store_dword v116, off, s[0:3], 0 offset:416
	buffer_store_dword v116, off, s[0:3], 0 offset:420
	s_waitcnt vmcnt(0)
	ds_write_b64 v115, v[117:118]
.LBB56_247:
	s_or_b32 exec_lo, exec_lo, s4
	s_waitcnt lgkmcnt(0)
	s_waitcnt_vscnt null, 0x0
	s_barrier
	buffer_gl0_inv
	s_clause 0x9
	buffer_load_dword v125, off, s[0:3], 0 offset:424
	buffer_load_dword v126, off, s[0:3], 0 offset:428
	;; [unrolled: 1-line block ×10, first 2 shown]
	ds_read2_b64 v[117:120], v116 offset0:111 offset1:112
	ds_read2_b64 v[121:124], v116 offset0:113 offset1:114
	s_mov_b32 s4, exec_lo
	s_waitcnt vmcnt(8) lgkmcnt(1)
	v_fma_f64 v[116:117], v[125:126], v[117:118], 0
	s_waitcnt vmcnt(6)
	v_fma_f64 v[116:117], v[127:128], v[119:120], v[116:117]
	s_waitcnt vmcnt(4) lgkmcnt(0)
	v_fma_f64 v[116:117], v[129:130], v[121:122], v[116:117]
	s_waitcnt vmcnt(2)
	v_fma_f64 v[116:117], v[131:132], v[123:124], v[116:117]
	s_waitcnt vmcnt(0)
	v_add_f64 v[116:117], v[133:134], -v[116:117]
	buffer_store_dword v116, off, s[0:3], 0 offset:416
	buffer_store_dword v117, off, s[0:3], 0 offset:420
	v_cmpx_lt_u32_e32 51, v0
	s_cbranch_execz .LBB56_249
; %bb.248:
	s_clause 0x1
	buffer_load_dword v116, off, s[0:3], 0 offset:408
	buffer_load_dword v117, off, s[0:3], 0 offset:412
	v_mov_b32_e32 v118, 0
	buffer_store_dword v118, off, s[0:3], 0 offset:408
	buffer_store_dword v118, off, s[0:3], 0 offset:412
	s_waitcnt vmcnt(0)
	ds_write_b64 v115, v[116:117]
.LBB56_249:
	s_or_b32 exec_lo, exec_lo, s4
	s_waitcnt lgkmcnt(0)
	s_waitcnt_vscnt null, 0x0
	s_barrier
	buffer_gl0_inv
	s_clause 0xb
	buffer_load_dword v125, off, s[0:3], 0 offset:416
	buffer_load_dword v126, off, s[0:3], 0 offset:420
	;; [unrolled: 1-line block ×12, first 2 shown]
	v_mov_b32_e32 v116, 0
	ds_read_b128 v[117:120], v116 offset:880
	ds_read_b128 v[121:124], v116 offset:896
	s_mov_b32 s4, exec_lo
	s_waitcnt vmcnt(10) lgkmcnt(1)
	v_fma_f64 v[117:118], v[125:126], v[117:118], 0
	s_waitcnt vmcnt(8)
	v_fma_f64 v[117:118], v[127:128], v[119:120], v[117:118]
	ds_read_b64 v[119:120], v116 offset:912
	s_waitcnt vmcnt(6) lgkmcnt(1)
	v_fma_f64 v[117:118], v[129:130], v[121:122], v[117:118]
	s_waitcnt vmcnt(4)
	v_fma_f64 v[117:118], v[131:132], v[123:124], v[117:118]
	s_waitcnt vmcnt(2) lgkmcnt(0)
	v_fma_f64 v[117:118], v[133:134], v[119:120], v[117:118]
	s_waitcnt vmcnt(0)
	v_add_f64 v[117:118], v[135:136], -v[117:118]
	buffer_store_dword v117, off, s[0:3], 0 offset:408
	buffer_store_dword v118, off, s[0:3], 0 offset:412
	v_cmpx_lt_u32_e32 50, v0
	s_cbranch_execz .LBB56_251
; %bb.250:
	s_clause 0x1
	buffer_load_dword v117, off, s[0:3], 0 offset:400
	buffer_load_dword v118, off, s[0:3], 0 offset:404
	buffer_store_dword v116, off, s[0:3], 0 offset:400
	buffer_store_dword v116, off, s[0:3], 0 offset:404
	s_waitcnt vmcnt(0)
	ds_write_b64 v115, v[117:118]
.LBB56_251:
	s_or_b32 exec_lo, exec_lo, s4
	s_waitcnt lgkmcnt(0)
	s_waitcnt_vscnt null, 0x0
	s_barrier
	buffer_gl0_inv
	s_clause 0xd
	buffer_load_dword v125, off, s[0:3], 0 offset:408
	buffer_load_dword v126, off, s[0:3], 0 offset:412
	buffer_load_dword v127, off, s[0:3], 0 offset:416
	buffer_load_dword v128, off, s[0:3], 0 offset:420
	buffer_load_dword v129, off, s[0:3], 0 offset:424
	buffer_load_dword v130, off, s[0:3], 0 offset:428
	buffer_load_dword v131, off, s[0:3], 0 offset:432
	buffer_load_dword v132, off, s[0:3], 0 offset:436
	buffer_load_dword v133, off, s[0:3], 0 offset:440
	buffer_load_dword v134, off, s[0:3], 0 offset:444
	buffer_load_dword v135, off, s[0:3], 0 offset:448
	buffer_load_dword v136, off, s[0:3], 0 offset:452
	buffer_load_dword v137, off, s[0:3], 0 offset:400
	buffer_load_dword v138, off, s[0:3], 0 offset:404
	ds_read2_b64 v[117:120], v116 offset0:109 offset1:110
	ds_read2_b64 v[121:124], v116 offset0:111 offset1:112
	s_mov_b32 s4, exec_lo
	s_waitcnt vmcnt(12) lgkmcnt(1)
	v_fma_f64 v[117:118], v[125:126], v[117:118], 0
	s_waitcnt vmcnt(10)
	v_fma_f64 v[117:118], v[127:128], v[119:120], v[117:118]
	s_waitcnt vmcnt(8) lgkmcnt(0)
	v_fma_f64 v[117:118], v[129:130], v[121:122], v[117:118]
	s_waitcnt vmcnt(6)
	v_fma_f64 v[120:121], v[131:132], v[123:124], v[117:118]
	ds_read2_b64 v[116:119], v116 offset0:113 offset1:114
	s_waitcnt vmcnt(4) lgkmcnt(0)
	v_fma_f64 v[116:117], v[133:134], v[116:117], v[120:121]
	s_waitcnt vmcnt(2)
	v_fma_f64 v[116:117], v[135:136], v[118:119], v[116:117]
	s_waitcnt vmcnt(0)
	v_add_f64 v[116:117], v[137:138], -v[116:117]
	buffer_store_dword v116, off, s[0:3], 0 offset:400
	buffer_store_dword v117, off, s[0:3], 0 offset:404
	v_cmpx_lt_u32_e32 49, v0
	s_cbranch_execz .LBB56_253
; %bb.252:
	s_clause 0x1
	buffer_load_dword v116, off, s[0:3], 0 offset:392
	buffer_load_dword v117, off, s[0:3], 0 offset:396
	v_mov_b32_e32 v118, 0
	buffer_store_dword v118, off, s[0:3], 0 offset:392
	buffer_store_dword v118, off, s[0:3], 0 offset:396
	s_waitcnt vmcnt(0)
	ds_write_b64 v115, v[116:117]
.LBB56_253:
	s_or_b32 exec_lo, exec_lo, s4
	s_waitcnt lgkmcnt(0)
	s_waitcnt_vscnt null, 0x0
	s_barrier
	buffer_gl0_inv
	s_clause 0xf
	buffer_load_dword v125, off, s[0:3], 0 offset:400
	buffer_load_dword v126, off, s[0:3], 0 offset:404
	;; [unrolled: 1-line block ×16, first 2 shown]
	v_mov_b32_e32 v116, 0
	ds_read_b128 v[117:120], v116 offset:864
	ds_read_b128 v[121:124], v116 offset:880
	s_mov_b32 s4, exec_lo
	s_waitcnt vmcnt(14) lgkmcnt(1)
	v_fma_f64 v[117:118], v[125:126], v[117:118], 0
	s_waitcnt vmcnt(12)
	v_fma_f64 v[117:118], v[127:128], v[119:120], v[117:118]
	s_waitcnt vmcnt(10) lgkmcnt(0)
	v_fma_f64 v[117:118], v[129:130], v[121:122], v[117:118]
	s_waitcnt vmcnt(8)
	v_fma_f64 v[121:122], v[131:132], v[123:124], v[117:118]
	ds_read_b128 v[117:120], v116 offset:896
	ds_read_b64 v[123:124], v116 offset:912
	s_waitcnt vmcnt(6) lgkmcnt(1)
	v_fma_f64 v[117:118], v[133:134], v[117:118], v[121:122]
	s_waitcnt vmcnt(4)
	v_fma_f64 v[117:118], v[135:136], v[119:120], v[117:118]
	s_waitcnt vmcnt(2) lgkmcnt(0)
	v_fma_f64 v[117:118], v[137:138], v[123:124], v[117:118]
	s_waitcnt vmcnt(0)
	v_add_f64 v[117:118], v[139:140], -v[117:118]
	buffer_store_dword v117, off, s[0:3], 0 offset:392
	buffer_store_dword v118, off, s[0:3], 0 offset:396
	v_cmpx_lt_u32_e32 48, v0
	s_cbranch_execz .LBB56_255
; %bb.254:
	s_clause 0x1
	buffer_load_dword v117, off, s[0:3], 0 offset:384
	buffer_load_dword v118, off, s[0:3], 0 offset:388
	buffer_store_dword v116, off, s[0:3], 0 offset:384
	buffer_store_dword v116, off, s[0:3], 0 offset:388
	s_waitcnt vmcnt(0)
	ds_write_b64 v115, v[117:118]
.LBB56_255:
	s_or_b32 exec_lo, exec_lo, s4
	s_waitcnt lgkmcnt(0)
	s_waitcnt_vscnt null, 0x0
	s_barrier
	buffer_gl0_inv
	s_clause 0x11
	buffer_load_dword v121, off, s[0:3], 0 offset:392
	buffer_load_dword v122, off, s[0:3], 0 offset:396
	;; [unrolled: 1-line block ×18, first 2 shown]
	ds_read2_b64 v[117:120], v116 offset0:107 offset1:108
	s_mov_b32 s4, exec_lo
	s_waitcnt vmcnt(16) lgkmcnt(0)
	v_fma_f64 v[117:118], v[121:122], v[117:118], 0
	s_waitcnt vmcnt(14)
	v_fma_f64 v[121:122], v[123:124], v[119:120], v[117:118]
	ds_read2_b64 v[117:120], v116 offset0:109 offset1:110
	s_waitcnt vmcnt(12) lgkmcnt(0)
	v_fma_f64 v[117:118], v[125:126], v[117:118], v[121:122]
	s_waitcnt vmcnt(10)
	v_fma_f64 v[121:122], v[127:128], v[119:120], v[117:118]
	ds_read2_b64 v[117:120], v116 offset0:111 offset1:112
	s_waitcnt vmcnt(8) lgkmcnt(0)
	v_fma_f64 v[117:118], v[129:130], v[117:118], v[121:122]
	s_waitcnt vmcnt(6)
	v_fma_f64 v[120:121], v[131:132], v[119:120], v[117:118]
	ds_read2_b64 v[116:119], v116 offset0:113 offset1:114
	s_waitcnt vmcnt(4) lgkmcnt(0)
	v_fma_f64 v[116:117], v[133:134], v[116:117], v[120:121]
	s_waitcnt vmcnt(2)
	v_fma_f64 v[116:117], v[135:136], v[118:119], v[116:117]
	s_waitcnt vmcnt(0)
	v_add_f64 v[116:117], v[137:138], -v[116:117]
	buffer_store_dword v116, off, s[0:3], 0 offset:384
	buffer_store_dword v117, off, s[0:3], 0 offset:388
	v_cmpx_lt_u32_e32 47, v0
	s_cbranch_execz .LBB56_257
; %bb.256:
	s_clause 0x1
	buffer_load_dword v116, off, s[0:3], 0 offset:376
	buffer_load_dword v117, off, s[0:3], 0 offset:380
	v_mov_b32_e32 v118, 0
	buffer_store_dword v118, off, s[0:3], 0 offset:376
	buffer_store_dword v118, off, s[0:3], 0 offset:380
	s_waitcnt vmcnt(0)
	ds_write_b64 v115, v[116:117]
.LBB56_257:
	s_or_b32 exec_lo, exec_lo, s4
	s_waitcnt lgkmcnt(0)
	s_waitcnt_vscnt null, 0x0
	s_barrier
	buffer_gl0_inv
	s_clause 0x13
	buffer_load_dword v121, off, s[0:3], 0 offset:384
	buffer_load_dword v122, off, s[0:3], 0 offset:388
	;; [unrolled: 1-line block ×20, first 2 shown]
	v_mov_b32_e32 v116, 0
	s_mov_b32 s4, exec_lo
	ds_read_b128 v[117:120], v116 offset:848
	s_waitcnt vmcnt(18) lgkmcnt(0)
	v_fma_f64 v[117:118], v[121:122], v[117:118], 0
	s_waitcnt vmcnt(16)
	v_fma_f64 v[121:122], v[123:124], v[119:120], v[117:118]
	ds_read_b128 v[117:120], v116 offset:864
	s_waitcnt vmcnt(14) lgkmcnt(0)
	v_fma_f64 v[117:118], v[125:126], v[117:118], v[121:122]
	s_waitcnt vmcnt(12)
	v_fma_f64 v[121:122], v[127:128], v[119:120], v[117:118]
	;; [unrolled: 5-line block ×4, first 2 shown]
	ds_read_b64 v[119:120], v116 offset:912
	s_waitcnt vmcnt(2) lgkmcnt(0)
	v_fma_f64 v[117:118], v[137:138], v[119:120], v[117:118]
	s_waitcnt vmcnt(0)
	v_add_f64 v[117:118], v[139:140], -v[117:118]
	buffer_store_dword v117, off, s[0:3], 0 offset:376
	buffer_store_dword v118, off, s[0:3], 0 offset:380
	v_cmpx_lt_u32_e32 46, v0
	s_cbranch_execz .LBB56_259
; %bb.258:
	s_clause 0x1
	buffer_load_dword v117, off, s[0:3], 0 offset:368
	buffer_load_dword v118, off, s[0:3], 0 offset:372
	buffer_store_dword v116, off, s[0:3], 0 offset:368
	buffer_store_dword v116, off, s[0:3], 0 offset:372
	s_waitcnt vmcnt(0)
	ds_write_b64 v115, v[117:118]
.LBB56_259:
	s_or_b32 exec_lo, exec_lo, s4
	s_waitcnt lgkmcnt(0)
	s_waitcnt_vscnt null, 0x0
	s_barrier
	buffer_gl0_inv
	s_clause 0x15
	buffer_load_dword v121, off, s[0:3], 0 offset:376
	buffer_load_dword v122, off, s[0:3], 0 offset:380
	;; [unrolled: 1-line block ×22, first 2 shown]
	ds_read2_b64 v[117:120], v116 offset0:105 offset1:106
	s_mov_b32 s4, exec_lo
	s_waitcnt vmcnt(20) lgkmcnt(0)
	v_fma_f64 v[117:118], v[121:122], v[117:118], 0
	s_waitcnt vmcnt(18)
	v_fma_f64 v[121:122], v[123:124], v[119:120], v[117:118]
	ds_read2_b64 v[117:120], v116 offset0:107 offset1:108
	s_waitcnt vmcnt(16) lgkmcnt(0)
	v_fma_f64 v[117:118], v[125:126], v[117:118], v[121:122]
	s_waitcnt vmcnt(14)
	v_fma_f64 v[121:122], v[127:128], v[119:120], v[117:118]
	ds_read2_b64 v[117:120], v116 offset0:109 offset1:110
	;; [unrolled: 5-line block ×4, first 2 shown]
	s_waitcnt vmcnt(4) lgkmcnt(0)
	v_fma_f64 v[116:117], v[137:138], v[116:117], v[120:121]
	s_waitcnt vmcnt(2)
	v_fma_f64 v[116:117], v[139:140], v[118:119], v[116:117]
	s_waitcnt vmcnt(0)
	v_add_f64 v[116:117], v[141:142], -v[116:117]
	buffer_store_dword v116, off, s[0:3], 0 offset:368
	buffer_store_dword v117, off, s[0:3], 0 offset:372
	v_cmpx_lt_u32_e32 45, v0
	s_cbranch_execz .LBB56_261
; %bb.260:
	s_clause 0x1
	buffer_load_dword v116, off, s[0:3], 0 offset:360
	buffer_load_dword v117, off, s[0:3], 0 offset:364
	v_mov_b32_e32 v118, 0
	buffer_store_dword v118, off, s[0:3], 0 offset:360
	buffer_store_dword v118, off, s[0:3], 0 offset:364
	s_waitcnt vmcnt(0)
	ds_write_b64 v115, v[116:117]
.LBB56_261:
	s_or_b32 exec_lo, exec_lo, s4
	s_waitcnt lgkmcnt(0)
	s_waitcnt_vscnt null, 0x0
	s_barrier
	buffer_gl0_inv
	s_clause 0x17
	buffer_load_dword v125, off, s[0:3], 0 offset:368
	buffer_load_dword v126, off, s[0:3], 0 offset:372
	;; [unrolled: 1-line block ×24, first 2 shown]
	v_mov_b32_e32 v116, 0
	ds_read_b128 v[117:120], v116 offset:832
	ds_read_b128 v[121:124], v116 offset:848
	s_mov_b32 s4, exec_lo
	s_waitcnt vmcnt(22) lgkmcnt(1)
	v_fma_f64 v[117:118], v[125:126], v[117:118], 0
	s_waitcnt vmcnt(20)
	v_fma_f64 v[117:118], v[127:128], v[119:120], v[117:118]
	s_waitcnt vmcnt(18) lgkmcnt(0)
	v_fma_f64 v[117:118], v[129:130], v[121:122], v[117:118]
	s_waitcnt vmcnt(16)
	v_fma_f64 v[125:126], v[131:132], v[123:124], v[117:118]
	ds_read_b128 v[117:120], v116 offset:864
	ds_read_b128 v[121:124], v116 offset:880
	s_waitcnt vmcnt(14) lgkmcnt(1)
	v_fma_f64 v[117:118], v[133:134], v[117:118], v[125:126]
	s_waitcnt vmcnt(12)
	v_fma_f64 v[117:118], v[135:136], v[119:120], v[117:118]
	s_waitcnt vmcnt(10) lgkmcnt(0)
	v_fma_f64 v[117:118], v[137:138], v[121:122], v[117:118]
	s_waitcnt vmcnt(5)
	v_fma_f64 v[121:122], v[139:140], v[123:124], v[117:118]
	ds_read_b128 v[117:120], v116 offset:896
	ds_read_b64 v[123:124], v116 offset:912
	s_waitcnt vmcnt(4) lgkmcnt(1)
	v_fma_f64 v[117:118], v[145:146], v[117:118], v[121:122]
	s_waitcnt vmcnt(3)
	v_fma_f64 v[117:118], v[143:144], v[119:120], v[117:118]
	s_waitcnt vmcnt(2) lgkmcnt(0)
	v_fma_f64 v[117:118], v[141:142], v[123:124], v[117:118]
	s_waitcnt vmcnt(0)
	v_add_f64 v[117:118], v[147:148], -v[117:118]
	buffer_store_dword v118, off, s[0:3], 0 offset:364
	buffer_store_dword v117, off, s[0:3], 0 offset:360
	v_cmpx_lt_u32_e32 44, v0
	s_cbranch_execz .LBB56_263
; %bb.262:
	s_clause 0x1
	buffer_load_dword v117, off, s[0:3], 0 offset:352
	buffer_load_dword v118, off, s[0:3], 0 offset:356
	buffer_store_dword v116, off, s[0:3], 0 offset:352
	buffer_store_dword v116, off, s[0:3], 0 offset:356
	s_waitcnt vmcnt(0)
	ds_write_b64 v115, v[117:118]
.LBB56_263:
	s_or_b32 exec_lo, exec_lo, s4
	s_waitcnt lgkmcnt(0)
	s_waitcnt_vscnt null, 0x0
	s_barrier
	buffer_gl0_inv
	s_clause 0x19
	buffer_load_dword v125, off, s[0:3], 0 offset:360
	buffer_load_dword v126, off, s[0:3], 0 offset:364
	;; [unrolled: 1-line block ×26, first 2 shown]
	ds_read2_b64 v[117:120], v116 offset0:103 offset1:104
	ds_read2_b64 v[121:124], v116 offset0:105 offset1:106
	s_mov_b32 s4, exec_lo
	s_waitcnt vmcnt(24) lgkmcnt(1)
	v_fma_f64 v[117:118], v[125:126], v[117:118], 0
	s_waitcnt vmcnt(22)
	v_fma_f64 v[117:118], v[127:128], v[119:120], v[117:118]
	s_waitcnt vmcnt(20) lgkmcnt(0)
	v_fma_f64 v[117:118], v[129:130], v[121:122], v[117:118]
	s_waitcnt vmcnt(18)
	v_fma_f64 v[125:126], v[131:132], v[123:124], v[117:118]
	ds_read2_b64 v[117:120], v116 offset0:107 offset1:108
	ds_read2_b64 v[121:124], v116 offset0:109 offset1:110
	s_waitcnt vmcnt(16) lgkmcnt(1)
	v_fma_f64 v[117:118], v[133:134], v[117:118], v[125:126]
	s_waitcnt vmcnt(14)
	v_fma_f64 v[117:118], v[135:136], v[119:120], v[117:118]
	s_waitcnt vmcnt(12) lgkmcnt(0)
	v_fma_f64 v[117:118], v[137:138], v[121:122], v[117:118]
	s_waitcnt vmcnt(7)
	v_fma_f64 v[125:126], v[139:140], v[123:124], v[117:118]
	ds_read2_b64 v[117:120], v116 offset0:111 offset1:112
	ds_read2_b64 v[121:124], v116 offset0:113 offset1:114
	s_waitcnt vmcnt(6) lgkmcnt(1)
	v_fma_f64 v[116:117], v[145:146], v[117:118], v[125:126]
	s_waitcnt vmcnt(5)
	v_fma_f64 v[116:117], v[143:144], v[119:120], v[116:117]
	s_waitcnt vmcnt(4) lgkmcnt(0)
	v_fma_f64 v[116:117], v[141:142], v[121:122], v[116:117]
	s_waitcnt vmcnt(2)
	v_fma_f64 v[116:117], v[147:148], v[123:124], v[116:117]
	s_waitcnt vmcnt(0)
	v_add_f64 v[116:117], v[149:150], -v[116:117]
	buffer_store_dword v117, off, s[0:3], 0 offset:356
	buffer_store_dword v116, off, s[0:3], 0 offset:352
	v_cmpx_lt_u32_e32 43, v0
	s_cbranch_execz .LBB56_265
; %bb.264:
	s_clause 0x1
	buffer_load_dword v116, off, s[0:3], 0 offset:344
	buffer_load_dword v117, off, s[0:3], 0 offset:348
	v_mov_b32_e32 v118, 0
	buffer_store_dword v118, off, s[0:3], 0 offset:344
	buffer_store_dword v118, off, s[0:3], 0 offset:348
	s_waitcnt vmcnt(0)
	ds_write_b64 v115, v[116:117]
.LBB56_265:
	s_or_b32 exec_lo, exec_lo, s4
	s_waitcnt lgkmcnt(0)
	s_waitcnt_vscnt null, 0x0
	s_barrier
	buffer_gl0_inv
	s_clause 0x1b
	buffer_load_dword v125, off, s[0:3], 0 offset:352
	buffer_load_dword v126, off, s[0:3], 0 offset:356
	;; [unrolled: 1-line block ×28, first 2 shown]
	v_mov_b32_e32 v116, 0
	ds_read_b128 v[117:120], v116 offset:816
	ds_read_b128 v[121:124], v116 offset:832
	s_mov_b32 s4, exec_lo
	s_waitcnt vmcnt(26) lgkmcnt(1)
	v_fma_f64 v[117:118], v[125:126], v[117:118], 0
	s_waitcnt vmcnt(24)
	v_fma_f64 v[117:118], v[127:128], v[119:120], v[117:118]
	s_waitcnt vmcnt(22) lgkmcnt(0)
	v_fma_f64 v[117:118], v[129:130], v[121:122], v[117:118]
	s_waitcnt vmcnt(20)
	v_fma_f64 v[125:126], v[131:132], v[123:124], v[117:118]
	ds_read_b128 v[117:120], v116 offset:848
	ds_read_b128 v[121:124], v116 offset:864
	s_waitcnt vmcnt(18) lgkmcnt(1)
	v_fma_f64 v[117:118], v[133:134], v[117:118], v[125:126]
	s_waitcnt vmcnt(16)
	v_fma_f64 v[117:118], v[135:136], v[119:120], v[117:118]
	s_waitcnt vmcnt(14) lgkmcnt(0)
	v_fma_f64 v[117:118], v[137:138], v[121:122], v[117:118]
	s_waitcnt vmcnt(9)
	v_fma_f64 v[125:126], v[139:140], v[123:124], v[117:118]
	ds_read_b128 v[117:120], v116 offset:880
	ds_read_b128 v[121:124], v116 offset:896
	s_waitcnt vmcnt(8) lgkmcnt(1)
	v_fma_f64 v[117:118], v[145:146], v[117:118], v[125:126]
	s_waitcnt vmcnt(7)
	v_fma_f64 v[117:118], v[143:144], v[119:120], v[117:118]
	ds_read_b64 v[119:120], v116 offset:912
	s_waitcnt vmcnt(6) lgkmcnt(1)
	v_fma_f64 v[117:118], v[141:142], v[121:122], v[117:118]
	s_waitcnt vmcnt(3)
	v_fma_f64 v[117:118], v[147:148], v[123:124], v[117:118]
	s_waitcnt vmcnt(2) lgkmcnt(0)
	v_fma_f64 v[117:118], v[149:150], v[119:120], v[117:118]
	s_waitcnt vmcnt(0)
	v_add_f64 v[117:118], v[151:152], -v[117:118]
	buffer_store_dword v118, off, s[0:3], 0 offset:348
	buffer_store_dword v117, off, s[0:3], 0 offset:344
	v_cmpx_lt_u32_e32 42, v0
	s_cbranch_execz .LBB56_267
; %bb.266:
	s_clause 0x1
	buffer_load_dword v117, off, s[0:3], 0 offset:336
	buffer_load_dword v118, off, s[0:3], 0 offset:340
	buffer_store_dword v116, off, s[0:3], 0 offset:336
	buffer_store_dword v116, off, s[0:3], 0 offset:340
	s_waitcnt vmcnt(0)
	ds_write_b64 v115, v[117:118]
.LBB56_267:
	s_or_b32 exec_lo, exec_lo, s4
	s_waitcnt lgkmcnt(0)
	s_waitcnt_vscnt null, 0x0
	s_barrier
	buffer_gl0_inv
	s_clause 0x1b
	buffer_load_dword v125, off, s[0:3], 0 offset:344
	buffer_load_dword v126, off, s[0:3], 0 offset:348
	buffer_load_dword v127, off, s[0:3], 0 offset:352
	buffer_load_dword v128, off, s[0:3], 0 offset:356
	buffer_load_dword v129, off, s[0:3], 0 offset:360
	buffer_load_dword v130, off, s[0:3], 0 offset:364
	buffer_load_dword v131, off, s[0:3], 0 offset:368
	buffer_load_dword v132, off, s[0:3], 0 offset:372
	buffer_load_dword v133, off, s[0:3], 0 offset:376
	buffer_load_dword v134, off, s[0:3], 0 offset:380
	buffer_load_dword v135, off, s[0:3], 0 offset:384
	buffer_load_dword v136, off, s[0:3], 0 offset:388
	buffer_load_dword v137, off, s[0:3], 0 offset:392
	buffer_load_dword v138, off, s[0:3], 0 offset:396
	buffer_load_dword v140, off, s[0:3], 0 offset:404
	buffer_load_dword v141, off, s[0:3], 0 offset:424
	buffer_load_dword v143, off, s[0:3], 0 offset:416
	buffer_load_dword v145, off, s[0:3], 0 offset:408
	buffer_load_dword v139, off, s[0:3], 0 offset:400
	buffer_load_dword v146, off, s[0:3], 0 offset:412
	buffer_load_dword v144, off, s[0:3], 0 offset:420
	buffer_load_dword v142, off, s[0:3], 0 offset:428
	buffer_load_dword v148, off, s[0:3], 0 offset:436
	buffer_load_dword v149, off, s[0:3], 0 offset:448
	buffer_load_dword v151, off, s[0:3], 0 offset:440
	buffer_load_dword v147, off, s[0:3], 0 offset:432
	buffer_load_dword v152, off, s[0:3], 0 offset:444
	buffer_load_dword v150, off, s[0:3], 0 offset:452
	ds_read2_b64 v[117:120], v116 offset0:101 offset1:102
	s_clause 0x1
	buffer_load_dword v153, off, s[0:3], 0 offset:336
	buffer_load_dword v154, off, s[0:3], 0 offset:340
	ds_read2_b64 v[121:124], v116 offset0:103 offset1:104
	s_mov_b32 s4, exec_lo
	s_waitcnt vmcnt(28) lgkmcnt(1)
	v_fma_f64 v[117:118], v[125:126], v[117:118], 0
	s_waitcnt vmcnt(26)
	v_fma_f64 v[117:118], v[127:128], v[119:120], v[117:118]
	s_waitcnt vmcnt(24) lgkmcnt(0)
	v_fma_f64 v[117:118], v[129:130], v[121:122], v[117:118]
	s_waitcnt vmcnt(22)
	v_fma_f64 v[125:126], v[131:132], v[123:124], v[117:118]
	ds_read2_b64 v[117:120], v116 offset0:105 offset1:106
	ds_read2_b64 v[121:124], v116 offset0:107 offset1:108
	s_waitcnt vmcnt(20) lgkmcnt(1)
	v_fma_f64 v[117:118], v[133:134], v[117:118], v[125:126]
	s_waitcnt vmcnt(18)
	v_fma_f64 v[117:118], v[135:136], v[119:120], v[117:118]
	s_waitcnt vmcnt(16) lgkmcnt(0)
	v_fma_f64 v[117:118], v[137:138], v[121:122], v[117:118]
	s_waitcnt vmcnt(11)
	v_fma_f64 v[125:126], v[139:140], v[123:124], v[117:118]
	ds_read2_b64 v[117:120], v116 offset0:109 offset1:110
	ds_read2_b64 v[121:124], v116 offset0:111 offset1:112
	s_waitcnt vmcnt(10) lgkmcnt(1)
	v_fma_f64 v[117:118], v[145:146], v[117:118], v[125:126]
	s_waitcnt vmcnt(9)
	v_fma_f64 v[117:118], v[143:144], v[119:120], v[117:118]
	s_waitcnt vmcnt(8) lgkmcnt(0)
	v_fma_f64 v[117:118], v[141:142], v[121:122], v[117:118]
	s_waitcnt vmcnt(4)
	v_fma_f64 v[120:121], v[147:148], v[123:124], v[117:118]
	ds_read2_b64 v[116:119], v116 offset0:113 offset1:114
	s_waitcnt vmcnt(3) lgkmcnt(0)
	v_fma_f64 v[116:117], v[151:152], v[116:117], v[120:121]
	s_waitcnt vmcnt(2)
	v_fma_f64 v[116:117], v[149:150], v[118:119], v[116:117]
	s_waitcnt vmcnt(0)
	v_add_f64 v[116:117], v[153:154], -v[116:117]
	buffer_store_dword v117, off, s[0:3], 0 offset:340
	buffer_store_dword v116, off, s[0:3], 0 offset:336
	v_cmpx_lt_u32_e32 41, v0
	s_cbranch_execz .LBB56_269
; %bb.268:
	s_clause 0x1
	buffer_load_dword v116, off, s[0:3], 0 offset:328
	buffer_load_dword v117, off, s[0:3], 0 offset:332
	v_mov_b32_e32 v118, 0
	buffer_store_dword v118, off, s[0:3], 0 offset:328
	buffer_store_dword v118, off, s[0:3], 0 offset:332
	s_waitcnt vmcnt(0)
	ds_write_b64 v115, v[116:117]
.LBB56_269:
	s_or_b32 exec_lo, exec_lo, s4
	s_waitcnt lgkmcnt(0)
	s_waitcnt_vscnt null, 0x0
	s_barrier
	buffer_gl0_inv
	s_clause 0x1c
	buffer_load_dword v125, off, s[0:3], 0 offset:336
	buffer_load_dword v126, off, s[0:3], 0 offset:340
	;; [unrolled: 1-line block ×29, first 2 shown]
	v_mov_b32_e32 v116, 0
	buffer_load_dword v150, off, s[0:3], 0 offset:452
	s_mov_b32 s4, exec_lo
	ds_read_b128 v[117:120], v116 offset:800
	ds_read_b128 v[121:124], v116 offset:816
	s_waitcnt vmcnt(28) lgkmcnt(1)
	v_fma_f64 v[117:118], v[125:126], v[117:118], 0
	s_clause 0x1
	buffer_load_dword v125, off, s[0:3], 0 offset:328
	buffer_load_dword v126, off, s[0:3], 0 offset:332
	s_waitcnt vmcnt(28)
	v_fma_f64 v[117:118], v[127:128], v[119:120], v[117:118]
	s_waitcnt vmcnt(26) lgkmcnt(0)
	v_fma_f64 v[117:118], v[129:130], v[121:122], v[117:118]
	s_waitcnt vmcnt(24)
	v_fma_f64 v[127:128], v[131:132], v[123:124], v[117:118]
	ds_read_b128 v[117:120], v116 offset:832
	ds_read_b128 v[121:124], v116 offset:848
	s_waitcnt vmcnt(22) lgkmcnt(1)
	v_fma_f64 v[117:118], v[133:134], v[117:118], v[127:128]
	s_waitcnt vmcnt(20)
	v_fma_f64 v[117:118], v[135:136], v[119:120], v[117:118]
	s_waitcnt vmcnt(18) lgkmcnt(0)
	v_fma_f64 v[117:118], v[137:138], v[121:122], v[117:118]
	s_waitcnt vmcnt(13)
	v_fma_f64 v[127:128], v[139:140], v[123:124], v[117:118]
	ds_read_b128 v[117:120], v116 offset:864
	ds_read_b128 v[121:124], v116 offset:880
	s_waitcnt vmcnt(12) lgkmcnt(1)
	v_fma_f64 v[117:118], v[145:146], v[117:118], v[127:128]
	s_waitcnt vmcnt(11)
	v_fma_f64 v[117:118], v[143:144], v[119:120], v[117:118]
	s_waitcnt vmcnt(10) lgkmcnt(0)
	v_fma_f64 v[117:118], v[141:142], v[121:122], v[117:118]
	s_waitcnt vmcnt(5)
	v_fma_f64 v[121:122], v[147:148], v[123:124], v[117:118]
	ds_read_b128 v[117:120], v116 offset:896
	ds_read_b64 v[123:124], v116 offset:912
	s_waitcnt vmcnt(4) lgkmcnt(1)
	v_fma_f64 v[117:118], v[153:154], v[117:118], v[121:122]
	s_waitcnt vmcnt(3)
	v_fma_f64 v[117:118], v[151:152], v[119:120], v[117:118]
	s_waitcnt vmcnt(2) lgkmcnt(0)
	v_fma_f64 v[117:118], v[149:150], v[123:124], v[117:118]
	s_waitcnt vmcnt(0)
	v_add_f64 v[117:118], v[125:126], -v[117:118]
	buffer_store_dword v118, off, s[0:3], 0 offset:332
	buffer_store_dword v117, off, s[0:3], 0 offset:328
	v_cmpx_lt_u32_e32 40, v0
	s_cbranch_execz .LBB56_271
; %bb.270:
	s_clause 0x1
	buffer_load_dword v117, off, s[0:3], 0 offset:320
	buffer_load_dword v118, off, s[0:3], 0 offset:324
	buffer_store_dword v116, off, s[0:3], 0 offset:320
	buffer_store_dword v116, off, s[0:3], 0 offset:324
	s_waitcnt vmcnt(0)
	ds_write_b64 v115, v[117:118]
.LBB56_271:
	s_or_b32 exec_lo, exec_lo, s4
	s_waitcnt lgkmcnt(0)
	s_waitcnt_vscnt null, 0x0
	s_barrier
	buffer_gl0_inv
	s_clause 0x1c
	buffer_load_dword v125, off, s[0:3], 0 offset:328
	buffer_load_dword v126, off, s[0:3], 0 offset:332
	;; [unrolled: 1-line block ×29, first 2 shown]
	ds_read2_b64 v[117:120], v116 offset0:99 offset1:100
	ds_read2_b64 v[121:124], v116 offset0:101 offset1:102
	buffer_load_dword v150, off, s[0:3], 0 offset:444
	s_mov_b32 s4, exec_lo
	s_waitcnt vmcnt(28) lgkmcnt(1)
	v_fma_f64 v[117:118], v[125:126], v[117:118], 0
	s_clause 0x1
	buffer_load_dword v126, off, s[0:3], 0 offset:452
	buffer_load_dword v125, off, s[0:3], 0 offset:448
	s_waitcnt vmcnt(28)
	v_fma_f64 v[117:118], v[127:128], v[119:120], v[117:118]
	s_clause 0x1
	buffer_load_dword v127, off, s[0:3], 0 offset:320
	buffer_load_dword v128, off, s[0:3], 0 offset:324
	s_waitcnt vmcnt(28) lgkmcnt(0)
	v_fma_f64 v[117:118], v[129:130], v[121:122], v[117:118]
	s_waitcnt vmcnt(26)
	v_fma_f64 v[129:130], v[131:132], v[123:124], v[117:118]
	ds_read2_b64 v[117:120], v116 offset0:103 offset1:104
	ds_read2_b64 v[121:124], v116 offset0:105 offset1:106
	s_waitcnt vmcnt(24) lgkmcnt(1)
	v_fma_f64 v[117:118], v[133:134], v[117:118], v[129:130]
	s_waitcnt vmcnt(22)
	v_fma_f64 v[117:118], v[135:136], v[119:120], v[117:118]
	s_waitcnt vmcnt(20) lgkmcnt(0)
	v_fma_f64 v[117:118], v[137:138], v[121:122], v[117:118]
	s_waitcnt vmcnt(15)
	v_fma_f64 v[129:130], v[139:140], v[123:124], v[117:118]
	ds_read2_b64 v[117:120], v116 offset0:107 offset1:108
	ds_read2_b64 v[121:124], v116 offset0:109 offset1:110
	s_waitcnt vmcnt(14) lgkmcnt(1)
	v_fma_f64 v[117:118], v[145:146], v[117:118], v[129:130]
	s_waitcnt vmcnt(13)
	v_fma_f64 v[117:118], v[143:144], v[119:120], v[117:118]
	;; [unrolled: 10-line block ×3, first 2 shown]
	s_waitcnt vmcnt(4) lgkmcnt(0)
	v_fma_f64 v[116:117], v[149:150], v[121:122], v[116:117]
	s_waitcnt vmcnt(2)
	v_fma_f64 v[116:117], v[125:126], v[123:124], v[116:117]
	s_waitcnt vmcnt(0)
	v_add_f64 v[116:117], v[127:128], -v[116:117]
	buffer_store_dword v117, off, s[0:3], 0 offset:324
	buffer_store_dword v116, off, s[0:3], 0 offset:320
	v_cmpx_lt_u32_e32 39, v0
	s_cbranch_execz .LBB56_273
; %bb.272:
	s_clause 0x1
	buffer_load_dword v116, off, s[0:3], 0 offset:312
	buffer_load_dword v117, off, s[0:3], 0 offset:316
	v_mov_b32_e32 v118, 0
	buffer_store_dword v118, off, s[0:3], 0 offset:312
	buffer_store_dword v118, off, s[0:3], 0 offset:316
	s_waitcnt vmcnt(0)
	ds_write_b64 v115, v[116:117]
.LBB56_273:
	s_or_b32 exec_lo, exec_lo, s4
	s_waitcnt lgkmcnt(0)
	s_waitcnt_vscnt null, 0x0
	s_barrier
	buffer_gl0_inv
	s_clause 0x1c
	buffer_load_dword v125, off, s[0:3], 0 offset:320
	buffer_load_dword v126, off, s[0:3], 0 offset:324
	;; [unrolled: 1-line block ×29, first 2 shown]
	v_mov_b32_e32 v116, 0
	buffer_load_dword v150, off, s[0:3], 0 offset:436
	s_mov_b32 s4, exec_lo
	ds_read_b128 v[117:120], v116 offset:784
	ds_read_b128 v[121:124], v116 offset:800
	s_waitcnt vmcnt(28) lgkmcnt(1)
	v_fma_f64 v[117:118], v[125:126], v[117:118], 0
	s_clause 0x3
	buffer_load_dword v126, off, s[0:3], 0 offset:444
	buffer_load_dword v155, off, s[0:3], 0 offset:448
	;; [unrolled: 1-line block ×4, first 2 shown]
	s_waitcnt vmcnt(30)
	v_fma_f64 v[117:118], v[127:128], v[119:120], v[117:118]
	s_clause 0x1
	buffer_load_dword v127, off, s[0:3], 0 offset:312
	buffer_load_dword v128, off, s[0:3], 0 offset:316
	s_waitcnt vmcnt(30) lgkmcnt(0)
	v_fma_f64 v[117:118], v[129:130], v[121:122], v[117:118]
	s_waitcnt vmcnt(28)
	v_fma_f64 v[129:130], v[131:132], v[123:124], v[117:118]
	ds_read_b128 v[117:120], v116 offset:816
	ds_read_b128 v[121:124], v116 offset:832
	s_waitcnt vmcnt(26) lgkmcnt(1)
	v_fma_f64 v[117:118], v[133:134], v[117:118], v[129:130]
	s_waitcnt vmcnt(24)
	v_fma_f64 v[117:118], v[135:136], v[119:120], v[117:118]
	s_waitcnt vmcnt(22) lgkmcnt(0)
	v_fma_f64 v[117:118], v[137:138], v[121:122], v[117:118]
	s_waitcnt vmcnt(17)
	v_fma_f64 v[129:130], v[139:140], v[123:124], v[117:118]
	ds_read_b128 v[117:120], v116 offset:848
	ds_read_b128 v[121:124], v116 offset:864
	s_waitcnt vmcnt(16) lgkmcnt(1)
	v_fma_f64 v[117:118], v[145:146], v[117:118], v[129:130]
	s_waitcnt vmcnt(15)
	v_fma_f64 v[117:118], v[143:144], v[119:120], v[117:118]
	;; [unrolled: 10-line block ×3, first 2 shown]
	ds_read_b64 v[119:120], v116 offset:912
	s_waitcnt vmcnt(6) lgkmcnt(1)
	v_fma_f64 v[117:118], v[149:150], v[121:122], v[117:118]
	s_waitcnt vmcnt(3)
	v_fma_f64 v[117:118], v[125:126], v[123:124], v[117:118]
	s_waitcnt vmcnt(2) lgkmcnt(0)
	v_fma_f64 v[117:118], v[155:156], v[119:120], v[117:118]
	s_waitcnt vmcnt(0)
	v_add_f64 v[117:118], v[127:128], -v[117:118]
	buffer_store_dword v118, off, s[0:3], 0 offset:316
	buffer_store_dword v117, off, s[0:3], 0 offset:312
	v_cmpx_lt_u32_e32 38, v0
	s_cbranch_execz .LBB56_275
; %bb.274:
	s_clause 0x1
	buffer_load_dword v117, off, s[0:3], 0 offset:304
	buffer_load_dword v118, off, s[0:3], 0 offset:308
	buffer_store_dword v116, off, s[0:3], 0 offset:304
	buffer_store_dword v116, off, s[0:3], 0 offset:308
	s_waitcnt vmcnt(0)
	ds_write_b64 v115, v[117:118]
.LBB56_275:
	s_or_b32 exec_lo, exec_lo, s4
	s_waitcnt lgkmcnt(0)
	s_waitcnt_vscnt null, 0x0
	s_barrier
	buffer_gl0_inv
	s_clause 0x1c
	buffer_load_dword v125, off, s[0:3], 0 offset:312
	buffer_load_dword v126, off, s[0:3], 0 offset:316
	buffer_load_dword v127, off, s[0:3], 0 offset:320
	buffer_load_dword v128, off, s[0:3], 0 offset:324
	buffer_load_dword v129, off, s[0:3], 0 offset:328
	buffer_load_dword v130, off, s[0:3], 0 offset:332
	buffer_load_dword v131, off, s[0:3], 0 offset:336
	buffer_load_dword v132, off, s[0:3], 0 offset:340
	buffer_load_dword v133, off, s[0:3], 0 offset:344
	buffer_load_dword v134, off, s[0:3], 0 offset:348
	buffer_load_dword v135, off, s[0:3], 0 offset:352
	buffer_load_dword v136, off, s[0:3], 0 offset:356
	buffer_load_dword v137, off, s[0:3], 0 offset:360
	buffer_load_dword v138, off, s[0:3], 0 offset:364
	buffer_load_dword v140, off, s[0:3], 0 offset:372
	buffer_load_dword v141, off, s[0:3], 0 offset:392
	buffer_load_dword v143, off, s[0:3], 0 offset:384
	buffer_load_dword v145, off, s[0:3], 0 offset:376
	buffer_load_dword v139, off, s[0:3], 0 offset:368
	buffer_load_dword v146, off, s[0:3], 0 offset:380
	buffer_load_dword v144, off, s[0:3], 0 offset:388
	buffer_load_dword v142, off, s[0:3], 0 offset:396
	buffer_load_dword v148, off, s[0:3], 0 offset:404
	buffer_load_dword v149, off, s[0:3], 0 offset:424
	buffer_load_dword v151, off, s[0:3], 0 offset:416
	buffer_load_dword v153, off, s[0:3], 0 offset:408
	buffer_load_dword v147, off, s[0:3], 0 offset:400
	buffer_load_dword v154, off, s[0:3], 0 offset:412
	buffer_load_dword v152, off, s[0:3], 0 offset:420
	ds_read2_b64 v[117:120], v116 offset0:97 offset1:98
	ds_read2_b64 v[121:124], v116 offset0:99 offset1:100
	buffer_load_dword v150, off, s[0:3], 0 offset:428
	s_mov_b32 s4, exec_lo
	s_waitcnt vmcnt(28) lgkmcnt(1)
	v_fma_f64 v[117:118], v[125:126], v[117:118], 0
	s_clause 0x5
	buffer_load_dword v126, off, s[0:3], 0 offset:436
	buffer_load_dword v155, off, s[0:3], 0 offset:448
	;; [unrolled: 1-line block ×6, first 2 shown]
	s_waitcnt vmcnt(32)
	v_fma_f64 v[117:118], v[127:128], v[119:120], v[117:118]
	s_waitcnt vmcnt(30) lgkmcnt(0)
	v_fma_f64 v[117:118], v[129:130], v[121:122], v[117:118]
	s_waitcnt vmcnt(28)
	v_fma_f64 v[127:128], v[131:132], v[123:124], v[117:118]
	ds_read2_b64 v[117:120], v116 offset0:101 offset1:102
	s_clause 0x1
	buffer_load_dword v129, off, s[0:3], 0 offset:304
	buffer_load_dword v130, off, s[0:3], 0 offset:308
	ds_read2_b64 v[121:124], v116 offset0:103 offset1:104
	s_waitcnt vmcnt(28) lgkmcnt(1)
	v_fma_f64 v[117:118], v[133:134], v[117:118], v[127:128]
	s_waitcnt vmcnt(26)
	v_fma_f64 v[117:118], v[135:136], v[119:120], v[117:118]
	s_waitcnt vmcnt(24) lgkmcnt(0)
	v_fma_f64 v[117:118], v[137:138], v[121:122], v[117:118]
	s_waitcnt vmcnt(19)
	v_fma_f64 v[127:128], v[139:140], v[123:124], v[117:118]
	ds_read2_b64 v[117:120], v116 offset0:105 offset1:106
	ds_read2_b64 v[121:124], v116 offset0:107 offset1:108
	s_waitcnt vmcnt(18) lgkmcnt(1)
	v_fma_f64 v[117:118], v[145:146], v[117:118], v[127:128]
	s_waitcnt vmcnt(17)
	v_fma_f64 v[117:118], v[143:144], v[119:120], v[117:118]
	s_waitcnt vmcnt(16) lgkmcnt(0)
	v_fma_f64 v[117:118], v[141:142], v[121:122], v[117:118]
	s_waitcnt vmcnt(11)
	v_fma_f64 v[127:128], v[147:148], v[123:124], v[117:118]
	ds_read2_b64 v[117:120], v116 offset0:109 offset1:110
	;; [unrolled: 10-line block ×3, first 2 shown]
	s_waitcnt vmcnt(3) lgkmcnt(0)
	v_fma_f64 v[116:117], v[157:158], v[116:117], v[120:121]
	s_waitcnt vmcnt(2)
	v_fma_f64 v[116:117], v[155:156], v[118:119], v[116:117]
	s_waitcnt vmcnt(0)
	v_add_f64 v[116:117], v[129:130], -v[116:117]
	buffer_store_dword v117, off, s[0:3], 0 offset:308
	buffer_store_dword v116, off, s[0:3], 0 offset:304
	v_cmpx_lt_u32_e32 37, v0
	s_cbranch_execz .LBB56_277
; %bb.276:
	s_clause 0x1
	buffer_load_dword v116, off, s[0:3], 0 offset:296
	buffer_load_dword v117, off, s[0:3], 0 offset:300
	v_mov_b32_e32 v118, 0
	buffer_store_dword v118, off, s[0:3], 0 offset:296
	buffer_store_dword v118, off, s[0:3], 0 offset:300
	s_waitcnt vmcnt(0)
	ds_write_b64 v115, v[116:117]
.LBB56_277:
	s_or_b32 exec_lo, exec_lo, s4
	s_waitcnt lgkmcnt(0)
	s_waitcnt_vscnt null, 0x0
	s_barrier
	buffer_gl0_inv
	s_clause 0x1c
	buffer_load_dword v125, off, s[0:3], 0 offset:304
	buffer_load_dword v126, off, s[0:3], 0 offset:308
	;; [unrolled: 1-line block ×29, first 2 shown]
	v_mov_b32_e32 v116, 0
	buffer_load_dword v150, off, s[0:3], 0 offset:420
	s_mov_b32 s4, exec_lo
	ds_read_b128 v[117:120], v116 offset:768
	ds_read_b128 v[121:124], v116 offset:784
	s_waitcnt vmcnt(28) lgkmcnt(1)
	v_fma_f64 v[117:118], v[125:126], v[117:118], 0
	s_clause 0x7
	buffer_load_dword v126, off, s[0:3], 0 offset:428
	buffer_load_dword v155, off, s[0:3], 0 offset:448
	;; [unrolled: 1-line block ×8, first 2 shown]
	s_waitcnt vmcnt(34)
	v_fma_f64 v[117:118], v[127:128], v[119:120], v[117:118]
	s_waitcnt vmcnt(32) lgkmcnt(0)
	v_fma_f64 v[117:118], v[129:130], v[121:122], v[117:118]
	s_waitcnt vmcnt(30)
	v_fma_f64 v[127:128], v[131:132], v[123:124], v[117:118]
	ds_read_b128 v[117:120], v116 offset:800
	ds_read_b128 v[121:124], v116 offset:816
	s_waitcnt vmcnt(28) lgkmcnt(1)
	v_fma_f64 v[117:118], v[133:134], v[117:118], v[127:128]
	s_clause 0x1
	buffer_load_dword v127, off, s[0:3], 0 offset:296
	buffer_load_dword v128, off, s[0:3], 0 offset:300
	s_waitcnt vmcnt(28)
	v_fma_f64 v[117:118], v[135:136], v[119:120], v[117:118]
	s_waitcnt vmcnt(26) lgkmcnt(0)
	v_fma_f64 v[117:118], v[137:138], v[121:122], v[117:118]
	s_waitcnt vmcnt(21)
	v_fma_f64 v[129:130], v[139:140], v[123:124], v[117:118]
	ds_read_b128 v[117:120], v116 offset:832
	ds_read_b128 v[121:124], v116 offset:848
	s_waitcnt vmcnt(20) lgkmcnt(1)
	v_fma_f64 v[117:118], v[145:146], v[117:118], v[129:130]
	s_waitcnt vmcnt(19)
	v_fma_f64 v[117:118], v[143:144], v[119:120], v[117:118]
	s_waitcnt vmcnt(18) lgkmcnt(0)
	v_fma_f64 v[117:118], v[141:142], v[121:122], v[117:118]
	s_waitcnt vmcnt(13)
	v_fma_f64 v[129:130], v[147:148], v[123:124], v[117:118]
	ds_read_b128 v[117:120], v116 offset:864
	ds_read_b128 v[121:124], v116 offset:880
	s_waitcnt vmcnt(12) lgkmcnt(1)
	v_fma_f64 v[117:118], v[153:154], v[117:118], v[129:130]
	s_waitcnt vmcnt(11)
	v_fma_f64 v[117:118], v[151:152], v[119:120], v[117:118]
	s_waitcnt vmcnt(10) lgkmcnt(0)
	v_fma_f64 v[117:118], v[149:150], v[121:122], v[117:118]
	s_waitcnt vmcnt(5)
	v_fma_f64 v[121:122], v[125:126], v[123:124], v[117:118]
	ds_read_b128 v[117:120], v116 offset:896
	ds_read_b64 v[123:124], v116 offset:912
	s_waitcnt vmcnt(4) lgkmcnt(1)
	v_fma_f64 v[117:118], v[159:160], v[117:118], v[121:122]
	s_waitcnt vmcnt(3)
	v_fma_f64 v[117:118], v[157:158], v[119:120], v[117:118]
	s_waitcnt vmcnt(2) lgkmcnt(0)
	v_fma_f64 v[117:118], v[155:156], v[123:124], v[117:118]
	s_waitcnt vmcnt(0)
	v_add_f64 v[117:118], v[127:128], -v[117:118]
	buffer_store_dword v118, off, s[0:3], 0 offset:300
	buffer_store_dword v117, off, s[0:3], 0 offset:296
	v_cmpx_lt_u32_e32 36, v0
	s_cbranch_execz .LBB56_279
; %bb.278:
	s_clause 0x1
	buffer_load_dword v117, off, s[0:3], 0 offset:288
	buffer_load_dword v118, off, s[0:3], 0 offset:292
	buffer_store_dword v116, off, s[0:3], 0 offset:288
	buffer_store_dword v116, off, s[0:3], 0 offset:292
	s_waitcnt vmcnt(0)
	ds_write_b64 v115, v[117:118]
.LBB56_279:
	s_or_b32 exec_lo, exec_lo, s4
	s_waitcnt lgkmcnt(0)
	s_waitcnt_vscnt null, 0x0
	s_barrier
	buffer_gl0_inv
	s_clause 0x1c
	buffer_load_dword v125, off, s[0:3], 0 offset:296
	buffer_load_dword v126, off, s[0:3], 0 offset:300
	;; [unrolled: 1-line block ×29, first 2 shown]
	ds_read2_b64 v[117:120], v116 offset0:95 offset1:96
	ds_read2_b64 v[121:124], v116 offset0:97 offset1:98
	buffer_load_dword v150, off, s[0:3], 0 offset:412
	s_mov_b32 s4, exec_lo
	s_waitcnt vmcnt(28) lgkmcnt(1)
	v_fma_f64 v[117:118], v[125:126], v[117:118], 0
	s_clause 0x7
	buffer_load_dword v126, off, s[0:3], 0 offset:420
	buffer_load_dword v155, off, s[0:3], 0 offset:440
	;; [unrolled: 1-line block ×8, first 2 shown]
	s_waitcnt vmcnt(34)
	v_fma_f64 v[117:118], v[127:128], v[119:120], v[117:118]
	s_waitcnt vmcnt(32) lgkmcnt(0)
	v_fma_f64 v[117:118], v[129:130], v[121:122], v[117:118]
	s_waitcnt vmcnt(30)
	v_fma_f64 v[127:128], v[131:132], v[123:124], v[117:118]
	ds_read2_b64 v[117:120], v116 offset0:99 offset1:100
	ds_read2_b64 v[121:124], v116 offset0:101 offset1:102
	s_waitcnt vmcnt(28) lgkmcnt(1)
	v_fma_f64 v[117:118], v[133:134], v[117:118], v[127:128]
	s_clause 0x3
	buffer_load_dword v128, off, s[0:3], 0 offset:452
	buffer_load_dword v127, off, s[0:3], 0 offset:448
	;; [unrolled: 1-line block ×4, first 2 shown]
	s_waitcnt vmcnt(30)
	v_fma_f64 v[117:118], v[135:136], v[119:120], v[117:118]
	s_waitcnt vmcnt(28) lgkmcnt(0)
	v_fma_f64 v[117:118], v[137:138], v[121:122], v[117:118]
	s_waitcnt vmcnt(23)
	v_fma_f64 v[131:132], v[139:140], v[123:124], v[117:118]
	ds_read2_b64 v[117:120], v116 offset0:103 offset1:104
	ds_read2_b64 v[121:124], v116 offset0:105 offset1:106
	s_waitcnt vmcnt(22) lgkmcnt(1)
	v_fma_f64 v[117:118], v[145:146], v[117:118], v[131:132]
	s_waitcnt vmcnt(21)
	v_fma_f64 v[117:118], v[143:144], v[119:120], v[117:118]
	s_waitcnt vmcnt(20) lgkmcnt(0)
	v_fma_f64 v[117:118], v[141:142], v[121:122], v[117:118]
	s_waitcnt vmcnt(15)
	v_fma_f64 v[131:132], v[147:148], v[123:124], v[117:118]
	ds_read2_b64 v[117:120], v116 offset0:107 offset1:108
	ds_read2_b64 v[121:124], v116 offset0:109 offset1:110
	s_waitcnt vmcnt(14) lgkmcnt(1)
	v_fma_f64 v[117:118], v[153:154], v[117:118], v[131:132]
	;; [unrolled: 10-line block ×3, first 2 shown]
	s_waitcnt vmcnt(5)
	v_fma_f64 v[116:117], v[157:158], v[119:120], v[116:117]
	s_waitcnt vmcnt(4) lgkmcnt(0)
	v_fma_f64 v[116:117], v[155:156], v[121:122], v[116:117]
	s_waitcnt vmcnt(2)
	v_fma_f64 v[116:117], v[127:128], v[123:124], v[116:117]
	s_waitcnt vmcnt(0)
	v_add_f64 v[116:117], v[129:130], -v[116:117]
	buffer_store_dword v117, off, s[0:3], 0 offset:292
	buffer_store_dword v116, off, s[0:3], 0 offset:288
	v_cmpx_lt_u32_e32 35, v0
	s_cbranch_execz .LBB56_281
; %bb.280:
	s_clause 0x1
	buffer_load_dword v116, off, s[0:3], 0 offset:280
	buffer_load_dword v117, off, s[0:3], 0 offset:284
	v_mov_b32_e32 v118, 0
	buffer_store_dword v118, off, s[0:3], 0 offset:280
	buffer_store_dword v118, off, s[0:3], 0 offset:284
	s_waitcnt vmcnt(0)
	ds_write_b64 v115, v[116:117]
.LBB56_281:
	s_or_b32 exec_lo, exec_lo, s4
	s_waitcnt lgkmcnt(0)
	s_waitcnt_vscnt null, 0x0
	s_barrier
	buffer_gl0_inv
	s_clause 0x1c
	buffer_load_dword v125, off, s[0:3], 0 offset:288
	buffer_load_dword v126, off, s[0:3], 0 offset:292
	buffer_load_dword v127, off, s[0:3], 0 offset:296
	buffer_load_dword v128, off, s[0:3], 0 offset:300
	buffer_load_dword v129, off, s[0:3], 0 offset:304
	buffer_load_dword v130, off, s[0:3], 0 offset:308
	buffer_load_dword v131, off, s[0:3], 0 offset:312
	buffer_load_dword v132, off, s[0:3], 0 offset:316
	buffer_load_dword v133, off, s[0:3], 0 offset:320
	buffer_load_dword v134, off, s[0:3], 0 offset:324
	buffer_load_dword v135, off, s[0:3], 0 offset:328
	buffer_load_dword v136, off, s[0:3], 0 offset:332
	buffer_load_dword v137, off, s[0:3], 0 offset:336
	buffer_load_dword v138, off, s[0:3], 0 offset:340
	buffer_load_dword v140, off, s[0:3], 0 offset:348
	buffer_load_dword v141, off, s[0:3], 0 offset:368
	buffer_load_dword v143, off, s[0:3], 0 offset:360
	buffer_load_dword v145, off, s[0:3], 0 offset:352
	buffer_load_dword v139, off, s[0:3], 0 offset:344
	buffer_load_dword v146, off, s[0:3], 0 offset:356
	buffer_load_dword v144, off, s[0:3], 0 offset:364
	buffer_load_dword v142, off, s[0:3], 0 offset:372
	buffer_load_dword v148, off, s[0:3], 0 offset:380
	buffer_load_dword v149, off, s[0:3], 0 offset:400
	buffer_load_dword v151, off, s[0:3], 0 offset:392
	buffer_load_dword v153, off, s[0:3], 0 offset:384
	buffer_load_dword v147, off, s[0:3], 0 offset:376
	buffer_load_dword v154, off, s[0:3], 0 offset:388
	buffer_load_dword v152, off, s[0:3], 0 offset:396
	v_mov_b32_e32 v116, 0
	buffer_load_dword v150, off, s[0:3], 0 offset:404
	s_mov_b32 s4, exec_lo
	ds_read_b128 v[117:120], v116 offset:752
	ds_read_b128 v[121:124], v116 offset:768
	s_waitcnt vmcnt(28) lgkmcnt(1)
	v_fma_f64 v[117:118], v[125:126], v[117:118], 0
	s_clause 0x7
	buffer_load_dword v126, off, s[0:3], 0 offset:412
	buffer_load_dword v155, off, s[0:3], 0 offset:432
	buffer_load_dword v157, off, s[0:3], 0 offset:424
	buffer_load_dword v159, off, s[0:3], 0 offset:416
	buffer_load_dword v125, off, s[0:3], 0 offset:408
	buffer_load_dword v160, off, s[0:3], 0 offset:420
	buffer_load_dword v158, off, s[0:3], 0 offset:428
	buffer_load_dword v156, off, s[0:3], 0 offset:436
	s_waitcnt vmcnt(34)
	v_fma_f64 v[117:118], v[127:128], v[119:120], v[117:118]
	s_waitcnt vmcnt(32) lgkmcnt(0)
	v_fma_f64 v[117:118], v[129:130], v[121:122], v[117:118]
	s_waitcnt vmcnt(30)
	v_fma_f64 v[127:128], v[131:132], v[123:124], v[117:118]
	ds_read_b128 v[117:120], v116 offset:784
	ds_read_b128 v[121:124], v116 offset:800
	s_waitcnt vmcnt(28) lgkmcnt(1)
	v_fma_f64 v[117:118], v[133:134], v[117:118], v[127:128]
	s_clause 0x5
	buffer_load_dword v128, off, s[0:3], 0 offset:444
	buffer_load_dword v129, off, s[0:3], 0 offset:448
	buffer_load_dword v127, off, s[0:3], 0 offset:440
	buffer_load_dword v130, off, s[0:3], 0 offset:452
	buffer_load_dword v131, off, s[0:3], 0 offset:280
	buffer_load_dword v132, off, s[0:3], 0 offset:284
	s_waitcnt vmcnt(32)
	v_fma_f64 v[117:118], v[135:136], v[119:120], v[117:118]
	s_waitcnt vmcnt(30) lgkmcnt(0)
	v_fma_f64 v[117:118], v[137:138], v[121:122], v[117:118]
	s_waitcnt vmcnt(25)
	v_fma_f64 v[133:134], v[139:140], v[123:124], v[117:118]
	ds_read_b128 v[117:120], v116 offset:816
	ds_read_b128 v[121:124], v116 offset:832
	s_waitcnt vmcnt(24) lgkmcnt(1)
	v_fma_f64 v[117:118], v[145:146], v[117:118], v[133:134]
	s_waitcnt vmcnt(23)
	v_fma_f64 v[117:118], v[143:144], v[119:120], v[117:118]
	s_waitcnt vmcnt(22) lgkmcnt(0)
	v_fma_f64 v[117:118], v[141:142], v[121:122], v[117:118]
	s_waitcnt vmcnt(17)
	v_fma_f64 v[133:134], v[147:148], v[123:124], v[117:118]
	ds_read_b128 v[117:120], v116 offset:848
	ds_read_b128 v[121:124], v116 offset:864
	s_waitcnt vmcnt(16) lgkmcnt(1)
	v_fma_f64 v[117:118], v[153:154], v[117:118], v[133:134]
	;; [unrolled: 10-line block ×3, first 2 shown]
	s_waitcnt vmcnt(7)
	v_fma_f64 v[117:118], v[157:158], v[119:120], v[117:118]
	ds_read_b64 v[119:120], v116 offset:912
	s_waitcnt vmcnt(6) lgkmcnt(1)
	v_fma_f64 v[117:118], v[155:156], v[121:122], v[117:118]
	s_waitcnt vmcnt(3)
	v_fma_f64 v[117:118], v[127:128], v[123:124], v[117:118]
	s_waitcnt vmcnt(2) lgkmcnt(0)
	v_fma_f64 v[117:118], v[129:130], v[119:120], v[117:118]
	s_waitcnt vmcnt(0)
	v_add_f64 v[117:118], v[131:132], -v[117:118]
	buffer_store_dword v118, off, s[0:3], 0 offset:284
	buffer_store_dword v117, off, s[0:3], 0 offset:280
	v_cmpx_lt_u32_e32 34, v0
	s_cbranch_execz .LBB56_283
; %bb.282:
	s_clause 0x1
	buffer_load_dword v117, off, s[0:3], 0 offset:272
	buffer_load_dword v118, off, s[0:3], 0 offset:276
	buffer_store_dword v116, off, s[0:3], 0 offset:272
	buffer_store_dword v116, off, s[0:3], 0 offset:276
	s_waitcnt vmcnt(0)
	ds_write_b64 v115, v[117:118]
.LBB56_283:
	s_or_b32 exec_lo, exec_lo, s4
	s_waitcnt lgkmcnt(0)
	s_waitcnt_vscnt null, 0x0
	s_barrier
	buffer_gl0_inv
	s_clause 0x1c
	buffer_load_dword v125, off, s[0:3], 0 offset:280
	buffer_load_dword v126, off, s[0:3], 0 offset:284
	;; [unrolled: 1-line block ×29, first 2 shown]
	ds_read2_b64 v[117:120], v116 offset0:93 offset1:94
	ds_read2_b64 v[121:124], v116 offset0:95 offset1:96
	buffer_load_dword v150, off, s[0:3], 0 offset:396
	s_mov_b32 s4, exec_lo
	s_waitcnt vmcnt(28) lgkmcnt(1)
	v_fma_f64 v[117:118], v[125:126], v[117:118], 0
	s_clause 0x7
	buffer_load_dword v126, off, s[0:3], 0 offset:404
	buffer_load_dword v155, off, s[0:3], 0 offset:424
	buffer_load_dword v157, off, s[0:3], 0 offset:416
	buffer_load_dword v159, off, s[0:3], 0 offset:408
	buffer_load_dword v125, off, s[0:3], 0 offset:400
	buffer_load_dword v160, off, s[0:3], 0 offset:412
	buffer_load_dword v158, off, s[0:3], 0 offset:420
	buffer_load_dword v156, off, s[0:3], 0 offset:428
	s_waitcnt vmcnt(34)
	v_fma_f64 v[117:118], v[127:128], v[119:120], v[117:118]
	s_waitcnt vmcnt(32) lgkmcnt(0)
	v_fma_f64 v[117:118], v[129:130], v[121:122], v[117:118]
	s_waitcnt vmcnt(30)
	v_fma_f64 v[127:128], v[131:132], v[123:124], v[117:118]
	ds_read2_b64 v[117:120], v116 offset0:97 offset1:98
	ds_read2_b64 v[121:124], v116 offset0:99 offset1:100
	s_waitcnt vmcnt(28) lgkmcnt(1)
	v_fma_f64 v[117:118], v[133:134], v[117:118], v[127:128]
	s_clause 0x5
	buffer_load_dword v128, off, s[0:3], 0 offset:436
	buffer_load_dword v129, off, s[0:3], 0 offset:448
	;; [unrolled: 1-line block ×6, first 2 shown]
	s_waitcnt vmcnt(32)
	v_fma_f64 v[117:118], v[135:136], v[119:120], v[117:118]
	s_waitcnt vmcnt(30) lgkmcnt(0)
	v_fma_f64 v[117:118], v[137:138], v[121:122], v[117:118]
	s_waitcnt vmcnt(25)
	v_fma_f64 v[133:134], v[139:140], v[123:124], v[117:118]
	ds_read2_b64 v[117:120], v116 offset0:101 offset1:102
	s_clause 0x1
	buffer_load_dword v135, off, s[0:3], 0 offset:272
	buffer_load_dword v136, off, s[0:3], 0 offset:276
	ds_read2_b64 v[121:124], v116 offset0:103 offset1:104
	s_waitcnt vmcnt(26) lgkmcnt(1)
	v_fma_f64 v[117:118], v[145:146], v[117:118], v[133:134]
	s_waitcnt vmcnt(25)
	v_fma_f64 v[117:118], v[143:144], v[119:120], v[117:118]
	s_waitcnt vmcnt(24) lgkmcnt(0)
	v_fma_f64 v[117:118], v[141:142], v[121:122], v[117:118]
	s_waitcnt vmcnt(19)
	v_fma_f64 v[133:134], v[147:148], v[123:124], v[117:118]
	ds_read2_b64 v[117:120], v116 offset0:105 offset1:106
	ds_read2_b64 v[121:124], v116 offset0:107 offset1:108
	s_waitcnt vmcnt(18) lgkmcnt(1)
	v_fma_f64 v[117:118], v[153:154], v[117:118], v[133:134]
	s_waitcnt vmcnt(17)
	v_fma_f64 v[117:118], v[151:152], v[119:120], v[117:118]
	s_waitcnt vmcnt(16) lgkmcnt(0)
	v_fma_f64 v[117:118], v[149:150], v[121:122], v[117:118]
	s_waitcnt vmcnt(11)
	v_fma_f64 v[125:126], v[125:126], v[123:124], v[117:118]
	ds_read2_b64 v[117:120], v116 offset0:109 offset1:110
	;; [unrolled: 10-line block ×3, first 2 shown]
	s_waitcnt vmcnt(3) lgkmcnt(0)
	v_fma_f64 v[116:117], v[131:132], v[116:117], v[120:121]
	s_waitcnt vmcnt(2)
	v_fma_f64 v[116:117], v[129:130], v[118:119], v[116:117]
	s_waitcnt vmcnt(0)
	v_add_f64 v[116:117], v[135:136], -v[116:117]
	buffer_store_dword v117, off, s[0:3], 0 offset:276
	buffer_store_dword v116, off, s[0:3], 0 offset:272
	v_cmpx_lt_u32_e32 33, v0
	s_cbranch_execz .LBB56_285
; %bb.284:
	s_clause 0x1
	buffer_load_dword v116, off, s[0:3], 0 offset:264
	buffer_load_dword v117, off, s[0:3], 0 offset:268
	v_mov_b32_e32 v118, 0
	buffer_store_dword v118, off, s[0:3], 0 offset:264
	buffer_store_dword v118, off, s[0:3], 0 offset:268
	s_waitcnt vmcnt(0)
	ds_write_b64 v115, v[116:117]
.LBB56_285:
	s_or_b32 exec_lo, exec_lo, s4
	s_waitcnt lgkmcnt(0)
	s_waitcnt_vscnt null, 0x0
	s_barrier
	buffer_gl0_inv
	s_clause 0x1c
	buffer_load_dword v125, off, s[0:3], 0 offset:272
	buffer_load_dword v126, off, s[0:3], 0 offset:276
	;; [unrolled: 1-line block ×29, first 2 shown]
	v_mov_b32_e32 v116, 0
	buffer_load_dword v150, off, s[0:3], 0 offset:388
	s_mov_b32 s4, exec_lo
	ds_read_b128 v[117:120], v116 offset:736
	ds_read_b128 v[121:124], v116 offset:752
	s_waitcnt vmcnt(28) lgkmcnt(1)
	v_fma_f64 v[117:118], v[125:126], v[117:118], 0
	s_clause 0x7
	buffer_load_dword v126, off, s[0:3], 0 offset:396
	buffer_load_dword v155, off, s[0:3], 0 offset:416
	;; [unrolled: 1-line block ×8, first 2 shown]
	s_waitcnt vmcnt(34)
	v_fma_f64 v[117:118], v[127:128], v[119:120], v[117:118]
	s_waitcnt vmcnt(32) lgkmcnt(0)
	v_fma_f64 v[117:118], v[129:130], v[121:122], v[117:118]
	s_waitcnt vmcnt(30)
	v_fma_f64 v[127:128], v[131:132], v[123:124], v[117:118]
	ds_read_b128 v[117:120], v116 offset:768
	ds_read_b128 v[121:124], v116 offset:784
	s_waitcnt vmcnt(28) lgkmcnt(1)
	v_fma_f64 v[117:118], v[133:134], v[117:118], v[127:128]
	s_clause 0x7
	buffer_load_dword v128, off, s[0:3], 0 offset:428
	buffer_load_dword v129, off, s[0:3], 0 offset:448
	;; [unrolled: 1-line block ×8, first 2 shown]
	s_waitcnt vmcnt(34)
	v_fma_f64 v[117:118], v[135:136], v[119:120], v[117:118]
	s_waitcnt vmcnt(32) lgkmcnt(0)
	v_fma_f64 v[117:118], v[137:138], v[121:122], v[117:118]
	s_waitcnt vmcnt(27)
	v_fma_f64 v[135:136], v[139:140], v[123:124], v[117:118]
	ds_read_b128 v[117:120], v116 offset:800
	ds_read_b128 v[121:124], v116 offset:816
	s_waitcnt vmcnt(26) lgkmcnt(1)
	v_fma_f64 v[117:118], v[145:146], v[117:118], v[135:136]
	s_clause 0x1
	buffer_load_dword v135, off, s[0:3], 0 offset:264
	buffer_load_dword v136, off, s[0:3], 0 offset:268
	s_waitcnt vmcnt(27)
	v_fma_f64 v[117:118], v[143:144], v[119:120], v[117:118]
	s_waitcnt vmcnt(26) lgkmcnt(0)
	v_fma_f64 v[117:118], v[141:142], v[121:122], v[117:118]
	s_waitcnt vmcnt(21)
	v_fma_f64 v[137:138], v[147:148], v[123:124], v[117:118]
	ds_read_b128 v[117:120], v116 offset:832
	ds_read_b128 v[121:124], v116 offset:848
	s_waitcnt vmcnt(20) lgkmcnt(1)
	v_fma_f64 v[117:118], v[153:154], v[117:118], v[137:138]
	s_waitcnt vmcnt(19)
	v_fma_f64 v[117:118], v[151:152], v[119:120], v[117:118]
	s_waitcnt vmcnt(18) lgkmcnt(0)
	v_fma_f64 v[117:118], v[149:150], v[121:122], v[117:118]
	s_waitcnt vmcnt(13)
	v_fma_f64 v[125:126], v[125:126], v[123:124], v[117:118]
	ds_read_b128 v[117:120], v116 offset:864
	ds_read_b128 v[121:124], v116 offset:880
	s_waitcnt vmcnt(12) lgkmcnt(1)
	v_fma_f64 v[117:118], v[159:160], v[117:118], v[125:126]
	s_waitcnt vmcnt(11)
	v_fma_f64 v[117:118], v[157:158], v[119:120], v[117:118]
	s_waitcnt vmcnt(10) lgkmcnt(0)
	v_fma_f64 v[117:118], v[155:156], v[121:122], v[117:118]
	s_waitcnt vmcnt(5)
	v_fma_f64 v[121:122], v[127:128], v[123:124], v[117:118]
	ds_read_b128 v[117:120], v116 offset:896
	ds_read_b64 v[123:124], v116 offset:912
	s_waitcnt vmcnt(4) lgkmcnt(1)
	v_fma_f64 v[117:118], v[133:134], v[117:118], v[121:122]
	s_waitcnt vmcnt(3)
	v_fma_f64 v[117:118], v[131:132], v[119:120], v[117:118]
	s_waitcnt vmcnt(2) lgkmcnt(0)
	v_fma_f64 v[117:118], v[129:130], v[123:124], v[117:118]
	s_waitcnt vmcnt(0)
	v_add_f64 v[117:118], v[135:136], -v[117:118]
	buffer_store_dword v118, off, s[0:3], 0 offset:268
	buffer_store_dword v117, off, s[0:3], 0 offset:264
	v_cmpx_lt_u32_e32 32, v0
	s_cbranch_execz .LBB56_287
; %bb.286:
	s_clause 0x1
	buffer_load_dword v117, off, s[0:3], 0 offset:256
	buffer_load_dword v118, off, s[0:3], 0 offset:260
	buffer_store_dword v116, off, s[0:3], 0 offset:256
	buffer_store_dword v116, off, s[0:3], 0 offset:260
	s_waitcnt vmcnt(0)
	ds_write_b64 v115, v[117:118]
.LBB56_287:
	s_or_b32 exec_lo, exec_lo, s4
	s_waitcnt lgkmcnt(0)
	s_waitcnt_vscnt null, 0x0
	s_barrier
	buffer_gl0_inv
	s_clause 0x1c
	buffer_load_dword v125, off, s[0:3], 0 offset:264
	buffer_load_dword v126, off, s[0:3], 0 offset:268
	;; [unrolled: 1-line block ×29, first 2 shown]
	ds_read2_b64 v[117:120], v116 offset0:91 offset1:92
	ds_read2_b64 v[121:124], v116 offset0:93 offset1:94
	buffer_load_dword v150, off, s[0:3], 0 offset:380
	s_mov_b32 s4, exec_lo
	s_waitcnt vmcnt(28) lgkmcnt(1)
	v_fma_f64 v[117:118], v[125:126], v[117:118], 0
	s_clause 0x7
	buffer_load_dword v126, off, s[0:3], 0 offset:388
	buffer_load_dword v155, off, s[0:3], 0 offset:408
	;; [unrolled: 1-line block ×8, first 2 shown]
	s_waitcnt vmcnt(34)
	v_fma_f64 v[117:118], v[127:128], v[119:120], v[117:118]
	s_waitcnt vmcnt(32) lgkmcnt(0)
	v_fma_f64 v[117:118], v[129:130], v[121:122], v[117:118]
	s_waitcnt vmcnt(30)
	v_fma_f64 v[127:128], v[131:132], v[123:124], v[117:118]
	ds_read2_b64 v[117:120], v116 offset0:95 offset1:96
	ds_read2_b64 v[121:124], v116 offset0:97 offset1:98
	s_waitcnt vmcnt(28) lgkmcnt(1)
	v_fma_f64 v[117:118], v[133:134], v[117:118], v[127:128]
	s_clause 0x7
	buffer_load_dword v128, off, s[0:3], 0 offset:420
	buffer_load_dword v129, off, s[0:3], 0 offset:440
	;; [unrolled: 1-line block ×8, first 2 shown]
	s_waitcnt vmcnt(34)
	v_fma_f64 v[117:118], v[135:136], v[119:120], v[117:118]
	s_waitcnt vmcnt(32) lgkmcnt(0)
	v_fma_f64 v[117:118], v[137:138], v[121:122], v[117:118]
	s_waitcnt vmcnt(27)
	v_fma_f64 v[135:136], v[139:140], v[123:124], v[117:118]
	ds_read2_b64 v[117:120], v116 offset0:99 offset1:100
	ds_read2_b64 v[121:124], v116 offset0:101 offset1:102
	s_waitcnt vmcnt(26) lgkmcnt(1)
	v_fma_f64 v[117:118], v[145:146], v[117:118], v[135:136]
	s_clause 0x3
	buffer_load_dword v136, off, s[0:3], 0 offset:452
	buffer_load_dword v135, off, s[0:3], 0 offset:448
	;; [unrolled: 1-line block ×4, first 2 shown]
	s_waitcnt vmcnt(29)
	v_fma_f64 v[117:118], v[143:144], v[119:120], v[117:118]
	s_waitcnt vmcnt(28) lgkmcnt(0)
	v_fma_f64 v[117:118], v[141:142], v[121:122], v[117:118]
	s_waitcnt vmcnt(23)
	v_fma_f64 v[139:140], v[147:148], v[123:124], v[117:118]
	ds_read2_b64 v[117:120], v116 offset0:103 offset1:104
	ds_read2_b64 v[121:124], v116 offset0:105 offset1:106
	s_waitcnt vmcnt(22) lgkmcnt(1)
	v_fma_f64 v[117:118], v[153:154], v[117:118], v[139:140]
	s_waitcnt vmcnt(21)
	v_fma_f64 v[117:118], v[151:152], v[119:120], v[117:118]
	s_waitcnt vmcnt(20) lgkmcnt(0)
	v_fma_f64 v[117:118], v[149:150], v[121:122], v[117:118]
	s_waitcnt vmcnt(15)
	v_fma_f64 v[125:126], v[125:126], v[123:124], v[117:118]
	ds_read2_b64 v[117:120], v116 offset0:107 offset1:108
	ds_read2_b64 v[121:124], v116 offset0:109 offset1:110
	s_waitcnt vmcnt(14) lgkmcnt(1)
	v_fma_f64 v[117:118], v[159:160], v[117:118], v[125:126]
	;; [unrolled: 10-line block ×3, first 2 shown]
	s_waitcnt vmcnt(5)
	v_fma_f64 v[116:117], v[131:132], v[119:120], v[116:117]
	s_waitcnt vmcnt(4) lgkmcnt(0)
	v_fma_f64 v[116:117], v[129:130], v[121:122], v[116:117]
	s_waitcnt vmcnt(2)
	v_fma_f64 v[116:117], v[135:136], v[123:124], v[116:117]
	s_waitcnt vmcnt(0)
	v_add_f64 v[116:117], v[137:138], -v[116:117]
	buffer_store_dword v117, off, s[0:3], 0 offset:260
	buffer_store_dword v116, off, s[0:3], 0 offset:256
	v_cmpx_lt_u32_e32 31, v0
	s_cbranch_execz .LBB56_289
; %bb.288:
	s_clause 0x1
	buffer_load_dword v116, off, s[0:3], 0 offset:248
	buffer_load_dword v117, off, s[0:3], 0 offset:252
	v_mov_b32_e32 v118, 0
	buffer_store_dword v118, off, s[0:3], 0 offset:248
	buffer_store_dword v118, off, s[0:3], 0 offset:252
	s_waitcnt vmcnt(0)
	ds_write_b64 v115, v[116:117]
.LBB56_289:
	s_or_b32 exec_lo, exec_lo, s4
	s_waitcnt lgkmcnt(0)
	s_waitcnt_vscnt null, 0x0
	s_barrier
	buffer_gl0_inv
	s_clause 0x1c
	buffer_load_dword v125, off, s[0:3], 0 offset:256
	buffer_load_dword v126, off, s[0:3], 0 offset:260
	;; [unrolled: 1-line block ×29, first 2 shown]
	v_mov_b32_e32 v116, 0
	buffer_load_dword v150, off, s[0:3], 0 offset:372
	s_mov_b32 s4, exec_lo
	ds_read_b128 v[117:120], v116 offset:720
	ds_read_b128 v[121:124], v116 offset:736
	s_waitcnt vmcnt(28) lgkmcnt(1)
	v_fma_f64 v[117:118], v[125:126], v[117:118], 0
	s_clause 0x7
	buffer_load_dword v126, off, s[0:3], 0 offset:380
	buffer_load_dword v155, off, s[0:3], 0 offset:400
	;; [unrolled: 1-line block ×8, first 2 shown]
	s_waitcnt vmcnt(34)
	v_fma_f64 v[117:118], v[127:128], v[119:120], v[117:118]
	s_waitcnt vmcnt(32) lgkmcnt(0)
	v_fma_f64 v[117:118], v[129:130], v[121:122], v[117:118]
	s_waitcnt vmcnt(30)
	v_fma_f64 v[127:128], v[131:132], v[123:124], v[117:118]
	ds_read_b128 v[117:120], v116 offset:752
	ds_read_b128 v[121:124], v116 offset:768
	s_waitcnt vmcnt(28) lgkmcnt(1)
	v_fma_f64 v[117:118], v[133:134], v[117:118], v[127:128]
	s_clause 0x7
	buffer_load_dword v128, off, s[0:3], 0 offset:412
	buffer_load_dword v129, off, s[0:3], 0 offset:432
	;; [unrolled: 1-line block ×8, first 2 shown]
	s_waitcnt vmcnt(34)
	v_fma_f64 v[117:118], v[135:136], v[119:120], v[117:118]
	s_waitcnt vmcnt(32) lgkmcnt(0)
	v_fma_f64 v[117:118], v[137:138], v[121:122], v[117:118]
	s_waitcnt vmcnt(27)
	v_fma_f64 v[135:136], v[139:140], v[123:124], v[117:118]
	ds_read_b128 v[117:120], v116 offset:784
	ds_read_b128 v[121:124], v116 offset:800
	s_waitcnt vmcnt(26) lgkmcnt(1)
	v_fma_f64 v[117:118], v[145:146], v[117:118], v[135:136]
	s_clause 0x5
	buffer_load_dword v136, off, s[0:3], 0 offset:444
	buffer_load_dword v137, off, s[0:3], 0 offset:448
	;; [unrolled: 1-line block ×6, first 2 shown]
	s_waitcnt vmcnt(31)
	v_fma_f64 v[117:118], v[143:144], v[119:120], v[117:118]
	s_waitcnt vmcnt(30) lgkmcnt(0)
	v_fma_f64 v[117:118], v[141:142], v[121:122], v[117:118]
	s_waitcnt vmcnt(25)
	v_fma_f64 v[141:142], v[147:148], v[123:124], v[117:118]
	ds_read_b128 v[117:120], v116 offset:816
	ds_read_b128 v[121:124], v116 offset:832
	s_waitcnt vmcnt(24) lgkmcnt(1)
	v_fma_f64 v[117:118], v[153:154], v[117:118], v[141:142]
	s_waitcnt vmcnt(23)
	v_fma_f64 v[117:118], v[151:152], v[119:120], v[117:118]
	s_waitcnt vmcnt(22) lgkmcnt(0)
	v_fma_f64 v[117:118], v[149:150], v[121:122], v[117:118]
	s_waitcnt vmcnt(17)
	v_fma_f64 v[125:126], v[125:126], v[123:124], v[117:118]
	ds_read_b128 v[117:120], v116 offset:848
	ds_read_b128 v[121:124], v116 offset:864
	s_waitcnt vmcnt(16) lgkmcnt(1)
	v_fma_f64 v[117:118], v[159:160], v[117:118], v[125:126]
	;; [unrolled: 10-line block ×3, first 2 shown]
	s_waitcnt vmcnt(7)
	v_fma_f64 v[117:118], v[131:132], v[119:120], v[117:118]
	ds_read_b64 v[119:120], v116 offset:912
	s_waitcnt vmcnt(6) lgkmcnt(1)
	v_fma_f64 v[117:118], v[129:130], v[121:122], v[117:118]
	s_waitcnt vmcnt(3)
	v_fma_f64 v[117:118], v[135:136], v[123:124], v[117:118]
	s_waitcnt vmcnt(2) lgkmcnt(0)
	v_fma_f64 v[117:118], v[137:138], v[119:120], v[117:118]
	s_waitcnt vmcnt(0)
	v_add_f64 v[117:118], v[139:140], -v[117:118]
	buffer_store_dword v118, off, s[0:3], 0 offset:252
	buffer_store_dword v117, off, s[0:3], 0 offset:248
	v_cmpx_lt_u32_e32 30, v0
	s_cbranch_execz .LBB56_291
; %bb.290:
	s_clause 0x1
	buffer_load_dword v117, off, s[0:3], 0 offset:240
	buffer_load_dword v118, off, s[0:3], 0 offset:244
	buffer_store_dword v116, off, s[0:3], 0 offset:240
	buffer_store_dword v116, off, s[0:3], 0 offset:244
	s_waitcnt vmcnt(0)
	ds_write_b64 v115, v[117:118]
.LBB56_291:
	s_or_b32 exec_lo, exec_lo, s4
	s_waitcnt lgkmcnt(0)
	s_waitcnt_vscnt null, 0x0
	s_barrier
	buffer_gl0_inv
	s_clause 0x1c
	buffer_load_dword v125, off, s[0:3], 0 offset:248
	buffer_load_dword v126, off, s[0:3], 0 offset:252
	;; [unrolled: 1-line block ×29, first 2 shown]
	ds_read2_b64 v[117:120], v116 offset0:89 offset1:90
	ds_read2_b64 v[121:124], v116 offset0:91 offset1:92
	buffer_load_dword v150, off, s[0:3], 0 offset:364
	s_mov_b32 s4, exec_lo
	s_waitcnt vmcnt(28) lgkmcnt(1)
	v_fma_f64 v[117:118], v[125:126], v[117:118], 0
	s_clause 0x7
	buffer_load_dword v126, off, s[0:3], 0 offset:372
	buffer_load_dword v155, off, s[0:3], 0 offset:392
	;; [unrolled: 1-line block ×8, first 2 shown]
	s_waitcnt vmcnt(34)
	v_fma_f64 v[117:118], v[127:128], v[119:120], v[117:118]
	s_waitcnt vmcnt(32) lgkmcnt(0)
	v_fma_f64 v[117:118], v[129:130], v[121:122], v[117:118]
	s_waitcnt vmcnt(30)
	v_fma_f64 v[127:128], v[131:132], v[123:124], v[117:118]
	ds_read2_b64 v[117:120], v116 offset0:93 offset1:94
	ds_read2_b64 v[121:124], v116 offset0:95 offset1:96
	s_waitcnt vmcnt(28) lgkmcnt(1)
	v_fma_f64 v[117:118], v[133:134], v[117:118], v[127:128]
	s_clause 0x7
	buffer_load_dword v128, off, s[0:3], 0 offset:404
	buffer_load_dword v129, off, s[0:3], 0 offset:424
	;; [unrolled: 1-line block ×8, first 2 shown]
	s_waitcnt vmcnt(34)
	v_fma_f64 v[117:118], v[135:136], v[119:120], v[117:118]
	s_waitcnt vmcnt(32) lgkmcnt(0)
	v_fma_f64 v[117:118], v[137:138], v[121:122], v[117:118]
	s_waitcnt vmcnt(27)
	v_fma_f64 v[135:136], v[139:140], v[123:124], v[117:118]
	ds_read2_b64 v[117:120], v116 offset0:97 offset1:98
	ds_read2_b64 v[121:124], v116 offset0:99 offset1:100
	s_waitcnt vmcnt(26) lgkmcnt(1)
	v_fma_f64 v[117:118], v[145:146], v[117:118], v[135:136]
	s_clause 0x5
	buffer_load_dword v136, off, s[0:3], 0 offset:436
	buffer_load_dword v137, off, s[0:3], 0 offset:448
	;; [unrolled: 1-line block ×6, first 2 shown]
	s_waitcnt vmcnt(31)
	v_fma_f64 v[117:118], v[143:144], v[119:120], v[117:118]
	s_waitcnt vmcnt(30) lgkmcnt(0)
	v_fma_f64 v[117:118], v[141:142], v[121:122], v[117:118]
	s_waitcnt vmcnt(25)
	v_fma_f64 v[141:142], v[147:148], v[123:124], v[117:118]
	ds_read2_b64 v[117:120], v116 offset0:101 offset1:102
	s_clause 0x1
	buffer_load_dword v143, off, s[0:3], 0 offset:240
	buffer_load_dword v144, off, s[0:3], 0 offset:244
	ds_read2_b64 v[121:124], v116 offset0:103 offset1:104
	s_waitcnt vmcnt(26) lgkmcnt(1)
	v_fma_f64 v[117:118], v[153:154], v[117:118], v[141:142]
	s_waitcnt vmcnt(25)
	v_fma_f64 v[117:118], v[151:152], v[119:120], v[117:118]
	s_waitcnt vmcnt(24) lgkmcnt(0)
	v_fma_f64 v[117:118], v[149:150], v[121:122], v[117:118]
	s_waitcnt vmcnt(19)
	v_fma_f64 v[125:126], v[125:126], v[123:124], v[117:118]
	ds_read2_b64 v[117:120], v116 offset0:105 offset1:106
	ds_read2_b64 v[121:124], v116 offset0:107 offset1:108
	s_waitcnt vmcnt(18) lgkmcnt(1)
	v_fma_f64 v[117:118], v[159:160], v[117:118], v[125:126]
	s_waitcnt vmcnt(17)
	v_fma_f64 v[117:118], v[157:158], v[119:120], v[117:118]
	s_waitcnt vmcnt(16) lgkmcnt(0)
	v_fma_f64 v[117:118], v[155:156], v[121:122], v[117:118]
	s_waitcnt vmcnt(11)
	v_fma_f64 v[125:126], v[127:128], v[123:124], v[117:118]
	ds_read2_b64 v[117:120], v116 offset0:109 offset1:110
	;; [unrolled: 10-line block ×3, first 2 shown]
	s_waitcnt vmcnt(3) lgkmcnt(0)
	v_fma_f64 v[116:117], v[139:140], v[116:117], v[120:121]
	s_waitcnt vmcnt(2)
	v_fma_f64 v[116:117], v[137:138], v[118:119], v[116:117]
	s_waitcnt vmcnt(0)
	v_add_f64 v[116:117], v[143:144], -v[116:117]
	buffer_store_dword v117, off, s[0:3], 0 offset:244
	buffer_store_dword v116, off, s[0:3], 0 offset:240
	v_cmpx_lt_u32_e32 29, v0
	s_cbranch_execz .LBB56_293
; %bb.292:
	s_clause 0x1
	buffer_load_dword v116, off, s[0:3], 0 offset:232
	buffer_load_dword v117, off, s[0:3], 0 offset:236
	v_mov_b32_e32 v118, 0
	buffer_store_dword v118, off, s[0:3], 0 offset:232
	buffer_store_dword v118, off, s[0:3], 0 offset:236
	s_waitcnt vmcnt(0)
	ds_write_b64 v115, v[116:117]
.LBB56_293:
	s_or_b32 exec_lo, exec_lo, s4
	s_waitcnt lgkmcnt(0)
	s_waitcnt_vscnt null, 0x0
	s_barrier
	buffer_gl0_inv
	s_clause 0x1c
	buffer_load_dword v125, off, s[0:3], 0 offset:240
	buffer_load_dword v126, off, s[0:3], 0 offset:244
	;; [unrolled: 1-line block ×29, first 2 shown]
	v_mov_b32_e32 v116, 0
	buffer_load_dword v150, off, s[0:3], 0 offset:356
	s_mov_b32 s4, exec_lo
	ds_read_b128 v[117:120], v116 offset:704
	ds_read_b128 v[121:124], v116 offset:720
	s_waitcnt vmcnt(28) lgkmcnt(1)
	v_fma_f64 v[117:118], v[125:126], v[117:118], 0
	s_clause 0x7
	buffer_load_dword v126, off, s[0:3], 0 offset:364
	buffer_load_dword v155, off, s[0:3], 0 offset:384
	buffer_load_dword v157, off, s[0:3], 0 offset:376
	buffer_load_dword v159, off, s[0:3], 0 offset:368
	buffer_load_dword v125, off, s[0:3], 0 offset:360
	buffer_load_dword v160, off, s[0:3], 0 offset:372
	buffer_load_dword v158, off, s[0:3], 0 offset:380
	buffer_load_dword v156, off, s[0:3], 0 offset:388
	s_waitcnt vmcnt(34)
	v_fma_f64 v[117:118], v[127:128], v[119:120], v[117:118]
	s_waitcnt vmcnt(32) lgkmcnt(0)
	v_fma_f64 v[117:118], v[129:130], v[121:122], v[117:118]
	s_waitcnt vmcnt(30)
	v_fma_f64 v[127:128], v[131:132], v[123:124], v[117:118]
	ds_read_b128 v[117:120], v116 offset:736
	ds_read_b128 v[121:124], v116 offset:752
	s_waitcnt vmcnt(28) lgkmcnt(1)
	v_fma_f64 v[117:118], v[133:134], v[117:118], v[127:128]
	s_clause 0x7
	buffer_load_dword v128, off, s[0:3], 0 offset:396
	buffer_load_dword v129, off, s[0:3], 0 offset:416
	buffer_load_dword v131, off, s[0:3], 0 offset:408
	buffer_load_dword v133, off, s[0:3], 0 offset:400
	buffer_load_dword v127, off, s[0:3], 0 offset:392
	buffer_load_dword v134, off, s[0:3], 0 offset:404
	buffer_load_dword v132, off, s[0:3], 0 offset:412
	buffer_load_dword v130, off, s[0:3], 0 offset:420
	s_waitcnt vmcnt(34)
	v_fma_f64 v[117:118], v[135:136], v[119:120], v[117:118]
	s_waitcnt vmcnt(32) lgkmcnt(0)
	v_fma_f64 v[117:118], v[137:138], v[121:122], v[117:118]
	s_waitcnt vmcnt(27)
	v_fma_f64 v[135:136], v[139:140], v[123:124], v[117:118]
	;; [unrolled: 19-line block ×3, first 2 shown]
	ds_read_b128 v[117:120], v116 offset:800
	ds_read_b128 v[121:124], v116 offset:816
	s_waitcnt vmcnt(26) lgkmcnt(1)
	v_fma_f64 v[117:118], v[153:154], v[117:118], v[141:142]
	s_clause 0x1
	buffer_load_dword v141, off, s[0:3], 0 offset:232
	buffer_load_dword v142, off, s[0:3], 0 offset:236
	s_waitcnt vmcnt(27)
	v_fma_f64 v[117:118], v[151:152], v[119:120], v[117:118]
	s_waitcnt vmcnt(26) lgkmcnt(0)
	v_fma_f64 v[117:118], v[149:150], v[121:122], v[117:118]
	s_waitcnt vmcnt(21)
	v_fma_f64 v[125:126], v[125:126], v[123:124], v[117:118]
	ds_read_b128 v[117:120], v116 offset:832
	ds_read_b128 v[121:124], v116 offset:848
	s_waitcnt vmcnt(20) lgkmcnt(1)
	v_fma_f64 v[117:118], v[159:160], v[117:118], v[125:126]
	s_waitcnt vmcnt(19)
	v_fma_f64 v[117:118], v[157:158], v[119:120], v[117:118]
	s_waitcnt vmcnt(18) lgkmcnt(0)
	v_fma_f64 v[117:118], v[155:156], v[121:122], v[117:118]
	s_waitcnt vmcnt(13)
	v_fma_f64 v[125:126], v[127:128], v[123:124], v[117:118]
	ds_read_b128 v[117:120], v116 offset:864
	ds_read_b128 v[121:124], v116 offset:880
	s_waitcnt vmcnt(12) lgkmcnt(1)
	v_fma_f64 v[117:118], v[133:134], v[117:118], v[125:126]
	s_waitcnt vmcnt(11)
	v_fma_f64 v[117:118], v[131:132], v[119:120], v[117:118]
	s_waitcnt vmcnt(10) lgkmcnt(0)
	v_fma_f64 v[117:118], v[129:130], v[121:122], v[117:118]
	s_waitcnt vmcnt(5)
	v_fma_f64 v[121:122], v[135:136], v[123:124], v[117:118]
	ds_read_b128 v[117:120], v116 offset:896
	ds_read_b64 v[123:124], v116 offset:912
	s_waitcnt vmcnt(4) lgkmcnt(1)
	v_fma_f64 v[117:118], v[145:146], v[117:118], v[121:122]
	s_waitcnt vmcnt(3)
	v_fma_f64 v[117:118], v[139:140], v[119:120], v[117:118]
	s_waitcnt vmcnt(2) lgkmcnt(0)
	v_fma_f64 v[117:118], v[137:138], v[123:124], v[117:118]
	s_waitcnt vmcnt(0)
	v_add_f64 v[117:118], v[141:142], -v[117:118]
	buffer_store_dword v118, off, s[0:3], 0 offset:236
	buffer_store_dword v117, off, s[0:3], 0 offset:232
	v_cmpx_lt_u32_e32 28, v0
	s_cbranch_execz .LBB56_295
; %bb.294:
	s_clause 0x1
	buffer_load_dword v117, off, s[0:3], 0 offset:224
	buffer_load_dword v118, off, s[0:3], 0 offset:228
	buffer_store_dword v116, off, s[0:3], 0 offset:224
	buffer_store_dword v116, off, s[0:3], 0 offset:228
	s_waitcnt vmcnt(0)
	ds_write_b64 v115, v[117:118]
.LBB56_295:
	s_or_b32 exec_lo, exec_lo, s4
	s_waitcnt lgkmcnt(0)
	s_waitcnt_vscnt null, 0x0
	s_barrier
	buffer_gl0_inv
	s_clause 0x1c
	buffer_load_dword v125, off, s[0:3], 0 offset:232
	buffer_load_dword v126, off, s[0:3], 0 offset:236
	;; [unrolled: 1-line block ×29, first 2 shown]
	ds_read2_b64 v[117:120], v116 offset0:87 offset1:88
	ds_read2_b64 v[121:124], v116 offset0:89 offset1:90
	buffer_load_dword v150, off, s[0:3], 0 offset:348
	s_mov_b32 s4, exec_lo
	s_waitcnt vmcnt(28) lgkmcnt(1)
	v_fma_f64 v[117:118], v[125:126], v[117:118], 0
	s_clause 0x7
	buffer_load_dword v126, off, s[0:3], 0 offset:356
	buffer_load_dword v155, off, s[0:3], 0 offset:376
	buffer_load_dword v157, off, s[0:3], 0 offset:368
	buffer_load_dword v159, off, s[0:3], 0 offset:360
	buffer_load_dword v125, off, s[0:3], 0 offset:352
	buffer_load_dword v160, off, s[0:3], 0 offset:364
	buffer_load_dword v158, off, s[0:3], 0 offset:372
	buffer_load_dword v156, off, s[0:3], 0 offset:380
	s_waitcnt vmcnt(34)
	v_fma_f64 v[117:118], v[127:128], v[119:120], v[117:118]
	s_waitcnt vmcnt(32) lgkmcnt(0)
	v_fma_f64 v[117:118], v[129:130], v[121:122], v[117:118]
	s_waitcnt vmcnt(30)
	v_fma_f64 v[127:128], v[131:132], v[123:124], v[117:118]
	ds_read2_b64 v[117:120], v116 offset0:91 offset1:92
	ds_read2_b64 v[121:124], v116 offset0:93 offset1:94
	s_waitcnt vmcnt(28) lgkmcnt(1)
	v_fma_f64 v[117:118], v[133:134], v[117:118], v[127:128]
	s_clause 0x7
	buffer_load_dword v128, off, s[0:3], 0 offset:388
	buffer_load_dword v129, off, s[0:3], 0 offset:408
	buffer_load_dword v131, off, s[0:3], 0 offset:400
	buffer_load_dword v133, off, s[0:3], 0 offset:392
	buffer_load_dword v127, off, s[0:3], 0 offset:384
	buffer_load_dword v134, off, s[0:3], 0 offset:396
	buffer_load_dword v132, off, s[0:3], 0 offset:404
	buffer_load_dword v130, off, s[0:3], 0 offset:412
	s_waitcnt vmcnt(34)
	v_fma_f64 v[117:118], v[135:136], v[119:120], v[117:118]
	s_waitcnt vmcnt(32) lgkmcnt(0)
	v_fma_f64 v[117:118], v[137:138], v[121:122], v[117:118]
	s_waitcnt vmcnt(27)
	v_fma_f64 v[135:136], v[139:140], v[123:124], v[117:118]
	ds_read2_b64 v[117:120], v116 offset0:95 offset1:96
	ds_read2_b64 v[121:124], v116 offset0:97 offset1:98
	;; [unrolled: 19-line block ×3, first 2 shown]
	s_waitcnt vmcnt(26) lgkmcnt(1)
	v_fma_f64 v[117:118], v[153:154], v[117:118], v[141:142]
	s_clause 0x3
	buffer_load_dword v142, off, s[0:3], 0 offset:452
	buffer_load_dword v141, off, s[0:3], 0 offset:448
	;; [unrolled: 1-line block ×4, first 2 shown]
	s_waitcnt vmcnt(29)
	v_fma_f64 v[117:118], v[151:152], v[119:120], v[117:118]
	s_waitcnt vmcnt(28) lgkmcnt(0)
	v_fma_f64 v[117:118], v[149:150], v[121:122], v[117:118]
	s_waitcnt vmcnt(23)
	v_fma_f64 v[125:126], v[125:126], v[123:124], v[117:118]
	ds_read2_b64 v[117:120], v116 offset0:103 offset1:104
	ds_read2_b64 v[121:124], v116 offset0:105 offset1:106
	s_waitcnt vmcnt(22) lgkmcnt(1)
	v_fma_f64 v[117:118], v[159:160], v[117:118], v[125:126]
	s_waitcnt vmcnt(21)
	v_fma_f64 v[117:118], v[157:158], v[119:120], v[117:118]
	s_waitcnt vmcnt(20) lgkmcnt(0)
	v_fma_f64 v[117:118], v[155:156], v[121:122], v[117:118]
	s_waitcnt vmcnt(15)
	v_fma_f64 v[125:126], v[127:128], v[123:124], v[117:118]
	ds_read2_b64 v[117:120], v116 offset0:107 offset1:108
	ds_read2_b64 v[121:124], v116 offset0:109 offset1:110
	s_waitcnt vmcnt(14) lgkmcnt(1)
	v_fma_f64 v[117:118], v[133:134], v[117:118], v[125:126]
	;; [unrolled: 10-line block ×3, first 2 shown]
	s_waitcnt vmcnt(5)
	v_fma_f64 v[116:117], v[139:140], v[119:120], v[116:117]
	s_waitcnt vmcnt(4) lgkmcnt(0)
	v_fma_f64 v[116:117], v[137:138], v[121:122], v[116:117]
	s_waitcnt vmcnt(2)
	v_fma_f64 v[116:117], v[141:142], v[123:124], v[116:117]
	s_waitcnt vmcnt(0)
	v_add_f64 v[116:117], v[143:144], -v[116:117]
	buffer_store_dword v117, off, s[0:3], 0 offset:228
	buffer_store_dword v116, off, s[0:3], 0 offset:224
	v_cmpx_lt_u32_e32 27, v0
	s_cbranch_execz .LBB56_297
; %bb.296:
	s_clause 0x1
	buffer_load_dword v116, off, s[0:3], 0 offset:216
	buffer_load_dword v117, off, s[0:3], 0 offset:220
	v_mov_b32_e32 v118, 0
	buffer_store_dword v118, off, s[0:3], 0 offset:216
	buffer_store_dword v118, off, s[0:3], 0 offset:220
	s_waitcnt vmcnt(0)
	ds_write_b64 v115, v[116:117]
.LBB56_297:
	s_or_b32 exec_lo, exec_lo, s4
	s_waitcnt lgkmcnt(0)
	s_waitcnt_vscnt null, 0x0
	s_barrier
	buffer_gl0_inv
	s_clause 0x1c
	buffer_load_dword v125, off, s[0:3], 0 offset:224
	buffer_load_dword v126, off, s[0:3], 0 offset:228
	;; [unrolled: 1-line block ×29, first 2 shown]
	v_mov_b32_e32 v116, 0
	buffer_load_dword v150, off, s[0:3], 0 offset:340
	s_mov_b32 s4, exec_lo
	ds_read_b128 v[117:120], v116 offset:688
	ds_read_b128 v[121:124], v116 offset:704
	s_waitcnt vmcnt(28) lgkmcnt(1)
	v_fma_f64 v[117:118], v[125:126], v[117:118], 0
	s_clause 0x7
	buffer_load_dword v126, off, s[0:3], 0 offset:348
	buffer_load_dword v155, off, s[0:3], 0 offset:368
	buffer_load_dword v157, off, s[0:3], 0 offset:360
	buffer_load_dword v159, off, s[0:3], 0 offset:352
	buffer_load_dword v125, off, s[0:3], 0 offset:344
	buffer_load_dword v160, off, s[0:3], 0 offset:356
	buffer_load_dword v158, off, s[0:3], 0 offset:364
	buffer_load_dword v156, off, s[0:3], 0 offset:372
	s_waitcnt vmcnt(34)
	v_fma_f64 v[117:118], v[127:128], v[119:120], v[117:118]
	s_waitcnt vmcnt(32) lgkmcnt(0)
	v_fma_f64 v[117:118], v[129:130], v[121:122], v[117:118]
	s_waitcnt vmcnt(30)
	v_fma_f64 v[127:128], v[131:132], v[123:124], v[117:118]
	ds_read_b128 v[117:120], v116 offset:720
	ds_read_b128 v[121:124], v116 offset:736
	s_waitcnt vmcnt(28) lgkmcnt(1)
	v_fma_f64 v[117:118], v[133:134], v[117:118], v[127:128]
	s_clause 0x7
	buffer_load_dword v128, off, s[0:3], 0 offset:380
	buffer_load_dword v129, off, s[0:3], 0 offset:400
	buffer_load_dword v131, off, s[0:3], 0 offset:392
	buffer_load_dword v133, off, s[0:3], 0 offset:384
	buffer_load_dword v127, off, s[0:3], 0 offset:376
	buffer_load_dword v134, off, s[0:3], 0 offset:388
	buffer_load_dword v132, off, s[0:3], 0 offset:396
	buffer_load_dword v130, off, s[0:3], 0 offset:404
	s_waitcnt vmcnt(34)
	v_fma_f64 v[117:118], v[135:136], v[119:120], v[117:118]
	s_waitcnt vmcnt(32) lgkmcnt(0)
	v_fma_f64 v[117:118], v[137:138], v[121:122], v[117:118]
	s_waitcnt vmcnt(27)
	v_fma_f64 v[135:136], v[139:140], v[123:124], v[117:118]
	;; [unrolled: 19-line block ×3, first 2 shown]
	ds_read_b128 v[117:120], v116 offset:784
	ds_read_b128 v[121:124], v116 offset:800
	s_waitcnt vmcnt(26) lgkmcnt(1)
	v_fma_f64 v[117:118], v[153:154], v[117:118], v[141:142]
	s_clause 0x5
	buffer_load_dword v142, off, s[0:3], 0 offset:444
	buffer_load_dword v143, off, s[0:3], 0 offset:448
	;; [unrolled: 1-line block ×6, first 2 shown]
	s_waitcnt vmcnt(31)
	v_fma_f64 v[117:118], v[151:152], v[119:120], v[117:118]
	s_waitcnt vmcnt(30) lgkmcnt(0)
	v_fma_f64 v[117:118], v[149:150], v[121:122], v[117:118]
	s_waitcnt vmcnt(25)
	v_fma_f64 v[125:126], v[125:126], v[123:124], v[117:118]
	ds_read_b128 v[117:120], v116 offset:816
	ds_read_b128 v[121:124], v116 offset:832
	s_waitcnt vmcnt(24) lgkmcnt(1)
	v_fma_f64 v[117:118], v[159:160], v[117:118], v[125:126]
	s_waitcnt vmcnt(23)
	v_fma_f64 v[117:118], v[157:158], v[119:120], v[117:118]
	s_waitcnt vmcnt(22) lgkmcnt(0)
	v_fma_f64 v[117:118], v[155:156], v[121:122], v[117:118]
	s_waitcnt vmcnt(17)
	v_fma_f64 v[125:126], v[127:128], v[123:124], v[117:118]
	ds_read_b128 v[117:120], v116 offset:848
	ds_read_b128 v[121:124], v116 offset:864
	s_waitcnt vmcnt(16) lgkmcnt(1)
	v_fma_f64 v[117:118], v[133:134], v[117:118], v[125:126]
	;; [unrolled: 10-line block ×3, first 2 shown]
	s_waitcnt vmcnt(7)
	v_fma_f64 v[117:118], v[139:140], v[119:120], v[117:118]
	ds_read_b64 v[119:120], v116 offset:912
	s_waitcnt vmcnt(6) lgkmcnt(1)
	v_fma_f64 v[117:118], v[137:138], v[121:122], v[117:118]
	s_waitcnt vmcnt(3)
	v_fma_f64 v[117:118], v[141:142], v[123:124], v[117:118]
	s_waitcnt vmcnt(2) lgkmcnt(0)
	v_fma_f64 v[117:118], v[143:144], v[119:120], v[117:118]
	s_waitcnt vmcnt(0)
	v_add_f64 v[117:118], v[147:148], -v[117:118]
	buffer_store_dword v118, off, s[0:3], 0 offset:220
	buffer_store_dword v117, off, s[0:3], 0 offset:216
	v_cmpx_lt_u32_e32 26, v0
	s_cbranch_execz .LBB56_299
; %bb.298:
	s_clause 0x1
	buffer_load_dword v117, off, s[0:3], 0 offset:208
	buffer_load_dword v118, off, s[0:3], 0 offset:212
	buffer_store_dword v116, off, s[0:3], 0 offset:208
	buffer_store_dword v116, off, s[0:3], 0 offset:212
	s_waitcnt vmcnt(0)
	ds_write_b64 v115, v[117:118]
.LBB56_299:
	s_or_b32 exec_lo, exec_lo, s4
	s_waitcnt lgkmcnt(0)
	s_waitcnt_vscnt null, 0x0
	s_barrier
	buffer_gl0_inv
	s_clause 0x1c
	buffer_load_dword v125, off, s[0:3], 0 offset:216
	buffer_load_dword v126, off, s[0:3], 0 offset:220
	buffer_load_dword v127, off, s[0:3], 0 offset:224
	buffer_load_dword v128, off, s[0:3], 0 offset:228
	buffer_load_dword v129, off, s[0:3], 0 offset:232
	buffer_load_dword v130, off, s[0:3], 0 offset:236
	buffer_load_dword v131, off, s[0:3], 0 offset:240
	buffer_load_dword v132, off, s[0:3], 0 offset:244
	buffer_load_dword v133, off, s[0:3], 0 offset:248
	buffer_load_dword v134, off, s[0:3], 0 offset:252
	buffer_load_dword v135, off, s[0:3], 0 offset:256
	buffer_load_dword v136, off, s[0:3], 0 offset:260
	buffer_load_dword v137, off, s[0:3], 0 offset:264
	buffer_load_dword v138, off, s[0:3], 0 offset:268
	buffer_load_dword v140, off, s[0:3], 0 offset:276
	buffer_load_dword v141, off, s[0:3], 0 offset:296
	buffer_load_dword v143, off, s[0:3], 0 offset:288
	buffer_load_dword v145, off, s[0:3], 0 offset:280
	buffer_load_dword v139, off, s[0:3], 0 offset:272
	buffer_load_dword v146, off, s[0:3], 0 offset:284
	buffer_load_dword v144, off, s[0:3], 0 offset:292
	buffer_load_dword v142, off, s[0:3], 0 offset:300
	buffer_load_dword v148, off, s[0:3], 0 offset:308
	buffer_load_dword v149, off, s[0:3], 0 offset:328
	buffer_load_dword v151, off, s[0:3], 0 offset:320
	buffer_load_dword v153, off, s[0:3], 0 offset:312
	buffer_load_dword v147, off, s[0:3], 0 offset:304
	buffer_load_dword v154, off, s[0:3], 0 offset:316
	buffer_load_dword v152, off, s[0:3], 0 offset:324
	ds_read2_b64 v[117:120], v116 offset0:85 offset1:86
	ds_read2_b64 v[121:124], v116 offset0:87 offset1:88
	buffer_load_dword v150, off, s[0:3], 0 offset:332
	s_mov_b32 s4, exec_lo
	s_waitcnt vmcnt(28) lgkmcnt(1)
	v_fma_f64 v[117:118], v[125:126], v[117:118], 0
	s_clause 0x7
	buffer_load_dword v126, off, s[0:3], 0 offset:340
	buffer_load_dword v155, off, s[0:3], 0 offset:360
	buffer_load_dword v157, off, s[0:3], 0 offset:352
	buffer_load_dword v159, off, s[0:3], 0 offset:344
	buffer_load_dword v125, off, s[0:3], 0 offset:336
	buffer_load_dword v160, off, s[0:3], 0 offset:348
	buffer_load_dword v158, off, s[0:3], 0 offset:356
	buffer_load_dword v156, off, s[0:3], 0 offset:364
	s_waitcnt vmcnt(34)
	v_fma_f64 v[117:118], v[127:128], v[119:120], v[117:118]
	s_waitcnt vmcnt(32) lgkmcnt(0)
	v_fma_f64 v[117:118], v[129:130], v[121:122], v[117:118]
	s_waitcnt vmcnt(30)
	v_fma_f64 v[127:128], v[131:132], v[123:124], v[117:118]
	ds_read2_b64 v[117:120], v116 offset0:89 offset1:90
	ds_read2_b64 v[121:124], v116 offset0:91 offset1:92
	s_waitcnt vmcnt(28) lgkmcnt(1)
	v_fma_f64 v[117:118], v[133:134], v[117:118], v[127:128]
	s_clause 0x7
	buffer_load_dword v128, off, s[0:3], 0 offset:372
	buffer_load_dword v129, off, s[0:3], 0 offset:392
	buffer_load_dword v131, off, s[0:3], 0 offset:384
	buffer_load_dword v133, off, s[0:3], 0 offset:376
	buffer_load_dword v127, off, s[0:3], 0 offset:368
	buffer_load_dword v134, off, s[0:3], 0 offset:380
	buffer_load_dword v132, off, s[0:3], 0 offset:388
	buffer_load_dword v130, off, s[0:3], 0 offset:396
	s_waitcnt vmcnt(34)
	v_fma_f64 v[117:118], v[135:136], v[119:120], v[117:118]
	s_waitcnt vmcnt(32) lgkmcnt(0)
	v_fma_f64 v[117:118], v[137:138], v[121:122], v[117:118]
	s_waitcnt vmcnt(27)
	v_fma_f64 v[135:136], v[139:140], v[123:124], v[117:118]
	ds_read2_b64 v[117:120], v116 offset0:93 offset1:94
	ds_read2_b64 v[121:124], v116 offset0:95 offset1:96
	;; [unrolled: 19-line block ×3, first 2 shown]
	s_waitcnt vmcnt(26) lgkmcnt(1)
	v_fma_f64 v[117:118], v[153:154], v[117:118], v[141:142]
	s_clause 0x5
	buffer_load_dword v142, off, s[0:3], 0 offset:436
	buffer_load_dword v143, off, s[0:3], 0 offset:448
	;; [unrolled: 1-line block ×6, first 2 shown]
	s_waitcnt vmcnt(31)
	v_fma_f64 v[117:118], v[151:152], v[119:120], v[117:118]
	s_waitcnt vmcnt(30) lgkmcnt(0)
	v_fma_f64 v[117:118], v[149:150], v[121:122], v[117:118]
	s_waitcnt vmcnt(25)
	v_fma_f64 v[125:126], v[125:126], v[123:124], v[117:118]
	ds_read2_b64 v[117:120], v116 offset0:101 offset1:102
	s_clause 0x1
	buffer_load_dword v149, off, s[0:3], 0 offset:208
	buffer_load_dword v150, off, s[0:3], 0 offset:212
	ds_read2_b64 v[121:124], v116 offset0:103 offset1:104
	s_waitcnt vmcnt(26) lgkmcnt(1)
	v_fma_f64 v[117:118], v[159:160], v[117:118], v[125:126]
	s_waitcnt vmcnt(25)
	v_fma_f64 v[117:118], v[157:158], v[119:120], v[117:118]
	s_waitcnt vmcnt(24) lgkmcnt(0)
	v_fma_f64 v[117:118], v[155:156], v[121:122], v[117:118]
	s_waitcnt vmcnt(19)
	v_fma_f64 v[125:126], v[127:128], v[123:124], v[117:118]
	ds_read2_b64 v[117:120], v116 offset0:105 offset1:106
	ds_read2_b64 v[121:124], v116 offset0:107 offset1:108
	s_waitcnt vmcnt(18) lgkmcnt(1)
	v_fma_f64 v[117:118], v[133:134], v[117:118], v[125:126]
	s_waitcnt vmcnt(17)
	v_fma_f64 v[117:118], v[131:132], v[119:120], v[117:118]
	s_waitcnt vmcnt(16) lgkmcnt(0)
	v_fma_f64 v[117:118], v[129:130], v[121:122], v[117:118]
	s_waitcnt vmcnt(11)
	v_fma_f64 v[125:126], v[135:136], v[123:124], v[117:118]
	ds_read2_b64 v[117:120], v116 offset0:109 offset1:110
	;; [unrolled: 10-line block ×3, first 2 shown]
	s_waitcnt vmcnt(3) lgkmcnt(0)
	v_fma_f64 v[116:117], v[147:148], v[116:117], v[120:121]
	s_waitcnt vmcnt(2)
	v_fma_f64 v[116:117], v[143:144], v[118:119], v[116:117]
	s_waitcnt vmcnt(0)
	v_add_f64 v[116:117], v[149:150], -v[116:117]
	buffer_store_dword v117, off, s[0:3], 0 offset:212
	buffer_store_dword v116, off, s[0:3], 0 offset:208
	v_cmpx_lt_u32_e32 25, v0
	s_cbranch_execz .LBB56_301
; %bb.300:
	s_clause 0x1
	buffer_load_dword v116, off, s[0:3], 0 offset:200
	buffer_load_dword v117, off, s[0:3], 0 offset:204
	v_mov_b32_e32 v118, 0
	buffer_store_dword v118, off, s[0:3], 0 offset:200
	buffer_store_dword v118, off, s[0:3], 0 offset:204
	s_waitcnt vmcnt(0)
	ds_write_b64 v115, v[116:117]
.LBB56_301:
	s_or_b32 exec_lo, exec_lo, s4
	s_waitcnt lgkmcnt(0)
	s_waitcnt_vscnt null, 0x0
	s_barrier
	buffer_gl0_inv
	s_clause 0x1c
	buffer_load_dword v125, off, s[0:3], 0 offset:208
	buffer_load_dword v126, off, s[0:3], 0 offset:212
	;; [unrolled: 1-line block ×29, first 2 shown]
	v_mov_b32_e32 v116, 0
	buffer_load_dword v150, off, s[0:3], 0 offset:324
	s_mov_b32 s4, exec_lo
	ds_read_b128 v[117:120], v116 offset:672
	ds_read_b128 v[121:124], v116 offset:688
	s_waitcnt vmcnt(28) lgkmcnt(1)
	v_fma_f64 v[117:118], v[125:126], v[117:118], 0
	s_clause 0x7
	buffer_load_dword v126, off, s[0:3], 0 offset:332
	buffer_load_dword v155, off, s[0:3], 0 offset:352
	buffer_load_dword v157, off, s[0:3], 0 offset:344
	buffer_load_dword v159, off, s[0:3], 0 offset:336
	buffer_load_dword v125, off, s[0:3], 0 offset:328
	buffer_load_dword v160, off, s[0:3], 0 offset:340
	buffer_load_dword v158, off, s[0:3], 0 offset:348
	buffer_load_dword v156, off, s[0:3], 0 offset:356
	s_waitcnt vmcnt(34)
	v_fma_f64 v[117:118], v[127:128], v[119:120], v[117:118]
	s_waitcnt vmcnt(32) lgkmcnt(0)
	v_fma_f64 v[117:118], v[129:130], v[121:122], v[117:118]
	s_waitcnt vmcnt(30)
	v_fma_f64 v[127:128], v[131:132], v[123:124], v[117:118]
	ds_read_b128 v[117:120], v116 offset:704
	ds_read_b128 v[121:124], v116 offset:720
	s_waitcnt vmcnt(28) lgkmcnt(1)
	v_fma_f64 v[117:118], v[133:134], v[117:118], v[127:128]
	s_clause 0x7
	buffer_load_dword v128, off, s[0:3], 0 offset:364
	buffer_load_dword v129, off, s[0:3], 0 offset:384
	buffer_load_dword v131, off, s[0:3], 0 offset:376
	buffer_load_dword v133, off, s[0:3], 0 offset:368
	buffer_load_dword v127, off, s[0:3], 0 offset:360
	buffer_load_dword v134, off, s[0:3], 0 offset:372
	buffer_load_dword v132, off, s[0:3], 0 offset:380
	buffer_load_dword v130, off, s[0:3], 0 offset:388
	s_waitcnt vmcnt(34)
	v_fma_f64 v[117:118], v[135:136], v[119:120], v[117:118]
	s_waitcnt vmcnt(32) lgkmcnt(0)
	v_fma_f64 v[117:118], v[137:138], v[121:122], v[117:118]
	s_waitcnt vmcnt(27)
	v_fma_f64 v[135:136], v[139:140], v[123:124], v[117:118]
	;; [unrolled: 19-line block ×4, first 2 shown]
	ds_read_b128 v[117:120], v116 offset:800
	ds_read_b128 v[121:124], v116 offset:816
	s_waitcnt vmcnt(26) lgkmcnt(1)
	v_fma_f64 v[117:118], v[159:160], v[117:118], v[125:126]
	s_clause 0x1
	buffer_load_dword v125, off, s[0:3], 0 offset:200
	buffer_load_dword v126, off, s[0:3], 0 offset:204
	s_waitcnt vmcnt(27)
	v_fma_f64 v[117:118], v[157:158], v[119:120], v[117:118]
	s_waitcnt vmcnt(26) lgkmcnt(0)
	v_fma_f64 v[117:118], v[155:156], v[121:122], v[117:118]
	s_waitcnt vmcnt(21)
	v_fma_f64 v[127:128], v[127:128], v[123:124], v[117:118]
	ds_read_b128 v[117:120], v116 offset:832
	ds_read_b128 v[121:124], v116 offset:848
	s_waitcnt vmcnt(20) lgkmcnt(1)
	v_fma_f64 v[117:118], v[133:134], v[117:118], v[127:128]
	s_waitcnt vmcnt(19)
	v_fma_f64 v[117:118], v[131:132], v[119:120], v[117:118]
	s_waitcnt vmcnt(18) lgkmcnt(0)
	v_fma_f64 v[117:118], v[129:130], v[121:122], v[117:118]
	s_waitcnt vmcnt(13)
	v_fma_f64 v[127:128], v[135:136], v[123:124], v[117:118]
	ds_read_b128 v[117:120], v116 offset:864
	ds_read_b128 v[121:124], v116 offset:880
	s_waitcnt vmcnt(12) lgkmcnt(1)
	v_fma_f64 v[117:118], v[145:146], v[117:118], v[127:128]
	s_waitcnt vmcnt(11)
	v_fma_f64 v[117:118], v[139:140], v[119:120], v[117:118]
	s_waitcnt vmcnt(10) lgkmcnt(0)
	v_fma_f64 v[117:118], v[137:138], v[121:122], v[117:118]
	s_waitcnt vmcnt(5)
	v_fma_f64 v[121:122], v[141:142], v[123:124], v[117:118]
	ds_read_b128 v[117:120], v116 offset:896
	ds_read_b64 v[123:124], v116 offset:912
	s_waitcnt vmcnt(4) lgkmcnt(1)
	v_fma_f64 v[117:118], v[153:154], v[117:118], v[121:122]
	s_waitcnt vmcnt(3)
	v_fma_f64 v[117:118], v[147:148], v[119:120], v[117:118]
	s_waitcnt vmcnt(2) lgkmcnt(0)
	v_fma_f64 v[117:118], v[143:144], v[123:124], v[117:118]
	s_waitcnt vmcnt(0)
	v_add_f64 v[117:118], v[125:126], -v[117:118]
	buffer_store_dword v118, off, s[0:3], 0 offset:204
	buffer_store_dword v117, off, s[0:3], 0 offset:200
	v_cmpx_lt_u32_e32 24, v0
	s_cbranch_execz .LBB56_303
; %bb.302:
	s_clause 0x1
	buffer_load_dword v117, off, s[0:3], 0 offset:192
	buffer_load_dword v118, off, s[0:3], 0 offset:196
	buffer_store_dword v116, off, s[0:3], 0 offset:192
	buffer_store_dword v116, off, s[0:3], 0 offset:196
	s_waitcnt vmcnt(0)
	ds_write_b64 v115, v[117:118]
.LBB56_303:
	s_or_b32 exec_lo, exec_lo, s4
	s_waitcnt lgkmcnt(0)
	s_waitcnt_vscnt null, 0x0
	s_barrier
	buffer_gl0_inv
	s_clause 0x1c
	buffer_load_dword v125, off, s[0:3], 0 offset:200
	buffer_load_dword v126, off, s[0:3], 0 offset:204
	;; [unrolled: 1-line block ×29, first 2 shown]
	ds_read2_b64 v[117:120], v116 offset0:83 offset1:84
	ds_read2_b64 v[121:124], v116 offset0:85 offset1:86
	buffer_load_dword v150, off, s[0:3], 0 offset:316
	s_mov_b32 s4, exec_lo
	s_waitcnt vmcnt(28) lgkmcnt(1)
	v_fma_f64 v[117:118], v[125:126], v[117:118], 0
	s_clause 0x7
	buffer_load_dword v126, off, s[0:3], 0 offset:324
	buffer_load_dword v155, off, s[0:3], 0 offset:344
	buffer_load_dword v157, off, s[0:3], 0 offset:336
	buffer_load_dword v159, off, s[0:3], 0 offset:328
	buffer_load_dword v125, off, s[0:3], 0 offset:320
	buffer_load_dword v160, off, s[0:3], 0 offset:332
	buffer_load_dword v158, off, s[0:3], 0 offset:340
	buffer_load_dword v156, off, s[0:3], 0 offset:348
	s_waitcnt vmcnt(34)
	v_fma_f64 v[117:118], v[127:128], v[119:120], v[117:118]
	s_waitcnt vmcnt(32) lgkmcnt(0)
	v_fma_f64 v[117:118], v[129:130], v[121:122], v[117:118]
	s_waitcnt vmcnt(30)
	v_fma_f64 v[127:128], v[131:132], v[123:124], v[117:118]
	ds_read2_b64 v[117:120], v116 offset0:87 offset1:88
	ds_read2_b64 v[121:124], v116 offset0:89 offset1:90
	s_waitcnt vmcnt(28) lgkmcnt(1)
	v_fma_f64 v[117:118], v[133:134], v[117:118], v[127:128]
	s_clause 0x7
	buffer_load_dword v128, off, s[0:3], 0 offset:356
	buffer_load_dword v129, off, s[0:3], 0 offset:376
	buffer_load_dword v131, off, s[0:3], 0 offset:368
	buffer_load_dword v133, off, s[0:3], 0 offset:360
	buffer_load_dword v127, off, s[0:3], 0 offset:352
	buffer_load_dword v134, off, s[0:3], 0 offset:364
	buffer_load_dword v132, off, s[0:3], 0 offset:372
	buffer_load_dword v130, off, s[0:3], 0 offset:380
	s_waitcnt vmcnt(34)
	v_fma_f64 v[117:118], v[135:136], v[119:120], v[117:118]
	s_waitcnt vmcnt(32) lgkmcnt(0)
	v_fma_f64 v[117:118], v[137:138], v[121:122], v[117:118]
	s_waitcnt vmcnt(27)
	v_fma_f64 v[135:136], v[139:140], v[123:124], v[117:118]
	ds_read2_b64 v[117:120], v116 offset0:91 offset1:92
	ds_read2_b64 v[121:124], v116 offset0:93 offset1:94
	;; [unrolled: 19-line block ×4, first 2 shown]
	s_waitcnt vmcnt(26) lgkmcnt(1)
	v_fma_f64 v[117:118], v[159:160], v[117:118], v[125:126]
	s_clause 0x3
	buffer_load_dword v126, off, s[0:3], 0 offset:452
	buffer_load_dword v125, off, s[0:3], 0 offset:448
	;; [unrolled: 1-line block ×4, first 2 shown]
	s_waitcnt vmcnt(29)
	v_fma_f64 v[117:118], v[157:158], v[119:120], v[117:118]
	s_waitcnt vmcnt(28) lgkmcnt(0)
	v_fma_f64 v[117:118], v[155:156], v[121:122], v[117:118]
	s_waitcnt vmcnt(23)
	v_fma_f64 v[127:128], v[127:128], v[123:124], v[117:118]
	ds_read2_b64 v[117:120], v116 offset0:103 offset1:104
	ds_read2_b64 v[121:124], v116 offset0:105 offset1:106
	s_waitcnt vmcnt(22) lgkmcnt(1)
	v_fma_f64 v[117:118], v[133:134], v[117:118], v[127:128]
	s_waitcnt vmcnt(21)
	v_fma_f64 v[117:118], v[131:132], v[119:120], v[117:118]
	s_waitcnt vmcnt(20) lgkmcnt(0)
	v_fma_f64 v[117:118], v[129:130], v[121:122], v[117:118]
	s_waitcnt vmcnt(15)
	v_fma_f64 v[127:128], v[135:136], v[123:124], v[117:118]
	ds_read2_b64 v[117:120], v116 offset0:107 offset1:108
	ds_read2_b64 v[121:124], v116 offset0:109 offset1:110
	s_waitcnt vmcnt(14) lgkmcnt(1)
	v_fma_f64 v[117:118], v[145:146], v[117:118], v[127:128]
	;; [unrolled: 10-line block ×3, first 2 shown]
	s_waitcnt vmcnt(5)
	v_fma_f64 v[116:117], v[147:148], v[119:120], v[116:117]
	s_waitcnt vmcnt(4) lgkmcnt(0)
	v_fma_f64 v[116:117], v[143:144], v[121:122], v[116:117]
	s_waitcnt vmcnt(2)
	v_fma_f64 v[116:117], v[125:126], v[123:124], v[116:117]
	s_waitcnt vmcnt(0)
	v_add_f64 v[116:117], v[149:150], -v[116:117]
	buffer_store_dword v117, off, s[0:3], 0 offset:196
	buffer_store_dword v116, off, s[0:3], 0 offset:192
	v_cmpx_lt_u32_e32 23, v0
	s_cbranch_execz .LBB56_305
; %bb.304:
	s_clause 0x1
	buffer_load_dword v116, off, s[0:3], 0 offset:184
	buffer_load_dword v117, off, s[0:3], 0 offset:188
	v_mov_b32_e32 v118, 0
	buffer_store_dword v118, off, s[0:3], 0 offset:184
	buffer_store_dword v118, off, s[0:3], 0 offset:188
	s_waitcnt vmcnt(0)
	ds_write_b64 v115, v[116:117]
.LBB56_305:
	s_or_b32 exec_lo, exec_lo, s4
	s_waitcnt lgkmcnt(0)
	s_waitcnt_vscnt null, 0x0
	s_barrier
	buffer_gl0_inv
	s_clause 0x1c
	buffer_load_dword v125, off, s[0:3], 0 offset:192
	buffer_load_dword v126, off, s[0:3], 0 offset:196
	;; [unrolled: 1-line block ×29, first 2 shown]
	v_mov_b32_e32 v116, 0
	buffer_load_dword v150, off, s[0:3], 0 offset:308
	s_mov_b32 s4, exec_lo
	ds_read_b128 v[117:120], v116 offset:656
	ds_read_b128 v[121:124], v116 offset:672
	s_waitcnt vmcnt(28) lgkmcnt(1)
	v_fma_f64 v[117:118], v[125:126], v[117:118], 0
	s_clause 0x7
	buffer_load_dword v126, off, s[0:3], 0 offset:316
	buffer_load_dword v155, off, s[0:3], 0 offset:336
	buffer_load_dword v157, off, s[0:3], 0 offset:328
	buffer_load_dword v159, off, s[0:3], 0 offset:320
	buffer_load_dword v125, off, s[0:3], 0 offset:312
	buffer_load_dword v160, off, s[0:3], 0 offset:324
	buffer_load_dword v158, off, s[0:3], 0 offset:332
	buffer_load_dword v156, off, s[0:3], 0 offset:340
	s_waitcnt vmcnt(34)
	v_fma_f64 v[117:118], v[127:128], v[119:120], v[117:118]
	s_waitcnt vmcnt(32) lgkmcnt(0)
	v_fma_f64 v[117:118], v[129:130], v[121:122], v[117:118]
	s_waitcnt vmcnt(30)
	v_fma_f64 v[127:128], v[131:132], v[123:124], v[117:118]
	ds_read_b128 v[117:120], v116 offset:688
	ds_read_b128 v[121:124], v116 offset:704
	s_waitcnt vmcnt(28) lgkmcnt(1)
	v_fma_f64 v[117:118], v[133:134], v[117:118], v[127:128]
	s_clause 0x7
	buffer_load_dword v128, off, s[0:3], 0 offset:348
	buffer_load_dword v129, off, s[0:3], 0 offset:368
	buffer_load_dword v131, off, s[0:3], 0 offset:360
	buffer_load_dword v133, off, s[0:3], 0 offset:352
	buffer_load_dword v127, off, s[0:3], 0 offset:344
	buffer_load_dword v134, off, s[0:3], 0 offset:356
	buffer_load_dword v132, off, s[0:3], 0 offset:364
	buffer_load_dword v130, off, s[0:3], 0 offset:372
	s_waitcnt vmcnt(34)
	v_fma_f64 v[117:118], v[135:136], v[119:120], v[117:118]
	s_waitcnt vmcnt(32) lgkmcnt(0)
	v_fma_f64 v[117:118], v[137:138], v[121:122], v[117:118]
	s_waitcnt vmcnt(27)
	v_fma_f64 v[135:136], v[139:140], v[123:124], v[117:118]
	;; [unrolled: 19-line block ×4, first 2 shown]
	ds_read_b128 v[117:120], v116 offset:784
	ds_read_b128 v[121:124], v116 offset:800
	s_waitcnt vmcnt(26) lgkmcnt(1)
	v_fma_f64 v[117:118], v[159:160], v[117:118], v[125:126]
	s_clause 0x5
	buffer_load_dword v126, off, s[0:3], 0 offset:444
	buffer_load_dword v149, off, s[0:3], 0 offset:448
	;; [unrolled: 1-line block ×6, first 2 shown]
	s_waitcnt vmcnt(31)
	v_fma_f64 v[117:118], v[157:158], v[119:120], v[117:118]
	s_waitcnt vmcnt(30) lgkmcnt(0)
	v_fma_f64 v[117:118], v[155:156], v[121:122], v[117:118]
	s_waitcnt vmcnt(25)
	v_fma_f64 v[127:128], v[127:128], v[123:124], v[117:118]
	ds_read_b128 v[117:120], v116 offset:816
	ds_read_b128 v[121:124], v116 offset:832
	s_waitcnt vmcnt(24) lgkmcnt(1)
	v_fma_f64 v[117:118], v[133:134], v[117:118], v[127:128]
	s_waitcnt vmcnt(23)
	v_fma_f64 v[117:118], v[131:132], v[119:120], v[117:118]
	s_waitcnt vmcnt(22) lgkmcnt(0)
	v_fma_f64 v[117:118], v[129:130], v[121:122], v[117:118]
	s_waitcnt vmcnt(17)
	v_fma_f64 v[127:128], v[135:136], v[123:124], v[117:118]
	ds_read_b128 v[117:120], v116 offset:848
	ds_read_b128 v[121:124], v116 offset:864
	s_waitcnt vmcnt(16) lgkmcnt(1)
	v_fma_f64 v[117:118], v[145:146], v[117:118], v[127:128]
	;; [unrolled: 10-line block ×3, first 2 shown]
	s_waitcnt vmcnt(7)
	v_fma_f64 v[117:118], v[147:148], v[119:120], v[117:118]
	ds_read_b64 v[119:120], v116 offset:912
	s_waitcnt vmcnt(6) lgkmcnt(1)
	v_fma_f64 v[117:118], v[143:144], v[121:122], v[117:118]
	s_waitcnt vmcnt(3)
	v_fma_f64 v[117:118], v[125:126], v[123:124], v[117:118]
	s_waitcnt vmcnt(2) lgkmcnt(0)
	v_fma_f64 v[117:118], v[149:150], v[119:120], v[117:118]
	s_waitcnt vmcnt(0)
	v_add_f64 v[117:118], v[151:152], -v[117:118]
	buffer_store_dword v118, off, s[0:3], 0 offset:188
	buffer_store_dword v117, off, s[0:3], 0 offset:184
	v_cmpx_lt_u32_e32 22, v0
	s_cbranch_execz .LBB56_307
; %bb.306:
	s_clause 0x1
	buffer_load_dword v117, off, s[0:3], 0 offset:176
	buffer_load_dword v118, off, s[0:3], 0 offset:180
	buffer_store_dword v116, off, s[0:3], 0 offset:176
	buffer_store_dword v116, off, s[0:3], 0 offset:180
	s_waitcnt vmcnt(0)
	ds_write_b64 v115, v[117:118]
.LBB56_307:
	s_or_b32 exec_lo, exec_lo, s4
	s_waitcnt lgkmcnt(0)
	s_waitcnt_vscnt null, 0x0
	s_barrier
	buffer_gl0_inv
	s_clause 0x1c
	buffer_load_dword v125, off, s[0:3], 0 offset:184
	buffer_load_dword v126, off, s[0:3], 0 offset:188
	;; [unrolled: 1-line block ×29, first 2 shown]
	ds_read2_b64 v[117:120], v116 offset0:81 offset1:82
	ds_read2_b64 v[121:124], v116 offset0:83 offset1:84
	buffer_load_dword v150, off, s[0:3], 0 offset:300
	s_mov_b32 s4, exec_lo
	s_waitcnt vmcnt(28) lgkmcnt(1)
	v_fma_f64 v[117:118], v[125:126], v[117:118], 0
	s_clause 0x7
	buffer_load_dword v126, off, s[0:3], 0 offset:308
	buffer_load_dword v155, off, s[0:3], 0 offset:328
	buffer_load_dword v157, off, s[0:3], 0 offset:320
	buffer_load_dword v159, off, s[0:3], 0 offset:312
	buffer_load_dword v125, off, s[0:3], 0 offset:304
	buffer_load_dword v160, off, s[0:3], 0 offset:316
	buffer_load_dword v158, off, s[0:3], 0 offset:324
	buffer_load_dword v156, off, s[0:3], 0 offset:332
	s_waitcnt vmcnt(34)
	v_fma_f64 v[117:118], v[127:128], v[119:120], v[117:118]
	s_waitcnt vmcnt(32) lgkmcnt(0)
	v_fma_f64 v[117:118], v[129:130], v[121:122], v[117:118]
	s_waitcnt vmcnt(30)
	v_fma_f64 v[127:128], v[131:132], v[123:124], v[117:118]
	ds_read2_b64 v[117:120], v116 offset0:85 offset1:86
	ds_read2_b64 v[121:124], v116 offset0:87 offset1:88
	s_waitcnt vmcnt(28) lgkmcnt(1)
	v_fma_f64 v[117:118], v[133:134], v[117:118], v[127:128]
	s_clause 0x7
	buffer_load_dword v128, off, s[0:3], 0 offset:340
	buffer_load_dword v129, off, s[0:3], 0 offset:360
	buffer_load_dword v131, off, s[0:3], 0 offset:352
	buffer_load_dword v133, off, s[0:3], 0 offset:344
	buffer_load_dword v127, off, s[0:3], 0 offset:336
	buffer_load_dword v134, off, s[0:3], 0 offset:348
	buffer_load_dword v132, off, s[0:3], 0 offset:356
	buffer_load_dword v130, off, s[0:3], 0 offset:364
	s_waitcnt vmcnt(34)
	v_fma_f64 v[117:118], v[135:136], v[119:120], v[117:118]
	s_waitcnt vmcnt(32) lgkmcnt(0)
	v_fma_f64 v[117:118], v[137:138], v[121:122], v[117:118]
	s_waitcnt vmcnt(27)
	v_fma_f64 v[135:136], v[139:140], v[123:124], v[117:118]
	ds_read2_b64 v[117:120], v116 offset0:89 offset1:90
	ds_read2_b64 v[121:124], v116 offset0:91 offset1:92
	;; [unrolled: 19-line block ×4, first 2 shown]
	s_waitcnt vmcnt(26) lgkmcnt(1)
	v_fma_f64 v[117:118], v[159:160], v[117:118], v[125:126]
	s_clause 0x5
	buffer_load_dword v126, off, s[0:3], 0 offset:436
	buffer_load_dword v149, off, s[0:3], 0 offset:448
	buffer_load_dword v151, off, s[0:3], 0 offset:440
	buffer_load_dword v125, off, s[0:3], 0 offset:432
	buffer_load_dword v152, off, s[0:3], 0 offset:444
	buffer_load_dword v150, off, s[0:3], 0 offset:452
	s_waitcnt vmcnt(31)
	v_fma_f64 v[117:118], v[157:158], v[119:120], v[117:118]
	s_waitcnt vmcnt(30) lgkmcnt(0)
	v_fma_f64 v[117:118], v[155:156], v[121:122], v[117:118]
	s_waitcnt vmcnt(25)
	v_fma_f64 v[127:128], v[127:128], v[123:124], v[117:118]
	ds_read2_b64 v[117:120], v116 offset0:101 offset1:102
	s_clause 0x1
	buffer_load_dword v155, off, s[0:3], 0 offset:176
	buffer_load_dword v156, off, s[0:3], 0 offset:180
	ds_read2_b64 v[121:124], v116 offset0:103 offset1:104
	s_waitcnt vmcnt(26) lgkmcnt(1)
	v_fma_f64 v[117:118], v[133:134], v[117:118], v[127:128]
	s_waitcnt vmcnt(25)
	v_fma_f64 v[117:118], v[131:132], v[119:120], v[117:118]
	s_waitcnt vmcnt(24) lgkmcnt(0)
	v_fma_f64 v[117:118], v[129:130], v[121:122], v[117:118]
	s_waitcnt vmcnt(19)
	v_fma_f64 v[127:128], v[135:136], v[123:124], v[117:118]
	ds_read2_b64 v[117:120], v116 offset0:105 offset1:106
	ds_read2_b64 v[121:124], v116 offset0:107 offset1:108
	s_waitcnt vmcnt(18) lgkmcnt(1)
	v_fma_f64 v[117:118], v[145:146], v[117:118], v[127:128]
	s_waitcnt vmcnt(17)
	v_fma_f64 v[117:118], v[139:140], v[119:120], v[117:118]
	s_waitcnt vmcnt(16) lgkmcnt(0)
	v_fma_f64 v[117:118], v[137:138], v[121:122], v[117:118]
	s_waitcnt vmcnt(11)
	v_fma_f64 v[127:128], v[141:142], v[123:124], v[117:118]
	ds_read2_b64 v[117:120], v116 offset0:109 offset1:110
	ds_read2_b64 v[121:124], v116 offset0:111 offset1:112
	s_waitcnt vmcnt(10) lgkmcnt(1)
	v_fma_f64 v[117:118], v[153:154], v[117:118], v[127:128]
	s_waitcnt vmcnt(9)
	v_fma_f64 v[117:118], v[147:148], v[119:120], v[117:118]
	s_waitcnt vmcnt(8) lgkmcnt(0)
	v_fma_f64 v[117:118], v[143:144], v[121:122], v[117:118]
	s_waitcnt vmcnt(4)
	v_fma_f64 v[120:121], v[125:126], v[123:124], v[117:118]
	ds_read2_b64 v[116:119], v116 offset0:113 offset1:114
	s_waitcnt vmcnt(3) lgkmcnt(0)
	v_fma_f64 v[116:117], v[151:152], v[116:117], v[120:121]
	s_waitcnt vmcnt(2)
	v_fma_f64 v[116:117], v[149:150], v[118:119], v[116:117]
	s_waitcnt vmcnt(0)
	v_add_f64 v[116:117], v[155:156], -v[116:117]
	buffer_store_dword v117, off, s[0:3], 0 offset:180
	buffer_store_dword v116, off, s[0:3], 0 offset:176
	v_cmpx_lt_u32_e32 21, v0
	s_cbranch_execz .LBB56_309
; %bb.308:
	s_clause 0x1
	buffer_load_dword v116, off, s[0:3], 0 offset:168
	buffer_load_dword v117, off, s[0:3], 0 offset:172
	v_mov_b32_e32 v118, 0
	buffer_store_dword v118, off, s[0:3], 0 offset:168
	buffer_store_dword v118, off, s[0:3], 0 offset:172
	s_waitcnt vmcnt(0)
	ds_write_b64 v115, v[116:117]
.LBB56_309:
	s_or_b32 exec_lo, exec_lo, s4
	s_waitcnt lgkmcnt(0)
	s_waitcnt_vscnt null, 0x0
	s_barrier
	buffer_gl0_inv
	s_clause 0x1c
	buffer_load_dword v125, off, s[0:3], 0 offset:176
	buffer_load_dword v126, off, s[0:3], 0 offset:180
	;; [unrolled: 1-line block ×29, first 2 shown]
	v_mov_b32_e32 v116, 0
	buffer_load_dword v150, off, s[0:3], 0 offset:292
	s_mov_b32 s4, exec_lo
	ds_read_b128 v[117:120], v116 offset:640
	ds_read_b128 v[121:124], v116 offset:656
	s_waitcnt vmcnt(28) lgkmcnt(1)
	v_fma_f64 v[117:118], v[125:126], v[117:118], 0
	s_clause 0x7
	buffer_load_dword v126, off, s[0:3], 0 offset:300
	buffer_load_dword v155, off, s[0:3], 0 offset:320
	buffer_load_dword v157, off, s[0:3], 0 offset:312
	buffer_load_dword v159, off, s[0:3], 0 offset:304
	buffer_load_dword v125, off, s[0:3], 0 offset:296
	buffer_load_dword v160, off, s[0:3], 0 offset:308
	buffer_load_dword v158, off, s[0:3], 0 offset:316
	buffer_load_dword v156, off, s[0:3], 0 offset:324
	s_waitcnt vmcnt(34)
	v_fma_f64 v[117:118], v[127:128], v[119:120], v[117:118]
	s_waitcnt vmcnt(32) lgkmcnt(0)
	v_fma_f64 v[117:118], v[129:130], v[121:122], v[117:118]
	s_waitcnt vmcnt(30)
	v_fma_f64 v[127:128], v[131:132], v[123:124], v[117:118]
	ds_read_b128 v[117:120], v116 offset:672
	ds_read_b128 v[121:124], v116 offset:688
	s_waitcnt vmcnt(28) lgkmcnt(1)
	v_fma_f64 v[117:118], v[133:134], v[117:118], v[127:128]
	s_clause 0x7
	buffer_load_dword v128, off, s[0:3], 0 offset:332
	buffer_load_dword v129, off, s[0:3], 0 offset:352
	buffer_load_dword v131, off, s[0:3], 0 offset:344
	buffer_load_dword v133, off, s[0:3], 0 offset:336
	buffer_load_dword v127, off, s[0:3], 0 offset:328
	buffer_load_dword v134, off, s[0:3], 0 offset:340
	buffer_load_dword v132, off, s[0:3], 0 offset:348
	buffer_load_dword v130, off, s[0:3], 0 offset:356
	s_waitcnt vmcnt(34)
	v_fma_f64 v[117:118], v[135:136], v[119:120], v[117:118]
	s_waitcnt vmcnt(32) lgkmcnt(0)
	v_fma_f64 v[117:118], v[137:138], v[121:122], v[117:118]
	s_waitcnt vmcnt(27)
	v_fma_f64 v[135:136], v[139:140], v[123:124], v[117:118]
	;; [unrolled: 19-line block ×5, first 2 shown]
	ds_read_b128 v[117:120], v116 offset:800
	ds_read_b128 v[121:124], v116 offset:816
	s_waitcnt vmcnt(26) lgkmcnt(1)
	v_fma_f64 v[117:118], v[133:134], v[117:118], v[127:128]
	s_clause 0x1
	buffer_load_dword v127, off, s[0:3], 0 offset:168
	buffer_load_dword v128, off, s[0:3], 0 offset:172
	s_waitcnt vmcnt(27)
	v_fma_f64 v[117:118], v[131:132], v[119:120], v[117:118]
	s_waitcnt vmcnt(26) lgkmcnt(0)
	v_fma_f64 v[117:118], v[129:130], v[121:122], v[117:118]
	s_waitcnt vmcnt(21)
	v_fma_f64 v[129:130], v[135:136], v[123:124], v[117:118]
	ds_read_b128 v[117:120], v116 offset:832
	ds_read_b128 v[121:124], v116 offset:848
	s_waitcnt vmcnt(20) lgkmcnt(1)
	v_fma_f64 v[117:118], v[145:146], v[117:118], v[129:130]
	s_waitcnt vmcnt(19)
	v_fma_f64 v[117:118], v[139:140], v[119:120], v[117:118]
	s_waitcnt vmcnt(18) lgkmcnt(0)
	v_fma_f64 v[117:118], v[137:138], v[121:122], v[117:118]
	s_waitcnt vmcnt(13)
	v_fma_f64 v[129:130], v[141:142], v[123:124], v[117:118]
	ds_read_b128 v[117:120], v116 offset:864
	ds_read_b128 v[121:124], v116 offset:880
	s_waitcnt vmcnt(12) lgkmcnt(1)
	v_fma_f64 v[117:118], v[153:154], v[117:118], v[129:130]
	s_waitcnt vmcnt(11)
	v_fma_f64 v[117:118], v[147:148], v[119:120], v[117:118]
	s_waitcnt vmcnt(10) lgkmcnt(0)
	v_fma_f64 v[117:118], v[143:144], v[121:122], v[117:118]
	s_waitcnt vmcnt(5)
	v_fma_f64 v[121:122], v[125:126], v[123:124], v[117:118]
	ds_read_b128 v[117:120], v116 offset:896
	ds_read_b64 v[123:124], v116 offset:912
	s_waitcnt vmcnt(4) lgkmcnt(1)
	v_fma_f64 v[117:118], v[159:160], v[117:118], v[121:122]
	s_waitcnt vmcnt(3)
	v_fma_f64 v[117:118], v[151:152], v[119:120], v[117:118]
	s_waitcnt vmcnt(2) lgkmcnt(0)
	v_fma_f64 v[117:118], v[149:150], v[123:124], v[117:118]
	s_waitcnt vmcnt(0)
	v_add_f64 v[117:118], v[127:128], -v[117:118]
	buffer_store_dword v118, off, s[0:3], 0 offset:172
	buffer_store_dword v117, off, s[0:3], 0 offset:168
	v_cmpx_lt_u32_e32 20, v0
	s_cbranch_execz .LBB56_311
; %bb.310:
	s_clause 0x1
	buffer_load_dword v117, off, s[0:3], 0 offset:160
	buffer_load_dword v118, off, s[0:3], 0 offset:164
	buffer_store_dword v116, off, s[0:3], 0 offset:160
	buffer_store_dword v116, off, s[0:3], 0 offset:164
	s_waitcnt vmcnt(0)
	ds_write_b64 v115, v[117:118]
.LBB56_311:
	s_or_b32 exec_lo, exec_lo, s4
	s_waitcnt lgkmcnt(0)
	s_waitcnt_vscnt null, 0x0
	s_barrier
	buffer_gl0_inv
	s_clause 0x1c
	buffer_load_dword v125, off, s[0:3], 0 offset:168
	buffer_load_dword v126, off, s[0:3], 0 offset:172
	;; [unrolled: 1-line block ×29, first 2 shown]
	ds_read2_b64 v[117:120], v116 offset0:79 offset1:80
	ds_read2_b64 v[121:124], v116 offset0:81 offset1:82
	buffer_load_dword v150, off, s[0:3], 0 offset:284
	s_mov_b32 s4, exec_lo
	s_waitcnt vmcnt(28) lgkmcnt(1)
	v_fma_f64 v[117:118], v[125:126], v[117:118], 0
	s_clause 0x7
	buffer_load_dword v126, off, s[0:3], 0 offset:292
	buffer_load_dword v155, off, s[0:3], 0 offset:312
	buffer_load_dword v157, off, s[0:3], 0 offset:304
	buffer_load_dword v159, off, s[0:3], 0 offset:296
	buffer_load_dword v125, off, s[0:3], 0 offset:288
	buffer_load_dword v160, off, s[0:3], 0 offset:300
	buffer_load_dword v158, off, s[0:3], 0 offset:308
	buffer_load_dword v156, off, s[0:3], 0 offset:316
	s_waitcnt vmcnt(34)
	v_fma_f64 v[117:118], v[127:128], v[119:120], v[117:118]
	s_waitcnt vmcnt(32) lgkmcnt(0)
	v_fma_f64 v[117:118], v[129:130], v[121:122], v[117:118]
	s_waitcnt vmcnt(30)
	v_fma_f64 v[127:128], v[131:132], v[123:124], v[117:118]
	ds_read2_b64 v[117:120], v116 offset0:83 offset1:84
	ds_read2_b64 v[121:124], v116 offset0:85 offset1:86
	s_waitcnt vmcnt(28) lgkmcnt(1)
	v_fma_f64 v[117:118], v[133:134], v[117:118], v[127:128]
	s_clause 0x7
	buffer_load_dword v128, off, s[0:3], 0 offset:324
	buffer_load_dword v129, off, s[0:3], 0 offset:344
	buffer_load_dword v131, off, s[0:3], 0 offset:336
	buffer_load_dword v133, off, s[0:3], 0 offset:328
	buffer_load_dword v127, off, s[0:3], 0 offset:320
	buffer_load_dword v134, off, s[0:3], 0 offset:332
	buffer_load_dword v132, off, s[0:3], 0 offset:340
	buffer_load_dword v130, off, s[0:3], 0 offset:348
	s_waitcnt vmcnt(34)
	v_fma_f64 v[117:118], v[135:136], v[119:120], v[117:118]
	s_waitcnt vmcnt(32) lgkmcnt(0)
	v_fma_f64 v[117:118], v[137:138], v[121:122], v[117:118]
	s_waitcnt vmcnt(27)
	v_fma_f64 v[135:136], v[139:140], v[123:124], v[117:118]
	ds_read2_b64 v[117:120], v116 offset0:87 offset1:88
	ds_read2_b64 v[121:124], v116 offset0:89 offset1:90
	;; [unrolled: 19-line block ×5, first 2 shown]
	s_waitcnt vmcnt(26) lgkmcnt(1)
	v_fma_f64 v[117:118], v[133:134], v[117:118], v[127:128]
	s_clause 0x1
	buffer_load_dword v128, off, s[0:3], 0 offset:452
	buffer_load_dword v127, off, s[0:3], 0 offset:448
	s_waitcnt vmcnt(27)
	v_fma_f64 v[117:118], v[131:132], v[119:120], v[117:118]
	s_clause 0x1
	buffer_load_dword v131, off, s[0:3], 0 offset:160
	buffer_load_dword v132, off, s[0:3], 0 offset:164
	s_waitcnt vmcnt(28) lgkmcnt(0)
	v_fma_f64 v[117:118], v[129:130], v[121:122], v[117:118]
	s_waitcnt vmcnt(23)
	v_fma_f64 v[129:130], v[135:136], v[123:124], v[117:118]
	ds_read2_b64 v[117:120], v116 offset0:103 offset1:104
	ds_read2_b64 v[121:124], v116 offset0:105 offset1:106
	s_waitcnt vmcnt(22) lgkmcnt(1)
	v_fma_f64 v[117:118], v[145:146], v[117:118], v[129:130]
	s_waitcnt vmcnt(21)
	v_fma_f64 v[117:118], v[139:140], v[119:120], v[117:118]
	s_waitcnt vmcnt(20) lgkmcnt(0)
	v_fma_f64 v[117:118], v[137:138], v[121:122], v[117:118]
	s_waitcnt vmcnt(15)
	v_fma_f64 v[129:130], v[141:142], v[123:124], v[117:118]
	ds_read2_b64 v[117:120], v116 offset0:107 offset1:108
	ds_read2_b64 v[121:124], v116 offset0:109 offset1:110
	s_waitcnt vmcnt(14) lgkmcnt(1)
	v_fma_f64 v[117:118], v[153:154], v[117:118], v[129:130]
	s_waitcnt vmcnt(13)
	v_fma_f64 v[117:118], v[147:148], v[119:120], v[117:118]
	;; [unrolled: 10-line block ×3, first 2 shown]
	s_waitcnt vmcnt(4) lgkmcnt(0)
	v_fma_f64 v[116:117], v[149:150], v[121:122], v[116:117]
	s_waitcnt vmcnt(2)
	v_fma_f64 v[116:117], v[127:128], v[123:124], v[116:117]
	s_waitcnt vmcnt(0)
	v_add_f64 v[116:117], v[131:132], -v[116:117]
	buffer_store_dword v117, off, s[0:3], 0 offset:164
	buffer_store_dword v116, off, s[0:3], 0 offset:160
	v_cmpx_lt_u32_e32 19, v0
	s_cbranch_execz .LBB56_313
; %bb.312:
	s_clause 0x1
	buffer_load_dword v116, off, s[0:3], 0 offset:152
	buffer_load_dword v117, off, s[0:3], 0 offset:156
	v_mov_b32_e32 v118, 0
	buffer_store_dword v118, off, s[0:3], 0 offset:152
	buffer_store_dword v118, off, s[0:3], 0 offset:156
	s_waitcnt vmcnt(0)
	ds_write_b64 v115, v[116:117]
.LBB56_313:
	s_or_b32 exec_lo, exec_lo, s4
	s_waitcnt lgkmcnt(0)
	s_waitcnt_vscnt null, 0x0
	s_barrier
	buffer_gl0_inv
	s_clause 0x1c
	buffer_load_dword v125, off, s[0:3], 0 offset:160
	buffer_load_dword v126, off, s[0:3], 0 offset:164
	;; [unrolled: 1-line block ×29, first 2 shown]
	v_mov_b32_e32 v116, 0
	buffer_load_dword v150, off, s[0:3], 0 offset:276
	s_mov_b32 s4, exec_lo
	ds_read_b128 v[117:120], v116 offset:624
	ds_read_b128 v[121:124], v116 offset:640
	s_waitcnt vmcnt(28) lgkmcnt(1)
	v_fma_f64 v[117:118], v[125:126], v[117:118], 0
	s_clause 0x7
	buffer_load_dword v126, off, s[0:3], 0 offset:284
	buffer_load_dword v155, off, s[0:3], 0 offset:304
	buffer_load_dword v157, off, s[0:3], 0 offset:296
	buffer_load_dword v159, off, s[0:3], 0 offset:288
	buffer_load_dword v125, off, s[0:3], 0 offset:280
	buffer_load_dword v160, off, s[0:3], 0 offset:292
	buffer_load_dword v158, off, s[0:3], 0 offset:300
	buffer_load_dword v156, off, s[0:3], 0 offset:308
	s_waitcnt vmcnt(34)
	v_fma_f64 v[117:118], v[127:128], v[119:120], v[117:118]
	s_waitcnt vmcnt(32) lgkmcnt(0)
	v_fma_f64 v[117:118], v[129:130], v[121:122], v[117:118]
	s_waitcnt vmcnt(30)
	v_fma_f64 v[127:128], v[131:132], v[123:124], v[117:118]
	ds_read_b128 v[117:120], v116 offset:656
	ds_read_b128 v[121:124], v116 offset:672
	s_waitcnt vmcnt(28) lgkmcnt(1)
	v_fma_f64 v[117:118], v[133:134], v[117:118], v[127:128]
	s_clause 0x7
	buffer_load_dword v128, off, s[0:3], 0 offset:316
	buffer_load_dword v129, off, s[0:3], 0 offset:336
	buffer_load_dword v131, off, s[0:3], 0 offset:328
	buffer_load_dword v133, off, s[0:3], 0 offset:320
	buffer_load_dword v127, off, s[0:3], 0 offset:312
	buffer_load_dword v134, off, s[0:3], 0 offset:324
	buffer_load_dword v132, off, s[0:3], 0 offset:332
	buffer_load_dword v130, off, s[0:3], 0 offset:340
	s_waitcnt vmcnt(34)
	v_fma_f64 v[117:118], v[135:136], v[119:120], v[117:118]
	s_waitcnt vmcnt(32) lgkmcnt(0)
	v_fma_f64 v[117:118], v[137:138], v[121:122], v[117:118]
	s_waitcnt vmcnt(27)
	v_fma_f64 v[135:136], v[139:140], v[123:124], v[117:118]
	;; [unrolled: 19-line block ×5, first 2 shown]
	ds_read_b128 v[117:120], v116 offset:784
	ds_read_b128 v[121:124], v116 offset:800
	s_waitcnt vmcnt(26) lgkmcnt(1)
	v_fma_f64 v[117:118], v[133:134], v[117:118], v[127:128]
	s_clause 0x3
	buffer_load_dword v128, off, s[0:3], 0 offset:444
	buffer_load_dword v133, off, s[0:3], 0 offset:448
	;; [unrolled: 1-line block ×4, first 2 shown]
	s_waitcnt vmcnt(29)
	v_fma_f64 v[117:118], v[131:132], v[119:120], v[117:118]
	s_waitcnt vmcnt(28) lgkmcnt(0)
	v_fma_f64 v[117:118], v[129:130], v[121:122], v[117:118]
	s_clause 0x1
	buffer_load_dword v129, off, s[0:3], 0 offset:152
	buffer_load_dword v130, off, s[0:3], 0 offset:156
	s_waitcnt vmcnt(25)
	v_fma_f64 v[131:132], v[135:136], v[123:124], v[117:118]
	ds_read_b128 v[117:120], v116 offset:816
	ds_read_b128 v[121:124], v116 offset:832
	s_waitcnt vmcnt(24) lgkmcnt(1)
	v_fma_f64 v[117:118], v[145:146], v[117:118], v[131:132]
	s_waitcnt vmcnt(23)
	v_fma_f64 v[117:118], v[139:140], v[119:120], v[117:118]
	s_waitcnt vmcnt(22) lgkmcnt(0)
	v_fma_f64 v[117:118], v[137:138], v[121:122], v[117:118]
	s_waitcnt vmcnt(17)
	v_fma_f64 v[131:132], v[141:142], v[123:124], v[117:118]
	ds_read_b128 v[117:120], v116 offset:848
	ds_read_b128 v[121:124], v116 offset:864
	s_waitcnt vmcnt(16) lgkmcnt(1)
	v_fma_f64 v[117:118], v[153:154], v[117:118], v[131:132]
	s_waitcnt vmcnt(15)
	v_fma_f64 v[117:118], v[147:148], v[119:120], v[117:118]
	s_waitcnt vmcnt(14) lgkmcnt(0)
	v_fma_f64 v[117:118], v[143:144], v[121:122], v[117:118]
	s_waitcnt vmcnt(9)
	v_fma_f64 v[125:126], v[125:126], v[123:124], v[117:118]
	ds_read_b128 v[117:120], v116 offset:880
	ds_read_b128 v[121:124], v116 offset:896
	s_waitcnt vmcnt(8) lgkmcnt(1)
	v_fma_f64 v[117:118], v[159:160], v[117:118], v[125:126]
	s_waitcnt vmcnt(7)
	v_fma_f64 v[117:118], v[151:152], v[119:120], v[117:118]
	ds_read_b64 v[119:120], v116 offset:912
	s_waitcnt vmcnt(6) lgkmcnt(1)
	v_fma_f64 v[117:118], v[149:150], v[121:122], v[117:118]
	s_waitcnt vmcnt(3)
	v_fma_f64 v[117:118], v[127:128], v[123:124], v[117:118]
	s_waitcnt vmcnt(2) lgkmcnt(0)
	v_fma_f64 v[117:118], v[133:134], v[119:120], v[117:118]
	s_waitcnt vmcnt(0)
	v_add_f64 v[117:118], v[129:130], -v[117:118]
	buffer_store_dword v118, off, s[0:3], 0 offset:156
	buffer_store_dword v117, off, s[0:3], 0 offset:152
	v_cmpx_lt_u32_e32 18, v0
	s_cbranch_execz .LBB56_315
; %bb.314:
	s_clause 0x1
	buffer_load_dword v117, off, s[0:3], 0 offset:144
	buffer_load_dword v118, off, s[0:3], 0 offset:148
	buffer_store_dword v116, off, s[0:3], 0 offset:144
	buffer_store_dword v116, off, s[0:3], 0 offset:148
	s_waitcnt vmcnt(0)
	ds_write_b64 v115, v[117:118]
.LBB56_315:
	s_or_b32 exec_lo, exec_lo, s4
	s_waitcnt lgkmcnt(0)
	s_waitcnt_vscnt null, 0x0
	s_barrier
	buffer_gl0_inv
	s_clause 0x1c
	buffer_load_dword v125, off, s[0:3], 0 offset:152
	buffer_load_dword v126, off, s[0:3], 0 offset:156
	buffer_load_dword v127, off, s[0:3], 0 offset:160
	buffer_load_dword v128, off, s[0:3], 0 offset:164
	buffer_load_dword v129, off, s[0:3], 0 offset:168
	buffer_load_dword v130, off, s[0:3], 0 offset:172
	buffer_load_dword v131, off, s[0:3], 0 offset:176
	buffer_load_dword v132, off, s[0:3], 0 offset:180
	buffer_load_dword v133, off, s[0:3], 0 offset:184
	buffer_load_dword v134, off, s[0:3], 0 offset:188
	buffer_load_dword v135, off, s[0:3], 0 offset:192
	buffer_load_dword v136, off, s[0:3], 0 offset:196
	buffer_load_dword v137, off, s[0:3], 0 offset:200
	buffer_load_dword v138, off, s[0:3], 0 offset:204
	buffer_load_dword v140, off, s[0:3], 0 offset:212
	buffer_load_dword v141, off, s[0:3], 0 offset:232
	buffer_load_dword v143, off, s[0:3], 0 offset:224
	buffer_load_dword v145, off, s[0:3], 0 offset:216
	buffer_load_dword v139, off, s[0:3], 0 offset:208
	buffer_load_dword v146, off, s[0:3], 0 offset:220
	buffer_load_dword v144, off, s[0:3], 0 offset:228
	buffer_load_dword v142, off, s[0:3], 0 offset:236
	buffer_load_dword v148, off, s[0:3], 0 offset:244
	buffer_load_dword v149, off, s[0:3], 0 offset:264
	buffer_load_dword v151, off, s[0:3], 0 offset:256
	buffer_load_dword v153, off, s[0:3], 0 offset:248
	buffer_load_dword v147, off, s[0:3], 0 offset:240
	buffer_load_dword v154, off, s[0:3], 0 offset:252
	buffer_load_dword v152, off, s[0:3], 0 offset:260
	ds_read2_b64 v[117:120], v116 offset0:77 offset1:78
	ds_read2_b64 v[121:124], v116 offset0:79 offset1:80
	buffer_load_dword v150, off, s[0:3], 0 offset:268
	s_mov_b32 s4, exec_lo
	s_waitcnt vmcnt(28) lgkmcnt(1)
	v_fma_f64 v[117:118], v[125:126], v[117:118], 0
	s_clause 0x7
	buffer_load_dword v126, off, s[0:3], 0 offset:276
	buffer_load_dword v155, off, s[0:3], 0 offset:296
	buffer_load_dword v157, off, s[0:3], 0 offset:288
	buffer_load_dword v159, off, s[0:3], 0 offset:280
	buffer_load_dword v125, off, s[0:3], 0 offset:272
	buffer_load_dword v160, off, s[0:3], 0 offset:284
	buffer_load_dword v158, off, s[0:3], 0 offset:292
	buffer_load_dword v156, off, s[0:3], 0 offset:300
	s_waitcnt vmcnt(34)
	v_fma_f64 v[117:118], v[127:128], v[119:120], v[117:118]
	s_waitcnt vmcnt(32) lgkmcnt(0)
	v_fma_f64 v[117:118], v[129:130], v[121:122], v[117:118]
	s_waitcnt vmcnt(30)
	v_fma_f64 v[127:128], v[131:132], v[123:124], v[117:118]
	ds_read2_b64 v[117:120], v116 offset0:81 offset1:82
	ds_read2_b64 v[121:124], v116 offset0:83 offset1:84
	s_waitcnt vmcnt(28) lgkmcnt(1)
	v_fma_f64 v[117:118], v[133:134], v[117:118], v[127:128]
	s_clause 0x7
	buffer_load_dword v128, off, s[0:3], 0 offset:308
	buffer_load_dword v129, off, s[0:3], 0 offset:328
	buffer_load_dword v131, off, s[0:3], 0 offset:320
	buffer_load_dword v133, off, s[0:3], 0 offset:312
	buffer_load_dword v127, off, s[0:3], 0 offset:304
	buffer_load_dword v134, off, s[0:3], 0 offset:316
	buffer_load_dword v132, off, s[0:3], 0 offset:324
	buffer_load_dword v130, off, s[0:3], 0 offset:332
	s_waitcnt vmcnt(34)
	v_fma_f64 v[117:118], v[135:136], v[119:120], v[117:118]
	s_waitcnt vmcnt(32) lgkmcnt(0)
	v_fma_f64 v[117:118], v[137:138], v[121:122], v[117:118]
	s_waitcnt vmcnt(27)
	v_fma_f64 v[135:136], v[139:140], v[123:124], v[117:118]
	ds_read2_b64 v[117:120], v116 offset0:85 offset1:86
	ds_read2_b64 v[121:124], v116 offset0:87 offset1:88
	;; [unrolled: 19-line block ×5, first 2 shown]
	s_waitcnt vmcnt(26) lgkmcnt(1)
	v_fma_f64 v[117:118], v[133:134], v[117:118], v[127:128]
	s_clause 0x5
	buffer_load_dword v128, off, s[0:3], 0 offset:436
	buffer_load_dword v133, off, s[0:3], 0 offset:448
	;; [unrolled: 1-line block ×6, first 2 shown]
	s_waitcnt vmcnt(31)
	v_fma_f64 v[117:118], v[131:132], v[119:120], v[117:118]
	s_waitcnt vmcnt(30) lgkmcnt(0)
	v_fma_f64 v[117:118], v[129:130], v[121:122], v[117:118]
	s_waitcnt vmcnt(25)
	v_fma_f64 v[129:130], v[135:136], v[123:124], v[117:118]
	ds_read2_b64 v[117:120], v116 offset0:101 offset1:102
	s_clause 0x1
	buffer_load_dword v131, off, s[0:3], 0 offset:144
	buffer_load_dword v132, off, s[0:3], 0 offset:148
	ds_read2_b64 v[121:124], v116 offset0:103 offset1:104
	s_waitcnt vmcnt(26) lgkmcnt(1)
	v_fma_f64 v[117:118], v[145:146], v[117:118], v[129:130]
	s_waitcnt vmcnt(25)
	v_fma_f64 v[117:118], v[139:140], v[119:120], v[117:118]
	s_waitcnt vmcnt(24) lgkmcnt(0)
	v_fma_f64 v[117:118], v[137:138], v[121:122], v[117:118]
	s_waitcnt vmcnt(19)
	v_fma_f64 v[129:130], v[141:142], v[123:124], v[117:118]
	ds_read2_b64 v[117:120], v116 offset0:105 offset1:106
	ds_read2_b64 v[121:124], v116 offset0:107 offset1:108
	s_waitcnt vmcnt(18) lgkmcnt(1)
	v_fma_f64 v[117:118], v[153:154], v[117:118], v[129:130]
	s_waitcnt vmcnt(17)
	v_fma_f64 v[117:118], v[147:148], v[119:120], v[117:118]
	s_waitcnt vmcnt(16) lgkmcnt(0)
	v_fma_f64 v[117:118], v[143:144], v[121:122], v[117:118]
	s_waitcnt vmcnt(11)
	v_fma_f64 v[125:126], v[125:126], v[123:124], v[117:118]
	ds_read2_b64 v[117:120], v116 offset0:109 offset1:110
	;; [unrolled: 10-line block ×3, first 2 shown]
	s_waitcnt vmcnt(3) lgkmcnt(0)
	v_fma_f64 v[116:117], v[155:156], v[116:117], v[120:121]
	s_waitcnt vmcnt(2)
	v_fma_f64 v[116:117], v[133:134], v[118:119], v[116:117]
	s_waitcnt vmcnt(0)
	v_add_f64 v[116:117], v[131:132], -v[116:117]
	buffer_store_dword v117, off, s[0:3], 0 offset:148
	buffer_store_dword v116, off, s[0:3], 0 offset:144
	v_cmpx_lt_u32_e32 17, v0
	s_cbranch_execz .LBB56_317
; %bb.316:
	s_clause 0x1
	buffer_load_dword v116, off, s[0:3], 0 offset:136
	buffer_load_dword v117, off, s[0:3], 0 offset:140
	v_mov_b32_e32 v118, 0
	buffer_store_dword v118, off, s[0:3], 0 offset:136
	buffer_store_dword v118, off, s[0:3], 0 offset:140
	s_waitcnt vmcnt(0)
	ds_write_b64 v115, v[116:117]
.LBB56_317:
	s_or_b32 exec_lo, exec_lo, s4
	s_waitcnt lgkmcnt(0)
	s_waitcnt_vscnt null, 0x0
	s_barrier
	buffer_gl0_inv
	s_clause 0x1c
	buffer_load_dword v125, off, s[0:3], 0 offset:144
	buffer_load_dword v126, off, s[0:3], 0 offset:148
	;; [unrolled: 1-line block ×29, first 2 shown]
	v_mov_b32_e32 v116, 0
	buffer_load_dword v150, off, s[0:3], 0 offset:260
	s_mov_b32 s4, exec_lo
	ds_read_b128 v[117:120], v116 offset:608
	ds_read_b128 v[121:124], v116 offset:624
	s_waitcnt vmcnt(28) lgkmcnt(1)
	v_fma_f64 v[117:118], v[125:126], v[117:118], 0
	s_clause 0x7
	buffer_load_dword v126, off, s[0:3], 0 offset:268
	buffer_load_dword v155, off, s[0:3], 0 offset:288
	buffer_load_dword v157, off, s[0:3], 0 offset:280
	buffer_load_dword v159, off, s[0:3], 0 offset:272
	buffer_load_dword v125, off, s[0:3], 0 offset:264
	buffer_load_dword v160, off, s[0:3], 0 offset:276
	buffer_load_dword v158, off, s[0:3], 0 offset:284
	buffer_load_dword v156, off, s[0:3], 0 offset:292
	s_waitcnt vmcnt(34)
	v_fma_f64 v[117:118], v[127:128], v[119:120], v[117:118]
	s_waitcnt vmcnt(32) lgkmcnt(0)
	v_fma_f64 v[117:118], v[129:130], v[121:122], v[117:118]
	s_waitcnt vmcnt(30)
	v_fma_f64 v[127:128], v[131:132], v[123:124], v[117:118]
	ds_read_b128 v[117:120], v116 offset:640
	ds_read_b128 v[121:124], v116 offset:656
	s_waitcnt vmcnt(28) lgkmcnt(1)
	v_fma_f64 v[117:118], v[133:134], v[117:118], v[127:128]
	s_clause 0x7
	buffer_load_dword v128, off, s[0:3], 0 offset:300
	buffer_load_dword v129, off, s[0:3], 0 offset:320
	buffer_load_dword v131, off, s[0:3], 0 offset:312
	buffer_load_dword v133, off, s[0:3], 0 offset:304
	buffer_load_dword v127, off, s[0:3], 0 offset:296
	buffer_load_dword v134, off, s[0:3], 0 offset:308
	buffer_load_dword v132, off, s[0:3], 0 offset:316
	buffer_load_dword v130, off, s[0:3], 0 offset:324
	s_waitcnt vmcnt(34)
	v_fma_f64 v[117:118], v[135:136], v[119:120], v[117:118]
	s_waitcnt vmcnt(32) lgkmcnt(0)
	v_fma_f64 v[117:118], v[137:138], v[121:122], v[117:118]
	s_waitcnt vmcnt(27)
	v_fma_f64 v[135:136], v[139:140], v[123:124], v[117:118]
	;; [unrolled: 19-line block ×6, first 2 shown]
	ds_read_b128 v[117:120], v116 offset:800
	ds_read_b128 v[121:124], v116 offset:816
	s_waitcnt vmcnt(26) lgkmcnt(1)
	v_fma_f64 v[117:118], v[145:146], v[117:118], v[129:130]
	s_clause 0x1
	buffer_load_dword v129, off, s[0:3], 0 offset:136
	buffer_load_dword v130, off, s[0:3], 0 offset:140
	s_waitcnt vmcnt(27)
	v_fma_f64 v[117:118], v[139:140], v[119:120], v[117:118]
	s_waitcnt vmcnt(26) lgkmcnt(0)
	v_fma_f64 v[117:118], v[137:138], v[121:122], v[117:118]
	s_waitcnt vmcnt(21)
	v_fma_f64 v[131:132], v[141:142], v[123:124], v[117:118]
	ds_read_b128 v[117:120], v116 offset:832
	ds_read_b128 v[121:124], v116 offset:848
	s_waitcnt vmcnt(20) lgkmcnt(1)
	v_fma_f64 v[117:118], v[153:154], v[117:118], v[131:132]
	s_waitcnt vmcnt(19)
	v_fma_f64 v[117:118], v[147:148], v[119:120], v[117:118]
	s_waitcnt vmcnt(18) lgkmcnt(0)
	v_fma_f64 v[117:118], v[143:144], v[121:122], v[117:118]
	s_waitcnt vmcnt(13)
	v_fma_f64 v[125:126], v[125:126], v[123:124], v[117:118]
	ds_read_b128 v[117:120], v116 offset:864
	ds_read_b128 v[121:124], v116 offset:880
	s_waitcnt vmcnt(12) lgkmcnt(1)
	v_fma_f64 v[117:118], v[159:160], v[117:118], v[125:126]
	s_waitcnt vmcnt(11)
	v_fma_f64 v[117:118], v[151:152], v[119:120], v[117:118]
	s_waitcnt vmcnt(10) lgkmcnt(0)
	v_fma_f64 v[117:118], v[149:150], v[121:122], v[117:118]
	s_waitcnt vmcnt(5)
	v_fma_f64 v[121:122], v[127:128], v[123:124], v[117:118]
	ds_read_b128 v[117:120], v116 offset:896
	ds_read_b64 v[123:124], v116 offset:912
	s_waitcnt vmcnt(4) lgkmcnt(1)
	v_fma_f64 v[117:118], v[157:158], v[117:118], v[121:122]
	s_waitcnt vmcnt(3)
	v_fma_f64 v[117:118], v[155:156], v[119:120], v[117:118]
	s_waitcnt vmcnt(2) lgkmcnt(0)
	v_fma_f64 v[117:118], v[133:134], v[123:124], v[117:118]
	s_waitcnt vmcnt(0)
	v_add_f64 v[117:118], v[129:130], -v[117:118]
	buffer_store_dword v118, off, s[0:3], 0 offset:140
	buffer_store_dword v117, off, s[0:3], 0 offset:136
	v_cmpx_lt_u32_e32 16, v0
	s_cbranch_execz .LBB56_319
; %bb.318:
	s_clause 0x1
	buffer_load_dword v117, off, s[0:3], 0 offset:128
	buffer_load_dword v118, off, s[0:3], 0 offset:132
	buffer_store_dword v116, off, s[0:3], 0 offset:128
	buffer_store_dword v116, off, s[0:3], 0 offset:132
	s_waitcnt vmcnt(0)
	ds_write_b64 v115, v[117:118]
.LBB56_319:
	s_or_b32 exec_lo, exec_lo, s4
	s_waitcnt lgkmcnt(0)
	s_waitcnt_vscnt null, 0x0
	s_barrier
	buffer_gl0_inv
	s_clause 0x1c
	buffer_load_dword v125, off, s[0:3], 0 offset:136
	buffer_load_dword v126, off, s[0:3], 0 offset:140
	buffer_load_dword v127, off, s[0:3], 0 offset:144
	buffer_load_dword v128, off, s[0:3], 0 offset:148
	buffer_load_dword v129, off, s[0:3], 0 offset:152
	buffer_load_dword v130, off, s[0:3], 0 offset:156
	buffer_load_dword v131, off, s[0:3], 0 offset:160
	buffer_load_dword v132, off, s[0:3], 0 offset:164
	buffer_load_dword v133, off, s[0:3], 0 offset:168
	buffer_load_dword v134, off, s[0:3], 0 offset:172
	buffer_load_dword v135, off, s[0:3], 0 offset:176
	buffer_load_dword v136, off, s[0:3], 0 offset:180
	buffer_load_dword v137, off, s[0:3], 0 offset:184
	buffer_load_dword v138, off, s[0:3], 0 offset:188
	buffer_load_dword v140, off, s[0:3], 0 offset:196
	buffer_load_dword v141, off, s[0:3], 0 offset:216
	buffer_load_dword v143, off, s[0:3], 0 offset:208
	buffer_load_dword v145, off, s[0:3], 0 offset:200
	buffer_load_dword v139, off, s[0:3], 0 offset:192
	buffer_load_dword v146, off, s[0:3], 0 offset:204
	buffer_load_dword v144, off, s[0:3], 0 offset:212
	buffer_load_dword v142, off, s[0:3], 0 offset:220
	buffer_load_dword v148, off, s[0:3], 0 offset:228
	buffer_load_dword v149, off, s[0:3], 0 offset:248
	buffer_load_dword v151, off, s[0:3], 0 offset:240
	buffer_load_dword v153, off, s[0:3], 0 offset:232
	buffer_load_dword v147, off, s[0:3], 0 offset:224
	buffer_load_dword v154, off, s[0:3], 0 offset:236
	buffer_load_dword v152, off, s[0:3], 0 offset:244
	ds_read2_b64 v[117:120], v116 offset0:75 offset1:76
	ds_read2_b64 v[121:124], v116 offset0:77 offset1:78
	buffer_load_dword v150, off, s[0:3], 0 offset:252
	s_mov_b32 s4, exec_lo
	s_waitcnt vmcnt(28) lgkmcnt(1)
	v_fma_f64 v[117:118], v[125:126], v[117:118], 0
	s_clause 0x7
	buffer_load_dword v126, off, s[0:3], 0 offset:260
	buffer_load_dword v155, off, s[0:3], 0 offset:280
	buffer_load_dword v157, off, s[0:3], 0 offset:272
	buffer_load_dword v159, off, s[0:3], 0 offset:264
	buffer_load_dword v125, off, s[0:3], 0 offset:256
	buffer_load_dword v160, off, s[0:3], 0 offset:268
	buffer_load_dword v158, off, s[0:3], 0 offset:276
	buffer_load_dword v156, off, s[0:3], 0 offset:284
	s_waitcnt vmcnt(34)
	v_fma_f64 v[117:118], v[127:128], v[119:120], v[117:118]
	s_waitcnt vmcnt(32) lgkmcnt(0)
	v_fma_f64 v[117:118], v[129:130], v[121:122], v[117:118]
	s_waitcnt vmcnt(30)
	v_fma_f64 v[127:128], v[131:132], v[123:124], v[117:118]
	ds_read2_b64 v[117:120], v116 offset0:79 offset1:80
	ds_read2_b64 v[121:124], v116 offset0:81 offset1:82
	s_waitcnt vmcnt(28) lgkmcnt(1)
	v_fma_f64 v[117:118], v[133:134], v[117:118], v[127:128]
	s_clause 0x7
	buffer_load_dword v128, off, s[0:3], 0 offset:292
	buffer_load_dword v129, off, s[0:3], 0 offset:312
	buffer_load_dword v131, off, s[0:3], 0 offset:304
	buffer_load_dword v133, off, s[0:3], 0 offset:296
	buffer_load_dword v127, off, s[0:3], 0 offset:288
	buffer_load_dword v134, off, s[0:3], 0 offset:300
	buffer_load_dword v132, off, s[0:3], 0 offset:308
	buffer_load_dword v130, off, s[0:3], 0 offset:316
	s_waitcnt vmcnt(34)
	v_fma_f64 v[117:118], v[135:136], v[119:120], v[117:118]
	s_waitcnt vmcnt(32) lgkmcnt(0)
	v_fma_f64 v[117:118], v[137:138], v[121:122], v[117:118]
	s_waitcnt vmcnt(27)
	v_fma_f64 v[135:136], v[139:140], v[123:124], v[117:118]
	ds_read2_b64 v[117:120], v116 offset0:83 offset1:84
	ds_read2_b64 v[121:124], v116 offset0:85 offset1:86
	;; [unrolled: 19-line block ×6, first 2 shown]
	s_waitcnt vmcnt(26) lgkmcnt(1)
	v_fma_f64 v[117:118], v[145:146], v[117:118], v[129:130]
	s_clause 0x3
	buffer_load_dword v130, off, s[0:3], 0 offset:452
	buffer_load_dword v129, off, s[0:3], 0 offset:448
	;; [unrolled: 1-line block ×4, first 2 shown]
	s_waitcnt vmcnt(29)
	v_fma_f64 v[117:118], v[139:140], v[119:120], v[117:118]
	s_waitcnt vmcnt(28) lgkmcnt(0)
	v_fma_f64 v[117:118], v[137:138], v[121:122], v[117:118]
	s_waitcnt vmcnt(23)
	v_fma_f64 v[135:136], v[141:142], v[123:124], v[117:118]
	ds_read2_b64 v[117:120], v116 offset0:103 offset1:104
	ds_read2_b64 v[121:124], v116 offset0:105 offset1:106
	s_waitcnt vmcnt(22) lgkmcnt(1)
	v_fma_f64 v[117:118], v[153:154], v[117:118], v[135:136]
	s_waitcnt vmcnt(21)
	v_fma_f64 v[117:118], v[147:148], v[119:120], v[117:118]
	s_waitcnt vmcnt(20) lgkmcnt(0)
	v_fma_f64 v[117:118], v[143:144], v[121:122], v[117:118]
	s_waitcnt vmcnt(15)
	v_fma_f64 v[125:126], v[125:126], v[123:124], v[117:118]
	ds_read2_b64 v[117:120], v116 offset0:107 offset1:108
	ds_read2_b64 v[121:124], v116 offset0:109 offset1:110
	s_waitcnt vmcnt(14) lgkmcnt(1)
	v_fma_f64 v[117:118], v[159:160], v[117:118], v[125:126]
	;; [unrolled: 10-line block ×3, first 2 shown]
	s_waitcnt vmcnt(5)
	v_fma_f64 v[116:117], v[155:156], v[119:120], v[116:117]
	s_waitcnt vmcnt(4) lgkmcnt(0)
	v_fma_f64 v[116:117], v[133:134], v[121:122], v[116:117]
	s_waitcnt vmcnt(2)
	v_fma_f64 v[116:117], v[129:130], v[123:124], v[116:117]
	s_waitcnt vmcnt(0)
	v_add_f64 v[116:117], v[131:132], -v[116:117]
	buffer_store_dword v117, off, s[0:3], 0 offset:132
	buffer_store_dword v116, off, s[0:3], 0 offset:128
	v_cmpx_lt_u32_e32 15, v0
	s_cbranch_execz .LBB56_321
; %bb.320:
	s_clause 0x1
	buffer_load_dword v116, off, s[0:3], 0 offset:120
	buffer_load_dword v117, off, s[0:3], 0 offset:124
	v_mov_b32_e32 v118, 0
	buffer_store_dword v118, off, s[0:3], 0 offset:120
	buffer_store_dword v118, off, s[0:3], 0 offset:124
	s_waitcnt vmcnt(0)
	ds_write_b64 v115, v[116:117]
.LBB56_321:
	s_or_b32 exec_lo, exec_lo, s4
	s_waitcnt lgkmcnt(0)
	s_waitcnt_vscnt null, 0x0
	s_barrier
	buffer_gl0_inv
	s_clause 0x1c
	buffer_load_dword v125, off, s[0:3], 0 offset:128
	buffer_load_dword v126, off, s[0:3], 0 offset:132
	;; [unrolled: 1-line block ×29, first 2 shown]
	v_mov_b32_e32 v116, 0
	buffer_load_dword v150, off, s[0:3], 0 offset:244
	s_mov_b32 s4, exec_lo
	ds_read_b128 v[117:120], v116 offset:592
	ds_read_b128 v[121:124], v116 offset:608
	s_waitcnt vmcnt(28) lgkmcnt(1)
	v_fma_f64 v[117:118], v[125:126], v[117:118], 0
	s_clause 0x7
	buffer_load_dword v126, off, s[0:3], 0 offset:252
	buffer_load_dword v155, off, s[0:3], 0 offset:272
	buffer_load_dword v157, off, s[0:3], 0 offset:264
	buffer_load_dword v159, off, s[0:3], 0 offset:256
	buffer_load_dword v125, off, s[0:3], 0 offset:248
	buffer_load_dword v160, off, s[0:3], 0 offset:260
	buffer_load_dword v158, off, s[0:3], 0 offset:268
	buffer_load_dword v156, off, s[0:3], 0 offset:276
	s_waitcnt vmcnt(34)
	v_fma_f64 v[117:118], v[127:128], v[119:120], v[117:118]
	s_waitcnt vmcnt(32) lgkmcnt(0)
	v_fma_f64 v[117:118], v[129:130], v[121:122], v[117:118]
	s_waitcnt vmcnt(30)
	v_fma_f64 v[127:128], v[131:132], v[123:124], v[117:118]
	ds_read_b128 v[117:120], v116 offset:624
	ds_read_b128 v[121:124], v116 offset:640
	s_waitcnt vmcnt(28) lgkmcnt(1)
	v_fma_f64 v[117:118], v[133:134], v[117:118], v[127:128]
	s_clause 0x7
	buffer_load_dword v128, off, s[0:3], 0 offset:284
	buffer_load_dword v129, off, s[0:3], 0 offset:304
	buffer_load_dword v131, off, s[0:3], 0 offset:296
	buffer_load_dword v133, off, s[0:3], 0 offset:288
	buffer_load_dword v127, off, s[0:3], 0 offset:280
	buffer_load_dword v134, off, s[0:3], 0 offset:292
	buffer_load_dword v132, off, s[0:3], 0 offset:300
	buffer_load_dword v130, off, s[0:3], 0 offset:308
	s_waitcnt vmcnt(34)
	v_fma_f64 v[117:118], v[135:136], v[119:120], v[117:118]
	s_waitcnt vmcnt(32) lgkmcnt(0)
	v_fma_f64 v[117:118], v[137:138], v[121:122], v[117:118]
	s_waitcnt vmcnt(27)
	v_fma_f64 v[135:136], v[139:140], v[123:124], v[117:118]
	;; [unrolled: 19-line block ×6, first 2 shown]
	ds_read_b128 v[117:120], v116 offset:784
	ds_read_b128 v[121:124], v116 offset:800
	s_waitcnt vmcnt(26) lgkmcnt(1)
	v_fma_f64 v[117:118], v[145:146], v[117:118], v[129:130]
	s_clause 0x5
	buffer_load_dword v130, off, s[0:3], 0 offset:444
	buffer_load_dword v131, off, s[0:3], 0 offset:448
	;; [unrolled: 1-line block ×6, first 2 shown]
	s_waitcnt vmcnt(31)
	v_fma_f64 v[117:118], v[139:140], v[119:120], v[117:118]
	s_waitcnt vmcnt(30) lgkmcnt(0)
	v_fma_f64 v[117:118], v[137:138], v[121:122], v[117:118]
	s_waitcnt vmcnt(25)
	v_fma_f64 v[137:138], v[141:142], v[123:124], v[117:118]
	ds_read_b128 v[117:120], v116 offset:816
	ds_read_b128 v[121:124], v116 offset:832
	s_waitcnt vmcnt(24) lgkmcnt(1)
	v_fma_f64 v[117:118], v[153:154], v[117:118], v[137:138]
	s_waitcnt vmcnt(23)
	v_fma_f64 v[117:118], v[147:148], v[119:120], v[117:118]
	s_waitcnt vmcnt(22) lgkmcnt(0)
	v_fma_f64 v[117:118], v[143:144], v[121:122], v[117:118]
	s_waitcnt vmcnt(17)
	v_fma_f64 v[125:126], v[125:126], v[123:124], v[117:118]
	ds_read_b128 v[117:120], v116 offset:848
	ds_read_b128 v[121:124], v116 offset:864
	s_waitcnt vmcnt(16) lgkmcnt(1)
	v_fma_f64 v[117:118], v[159:160], v[117:118], v[125:126]
	;; [unrolled: 10-line block ×3, first 2 shown]
	s_waitcnt vmcnt(7)
	v_fma_f64 v[117:118], v[155:156], v[119:120], v[117:118]
	ds_read_b64 v[119:120], v116 offset:912
	s_waitcnt vmcnt(6) lgkmcnt(1)
	v_fma_f64 v[117:118], v[133:134], v[121:122], v[117:118]
	s_waitcnt vmcnt(3)
	v_fma_f64 v[117:118], v[129:130], v[123:124], v[117:118]
	s_waitcnt vmcnt(2) lgkmcnt(0)
	v_fma_f64 v[117:118], v[131:132], v[119:120], v[117:118]
	s_waitcnt vmcnt(0)
	v_add_f64 v[117:118], v[135:136], -v[117:118]
	buffer_store_dword v118, off, s[0:3], 0 offset:124
	buffer_store_dword v117, off, s[0:3], 0 offset:120
	v_cmpx_lt_u32_e32 14, v0
	s_cbranch_execz .LBB56_323
; %bb.322:
	s_clause 0x1
	buffer_load_dword v117, off, s[0:3], 0 offset:112
	buffer_load_dword v118, off, s[0:3], 0 offset:116
	buffer_store_dword v116, off, s[0:3], 0 offset:112
	buffer_store_dword v116, off, s[0:3], 0 offset:116
	s_waitcnt vmcnt(0)
	ds_write_b64 v115, v[117:118]
.LBB56_323:
	s_or_b32 exec_lo, exec_lo, s4
	s_waitcnt lgkmcnt(0)
	s_waitcnt_vscnt null, 0x0
	s_barrier
	buffer_gl0_inv
	s_clause 0x1c
	buffer_load_dword v125, off, s[0:3], 0 offset:120
	buffer_load_dword v126, off, s[0:3], 0 offset:124
	;; [unrolled: 1-line block ×29, first 2 shown]
	ds_read2_b64 v[117:120], v116 offset0:73 offset1:74
	ds_read2_b64 v[121:124], v116 offset0:75 offset1:76
	buffer_load_dword v150, off, s[0:3], 0 offset:236
	s_mov_b32 s4, exec_lo
	s_waitcnt vmcnt(28) lgkmcnt(1)
	v_fma_f64 v[117:118], v[125:126], v[117:118], 0
	s_clause 0x7
	buffer_load_dword v126, off, s[0:3], 0 offset:244
	buffer_load_dword v155, off, s[0:3], 0 offset:264
	buffer_load_dword v157, off, s[0:3], 0 offset:256
	buffer_load_dword v159, off, s[0:3], 0 offset:248
	buffer_load_dword v125, off, s[0:3], 0 offset:240
	buffer_load_dword v160, off, s[0:3], 0 offset:252
	buffer_load_dword v158, off, s[0:3], 0 offset:260
	buffer_load_dword v156, off, s[0:3], 0 offset:268
	s_waitcnt vmcnt(34)
	v_fma_f64 v[117:118], v[127:128], v[119:120], v[117:118]
	s_waitcnt vmcnt(32) lgkmcnt(0)
	v_fma_f64 v[117:118], v[129:130], v[121:122], v[117:118]
	s_waitcnt vmcnt(30)
	v_fma_f64 v[127:128], v[131:132], v[123:124], v[117:118]
	ds_read2_b64 v[117:120], v116 offset0:77 offset1:78
	ds_read2_b64 v[121:124], v116 offset0:79 offset1:80
	s_waitcnt vmcnt(28) lgkmcnt(1)
	v_fma_f64 v[117:118], v[133:134], v[117:118], v[127:128]
	s_clause 0x7
	buffer_load_dword v128, off, s[0:3], 0 offset:276
	buffer_load_dword v129, off, s[0:3], 0 offset:296
	buffer_load_dword v131, off, s[0:3], 0 offset:288
	buffer_load_dword v133, off, s[0:3], 0 offset:280
	buffer_load_dword v127, off, s[0:3], 0 offset:272
	buffer_load_dword v134, off, s[0:3], 0 offset:284
	buffer_load_dword v132, off, s[0:3], 0 offset:292
	buffer_load_dword v130, off, s[0:3], 0 offset:300
	s_waitcnt vmcnt(34)
	v_fma_f64 v[117:118], v[135:136], v[119:120], v[117:118]
	s_waitcnt vmcnt(32) lgkmcnt(0)
	v_fma_f64 v[117:118], v[137:138], v[121:122], v[117:118]
	s_waitcnt vmcnt(27)
	v_fma_f64 v[135:136], v[139:140], v[123:124], v[117:118]
	ds_read2_b64 v[117:120], v116 offset0:81 offset1:82
	ds_read2_b64 v[121:124], v116 offset0:83 offset1:84
	;; [unrolled: 19-line block ×6, first 2 shown]
	s_waitcnt vmcnt(26) lgkmcnt(1)
	v_fma_f64 v[117:118], v[145:146], v[117:118], v[129:130]
	s_clause 0x5
	buffer_load_dword v130, off, s[0:3], 0 offset:436
	buffer_load_dword v131, off, s[0:3], 0 offset:448
	;; [unrolled: 1-line block ×6, first 2 shown]
	s_waitcnt vmcnt(31)
	v_fma_f64 v[117:118], v[139:140], v[119:120], v[117:118]
	s_waitcnt vmcnt(30) lgkmcnt(0)
	v_fma_f64 v[117:118], v[137:138], v[121:122], v[117:118]
	s_waitcnt vmcnt(25)
	v_fma_f64 v[137:138], v[141:142], v[123:124], v[117:118]
	ds_read2_b64 v[117:120], v116 offset0:101 offset1:102
	s_clause 0x1
	buffer_load_dword v139, off, s[0:3], 0 offset:112
	buffer_load_dword v140, off, s[0:3], 0 offset:116
	ds_read2_b64 v[121:124], v116 offset0:103 offset1:104
	s_waitcnt vmcnt(26) lgkmcnt(1)
	v_fma_f64 v[117:118], v[153:154], v[117:118], v[137:138]
	s_waitcnt vmcnt(25)
	v_fma_f64 v[117:118], v[147:148], v[119:120], v[117:118]
	s_waitcnt vmcnt(24) lgkmcnt(0)
	v_fma_f64 v[117:118], v[143:144], v[121:122], v[117:118]
	s_waitcnt vmcnt(19)
	v_fma_f64 v[125:126], v[125:126], v[123:124], v[117:118]
	ds_read2_b64 v[117:120], v116 offset0:105 offset1:106
	ds_read2_b64 v[121:124], v116 offset0:107 offset1:108
	s_waitcnt vmcnt(18) lgkmcnt(1)
	v_fma_f64 v[117:118], v[159:160], v[117:118], v[125:126]
	s_waitcnt vmcnt(17)
	v_fma_f64 v[117:118], v[151:152], v[119:120], v[117:118]
	s_waitcnt vmcnt(16) lgkmcnt(0)
	v_fma_f64 v[117:118], v[149:150], v[121:122], v[117:118]
	s_waitcnt vmcnt(11)
	v_fma_f64 v[125:126], v[127:128], v[123:124], v[117:118]
	ds_read2_b64 v[117:120], v116 offset0:109 offset1:110
	;; [unrolled: 10-line block ×3, first 2 shown]
	s_waitcnt vmcnt(3) lgkmcnt(0)
	v_fma_f64 v[116:117], v[135:136], v[116:117], v[120:121]
	s_waitcnt vmcnt(2)
	v_fma_f64 v[116:117], v[131:132], v[118:119], v[116:117]
	s_waitcnt vmcnt(0)
	v_add_f64 v[116:117], v[139:140], -v[116:117]
	buffer_store_dword v117, off, s[0:3], 0 offset:116
	buffer_store_dword v116, off, s[0:3], 0 offset:112
	v_cmpx_lt_u32_e32 13, v0
	s_cbranch_execz .LBB56_325
; %bb.324:
	s_clause 0x1
	buffer_load_dword v116, off, s[0:3], 0 offset:104
	buffer_load_dword v117, off, s[0:3], 0 offset:108
	v_mov_b32_e32 v118, 0
	buffer_store_dword v118, off, s[0:3], 0 offset:104
	buffer_store_dword v118, off, s[0:3], 0 offset:108
	s_waitcnt vmcnt(0)
	ds_write_b64 v115, v[116:117]
.LBB56_325:
	s_or_b32 exec_lo, exec_lo, s4
	s_waitcnt lgkmcnt(0)
	s_waitcnt_vscnt null, 0x0
	s_barrier
	buffer_gl0_inv
	s_clause 0x1c
	buffer_load_dword v125, off, s[0:3], 0 offset:112
	buffer_load_dword v126, off, s[0:3], 0 offset:116
	buffer_load_dword v127, off, s[0:3], 0 offset:120
	buffer_load_dword v128, off, s[0:3], 0 offset:124
	buffer_load_dword v129, off, s[0:3], 0 offset:128
	buffer_load_dword v130, off, s[0:3], 0 offset:132
	buffer_load_dword v131, off, s[0:3], 0 offset:136
	buffer_load_dword v132, off, s[0:3], 0 offset:140
	buffer_load_dword v133, off, s[0:3], 0 offset:144
	buffer_load_dword v134, off, s[0:3], 0 offset:148
	buffer_load_dword v135, off, s[0:3], 0 offset:152
	buffer_load_dword v136, off, s[0:3], 0 offset:156
	buffer_load_dword v137, off, s[0:3], 0 offset:160
	buffer_load_dword v138, off, s[0:3], 0 offset:164
	buffer_load_dword v140, off, s[0:3], 0 offset:172
	buffer_load_dword v141, off, s[0:3], 0 offset:192
	buffer_load_dword v143, off, s[0:3], 0 offset:184
	buffer_load_dword v145, off, s[0:3], 0 offset:176
	buffer_load_dword v139, off, s[0:3], 0 offset:168
	buffer_load_dword v146, off, s[0:3], 0 offset:180
	buffer_load_dword v144, off, s[0:3], 0 offset:188
	buffer_load_dword v142, off, s[0:3], 0 offset:196
	buffer_load_dword v148, off, s[0:3], 0 offset:204
	buffer_load_dword v149, off, s[0:3], 0 offset:224
	buffer_load_dword v151, off, s[0:3], 0 offset:216
	buffer_load_dword v153, off, s[0:3], 0 offset:208
	buffer_load_dword v147, off, s[0:3], 0 offset:200
	buffer_load_dword v154, off, s[0:3], 0 offset:212
	buffer_load_dword v152, off, s[0:3], 0 offset:220
	v_mov_b32_e32 v116, 0
	buffer_load_dword v150, off, s[0:3], 0 offset:228
	s_mov_b32 s4, exec_lo
	ds_read_b128 v[117:120], v116 offset:576
	ds_read_b128 v[121:124], v116 offset:592
	s_waitcnt vmcnt(28) lgkmcnt(1)
	v_fma_f64 v[117:118], v[125:126], v[117:118], 0
	s_clause 0x7
	buffer_load_dword v126, off, s[0:3], 0 offset:236
	buffer_load_dword v155, off, s[0:3], 0 offset:256
	buffer_load_dword v157, off, s[0:3], 0 offset:248
	buffer_load_dword v159, off, s[0:3], 0 offset:240
	buffer_load_dword v125, off, s[0:3], 0 offset:232
	buffer_load_dword v160, off, s[0:3], 0 offset:244
	buffer_load_dword v158, off, s[0:3], 0 offset:252
	buffer_load_dword v156, off, s[0:3], 0 offset:260
	s_waitcnt vmcnt(34)
	v_fma_f64 v[117:118], v[127:128], v[119:120], v[117:118]
	s_waitcnt vmcnt(32) lgkmcnt(0)
	v_fma_f64 v[117:118], v[129:130], v[121:122], v[117:118]
	s_waitcnt vmcnt(30)
	v_fma_f64 v[127:128], v[131:132], v[123:124], v[117:118]
	ds_read_b128 v[117:120], v116 offset:608
	ds_read_b128 v[121:124], v116 offset:624
	s_waitcnt vmcnt(28) lgkmcnt(1)
	v_fma_f64 v[117:118], v[133:134], v[117:118], v[127:128]
	s_clause 0x7
	buffer_load_dword v128, off, s[0:3], 0 offset:268
	buffer_load_dword v129, off, s[0:3], 0 offset:288
	buffer_load_dword v131, off, s[0:3], 0 offset:280
	buffer_load_dword v133, off, s[0:3], 0 offset:272
	buffer_load_dword v127, off, s[0:3], 0 offset:264
	buffer_load_dword v134, off, s[0:3], 0 offset:276
	buffer_load_dword v132, off, s[0:3], 0 offset:284
	buffer_load_dword v130, off, s[0:3], 0 offset:292
	s_waitcnt vmcnt(34)
	v_fma_f64 v[117:118], v[135:136], v[119:120], v[117:118]
	s_waitcnt vmcnt(32) lgkmcnt(0)
	v_fma_f64 v[117:118], v[137:138], v[121:122], v[117:118]
	s_waitcnt vmcnt(27)
	v_fma_f64 v[135:136], v[139:140], v[123:124], v[117:118]
	;; [unrolled: 19-line block ×7, first 2 shown]
	ds_read_b128 v[117:120], v116 offset:800
	ds_read_b128 v[121:124], v116 offset:816
	s_waitcnt vmcnt(26) lgkmcnt(1)
	v_fma_f64 v[117:118], v[153:154], v[117:118], v[137:138]
	s_clause 0x1
	buffer_load_dword v137, off, s[0:3], 0 offset:104
	buffer_load_dword v138, off, s[0:3], 0 offset:108
	s_waitcnt vmcnt(27)
	v_fma_f64 v[117:118], v[147:148], v[119:120], v[117:118]
	s_waitcnt vmcnt(26) lgkmcnt(0)
	v_fma_f64 v[117:118], v[143:144], v[121:122], v[117:118]
	s_waitcnt vmcnt(21)
	v_fma_f64 v[125:126], v[125:126], v[123:124], v[117:118]
	ds_read_b128 v[117:120], v116 offset:832
	ds_read_b128 v[121:124], v116 offset:848
	s_waitcnt vmcnt(20) lgkmcnt(1)
	v_fma_f64 v[117:118], v[159:160], v[117:118], v[125:126]
	s_waitcnt vmcnt(19)
	v_fma_f64 v[117:118], v[151:152], v[119:120], v[117:118]
	s_waitcnt vmcnt(18) lgkmcnt(0)
	v_fma_f64 v[117:118], v[149:150], v[121:122], v[117:118]
	s_waitcnt vmcnt(13)
	v_fma_f64 v[125:126], v[127:128], v[123:124], v[117:118]
	ds_read_b128 v[117:120], v116 offset:864
	ds_read_b128 v[121:124], v116 offset:880
	s_waitcnt vmcnt(12) lgkmcnt(1)
	v_fma_f64 v[117:118], v[157:158], v[117:118], v[125:126]
	s_waitcnt vmcnt(11)
	v_fma_f64 v[117:118], v[155:156], v[119:120], v[117:118]
	s_waitcnt vmcnt(10) lgkmcnt(0)
	v_fma_f64 v[117:118], v[133:134], v[121:122], v[117:118]
	s_waitcnt vmcnt(5)
	v_fma_f64 v[121:122], v[129:130], v[123:124], v[117:118]
	ds_read_b128 v[117:120], v116 offset:896
	ds_read_b64 v[123:124], v116 offset:912
	s_waitcnt vmcnt(4) lgkmcnt(1)
	v_fma_f64 v[117:118], v[145:146], v[117:118], v[121:122]
	s_waitcnt vmcnt(3)
	v_fma_f64 v[117:118], v[135:136], v[119:120], v[117:118]
	s_waitcnt vmcnt(2) lgkmcnt(0)
	v_fma_f64 v[117:118], v[131:132], v[123:124], v[117:118]
	s_waitcnt vmcnt(0)
	v_add_f64 v[117:118], v[137:138], -v[117:118]
	buffer_store_dword v118, off, s[0:3], 0 offset:108
	buffer_store_dword v117, off, s[0:3], 0 offset:104
	v_cmpx_lt_u32_e32 12, v0
	s_cbranch_execz .LBB56_327
; %bb.326:
	s_clause 0x1
	buffer_load_dword v117, off, s[0:3], 0 offset:96
	buffer_load_dword v118, off, s[0:3], 0 offset:100
	buffer_store_dword v116, off, s[0:3], 0 offset:96
	buffer_store_dword v116, off, s[0:3], 0 offset:100
	s_waitcnt vmcnt(0)
	ds_write_b64 v115, v[117:118]
.LBB56_327:
	s_or_b32 exec_lo, exec_lo, s4
	s_waitcnt lgkmcnt(0)
	s_waitcnt_vscnt null, 0x0
	s_barrier
	buffer_gl0_inv
	s_clause 0x1c
	buffer_load_dword v125, off, s[0:3], 0 offset:104
	buffer_load_dword v126, off, s[0:3], 0 offset:108
	buffer_load_dword v127, off, s[0:3], 0 offset:112
	buffer_load_dword v128, off, s[0:3], 0 offset:116
	buffer_load_dword v129, off, s[0:3], 0 offset:120
	buffer_load_dword v130, off, s[0:3], 0 offset:124
	buffer_load_dword v131, off, s[0:3], 0 offset:128
	buffer_load_dword v132, off, s[0:3], 0 offset:132
	buffer_load_dword v133, off, s[0:3], 0 offset:136
	buffer_load_dword v134, off, s[0:3], 0 offset:140
	buffer_load_dword v135, off, s[0:3], 0 offset:144
	buffer_load_dword v136, off, s[0:3], 0 offset:148
	buffer_load_dword v137, off, s[0:3], 0 offset:152
	buffer_load_dword v138, off, s[0:3], 0 offset:156
	buffer_load_dword v140, off, s[0:3], 0 offset:164
	buffer_load_dword v141, off, s[0:3], 0 offset:184
	buffer_load_dword v143, off, s[0:3], 0 offset:176
	buffer_load_dword v145, off, s[0:3], 0 offset:168
	buffer_load_dword v139, off, s[0:3], 0 offset:160
	buffer_load_dword v146, off, s[0:3], 0 offset:172
	buffer_load_dword v144, off, s[0:3], 0 offset:180
	buffer_load_dword v142, off, s[0:3], 0 offset:188
	buffer_load_dword v148, off, s[0:3], 0 offset:196
	buffer_load_dword v149, off, s[0:3], 0 offset:216
	buffer_load_dword v151, off, s[0:3], 0 offset:208
	buffer_load_dword v153, off, s[0:3], 0 offset:200
	buffer_load_dword v147, off, s[0:3], 0 offset:192
	buffer_load_dword v154, off, s[0:3], 0 offset:204
	buffer_load_dword v152, off, s[0:3], 0 offset:212
	ds_read2_b64 v[117:120], v116 offset0:71 offset1:72
	ds_read2_b64 v[121:124], v116 offset0:73 offset1:74
	buffer_load_dword v150, off, s[0:3], 0 offset:220
	s_mov_b32 s4, exec_lo
	s_waitcnt vmcnt(28) lgkmcnt(1)
	v_fma_f64 v[117:118], v[125:126], v[117:118], 0
	s_clause 0x7
	buffer_load_dword v126, off, s[0:3], 0 offset:228
	buffer_load_dword v155, off, s[0:3], 0 offset:248
	buffer_load_dword v157, off, s[0:3], 0 offset:240
	buffer_load_dword v159, off, s[0:3], 0 offset:232
	buffer_load_dword v125, off, s[0:3], 0 offset:224
	buffer_load_dword v160, off, s[0:3], 0 offset:236
	buffer_load_dword v158, off, s[0:3], 0 offset:244
	buffer_load_dword v156, off, s[0:3], 0 offset:252
	s_waitcnt vmcnt(34)
	v_fma_f64 v[117:118], v[127:128], v[119:120], v[117:118]
	s_waitcnt vmcnt(32) lgkmcnt(0)
	v_fma_f64 v[117:118], v[129:130], v[121:122], v[117:118]
	s_waitcnt vmcnt(30)
	v_fma_f64 v[127:128], v[131:132], v[123:124], v[117:118]
	ds_read2_b64 v[117:120], v116 offset0:75 offset1:76
	ds_read2_b64 v[121:124], v116 offset0:77 offset1:78
	s_waitcnt vmcnt(28) lgkmcnt(1)
	v_fma_f64 v[117:118], v[133:134], v[117:118], v[127:128]
	s_clause 0x7
	buffer_load_dword v128, off, s[0:3], 0 offset:260
	buffer_load_dword v129, off, s[0:3], 0 offset:280
	buffer_load_dword v131, off, s[0:3], 0 offset:272
	buffer_load_dword v133, off, s[0:3], 0 offset:264
	buffer_load_dword v127, off, s[0:3], 0 offset:256
	buffer_load_dword v134, off, s[0:3], 0 offset:268
	buffer_load_dword v132, off, s[0:3], 0 offset:276
	buffer_load_dword v130, off, s[0:3], 0 offset:284
	s_waitcnt vmcnt(34)
	v_fma_f64 v[117:118], v[135:136], v[119:120], v[117:118]
	s_waitcnt vmcnt(32) lgkmcnt(0)
	v_fma_f64 v[117:118], v[137:138], v[121:122], v[117:118]
	s_waitcnt vmcnt(27)
	v_fma_f64 v[135:136], v[139:140], v[123:124], v[117:118]
	ds_read2_b64 v[117:120], v116 offset0:79 offset1:80
	ds_read2_b64 v[121:124], v116 offset0:81 offset1:82
	;; [unrolled: 19-line block ×7, first 2 shown]
	s_waitcnt vmcnt(26) lgkmcnt(1)
	v_fma_f64 v[117:118], v[153:154], v[117:118], v[137:138]
	s_clause 0x3
	buffer_load_dword v138, off, s[0:3], 0 offset:452
	buffer_load_dword v137, off, s[0:3], 0 offset:448
	;; [unrolled: 1-line block ×4, first 2 shown]
	s_waitcnt vmcnt(29)
	v_fma_f64 v[117:118], v[147:148], v[119:120], v[117:118]
	s_waitcnt vmcnt(28) lgkmcnt(0)
	v_fma_f64 v[117:118], v[143:144], v[121:122], v[117:118]
	s_waitcnt vmcnt(23)
	v_fma_f64 v[125:126], v[125:126], v[123:124], v[117:118]
	ds_read2_b64 v[117:120], v116 offset0:103 offset1:104
	ds_read2_b64 v[121:124], v116 offset0:105 offset1:106
	s_waitcnt vmcnt(22) lgkmcnt(1)
	v_fma_f64 v[117:118], v[159:160], v[117:118], v[125:126]
	s_waitcnt vmcnt(21)
	v_fma_f64 v[117:118], v[151:152], v[119:120], v[117:118]
	s_waitcnt vmcnt(20) lgkmcnt(0)
	v_fma_f64 v[117:118], v[149:150], v[121:122], v[117:118]
	s_waitcnt vmcnt(15)
	v_fma_f64 v[125:126], v[127:128], v[123:124], v[117:118]
	ds_read2_b64 v[117:120], v116 offset0:107 offset1:108
	ds_read2_b64 v[121:124], v116 offset0:109 offset1:110
	s_waitcnt vmcnt(14) lgkmcnt(1)
	v_fma_f64 v[117:118], v[157:158], v[117:118], v[125:126]
	;; [unrolled: 10-line block ×3, first 2 shown]
	s_waitcnt vmcnt(5)
	v_fma_f64 v[116:117], v[135:136], v[119:120], v[116:117]
	s_waitcnt vmcnt(4) lgkmcnt(0)
	v_fma_f64 v[116:117], v[131:132], v[121:122], v[116:117]
	s_waitcnt vmcnt(2)
	v_fma_f64 v[116:117], v[137:138], v[123:124], v[116:117]
	s_waitcnt vmcnt(0)
	v_add_f64 v[116:117], v[139:140], -v[116:117]
	buffer_store_dword v117, off, s[0:3], 0 offset:100
	buffer_store_dword v116, off, s[0:3], 0 offset:96
	v_cmpx_lt_u32_e32 11, v0
	s_cbranch_execz .LBB56_329
; %bb.328:
	s_clause 0x1
	buffer_load_dword v116, off, s[0:3], 0 offset:88
	buffer_load_dword v117, off, s[0:3], 0 offset:92
	v_mov_b32_e32 v118, 0
	buffer_store_dword v118, off, s[0:3], 0 offset:88
	buffer_store_dword v118, off, s[0:3], 0 offset:92
	s_waitcnt vmcnt(0)
	ds_write_b64 v115, v[116:117]
.LBB56_329:
	s_or_b32 exec_lo, exec_lo, s4
	s_waitcnt lgkmcnt(0)
	s_waitcnt_vscnt null, 0x0
	s_barrier
	buffer_gl0_inv
	s_clause 0x1c
	buffer_load_dword v125, off, s[0:3], 0 offset:96
	buffer_load_dword v126, off, s[0:3], 0 offset:100
	;; [unrolled: 1-line block ×29, first 2 shown]
	v_mov_b32_e32 v116, 0
	buffer_load_dword v150, off, s[0:3], 0 offset:212
	s_mov_b32 s4, exec_lo
	ds_read_b128 v[117:120], v116 offset:560
	ds_read_b128 v[121:124], v116 offset:576
	s_waitcnt vmcnt(28) lgkmcnt(1)
	v_fma_f64 v[117:118], v[125:126], v[117:118], 0
	s_clause 0x7
	buffer_load_dword v126, off, s[0:3], 0 offset:220
	buffer_load_dword v155, off, s[0:3], 0 offset:240
	buffer_load_dword v157, off, s[0:3], 0 offset:232
	buffer_load_dword v159, off, s[0:3], 0 offset:224
	buffer_load_dword v125, off, s[0:3], 0 offset:216
	buffer_load_dword v160, off, s[0:3], 0 offset:228
	buffer_load_dword v158, off, s[0:3], 0 offset:236
	buffer_load_dword v156, off, s[0:3], 0 offset:244
	s_waitcnt vmcnt(34)
	v_fma_f64 v[117:118], v[127:128], v[119:120], v[117:118]
	s_waitcnt vmcnt(32) lgkmcnt(0)
	v_fma_f64 v[117:118], v[129:130], v[121:122], v[117:118]
	s_waitcnt vmcnt(30)
	v_fma_f64 v[127:128], v[131:132], v[123:124], v[117:118]
	ds_read_b128 v[117:120], v116 offset:592
	ds_read_b128 v[121:124], v116 offset:608
	s_waitcnt vmcnt(28) lgkmcnt(1)
	v_fma_f64 v[117:118], v[133:134], v[117:118], v[127:128]
	s_clause 0x7
	buffer_load_dword v128, off, s[0:3], 0 offset:252
	buffer_load_dword v129, off, s[0:3], 0 offset:272
	buffer_load_dword v131, off, s[0:3], 0 offset:264
	buffer_load_dword v133, off, s[0:3], 0 offset:256
	buffer_load_dword v127, off, s[0:3], 0 offset:248
	buffer_load_dword v134, off, s[0:3], 0 offset:260
	buffer_load_dword v132, off, s[0:3], 0 offset:268
	buffer_load_dword v130, off, s[0:3], 0 offset:276
	s_waitcnt vmcnt(34)
	v_fma_f64 v[117:118], v[135:136], v[119:120], v[117:118]
	s_waitcnt vmcnt(32) lgkmcnt(0)
	v_fma_f64 v[117:118], v[137:138], v[121:122], v[117:118]
	s_waitcnt vmcnt(27)
	v_fma_f64 v[135:136], v[139:140], v[123:124], v[117:118]
	;; [unrolled: 19-line block ×7, first 2 shown]
	ds_read_b128 v[117:120], v116 offset:784
	ds_read_b128 v[121:124], v116 offset:800
	s_waitcnt vmcnt(26) lgkmcnt(1)
	v_fma_f64 v[117:118], v[153:154], v[117:118], v[137:138]
	s_clause 0x5
	buffer_load_dword v138, off, s[0:3], 0 offset:444
	buffer_load_dword v139, off, s[0:3], 0 offset:448
	;; [unrolled: 1-line block ×6, first 2 shown]
	s_waitcnt vmcnt(31)
	v_fma_f64 v[117:118], v[147:148], v[119:120], v[117:118]
	s_waitcnt vmcnt(30) lgkmcnt(0)
	v_fma_f64 v[117:118], v[143:144], v[121:122], v[117:118]
	s_waitcnt vmcnt(25)
	v_fma_f64 v[125:126], v[125:126], v[123:124], v[117:118]
	ds_read_b128 v[117:120], v116 offset:816
	ds_read_b128 v[121:124], v116 offset:832
	s_waitcnt vmcnt(24) lgkmcnt(1)
	v_fma_f64 v[117:118], v[159:160], v[117:118], v[125:126]
	s_waitcnt vmcnt(23)
	v_fma_f64 v[117:118], v[151:152], v[119:120], v[117:118]
	s_waitcnt vmcnt(22) lgkmcnt(0)
	v_fma_f64 v[117:118], v[149:150], v[121:122], v[117:118]
	s_waitcnt vmcnt(17)
	v_fma_f64 v[125:126], v[127:128], v[123:124], v[117:118]
	ds_read_b128 v[117:120], v116 offset:848
	ds_read_b128 v[121:124], v116 offset:864
	s_waitcnt vmcnt(16) lgkmcnt(1)
	v_fma_f64 v[117:118], v[157:158], v[117:118], v[125:126]
	;; [unrolled: 10-line block ×3, first 2 shown]
	s_waitcnt vmcnt(7)
	v_fma_f64 v[117:118], v[135:136], v[119:120], v[117:118]
	ds_read_b64 v[119:120], v116 offset:912
	s_waitcnt vmcnt(6) lgkmcnt(1)
	v_fma_f64 v[117:118], v[131:132], v[121:122], v[117:118]
	s_waitcnt vmcnt(3)
	v_fma_f64 v[117:118], v[137:138], v[123:124], v[117:118]
	s_waitcnt vmcnt(2) lgkmcnt(0)
	v_fma_f64 v[117:118], v[139:140], v[119:120], v[117:118]
	s_waitcnt vmcnt(0)
	v_add_f64 v[117:118], v[141:142], -v[117:118]
	buffer_store_dword v118, off, s[0:3], 0 offset:92
	buffer_store_dword v117, off, s[0:3], 0 offset:88
	v_cmpx_lt_u32_e32 10, v0
	s_cbranch_execz .LBB56_331
; %bb.330:
	s_clause 0x1
	buffer_load_dword v117, off, s[0:3], 0 offset:80
	buffer_load_dword v118, off, s[0:3], 0 offset:84
	buffer_store_dword v116, off, s[0:3], 0 offset:80
	buffer_store_dword v116, off, s[0:3], 0 offset:84
	s_waitcnt vmcnt(0)
	ds_write_b64 v115, v[117:118]
.LBB56_331:
	s_or_b32 exec_lo, exec_lo, s4
	s_waitcnt lgkmcnt(0)
	s_waitcnt_vscnt null, 0x0
	s_barrier
	buffer_gl0_inv
	s_clause 0x1c
	buffer_load_dword v125, off, s[0:3], 0 offset:88
	buffer_load_dword v126, off, s[0:3], 0 offset:92
	;; [unrolled: 1-line block ×29, first 2 shown]
	ds_read2_b64 v[117:120], v116 offset0:69 offset1:70
	ds_read2_b64 v[121:124], v116 offset0:71 offset1:72
	buffer_load_dword v150, off, s[0:3], 0 offset:204
	s_mov_b32 s4, exec_lo
	s_waitcnt vmcnt(28) lgkmcnt(1)
	v_fma_f64 v[117:118], v[125:126], v[117:118], 0
	s_clause 0x7
	buffer_load_dword v126, off, s[0:3], 0 offset:212
	buffer_load_dword v155, off, s[0:3], 0 offset:232
	buffer_load_dword v157, off, s[0:3], 0 offset:224
	buffer_load_dword v159, off, s[0:3], 0 offset:216
	buffer_load_dword v125, off, s[0:3], 0 offset:208
	buffer_load_dword v160, off, s[0:3], 0 offset:220
	buffer_load_dword v158, off, s[0:3], 0 offset:228
	buffer_load_dword v156, off, s[0:3], 0 offset:236
	s_waitcnt vmcnt(34)
	v_fma_f64 v[117:118], v[127:128], v[119:120], v[117:118]
	s_waitcnt vmcnt(32) lgkmcnt(0)
	v_fma_f64 v[117:118], v[129:130], v[121:122], v[117:118]
	s_waitcnt vmcnt(30)
	v_fma_f64 v[127:128], v[131:132], v[123:124], v[117:118]
	ds_read2_b64 v[117:120], v116 offset0:73 offset1:74
	ds_read2_b64 v[121:124], v116 offset0:75 offset1:76
	s_waitcnt vmcnt(28) lgkmcnt(1)
	v_fma_f64 v[117:118], v[133:134], v[117:118], v[127:128]
	s_clause 0x7
	buffer_load_dword v128, off, s[0:3], 0 offset:244
	buffer_load_dword v129, off, s[0:3], 0 offset:264
	buffer_load_dword v131, off, s[0:3], 0 offset:256
	buffer_load_dword v133, off, s[0:3], 0 offset:248
	buffer_load_dword v127, off, s[0:3], 0 offset:240
	buffer_load_dword v134, off, s[0:3], 0 offset:252
	buffer_load_dword v132, off, s[0:3], 0 offset:260
	buffer_load_dword v130, off, s[0:3], 0 offset:268
	s_waitcnt vmcnt(34)
	v_fma_f64 v[117:118], v[135:136], v[119:120], v[117:118]
	s_waitcnt vmcnt(32) lgkmcnt(0)
	v_fma_f64 v[117:118], v[137:138], v[121:122], v[117:118]
	s_waitcnt vmcnt(27)
	v_fma_f64 v[135:136], v[139:140], v[123:124], v[117:118]
	ds_read2_b64 v[117:120], v116 offset0:77 offset1:78
	ds_read2_b64 v[121:124], v116 offset0:79 offset1:80
	;; [unrolled: 19-line block ×7, first 2 shown]
	s_waitcnt vmcnt(26) lgkmcnt(1)
	v_fma_f64 v[117:118], v[153:154], v[117:118], v[137:138]
	s_clause 0x5
	buffer_load_dword v138, off, s[0:3], 0 offset:436
	buffer_load_dword v139, off, s[0:3], 0 offset:448
	;; [unrolled: 1-line block ×6, first 2 shown]
	s_waitcnt vmcnt(31)
	v_fma_f64 v[117:118], v[147:148], v[119:120], v[117:118]
	s_waitcnt vmcnt(30) lgkmcnt(0)
	v_fma_f64 v[117:118], v[143:144], v[121:122], v[117:118]
	s_waitcnt vmcnt(25)
	v_fma_f64 v[125:126], v[125:126], v[123:124], v[117:118]
	ds_read2_b64 v[117:120], v116 offset0:101 offset1:102
	s_clause 0x1
	buffer_load_dword v143, off, s[0:3], 0 offset:80
	buffer_load_dword v144, off, s[0:3], 0 offset:84
	ds_read2_b64 v[121:124], v116 offset0:103 offset1:104
	s_waitcnt vmcnt(26) lgkmcnt(1)
	v_fma_f64 v[117:118], v[159:160], v[117:118], v[125:126]
	s_waitcnt vmcnt(25)
	v_fma_f64 v[117:118], v[151:152], v[119:120], v[117:118]
	s_waitcnt vmcnt(24) lgkmcnt(0)
	v_fma_f64 v[117:118], v[149:150], v[121:122], v[117:118]
	s_waitcnt vmcnt(19)
	v_fma_f64 v[125:126], v[127:128], v[123:124], v[117:118]
	ds_read2_b64 v[117:120], v116 offset0:105 offset1:106
	ds_read2_b64 v[121:124], v116 offset0:107 offset1:108
	s_waitcnt vmcnt(18) lgkmcnt(1)
	v_fma_f64 v[117:118], v[157:158], v[117:118], v[125:126]
	s_waitcnt vmcnt(17)
	v_fma_f64 v[117:118], v[155:156], v[119:120], v[117:118]
	s_waitcnt vmcnt(16) lgkmcnt(0)
	v_fma_f64 v[117:118], v[133:134], v[121:122], v[117:118]
	s_waitcnt vmcnt(11)
	v_fma_f64 v[125:126], v[129:130], v[123:124], v[117:118]
	ds_read2_b64 v[117:120], v116 offset0:109 offset1:110
	;; [unrolled: 10-line block ×3, first 2 shown]
	s_waitcnt vmcnt(3) lgkmcnt(0)
	v_fma_f64 v[116:117], v[141:142], v[116:117], v[120:121]
	s_waitcnt vmcnt(2)
	v_fma_f64 v[116:117], v[139:140], v[118:119], v[116:117]
	s_waitcnt vmcnt(0)
	v_add_f64 v[116:117], v[143:144], -v[116:117]
	buffer_store_dword v117, off, s[0:3], 0 offset:84
	buffer_store_dword v116, off, s[0:3], 0 offset:80
	v_cmpx_lt_u32_e32 9, v0
	s_cbranch_execz .LBB56_333
; %bb.332:
	s_clause 0x1
	buffer_load_dword v116, off, s[0:3], 0 offset:72
	buffer_load_dword v117, off, s[0:3], 0 offset:76
	v_mov_b32_e32 v118, 0
	buffer_store_dword v118, off, s[0:3], 0 offset:72
	buffer_store_dword v118, off, s[0:3], 0 offset:76
	s_waitcnt vmcnt(0)
	ds_write_b64 v115, v[116:117]
.LBB56_333:
	s_or_b32 exec_lo, exec_lo, s4
	s_waitcnt lgkmcnt(0)
	s_waitcnt_vscnt null, 0x0
	s_barrier
	buffer_gl0_inv
	s_clause 0x1c
	buffer_load_dword v125, off, s[0:3], 0 offset:80
	buffer_load_dword v126, off, s[0:3], 0 offset:84
	;; [unrolled: 1-line block ×29, first 2 shown]
	v_mov_b32_e32 v116, 0
	buffer_load_dword v150, off, s[0:3], 0 offset:196
	s_mov_b32 s4, exec_lo
	ds_read_b128 v[117:120], v116 offset:544
	ds_read_b128 v[121:124], v116 offset:560
	s_waitcnt vmcnt(28) lgkmcnt(1)
	v_fma_f64 v[117:118], v[125:126], v[117:118], 0
	s_clause 0x7
	buffer_load_dword v126, off, s[0:3], 0 offset:204
	buffer_load_dword v155, off, s[0:3], 0 offset:224
	buffer_load_dword v157, off, s[0:3], 0 offset:216
	buffer_load_dword v159, off, s[0:3], 0 offset:208
	buffer_load_dword v125, off, s[0:3], 0 offset:200
	buffer_load_dword v160, off, s[0:3], 0 offset:212
	buffer_load_dword v158, off, s[0:3], 0 offset:220
	buffer_load_dword v156, off, s[0:3], 0 offset:228
	s_waitcnt vmcnt(34)
	v_fma_f64 v[117:118], v[127:128], v[119:120], v[117:118]
	s_waitcnt vmcnt(32) lgkmcnt(0)
	v_fma_f64 v[117:118], v[129:130], v[121:122], v[117:118]
	s_waitcnt vmcnt(30)
	v_fma_f64 v[127:128], v[131:132], v[123:124], v[117:118]
	ds_read_b128 v[117:120], v116 offset:576
	ds_read_b128 v[121:124], v116 offset:592
	s_waitcnt vmcnt(28) lgkmcnt(1)
	v_fma_f64 v[117:118], v[133:134], v[117:118], v[127:128]
	s_clause 0x7
	buffer_load_dword v128, off, s[0:3], 0 offset:236
	buffer_load_dword v129, off, s[0:3], 0 offset:256
	buffer_load_dword v131, off, s[0:3], 0 offset:248
	buffer_load_dword v133, off, s[0:3], 0 offset:240
	buffer_load_dword v127, off, s[0:3], 0 offset:232
	buffer_load_dword v134, off, s[0:3], 0 offset:244
	buffer_load_dword v132, off, s[0:3], 0 offset:252
	buffer_load_dword v130, off, s[0:3], 0 offset:260
	s_waitcnt vmcnt(34)
	v_fma_f64 v[117:118], v[135:136], v[119:120], v[117:118]
	s_waitcnt vmcnt(32) lgkmcnt(0)
	v_fma_f64 v[117:118], v[137:138], v[121:122], v[117:118]
	s_waitcnt vmcnt(27)
	v_fma_f64 v[135:136], v[139:140], v[123:124], v[117:118]
	;; [unrolled: 19-line block ×8, first 2 shown]
	ds_read_b128 v[117:120], v116 offset:800
	ds_read_b128 v[121:124], v116 offset:816
	s_waitcnt vmcnt(26) lgkmcnt(1)
	v_fma_f64 v[117:118], v[159:160], v[117:118], v[125:126]
	s_clause 0x1
	buffer_load_dword v125, off, s[0:3], 0 offset:72
	buffer_load_dword v126, off, s[0:3], 0 offset:76
	s_waitcnt vmcnt(27)
	v_fma_f64 v[117:118], v[151:152], v[119:120], v[117:118]
	s_waitcnt vmcnt(26) lgkmcnt(0)
	v_fma_f64 v[117:118], v[149:150], v[121:122], v[117:118]
	s_waitcnt vmcnt(21)
	v_fma_f64 v[127:128], v[127:128], v[123:124], v[117:118]
	ds_read_b128 v[117:120], v116 offset:832
	ds_read_b128 v[121:124], v116 offset:848
	s_waitcnt vmcnt(20) lgkmcnt(1)
	v_fma_f64 v[117:118], v[157:158], v[117:118], v[127:128]
	s_waitcnt vmcnt(19)
	v_fma_f64 v[117:118], v[155:156], v[119:120], v[117:118]
	s_waitcnt vmcnt(18) lgkmcnt(0)
	v_fma_f64 v[117:118], v[133:134], v[121:122], v[117:118]
	s_waitcnt vmcnt(13)
	v_fma_f64 v[127:128], v[129:130], v[123:124], v[117:118]
	ds_read_b128 v[117:120], v116 offset:864
	ds_read_b128 v[121:124], v116 offset:880
	s_waitcnt vmcnt(12) lgkmcnt(1)
	v_fma_f64 v[117:118], v[145:146], v[117:118], v[127:128]
	s_waitcnt vmcnt(11)
	v_fma_f64 v[117:118], v[135:136], v[119:120], v[117:118]
	s_waitcnt vmcnt(10) lgkmcnt(0)
	v_fma_f64 v[117:118], v[131:132], v[121:122], v[117:118]
	s_waitcnt vmcnt(5)
	v_fma_f64 v[121:122], v[137:138], v[123:124], v[117:118]
	ds_read_b128 v[117:120], v116 offset:896
	ds_read_b64 v[123:124], v116 offset:912
	s_waitcnt vmcnt(4) lgkmcnt(1)
	v_fma_f64 v[117:118], v[153:154], v[117:118], v[121:122]
	s_waitcnt vmcnt(3)
	v_fma_f64 v[117:118], v[141:142], v[119:120], v[117:118]
	s_waitcnt vmcnt(2) lgkmcnt(0)
	v_fma_f64 v[117:118], v[139:140], v[123:124], v[117:118]
	s_waitcnt vmcnt(0)
	v_add_f64 v[117:118], v[125:126], -v[117:118]
	buffer_store_dword v118, off, s[0:3], 0 offset:76
	buffer_store_dword v117, off, s[0:3], 0 offset:72
	v_cmpx_lt_u32_e32 8, v0
	s_cbranch_execz .LBB56_335
; %bb.334:
	s_clause 0x1
	buffer_load_dword v117, off, s[0:3], 0 offset:64
	buffer_load_dword v118, off, s[0:3], 0 offset:68
	buffer_store_dword v116, off, s[0:3], 0 offset:64
	buffer_store_dword v116, off, s[0:3], 0 offset:68
	s_waitcnt vmcnt(0)
	ds_write_b64 v115, v[117:118]
.LBB56_335:
	s_or_b32 exec_lo, exec_lo, s4
	s_waitcnt lgkmcnt(0)
	s_waitcnt_vscnt null, 0x0
	s_barrier
	buffer_gl0_inv
	s_clause 0x1c
	buffer_load_dword v125, off, s[0:3], 0 offset:72
	buffer_load_dword v126, off, s[0:3], 0 offset:76
	;; [unrolled: 1-line block ×29, first 2 shown]
	ds_read2_b64 v[117:120], v116 offset0:67 offset1:68
	ds_read2_b64 v[121:124], v116 offset0:69 offset1:70
	buffer_load_dword v150, off, s[0:3], 0 offset:188
	s_mov_b32 s4, exec_lo
	s_waitcnt vmcnt(28) lgkmcnt(1)
	v_fma_f64 v[117:118], v[125:126], v[117:118], 0
	s_clause 0x7
	buffer_load_dword v126, off, s[0:3], 0 offset:196
	buffer_load_dword v155, off, s[0:3], 0 offset:216
	buffer_load_dword v157, off, s[0:3], 0 offset:208
	buffer_load_dword v159, off, s[0:3], 0 offset:200
	buffer_load_dword v125, off, s[0:3], 0 offset:192
	buffer_load_dword v160, off, s[0:3], 0 offset:204
	buffer_load_dword v158, off, s[0:3], 0 offset:212
	buffer_load_dword v156, off, s[0:3], 0 offset:220
	s_waitcnt vmcnt(34)
	v_fma_f64 v[117:118], v[127:128], v[119:120], v[117:118]
	s_waitcnt vmcnt(32) lgkmcnt(0)
	v_fma_f64 v[117:118], v[129:130], v[121:122], v[117:118]
	s_waitcnt vmcnt(30)
	v_fma_f64 v[127:128], v[131:132], v[123:124], v[117:118]
	ds_read2_b64 v[117:120], v116 offset0:71 offset1:72
	ds_read2_b64 v[121:124], v116 offset0:73 offset1:74
	s_waitcnt vmcnt(28) lgkmcnt(1)
	v_fma_f64 v[117:118], v[133:134], v[117:118], v[127:128]
	s_clause 0x7
	buffer_load_dword v128, off, s[0:3], 0 offset:228
	buffer_load_dword v129, off, s[0:3], 0 offset:248
	buffer_load_dword v131, off, s[0:3], 0 offset:240
	buffer_load_dword v133, off, s[0:3], 0 offset:232
	buffer_load_dword v127, off, s[0:3], 0 offset:224
	buffer_load_dword v134, off, s[0:3], 0 offset:236
	buffer_load_dword v132, off, s[0:3], 0 offset:244
	buffer_load_dword v130, off, s[0:3], 0 offset:252
	s_waitcnt vmcnt(34)
	v_fma_f64 v[117:118], v[135:136], v[119:120], v[117:118]
	s_waitcnt vmcnt(32) lgkmcnt(0)
	v_fma_f64 v[117:118], v[137:138], v[121:122], v[117:118]
	s_waitcnt vmcnt(27)
	v_fma_f64 v[135:136], v[139:140], v[123:124], v[117:118]
	ds_read2_b64 v[117:120], v116 offset0:75 offset1:76
	ds_read2_b64 v[121:124], v116 offset0:77 offset1:78
	;; [unrolled: 19-line block ×8, first 2 shown]
	s_waitcnt vmcnt(26) lgkmcnt(1)
	v_fma_f64 v[117:118], v[159:160], v[117:118], v[125:126]
	s_clause 0x3
	buffer_load_dword v126, off, s[0:3], 0 offset:452
	buffer_load_dword v125, off, s[0:3], 0 offset:448
	;; [unrolled: 1-line block ×4, first 2 shown]
	s_waitcnt vmcnt(29)
	v_fma_f64 v[117:118], v[151:152], v[119:120], v[117:118]
	s_waitcnt vmcnt(28) lgkmcnt(0)
	v_fma_f64 v[117:118], v[149:150], v[121:122], v[117:118]
	s_waitcnt vmcnt(23)
	v_fma_f64 v[127:128], v[127:128], v[123:124], v[117:118]
	ds_read2_b64 v[117:120], v116 offset0:103 offset1:104
	ds_read2_b64 v[121:124], v116 offset0:105 offset1:106
	s_waitcnt vmcnt(22) lgkmcnt(1)
	v_fma_f64 v[117:118], v[157:158], v[117:118], v[127:128]
	s_waitcnt vmcnt(21)
	v_fma_f64 v[117:118], v[155:156], v[119:120], v[117:118]
	s_waitcnt vmcnt(20) lgkmcnt(0)
	v_fma_f64 v[117:118], v[133:134], v[121:122], v[117:118]
	s_waitcnt vmcnt(15)
	v_fma_f64 v[127:128], v[129:130], v[123:124], v[117:118]
	ds_read2_b64 v[117:120], v116 offset0:107 offset1:108
	ds_read2_b64 v[121:124], v116 offset0:109 offset1:110
	s_waitcnt vmcnt(14) lgkmcnt(1)
	v_fma_f64 v[117:118], v[145:146], v[117:118], v[127:128]
	;; [unrolled: 10-line block ×3, first 2 shown]
	s_waitcnt vmcnt(5)
	v_fma_f64 v[116:117], v[141:142], v[119:120], v[116:117]
	s_waitcnt vmcnt(4) lgkmcnt(0)
	v_fma_f64 v[116:117], v[139:140], v[121:122], v[116:117]
	s_waitcnt vmcnt(2)
	v_fma_f64 v[116:117], v[125:126], v[123:124], v[116:117]
	s_waitcnt vmcnt(0)
	v_add_f64 v[116:117], v[143:144], -v[116:117]
	buffer_store_dword v117, off, s[0:3], 0 offset:68
	buffer_store_dword v116, off, s[0:3], 0 offset:64
	v_cmpx_lt_u32_e32 7, v0
	s_cbranch_execz .LBB56_337
; %bb.336:
	s_clause 0x1
	buffer_load_dword v116, off, s[0:3], 0 offset:56
	buffer_load_dword v117, off, s[0:3], 0 offset:60
	v_mov_b32_e32 v118, 0
	buffer_store_dword v118, off, s[0:3], 0 offset:56
	buffer_store_dword v118, off, s[0:3], 0 offset:60
	s_waitcnt vmcnt(0)
	ds_write_b64 v115, v[116:117]
.LBB56_337:
	s_or_b32 exec_lo, exec_lo, s4
	s_waitcnt lgkmcnt(0)
	s_waitcnt_vscnt null, 0x0
	s_barrier
	buffer_gl0_inv
	s_clause 0x1c
	buffer_load_dword v125, off, s[0:3], 0 offset:64
	buffer_load_dword v126, off, s[0:3], 0 offset:68
	;; [unrolled: 1-line block ×29, first 2 shown]
	v_mov_b32_e32 v116, 0
	buffer_load_dword v150, off, s[0:3], 0 offset:180
	s_mov_b32 s4, exec_lo
	ds_read_b128 v[117:120], v116 offset:528
	ds_read_b128 v[121:124], v116 offset:544
	s_waitcnt vmcnt(28) lgkmcnt(1)
	v_fma_f64 v[117:118], v[125:126], v[117:118], 0
	s_clause 0x7
	buffer_load_dword v126, off, s[0:3], 0 offset:188
	buffer_load_dword v155, off, s[0:3], 0 offset:208
	buffer_load_dword v157, off, s[0:3], 0 offset:200
	buffer_load_dword v159, off, s[0:3], 0 offset:192
	buffer_load_dword v125, off, s[0:3], 0 offset:184
	buffer_load_dword v160, off, s[0:3], 0 offset:196
	buffer_load_dword v158, off, s[0:3], 0 offset:204
	buffer_load_dword v156, off, s[0:3], 0 offset:212
	s_waitcnt vmcnt(34)
	v_fma_f64 v[117:118], v[127:128], v[119:120], v[117:118]
	s_waitcnt vmcnt(32) lgkmcnt(0)
	v_fma_f64 v[117:118], v[129:130], v[121:122], v[117:118]
	s_waitcnt vmcnt(30)
	v_fma_f64 v[127:128], v[131:132], v[123:124], v[117:118]
	ds_read_b128 v[117:120], v116 offset:560
	ds_read_b128 v[121:124], v116 offset:576
	s_waitcnt vmcnt(28) lgkmcnt(1)
	v_fma_f64 v[117:118], v[133:134], v[117:118], v[127:128]
	s_clause 0x7
	buffer_load_dword v128, off, s[0:3], 0 offset:220
	buffer_load_dword v129, off, s[0:3], 0 offset:240
	buffer_load_dword v131, off, s[0:3], 0 offset:232
	buffer_load_dword v133, off, s[0:3], 0 offset:224
	buffer_load_dword v127, off, s[0:3], 0 offset:216
	buffer_load_dword v134, off, s[0:3], 0 offset:228
	buffer_load_dword v132, off, s[0:3], 0 offset:236
	buffer_load_dword v130, off, s[0:3], 0 offset:244
	s_waitcnt vmcnt(34)
	v_fma_f64 v[117:118], v[135:136], v[119:120], v[117:118]
	s_waitcnt vmcnt(32) lgkmcnt(0)
	v_fma_f64 v[117:118], v[137:138], v[121:122], v[117:118]
	s_waitcnt vmcnt(27)
	v_fma_f64 v[135:136], v[139:140], v[123:124], v[117:118]
	;; [unrolled: 19-line block ×8, first 2 shown]
	ds_read_b128 v[117:120], v116 offset:784
	ds_read_b128 v[121:124], v116 offset:800
	s_waitcnt vmcnt(26) lgkmcnt(1)
	v_fma_f64 v[117:118], v[159:160], v[117:118], v[125:126]
	s_clause 0x5
	buffer_load_dword v126, off, s[0:3], 0 offset:444
	buffer_load_dword v143, off, s[0:3], 0 offset:448
	;; [unrolled: 1-line block ×6, first 2 shown]
	s_waitcnt vmcnt(31)
	v_fma_f64 v[117:118], v[151:152], v[119:120], v[117:118]
	s_waitcnt vmcnt(30) lgkmcnt(0)
	v_fma_f64 v[117:118], v[149:150], v[121:122], v[117:118]
	s_waitcnt vmcnt(25)
	v_fma_f64 v[127:128], v[127:128], v[123:124], v[117:118]
	ds_read_b128 v[117:120], v116 offset:816
	ds_read_b128 v[121:124], v116 offset:832
	s_waitcnt vmcnt(24) lgkmcnt(1)
	v_fma_f64 v[117:118], v[157:158], v[117:118], v[127:128]
	s_waitcnt vmcnt(23)
	v_fma_f64 v[117:118], v[155:156], v[119:120], v[117:118]
	s_waitcnt vmcnt(22) lgkmcnt(0)
	v_fma_f64 v[117:118], v[133:134], v[121:122], v[117:118]
	s_waitcnt vmcnt(17)
	v_fma_f64 v[127:128], v[129:130], v[123:124], v[117:118]
	ds_read_b128 v[117:120], v116 offset:848
	ds_read_b128 v[121:124], v116 offset:864
	s_waitcnt vmcnt(16) lgkmcnt(1)
	v_fma_f64 v[117:118], v[145:146], v[117:118], v[127:128]
	;; [unrolled: 10-line block ×3, first 2 shown]
	s_waitcnt vmcnt(7)
	v_fma_f64 v[117:118], v[141:142], v[119:120], v[117:118]
	ds_read_b64 v[119:120], v116 offset:912
	s_waitcnt vmcnt(6) lgkmcnt(1)
	v_fma_f64 v[117:118], v[139:140], v[121:122], v[117:118]
	s_waitcnt vmcnt(3)
	v_fma_f64 v[117:118], v[125:126], v[123:124], v[117:118]
	s_waitcnt vmcnt(2) lgkmcnt(0)
	v_fma_f64 v[117:118], v[143:144], v[119:120], v[117:118]
	s_waitcnt vmcnt(0)
	v_add_f64 v[117:118], v[147:148], -v[117:118]
	buffer_store_dword v118, off, s[0:3], 0 offset:60
	buffer_store_dword v117, off, s[0:3], 0 offset:56
	v_cmpx_lt_u32_e32 6, v0
	s_cbranch_execz .LBB56_339
; %bb.338:
	s_clause 0x1
	buffer_load_dword v117, off, s[0:3], 0 offset:48
	buffer_load_dword v118, off, s[0:3], 0 offset:52
	buffer_store_dword v116, off, s[0:3], 0 offset:48
	buffer_store_dword v116, off, s[0:3], 0 offset:52
	s_waitcnt vmcnt(0)
	ds_write_b64 v115, v[117:118]
.LBB56_339:
	s_or_b32 exec_lo, exec_lo, s4
	s_waitcnt lgkmcnt(0)
	s_waitcnt_vscnt null, 0x0
	s_barrier
	buffer_gl0_inv
	s_clause 0x1c
	buffer_load_dword v125, off, s[0:3], 0 offset:56
	buffer_load_dword v126, off, s[0:3], 0 offset:60
	;; [unrolled: 1-line block ×29, first 2 shown]
	ds_read2_b64 v[117:120], v116 offset0:65 offset1:66
	ds_read2_b64 v[121:124], v116 offset0:67 offset1:68
	buffer_load_dword v150, off, s[0:3], 0 offset:172
	s_mov_b32 s4, exec_lo
	s_waitcnt vmcnt(28) lgkmcnt(1)
	v_fma_f64 v[117:118], v[125:126], v[117:118], 0
	s_clause 0x7
	buffer_load_dword v126, off, s[0:3], 0 offset:180
	buffer_load_dword v155, off, s[0:3], 0 offset:200
	buffer_load_dword v157, off, s[0:3], 0 offset:192
	buffer_load_dword v159, off, s[0:3], 0 offset:184
	buffer_load_dword v125, off, s[0:3], 0 offset:176
	buffer_load_dword v160, off, s[0:3], 0 offset:188
	buffer_load_dword v158, off, s[0:3], 0 offset:196
	buffer_load_dword v156, off, s[0:3], 0 offset:204
	s_waitcnt vmcnt(34)
	v_fma_f64 v[117:118], v[127:128], v[119:120], v[117:118]
	s_waitcnt vmcnt(32) lgkmcnt(0)
	v_fma_f64 v[117:118], v[129:130], v[121:122], v[117:118]
	s_waitcnt vmcnt(30)
	v_fma_f64 v[127:128], v[131:132], v[123:124], v[117:118]
	ds_read2_b64 v[117:120], v116 offset0:69 offset1:70
	ds_read2_b64 v[121:124], v116 offset0:71 offset1:72
	s_waitcnt vmcnt(28) lgkmcnt(1)
	v_fma_f64 v[117:118], v[133:134], v[117:118], v[127:128]
	s_clause 0x7
	buffer_load_dword v128, off, s[0:3], 0 offset:212
	buffer_load_dword v129, off, s[0:3], 0 offset:232
	buffer_load_dword v131, off, s[0:3], 0 offset:224
	buffer_load_dword v133, off, s[0:3], 0 offset:216
	buffer_load_dword v127, off, s[0:3], 0 offset:208
	buffer_load_dword v134, off, s[0:3], 0 offset:220
	buffer_load_dword v132, off, s[0:3], 0 offset:228
	buffer_load_dword v130, off, s[0:3], 0 offset:236
	s_waitcnt vmcnt(34)
	v_fma_f64 v[117:118], v[135:136], v[119:120], v[117:118]
	s_waitcnt vmcnt(32) lgkmcnt(0)
	v_fma_f64 v[117:118], v[137:138], v[121:122], v[117:118]
	s_waitcnt vmcnt(27)
	v_fma_f64 v[135:136], v[139:140], v[123:124], v[117:118]
	ds_read2_b64 v[117:120], v116 offset0:73 offset1:74
	ds_read2_b64 v[121:124], v116 offset0:75 offset1:76
	;; [unrolled: 19-line block ×8, first 2 shown]
	s_waitcnt vmcnt(26) lgkmcnt(1)
	v_fma_f64 v[117:118], v[159:160], v[117:118], v[125:126]
	s_clause 0x5
	buffer_load_dword v126, off, s[0:3], 0 offset:436
	buffer_load_dword v143, off, s[0:3], 0 offset:448
	;; [unrolled: 1-line block ×6, first 2 shown]
	s_waitcnt vmcnt(31)
	v_fma_f64 v[117:118], v[151:152], v[119:120], v[117:118]
	s_waitcnt vmcnt(30) lgkmcnt(0)
	v_fma_f64 v[117:118], v[149:150], v[121:122], v[117:118]
	s_waitcnt vmcnt(25)
	v_fma_f64 v[127:128], v[127:128], v[123:124], v[117:118]
	ds_read2_b64 v[117:120], v116 offset0:101 offset1:102
	s_clause 0x1
	buffer_load_dword v149, off, s[0:3], 0 offset:48
	buffer_load_dword v150, off, s[0:3], 0 offset:52
	ds_read2_b64 v[121:124], v116 offset0:103 offset1:104
	s_waitcnt vmcnt(26) lgkmcnt(1)
	v_fma_f64 v[117:118], v[157:158], v[117:118], v[127:128]
	s_waitcnt vmcnt(25)
	v_fma_f64 v[117:118], v[155:156], v[119:120], v[117:118]
	s_waitcnt vmcnt(24) lgkmcnt(0)
	v_fma_f64 v[117:118], v[133:134], v[121:122], v[117:118]
	s_waitcnt vmcnt(19)
	v_fma_f64 v[127:128], v[129:130], v[123:124], v[117:118]
	ds_read2_b64 v[117:120], v116 offset0:105 offset1:106
	ds_read2_b64 v[121:124], v116 offset0:107 offset1:108
	s_waitcnt vmcnt(18) lgkmcnt(1)
	v_fma_f64 v[117:118], v[145:146], v[117:118], v[127:128]
	s_waitcnt vmcnt(17)
	v_fma_f64 v[117:118], v[135:136], v[119:120], v[117:118]
	s_waitcnt vmcnt(16) lgkmcnt(0)
	v_fma_f64 v[117:118], v[131:132], v[121:122], v[117:118]
	s_waitcnt vmcnt(11)
	v_fma_f64 v[127:128], v[137:138], v[123:124], v[117:118]
	ds_read2_b64 v[117:120], v116 offset0:109 offset1:110
	;; [unrolled: 10-line block ×3, first 2 shown]
	s_waitcnt vmcnt(3) lgkmcnt(0)
	v_fma_f64 v[116:117], v[147:148], v[116:117], v[120:121]
	s_waitcnt vmcnt(2)
	v_fma_f64 v[116:117], v[143:144], v[118:119], v[116:117]
	s_waitcnt vmcnt(0)
	v_add_f64 v[116:117], v[149:150], -v[116:117]
	buffer_store_dword v117, off, s[0:3], 0 offset:52
	buffer_store_dword v116, off, s[0:3], 0 offset:48
	v_cmpx_lt_u32_e32 5, v0
	s_cbranch_execz .LBB56_341
; %bb.340:
	s_clause 0x1
	buffer_load_dword v116, off, s[0:3], 0 offset:40
	buffer_load_dword v117, off, s[0:3], 0 offset:44
	v_mov_b32_e32 v118, 0
	buffer_store_dword v118, off, s[0:3], 0 offset:40
	buffer_store_dword v118, off, s[0:3], 0 offset:44
	s_waitcnt vmcnt(0)
	ds_write_b64 v115, v[116:117]
.LBB56_341:
	s_or_b32 exec_lo, exec_lo, s4
	s_waitcnt lgkmcnt(0)
	s_waitcnt_vscnt null, 0x0
	s_barrier
	buffer_gl0_inv
	s_clause 0x1c
	buffer_load_dword v125, off, s[0:3], 0 offset:48
	buffer_load_dword v126, off, s[0:3], 0 offset:52
	;; [unrolled: 1-line block ×29, first 2 shown]
	v_mov_b32_e32 v116, 0
	buffer_load_dword v150, off, s[0:3], 0 offset:164
	s_mov_b32 s4, exec_lo
	ds_read_b128 v[117:120], v116 offset:512
	ds_read_b128 v[121:124], v116 offset:528
	s_waitcnt vmcnt(28) lgkmcnt(1)
	v_fma_f64 v[117:118], v[125:126], v[117:118], 0
	s_clause 0x7
	buffer_load_dword v126, off, s[0:3], 0 offset:172
	buffer_load_dword v155, off, s[0:3], 0 offset:192
	buffer_load_dword v157, off, s[0:3], 0 offset:184
	buffer_load_dword v159, off, s[0:3], 0 offset:176
	buffer_load_dword v125, off, s[0:3], 0 offset:168
	buffer_load_dword v160, off, s[0:3], 0 offset:180
	buffer_load_dword v158, off, s[0:3], 0 offset:188
	buffer_load_dword v156, off, s[0:3], 0 offset:196
	s_waitcnt vmcnt(34)
	v_fma_f64 v[117:118], v[127:128], v[119:120], v[117:118]
	s_waitcnt vmcnt(32) lgkmcnt(0)
	v_fma_f64 v[117:118], v[129:130], v[121:122], v[117:118]
	s_waitcnt vmcnt(30)
	v_fma_f64 v[127:128], v[131:132], v[123:124], v[117:118]
	ds_read_b128 v[117:120], v116 offset:544
	ds_read_b128 v[121:124], v116 offset:560
	s_waitcnt vmcnt(28) lgkmcnt(1)
	v_fma_f64 v[117:118], v[133:134], v[117:118], v[127:128]
	s_clause 0x7
	buffer_load_dword v128, off, s[0:3], 0 offset:204
	buffer_load_dword v129, off, s[0:3], 0 offset:224
	buffer_load_dword v131, off, s[0:3], 0 offset:216
	buffer_load_dword v133, off, s[0:3], 0 offset:208
	buffer_load_dword v127, off, s[0:3], 0 offset:200
	buffer_load_dword v134, off, s[0:3], 0 offset:212
	buffer_load_dword v132, off, s[0:3], 0 offset:220
	buffer_load_dword v130, off, s[0:3], 0 offset:228
	s_waitcnt vmcnt(34)
	v_fma_f64 v[117:118], v[135:136], v[119:120], v[117:118]
	s_waitcnt vmcnt(32) lgkmcnt(0)
	v_fma_f64 v[117:118], v[137:138], v[121:122], v[117:118]
	s_waitcnt vmcnt(27)
	v_fma_f64 v[135:136], v[139:140], v[123:124], v[117:118]
	;; [unrolled: 19-line block ×9, first 2 shown]
	ds_read_b128 v[117:120], v116 offset:800
	ds_read_b128 v[121:124], v116 offset:816
	s_waitcnt vmcnt(26) lgkmcnt(1)
	v_fma_f64 v[117:118], v[157:158], v[117:118], v[127:128]
	s_clause 0x1
	buffer_load_dword v127, off, s[0:3], 0 offset:40
	buffer_load_dword v128, off, s[0:3], 0 offset:44
	s_waitcnt vmcnt(27)
	v_fma_f64 v[117:118], v[155:156], v[119:120], v[117:118]
	s_waitcnt vmcnt(26) lgkmcnt(0)
	v_fma_f64 v[117:118], v[133:134], v[121:122], v[117:118]
	s_waitcnt vmcnt(21)
	v_fma_f64 v[129:130], v[129:130], v[123:124], v[117:118]
	ds_read_b128 v[117:120], v116 offset:832
	ds_read_b128 v[121:124], v116 offset:848
	s_waitcnt vmcnt(20) lgkmcnt(1)
	v_fma_f64 v[117:118], v[145:146], v[117:118], v[129:130]
	s_waitcnt vmcnt(19)
	v_fma_f64 v[117:118], v[135:136], v[119:120], v[117:118]
	s_waitcnt vmcnt(18) lgkmcnt(0)
	v_fma_f64 v[117:118], v[131:132], v[121:122], v[117:118]
	s_waitcnt vmcnt(13)
	v_fma_f64 v[129:130], v[137:138], v[123:124], v[117:118]
	ds_read_b128 v[117:120], v116 offset:864
	ds_read_b128 v[121:124], v116 offset:880
	s_waitcnt vmcnt(12) lgkmcnt(1)
	v_fma_f64 v[117:118], v[153:154], v[117:118], v[129:130]
	s_waitcnt vmcnt(11)
	v_fma_f64 v[117:118], v[141:142], v[119:120], v[117:118]
	s_waitcnt vmcnt(10) lgkmcnt(0)
	v_fma_f64 v[117:118], v[139:140], v[121:122], v[117:118]
	s_waitcnt vmcnt(5)
	v_fma_f64 v[121:122], v[125:126], v[123:124], v[117:118]
	ds_read_b128 v[117:120], v116 offset:896
	ds_read_b64 v[123:124], v116 offset:912
	s_waitcnt vmcnt(4) lgkmcnt(1)
	v_fma_f64 v[117:118], v[159:160], v[117:118], v[121:122]
	s_waitcnt vmcnt(3)
	v_fma_f64 v[117:118], v[147:148], v[119:120], v[117:118]
	s_waitcnt vmcnt(2) lgkmcnt(0)
	v_fma_f64 v[117:118], v[143:144], v[123:124], v[117:118]
	s_waitcnt vmcnt(0)
	v_add_f64 v[117:118], v[127:128], -v[117:118]
	buffer_store_dword v118, off, s[0:3], 0 offset:44
	buffer_store_dword v117, off, s[0:3], 0 offset:40
	v_cmpx_lt_u32_e32 4, v0
	s_cbranch_execz .LBB56_343
; %bb.342:
	s_clause 0x1
	buffer_load_dword v117, off, s[0:3], 0 offset:32
	buffer_load_dword v118, off, s[0:3], 0 offset:36
	buffer_store_dword v116, off, s[0:3], 0 offset:32
	buffer_store_dword v116, off, s[0:3], 0 offset:36
	s_waitcnt vmcnt(0)
	ds_write_b64 v115, v[117:118]
.LBB56_343:
	s_or_b32 exec_lo, exec_lo, s4
	s_waitcnt lgkmcnt(0)
	s_waitcnt_vscnt null, 0x0
	s_barrier
	buffer_gl0_inv
	s_clause 0x1c
	buffer_load_dword v125, off, s[0:3], 0 offset:40
	buffer_load_dword v126, off, s[0:3], 0 offset:44
	;; [unrolled: 1-line block ×29, first 2 shown]
	ds_read2_b64 v[117:120], v116 offset0:63 offset1:64
	ds_read2_b64 v[121:124], v116 offset0:65 offset1:66
	buffer_load_dword v150, off, s[0:3], 0 offset:156
	s_mov_b32 s4, exec_lo
	s_waitcnt vmcnt(28) lgkmcnt(1)
	v_fma_f64 v[117:118], v[125:126], v[117:118], 0
	s_clause 0x7
	buffer_load_dword v126, off, s[0:3], 0 offset:164
	buffer_load_dword v155, off, s[0:3], 0 offset:184
	buffer_load_dword v157, off, s[0:3], 0 offset:176
	buffer_load_dword v159, off, s[0:3], 0 offset:168
	buffer_load_dword v125, off, s[0:3], 0 offset:160
	buffer_load_dword v160, off, s[0:3], 0 offset:172
	buffer_load_dword v158, off, s[0:3], 0 offset:180
	buffer_load_dword v156, off, s[0:3], 0 offset:188
	s_waitcnt vmcnt(34)
	v_fma_f64 v[117:118], v[127:128], v[119:120], v[117:118]
	s_waitcnt vmcnt(32) lgkmcnt(0)
	v_fma_f64 v[117:118], v[129:130], v[121:122], v[117:118]
	s_waitcnt vmcnt(30)
	v_fma_f64 v[127:128], v[131:132], v[123:124], v[117:118]
	ds_read2_b64 v[117:120], v116 offset0:67 offset1:68
	ds_read2_b64 v[121:124], v116 offset0:69 offset1:70
	s_waitcnt vmcnt(28) lgkmcnt(1)
	v_fma_f64 v[117:118], v[133:134], v[117:118], v[127:128]
	s_clause 0x7
	buffer_load_dword v128, off, s[0:3], 0 offset:196
	buffer_load_dword v129, off, s[0:3], 0 offset:216
	buffer_load_dword v131, off, s[0:3], 0 offset:208
	buffer_load_dword v133, off, s[0:3], 0 offset:200
	buffer_load_dword v127, off, s[0:3], 0 offset:192
	buffer_load_dword v134, off, s[0:3], 0 offset:204
	buffer_load_dword v132, off, s[0:3], 0 offset:212
	buffer_load_dword v130, off, s[0:3], 0 offset:220
	s_waitcnt vmcnt(34)
	v_fma_f64 v[117:118], v[135:136], v[119:120], v[117:118]
	s_waitcnt vmcnt(32) lgkmcnt(0)
	v_fma_f64 v[117:118], v[137:138], v[121:122], v[117:118]
	s_waitcnt vmcnt(27)
	v_fma_f64 v[135:136], v[139:140], v[123:124], v[117:118]
	ds_read2_b64 v[117:120], v116 offset0:71 offset1:72
	ds_read2_b64 v[121:124], v116 offset0:73 offset1:74
	;; [unrolled: 19-line block ×9, first 2 shown]
	s_waitcnt vmcnt(26) lgkmcnt(1)
	v_fma_f64 v[117:118], v[157:158], v[117:118], v[127:128]
	s_clause 0x3
	buffer_load_dword v128, off, s[0:3], 0 offset:452
	buffer_load_dword v127, off, s[0:3], 0 offset:448
	;; [unrolled: 1-line block ×4, first 2 shown]
	s_waitcnt vmcnt(29)
	v_fma_f64 v[117:118], v[155:156], v[119:120], v[117:118]
	s_waitcnt vmcnt(28) lgkmcnt(0)
	v_fma_f64 v[117:118], v[133:134], v[121:122], v[117:118]
	s_waitcnt vmcnt(23)
	v_fma_f64 v[129:130], v[129:130], v[123:124], v[117:118]
	ds_read2_b64 v[117:120], v116 offset0:103 offset1:104
	ds_read2_b64 v[121:124], v116 offset0:105 offset1:106
	s_waitcnt vmcnt(22) lgkmcnt(1)
	v_fma_f64 v[117:118], v[145:146], v[117:118], v[129:130]
	s_waitcnt vmcnt(21)
	v_fma_f64 v[117:118], v[135:136], v[119:120], v[117:118]
	s_waitcnt vmcnt(20) lgkmcnt(0)
	v_fma_f64 v[117:118], v[131:132], v[121:122], v[117:118]
	s_waitcnt vmcnt(15)
	v_fma_f64 v[129:130], v[137:138], v[123:124], v[117:118]
	ds_read2_b64 v[117:120], v116 offset0:107 offset1:108
	ds_read2_b64 v[121:124], v116 offset0:109 offset1:110
	s_waitcnt vmcnt(14) lgkmcnt(1)
	v_fma_f64 v[117:118], v[153:154], v[117:118], v[129:130]
	;; [unrolled: 10-line block ×3, first 2 shown]
	s_waitcnt vmcnt(5)
	v_fma_f64 v[116:117], v[147:148], v[119:120], v[116:117]
	s_waitcnt vmcnt(4) lgkmcnt(0)
	v_fma_f64 v[116:117], v[143:144], v[121:122], v[116:117]
	s_waitcnt vmcnt(2)
	v_fma_f64 v[116:117], v[127:128], v[123:124], v[116:117]
	s_waitcnt vmcnt(0)
	v_add_f64 v[116:117], v[149:150], -v[116:117]
	buffer_store_dword v117, off, s[0:3], 0 offset:36
	buffer_store_dword v116, off, s[0:3], 0 offset:32
	v_cmpx_lt_u32_e32 3, v0
	s_cbranch_execz .LBB56_345
; %bb.344:
	s_clause 0x1
	buffer_load_dword v116, off, s[0:3], 0 offset:24
	buffer_load_dword v117, off, s[0:3], 0 offset:28
	v_mov_b32_e32 v118, 0
	buffer_store_dword v118, off, s[0:3], 0 offset:24
	buffer_store_dword v118, off, s[0:3], 0 offset:28
	s_waitcnt vmcnt(0)
	ds_write_b64 v115, v[116:117]
.LBB56_345:
	s_or_b32 exec_lo, exec_lo, s4
	s_waitcnt lgkmcnt(0)
	s_waitcnt_vscnt null, 0x0
	s_barrier
	buffer_gl0_inv
	s_clause 0x1c
	buffer_load_dword v125, off, s[0:3], 0 offset:32
	buffer_load_dword v126, off, s[0:3], 0 offset:36
	;; [unrolled: 1-line block ×29, first 2 shown]
	v_mov_b32_e32 v116, 0
	buffer_load_dword v150, off, s[0:3], 0 offset:148
	s_mov_b32 s4, exec_lo
	ds_read_b128 v[117:120], v116 offset:496
	ds_read_b128 v[121:124], v116 offset:512
	s_waitcnt vmcnt(28) lgkmcnt(1)
	v_fma_f64 v[117:118], v[125:126], v[117:118], 0
	s_clause 0x7
	buffer_load_dword v126, off, s[0:3], 0 offset:156
	buffer_load_dword v155, off, s[0:3], 0 offset:176
	buffer_load_dword v157, off, s[0:3], 0 offset:168
	buffer_load_dword v159, off, s[0:3], 0 offset:160
	buffer_load_dword v125, off, s[0:3], 0 offset:152
	buffer_load_dword v160, off, s[0:3], 0 offset:164
	buffer_load_dword v158, off, s[0:3], 0 offset:172
	buffer_load_dword v156, off, s[0:3], 0 offset:180
	s_waitcnt vmcnt(34)
	v_fma_f64 v[117:118], v[127:128], v[119:120], v[117:118]
	s_waitcnt vmcnt(32) lgkmcnt(0)
	v_fma_f64 v[117:118], v[129:130], v[121:122], v[117:118]
	s_waitcnt vmcnt(30)
	v_fma_f64 v[127:128], v[131:132], v[123:124], v[117:118]
	ds_read_b128 v[117:120], v116 offset:528
	ds_read_b128 v[121:124], v116 offset:544
	s_waitcnt vmcnt(28) lgkmcnt(1)
	v_fma_f64 v[117:118], v[133:134], v[117:118], v[127:128]
	s_clause 0x7
	buffer_load_dword v128, off, s[0:3], 0 offset:188
	buffer_load_dword v129, off, s[0:3], 0 offset:208
	buffer_load_dword v131, off, s[0:3], 0 offset:200
	buffer_load_dword v133, off, s[0:3], 0 offset:192
	buffer_load_dword v127, off, s[0:3], 0 offset:184
	buffer_load_dword v134, off, s[0:3], 0 offset:196
	buffer_load_dword v132, off, s[0:3], 0 offset:204
	buffer_load_dword v130, off, s[0:3], 0 offset:212
	s_waitcnt vmcnt(34)
	v_fma_f64 v[117:118], v[135:136], v[119:120], v[117:118]
	s_waitcnt vmcnt(32) lgkmcnt(0)
	v_fma_f64 v[117:118], v[137:138], v[121:122], v[117:118]
	s_waitcnt vmcnt(27)
	v_fma_f64 v[135:136], v[139:140], v[123:124], v[117:118]
	;; [unrolled: 19-line block ×9, first 2 shown]
	ds_read_b128 v[117:120], v116 offset:784
	ds_read_b128 v[121:124], v116 offset:800
	s_waitcnt vmcnt(26) lgkmcnt(1)
	v_fma_f64 v[117:118], v[157:158], v[117:118], v[127:128]
	s_clause 0x3
	buffer_load_dword v128, off, s[0:3], 0 offset:444
	buffer_load_dword v149, off, s[0:3], 0 offset:448
	;; [unrolled: 1-line block ×4, first 2 shown]
	s_waitcnt vmcnt(29)
	v_fma_f64 v[117:118], v[155:156], v[119:120], v[117:118]
	s_waitcnt vmcnt(28) lgkmcnt(0)
	v_fma_f64 v[117:118], v[133:134], v[121:122], v[117:118]
	s_clause 0x1
	buffer_load_dword v133, off, s[0:3], 0 offset:24
	buffer_load_dword v134, off, s[0:3], 0 offset:28
	s_waitcnt vmcnt(25)
	v_fma_f64 v[129:130], v[129:130], v[123:124], v[117:118]
	ds_read_b128 v[117:120], v116 offset:816
	ds_read_b128 v[121:124], v116 offset:832
	s_waitcnt vmcnt(24) lgkmcnt(1)
	v_fma_f64 v[117:118], v[145:146], v[117:118], v[129:130]
	s_waitcnt vmcnt(23)
	v_fma_f64 v[117:118], v[135:136], v[119:120], v[117:118]
	s_waitcnt vmcnt(22) lgkmcnt(0)
	v_fma_f64 v[117:118], v[131:132], v[121:122], v[117:118]
	s_waitcnt vmcnt(17)
	v_fma_f64 v[129:130], v[137:138], v[123:124], v[117:118]
	ds_read_b128 v[117:120], v116 offset:848
	ds_read_b128 v[121:124], v116 offset:864
	s_waitcnt vmcnt(16) lgkmcnt(1)
	v_fma_f64 v[117:118], v[153:154], v[117:118], v[129:130]
	s_waitcnt vmcnt(15)
	v_fma_f64 v[117:118], v[141:142], v[119:120], v[117:118]
	s_waitcnt vmcnt(14) lgkmcnt(0)
	v_fma_f64 v[117:118], v[139:140], v[121:122], v[117:118]
	s_waitcnt vmcnt(9)
	v_fma_f64 v[125:126], v[125:126], v[123:124], v[117:118]
	ds_read_b128 v[117:120], v116 offset:880
	ds_read_b128 v[121:124], v116 offset:896
	s_waitcnt vmcnt(8) lgkmcnt(1)
	v_fma_f64 v[117:118], v[159:160], v[117:118], v[125:126]
	s_waitcnt vmcnt(7)
	v_fma_f64 v[117:118], v[147:148], v[119:120], v[117:118]
	ds_read_b64 v[119:120], v116 offset:912
	s_waitcnt vmcnt(6) lgkmcnt(1)
	v_fma_f64 v[117:118], v[143:144], v[121:122], v[117:118]
	s_waitcnt vmcnt(3)
	v_fma_f64 v[117:118], v[127:128], v[123:124], v[117:118]
	s_waitcnt vmcnt(2) lgkmcnt(0)
	v_fma_f64 v[117:118], v[149:150], v[119:120], v[117:118]
	s_waitcnt vmcnt(0)
	v_add_f64 v[117:118], v[133:134], -v[117:118]
	buffer_store_dword v118, off, s[0:3], 0 offset:28
	buffer_store_dword v117, off, s[0:3], 0 offset:24
	v_cmpx_lt_u32_e32 2, v0
	s_cbranch_execz .LBB56_347
; %bb.346:
	s_clause 0x1
	buffer_load_dword v117, off, s[0:3], 0 offset:16
	buffer_load_dword v118, off, s[0:3], 0 offset:20
	buffer_store_dword v116, off, s[0:3], 0 offset:16
	buffer_store_dword v116, off, s[0:3], 0 offset:20
	s_waitcnt vmcnt(0)
	ds_write_b64 v115, v[117:118]
.LBB56_347:
	s_or_b32 exec_lo, exec_lo, s4
	s_waitcnt lgkmcnt(0)
	s_waitcnt_vscnt null, 0x0
	s_barrier
	buffer_gl0_inv
	s_clause 0x1c
	buffer_load_dword v125, off, s[0:3], 0 offset:24
	buffer_load_dword v126, off, s[0:3], 0 offset:28
	;; [unrolled: 1-line block ×29, first 2 shown]
	ds_read2_b64 v[117:120], v116 offset0:61 offset1:62
	ds_read2_b64 v[121:124], v116 offset0:63 offset1:64
	buffer_load_dword v150, off, s[0:3], 0 offset:140
	s_mov_b32 s4, exec_lo
	s_waitcnt vmcnt(28) lgkmcnt(1)
	v_fma_f64 v[117:118], v[125:126], v[117:118], 0
	s_clause 0x7
	buffer_load_dword v126, off, s[0:3], 0 offset:148
	buffer_load_dword v155, off, s[0:3], 0 offset:168
	buffer_load_dword v157, off, s[0:3], 0 offset:160
	buffer_load_dword v159, off, s[0:3], 0 offset:152
	buffer_load_dword v125, off, s[0:3], 0 offset:144
	buffer_load_dword v160, off, s[0:3], 0 offset:156
	buffer_load_dword v158, off, s[0:3], 0 offset:164
	buffer_load_dword v156, off, s[0:3], 0 offset:172
	s_waitcnt vmcnt(34)
	v_fma_f64 v[117:118], v[127:128], v[119:120], v[117:118]
	s_waitcnt vmcnt(32) lgkmcnt(0)
	v_fma_f64 v[117:118], v[129:130], v[121:122], v[117:118]
	s_waitcnt vmcnt(30)
	v_fma_f64 v[127:128], v[131:132], v[123:124], v[117:118]
	ds_read2_b64 v[117:120], v116 offset0:65 offset1:66
	ds_read2_b64 v[121:124], v116 offset0:67 offset1:68
	s_waitcnt vmcnt(28) lgkmcnt(1)
	v_fma_f64 v[117:118], v[133:134], v[117:118], v[127:128]
	s_clause 0x7
	buffer_load_dword v128, off, s[0:3], 0 offset:180
	buffer_load_dword v129, off, s[0:3], 0 offset:200
	buffer_load_dword v131, off, s[0:3], 0 offset:192
	buffer_load_dword v133, off, s[0:3], 0 offset:184
	buffer_load_dword v127, off, s[0:3], 0 offset:176
	buffer_load_dword v134, off, s[0:3], 0 offset:188
	buffer_load_dword v132, off, s[0:3], 0 offset:196
	buffer_load_dword v130, off, s[0:3], 0 offset:204
	s_waitcnt vmcnt(34)
	v_fma_f64 v[117:118], v[135:136], v[119:120], v[117:118]
	s_waitcnt vmcnt(32) lgkmcnt(0)
	v_fma_f64 v[117:118], v[137:138], v[121:122], v[117:118]
	s_waitcnt vmcnt(27)
	v_fma_f64 v[135:136], v[139:140], v[123:124], v[117:118]
	ds_read2_b64 v[117:120], v116 offset0:69 offset1:70
	ds_read2_b64 v[121:124], v116 offset0:71 offset1:72
	;; [unrolled: 19-line block ×9, first 2 shown]
	s_waitcnt vmcnt(26) lgkmcnt(1)
	v_fma_f64 v[117:118], v[157:158], v[117:118], v[127:128]
	s_clause 0x5
	buffer_load_dword v128, off, s[0:3], 0 offset:436
	buffer_load_dword v149, off, s[0:3], 0 offset:448
	buffer_load_dword v151, off, s[0:3], 0 offset:440
	buffer_load_dword v127, off, s[0:3], 0 offset:432
	buffer_load_dword v152, off, s[0:3], 0 offset:444
	buffer_load_dword v150, off, s[0:3], 0 offset:452
	s_waitcnt vmcnt(31)
	v_fma_f64 v[117:118], v[155:156], v[119:120], v[117:118]
	s_waitcnt vmcnt(30) lgkmcnt(0)
	v_fma_f64 v[117:118], v[133:134], v[121:122], v[117:118]
	s_waitcnt vmcnt(25)
	v_fma_f64 v[129:130], v[129:130], v[123:124], v[117:118]
	ds_read2_b64 v[117:120], v116 offset0:101 offset1:102
	s_clause 0x1
	buffer_load_dword v133, off, s[0:3], 0 offset:16
	buffer_load_dword v134, off, s[0:3], 0 offset:20
	ds_read2_b64 v[121:124], v116 offset0:103 offset1:104
	s_waitcnt vmcnt(26) lgkmcnt(1)
	v_fma_f64 v[117:118], v[145:146], v[117:118], v[129:130]
	s_waitcnt vmcnt(25)
	v_fma_f64 v[117:118], v[135:136], v[119:120], v[117:118]
	s_waitcnt vmcnt(24) lgkmcnt(0)
	v_fma_f64 v[117:118], v[131:132], v[121:122], v[117:118]
	s_waitcnt vmcnt(19)
	v_fma_f64 v[129:130], v[137:138], v[123:124], v[117:118]
	ds_read2_b64 v[117:120], v116 offset0:105 offset1:106
	ds_read2_b64 v[121:124], v116 offset0:107 offset1:108
	s_waitcnt vmcnt(18) lgkmcnt(1)
	v_fma_f64 v[117:118], v[153:154], v[117:118], v[129:130]
	s_waitcnt vmcnt(17)
	v_fma_f64 v[117:118], v[141:142], v[119:120], v[117:118]
	s_waitcnt vmcnt(16) lgkmcnt(0)
	v_fma_f64 v[117:118], v[139:140], v[121:122], v[117:118]
	s_waitcnt vmcnt(11)
	v_fma_f64 v[125:126], v[125:126], v[123:124], v[117:118]
	ds_read2_b64 v[117:120], v116 offset0:109 offset1:110
	;; [unrolled: 10-line block ×3, first 2 shown]
	s_waitcnt vmcnt(3) lgkmcnt(0)
	v_fma_f64 v[116:117], v[151:152], v[116:117], v[120:121]
	s_waitcnt vmcnt(2)
	v_fma_f64 v[116:117], v[149:150], v[118:119], v[116:117]
	s_waitcnt vmcnt(0)
	v_add_f64 v[116:117], v[133:134], -v[116:117]
	buffer_store_dword v117, off, s[0:3], 0 offset:20
	buffer_store_dword v116, off, s[0:3], 0 offset:16
	v_cmpx_lt_u32_e32 1, v0
	s_cbranch_execz .LBB56_349
; %bb.348:
	s_clause 0x1
	buffer_load_dword v116, off, s[0:3], 0 offset:8
	buffer_load_dword v117, off, s[0:3], 0 offset:12
	v_mov_b32_e32 v118, 0
	buffer_store_dword v118, off, s[0:3], 0 offset:8
	buffer_store_dword v118, off, s[0:3], 0 offset:12
	s_waitcnt vmcnt(0)
	ds_write_b64 v115, v[116:117]
.LBB56_349:
	s_or_b32 exec_lo, exec_lo, s4
	s_waitcnt lgkmcnt(0)
	s_waitcnt_vscnt null, 0x0
	s_barrier
	buffer_gl0_inv
	s_clause 0x1c
	buffer_load_dword v125, off, s[0:3], 0 offset:16
	buffer_load_dword v126, off, s[0:3], 0 offset:20
	;; [unrolled: 1-line block ×29, first 2 shown]
	v_mov_b32_e32 v116, 0
	buffer_load_dword v150, off, s[0:3], 0 offset:132
	s_mov_b32 s4, exec_lo
	ds_read_b128 v[117:120], v116 offset:480
	ds_read_b128 v[121:124], v116 offset:496
	s_waitcnt vmcnt(28) lgkmcnt(1)
	v_fma_f64 v[117:118], v[125:126], v[117:118], 0
	s_clause 0x7
	buffer_load_dword v126, off, s[0:3], 0 offset:140
	buffer_load_dword v155, off, s[0:3], 0 offset:160
	buffer_load_dword v157, off, s[0:3], 0 offset:152
	buffer_load_dword v159, off, s[0:3], 0 offset:144
	buffer_load_dword v125, off, s[0:3], 0 offset:136
	buffer_load_dword v160, off, s[0:3], 0 offset:148
	buffer_load_dword v158, off, s[0:3], 0 offset:156
	buffer_load_dword v156, off, s[0:3], 0 offset:164
	s_waitcnt vmcnt(34)
	v_fma_f64 v[117:118], v[127:128], v[119:120], v[117:118]
	s_waitcnt vmcnt(32) lgkmcnt(0)
	v_fma_f64 v[117:118], v[129:130], v[121:122], v[117:118]
	s_waitcnt vmcnt(30)
	v_fma_f64 v[127:128], v[131:132], v[123:124], v[117:118]
	ds_read_b128 v[117:120], v116 offset:512
	ds_read_b128 v[121:124], v116 offset:528
	s_waitcnt vmcnt(28) lgkmcnt(1)
	v_fma_f64 v[117:118], v[133:134], v[117:118], v[127:128]
	s_clause 0x7
	buffer_load_dword v128, off, s[0:3], 0 offset:172
	buffer_load_dword v129, off, s[0:3], 0 offset:192
	buffer_load_dword v131, off, s[0:3], 0 offset:184
	buffer_load_dword v133, off, s[0:3], 0 offset:176
	buffer_load_dword v127, off, s[0:3], 0 offset:168
	buffer_load_dword v134, off, s[0:3], 0 offset:180
	buffer_load_dword v132, off, s[0:3], 0 offset:188
	buffer_load_dword v130, off, s[0:3], 0 offset:196
	s_waitcnt vmcnt(34)
	v_fma_f64 v[117:118], v[135:136], v[119:120], v[117:118]
	s_waitcnt vmcnt(32) lgkmcnt(0)
	v_fma_f64 v[117:118], v[137:138], v[121:122], v[117:118]
	s_waitcnt vmcnt(27)
	v_fma_f64 v[135:136], v[139:140], v[123:124], v[117:118]
	;; [unrolled: 19-line block ×10, first 2 shown]
	ds_read_b128 v[117:120], v116 offset:800
	ds_read_b128 v[121:124], v116 offset:816
	s_waitcnt vmcnt(26) lgkmcnt(1)
	v_fma_f64 v[117:118], v[145:146], v[117:118], v[129:130]
	s_clause 0x1
	buffer_load_dword v129, off, s[0:3], 0 offset:8
	buffer_load_dword v130, off, s[0:3], 0 offset:12
	s_waitcnt vmcnt(27)
	v_fma_f64 v[117:118], v[135:136], v[119:120], v[117:118]
	s_waitcnt vmcnt(26) lgkmcnt(0)
	v_fma_f64 v[117:118], v[131:132], v[121:122], v[117:118]
	s_waitcnt vmcnt(21)
	v_fma_f64 v[131:132], v[137:138], v[123:124], v[117:118]
	ds_read_b128 v[117:120], v116 offset:832
	ds_read_b128 v[121:124], v116 offset:848
	s_waitcnt vmcnt(20) lgkmcnt(1)
	v_fma_f64 v[117:118], v[153:154], v[117:118], v[131:132]
	s_waitcnt vmcnt(19)
	v_fma_f64 v[117:118], v[141:142], v[119:120], v[117:118]
	s_waitcnt vmcnt(18) lgkmcnt(0)
	v_fma_f64 v[117:118], v[139:140], v[121:122], v[117:118]
	s_waitcnt vmcnt(13)
	v_fma_f64 v[125:126], v[125:126], v[123:124], v[117:118]
	ds_read_b128 v[117:120], v116 offset:864
	ds_read_b128 v[121:124], v116 offset:880
	s_waitcnt vmcnt(12) lgkmcnt(1)
	v_fma_f64 v[117:118], v[159:160], v[117:118], v[125:126]
	s_waitcnt vmcnt(11)
	v_fma_f64 v[117:118], v[147:148], v[119:120], v[117:118]
	s_waitcnt vmcnt(10) lgkmcnt(0)
	v_fma_f64 v[117:118], v[143:144], v[121:122], v[117:118]
	s_waitcnt vmcnt(5)
	v_fma_f64 v[121:122], v[127:128], v[123:124], v[117:118]
	ds_read_b128 v[117:120], v116 offset:896
	ds_read_b64 v[123:124], v116 offset:912
	s_waitcnt vmcnt(4) lgkmcnt(1)
	v_fma_f64 v[117:118], v[157:158], v[117:118], v[121:122]
	s_waitcnt vmcnt(3)
	v_fma_f64 v[117:118], v[151:152], v[119:120], v[117:118]
	s_waitcnt vmcnt(2) lgkmcnt(0)
	v_fma_f64 v[117:118], v[149:150], v[123:124], v[117:118]
	s_waitcnt vmcnt(0)
	v_add_f64 v[117:118], v[129:130], -v[117:118]
	buffer_store_dword v118, off, s[0:3], 0 offset:12
	buffer_store_dword v117, off, s[0:3], 0 offset:8
	v_cmpx_ne_u32_e32 0, v0
	s_cbranch_execz .LBB56_351
; %bb.350:
	s_clause 0x1
	buffer_load_dword v117, off, s[0:3], 0
	buffer_load_dword v118, off, s[0:3], 0 offset:4
	buffer_store_dword v116, off, s[0:3], 0
	buffer_store_dword v116, off, s[0:3], 0 offset:4
	s_waitcnt vmcnt(0)
	ds_write_b64 v115, v[117:118]
.LBB56_351:
	s_or_b32 exec_lo, exec_lo, s4
	s_waitcnt lgkmcnt(0)
	s_waitcnt_vscnt null, 0x0
	s_barrier
	buffer_gl0_inv
	s_clause 0x1c
	buffer_load_dword v125, off, s[0:3], 0 offset:8
	buffer_load_dword v126, off, s[0:3], 0 offset:12
	buffer_load_dword v127, off, s[0:3], 0 offset:16
	buffer_load_dword v128, off, s[0:3], 0 offset:20
	buffer_load_dword v129, off, s[0:3], 0 offset:24
	buffer_load_dword v130, off, s[0:3], 0 offset:28
	buffer_load_dword v131, off, s[0:3], 0 offset:32
	buffer_load_dword v132, off, s[0:3], 0 offset:36
	buffer_load_dword v133, off, s[0:3], 0 offset:40
	buffer_load_dword v134, off, s[0:3], 0 offset:44
	buffer_load_dword v135, off, s[0:3], 0 offset:48
	buffer_load_dword v136, off, s[0:3], 0 offset:52
	buffer_load_dword v137, off, s[0:3], 0 offset:56
	buffer_load_dword v138, off, s[0:3], 0 offset:60
	buffer_load_dword v140, off, s[0:3], 0 offset:68
	buffer_load_dword v141, off, s[0:3], 0 offset:88
	buffer_load_dword v143, off, s[0:3], 0 offset:80
	buffer_load_dword v145, off, s[0:3], 0 offset:72
	buffer_load_dword v139, off, s[0:3], 0 offset:64
	buffer_load_dword v146, off, s[0:3], 0 offset:76
	buffer_load_dword v144, off, s[0:3], 0 offset:84
	buffer_load_dword v142, off, s[0:3], 0 offset:92
	buffer_load_dword v148, off, s[0:3], 0 offset:100
	buffer_load_dword v149, off, s[0:3], 0 offset:120
	buffer_load_dword v151, off, s[0:3], 0 offset:112
	buffer_load_dword v153, off, s[0:3], 0 offset:104
	buffer_load_dword v147, off, s[0:3], 0 offset:96
	buffer_load_dword v154, off, s[0:3], 0 offset:108
	buffer_load_dword v152, off, s[0:3], 0 offset:116
	ds_read2_b64 v[117:120], v116 offset0:59 offset1:60
	ds_read2_b64 v[121:124], v116 offset0:61 offset1:62
	buffer_load_dword v150, off, s[0:3], 0 offset:124
	s_and_b32 vcc_lo, exec_lo, s22
	s_waitcnt vmcnt(28) lgkmcnt(1)
	v_fma_f64 v[117:118], v[125:126], v[117:118], 0
	s_clause 0x7
	buffer_load_dword v126, off, s[0:3], 0 offset:132
	buffer_load_dword v155, off, s[0:3], 0 offset:152
	buffer_load_dword v157, off, s[0:3], 0 offset:144
	buffer_load_dword v159, off, s[0:3], 0 offset:136
	buffer_load_dword v125, off, s[0:3], 0 offset:128
	buffer_load_dword v160, off, s[0:3], 0 offset:140
	buffer_load_dword v158, off, s[0:3], 0 offset:148
	buffer_load_dword v156, off, s[0:3], 0 offset:156
	s_waitcnt vmcnt(34)
	v_fma_f64 v[117:118], v[127:128], v[119:120], v[117:118]
	s_waitcnt vmcnt(32) lgkmcnt(0)
	v_fma_f64 v[117:118], v[129:130], v[121:122], v[117:118]
	s_waitcnt vmcnt(30)
	v_fma_f64 v[127:128], v[131:132], v[123:124], v[117:118]
	ds_read2_b64 v[117:120], v116 offset0:63 offset1:64
	ds_read2_b64 v[121:124], v116 offset0:65 offset1:66
	s_waitcnt vmcnt(28) lgkmcnt(1)
	v_fma_f64 v[117:118], v[133:134], v[117:118], v[127:128]
	s_clause 0x7
	buffer_load_dword v128, off, s[0:3], 0 offset:164
	buffer_load_dword v129, off, s[0:3], 0 offset:184
	buffer_load_dword v131, off, s[0:3], 0 offset:176
	buffer_load_dword v133, off, s[0:3], 0 offset:168
	buffer_load_dword v127, off, s[0:3], 0 offset:160
	buffer_load_dword v134, off, s[0:3], 0 offset:172
	buffer_load_dword v132, off, s[0:3], 0 offset:180
	buffer_load_dword v130, off, s[0:3], 0 offset:188
	s_waitcnt vmcnt(34)
	v_fma_f64 v[117:118], v[135:136], v[119:120], v[117:118]
	s_waitcnt vmcnt(32) lgkmcnt(0)
	v_fma_f64 v[117:118], v[137:138], v[121:122], v[117:118]
	s_waitcnt vmcnt(27)
	v_fma_f64 v[135:136], v[139:140], v[123:124], v[117:118]
	ds_read2_b64 v[117:120], v116 offset0:67 offset1:68
	ds_read2_b64 v[121:124], v116 offset0:69 offset1:70
	;; [unrolled: 19-line block ×9, first 2 shown]
	s_waitcnt vmcnt(26) lgkmcnt(1)
	v_fma_f64 v[125:126], v[157:158], v[117:118], v[125:126]
	s_clause 0x6
	buffer_load_dword v128, off, s[0:3], 0 offset:420
	buffer_load_dword v117, off, s[0:3], 0 offset:440
	;; [unrolled: 1-line block ×7, first 2 shown]
	s_waitcnt vmcnt(32)
	v_fma_f64 v[118:119], v[155:156], v[119:120], v[125:126]
	s_waitcnt vmcnt(31) lgkmcnt(0)
	v_fma_f64 v[118:119], v[133:134], v[121:122], v[118:119]
	s_waitcnt vmcnt(26)
	v_fma_f64 v[129:130], v[129:130], v[123:124], v[118:119]
	ds_read2_b64 v[119:122], v116 offset0:99 offset1:100
	ds_read2_b64 v[123:126], v116 offset0:101 offset1:102
	buffer_load_dword v118, off, s[0:3], 0 offset:444
	s_waitcnt vmcnt(26) lgkmcnt(1)
	v_fma_f64 v[119:120], v[145:146], v[119:120], v[129:130]
	s_clause 0x3
	buffer_load_dword v130, off, s[0:3], 0 offset:452
	buffer_load_dword v129, off, s[0:3], 0 offset:448
	buffer_load_dword v133, off, s[0:3], 0
	buffer_load_dword v134, off, s[0:3], 0 offset:4
	s_waitcnt vmcnt(29)
	v_fma_f64 v[119:120], v[135:136], v[121:122], v[119:120]
	s_waitcnt vmcnt(28) lgkmcnt(0)
	v_fma_f64 v[119:120], v[131:132], v[123:124], v[119:120]
	s_waitcnt vmcnt(23)
	v_fma_f64 v[131:132], v[137:138], v[125:126], v[119:120]
	ds_read2_b64 v[119:122], v116 offset0:103 offset1:104
	ds_read2_b64 v[123:126], v116 offset0:105 offset1:106
	s_waitcnt vmcnt(22) lgkmcnt(1)
	v_fma_f64 v[119:120], v[153:154], v[119:120], v[131:132]
	s_waitcnt vmcnt(21)
	v_fma_f64 v[119:120], v[141:142], v[121:122], v[119:120]
	s_waitcnt vmcnt(20) lgkmcnt(0)
	v_fma_f64 v[119:120], v[139:140], v[123:124], v[119:120]
	s_waitcnt vmcnt(15)
	v_fma_f64 v[131:132], v[143:144], v[125:126], v[119:120]
	ds_read2_b64 v[119:122], v116 offset0:107 offset1:108
	ds_read2_b64 v[123:126], v116 offset0:109 offset1:110
	s_waitcnt vmcnt(14) lgkmcnt(1)
	v_fma_f64 v[119:120], v[161:162], v[119:120], v[131:132]
	;; [unrolled: 10-line block ×3, first 2 shown]
	s_waitcnt vmcnt(5)
	v_fma_f64 v[115:116], v[149:150], v[121:122], v[115:116]
	s_waitcnt vmcnt(4) lgkmcnt(0)
	v_fma_f64 v[115:116], v[117:118], v[123:124], v[115:116]
	s_waitcnt vmcnt(2)
	v_fma_f64 v[115:116], v[129:130], v[125:126], v[115:116]
	s_waitcnt vmcnt(0)
	v_add_f64 v[115:116], v[133:134], -v[115:116]
	buffer_store_dword v116, off, s[0:3], 0 offset:4
	buffer_store_dword v115, off, s[0:3], 0
	s_cbranch_vccz .LBB56_464
; %bb.352:
	v_mov_b32_e32 v0, 0
	global_load_dword v115, v0, s[20:21] offset:220
	s_waitcnt vmcnt(0)
	v_add_nc_u32_e32 v115, -1, v115
	v_cmp_ne_u32_e32 vcc_lo, 55, v115
	s_cbranch_vccz .LBB56_354
; %bb.353:
	v_lshlrev_b32_e32 v115, 3, v115
	s_clause 0x1
	buffer_load_dword v116, v115, s[0:3], 0 offen
	buffer_load_dword v119, v115, s[0:3], 0 offen offset:4
	s_waitcnt vmcnt(1)
	buffer_store_dword v116, off, s[0:3], 0 offset:440
	s_waitcnt vmcnt(0)
	buffer_store_dword v119, off, s[0:3], 0 offset:444
	buffer_store_dword v117, v115, s[0:3], 0 offen
	buffer_store_dword v118, v115, s[0:3], 0 offen offset:4
.LBB56_354:
	global_load_dword v0, v0, s[20:21] offset:216
	s_waitcnt vmcnt(0)
	v_add_nc_u32_e32 v0, -1, v0
	v_cmp_eq_u32_e32 vcc_lo, 54, v0
	s_cbranch_vccnz .LBB56_356
; %bb.355:
	v_lshlrev_b32_e32 v0, 3, v0
	s_clause 0x3
	buffer_load_dword v115, v0, s[0:3], 0 offen
	buffer_load_dword v116, v0, s[0:3], 0 offen offset:4
	buffer_load_dword v117, off, s[0:3], 0 offset:436
	buffer_load_dword v118, off, s[0:3], 0 offset:432
	s_waitcnt vmcnt(3)
	buffer_store_dword v115, off, s[0:3], 0 offset:432
	s_waitcnt vmcnt(2)
	buffer_store_dword v116, off, s[0:3], 0 offset:436
	s_waitcnt vmcnt(1)
	buffer_store_dword v117, v0, s[0:3], 0 offen offset:4
	s_waitcnt vmcnt(0)
	buffer_store_dword v118, v0, s[0:3], 0 offen
.LBB56_356:
	v_mov_b32_e32 v0, 0
	global_load_dword v115, v0, s[20:21] offset:212
	s_waitcnt vmcnt(0)
	v_add_nc_u32_e32 v115, -1, v115
	v_cmp_eq_u32_e32 vcc_lo, 53, v115
	s_cbranch_vccnz .LBB56_358
; %bb.357:
	v_lshlrev_b32_e32 v115, 3, v115
	s_clause 0x3
	buffer_load_dword v116, v115, s[0:3], 0 offen
	buffer_load_dword v117, v115, s[0:3], 0 offen offset:4
	buffer_load_dword v118, off, s[0:3], 0 offset:424
	buffer_load_dword v119, off, s[0:3], 0 offset:428
	s_waitcnt vmcnt(3)
	buffer_store_dword v116, off, s[0:3], 0 offset:424
	s_waitcnt vmcnt(2)
	buffer_store_dword v117, off, s[0:3], 0 offset:428
	s_waitcnt vmcnt(1)
	buffer_store_dword v118, v115, s[0:3], 0 offen
	s_waitcnt vmcnt(0)
	buffer_store_dword v119, v115, s[0:3], 0 offen offset:4
.LBB56_358:
	global_load_dword v0, v0, s[20:21] offset:208
	s_waitcnt vmcnt(0)
	v_add_nc_u32_e32 v0, -1, v0
	v_cmp_eq_u32_e32 vcc_lo, 52, v0
	s_cbranch_vccnz .LBB56_360
; %bb.359:
	v_lshlrev_b32_e32 v0, 3, v0
	s_clause 0x3
	buffer_load_dword v115, v0, s[0:3], 0 offen
	buffer_load_dword v116, v0, s[0:3], 0 offen offset:4
	buffer_load_dword v117, off, s[0:3], 0 offset:420
	buffer_load_dword v118, off, s[0:3], 0 offset:416
	s_waitcnt vmcnt(3)
	buffer_store_dword v115, off, s[0:3], 0 offset:416
	s_waitcnt vmcnt(2)
	buffer_store_dword v116, off, s[0:3], 0 offset:420
	s_waitcnt vmcnt(1)
	buffer_store_dword v117, v0, s[0:3], 0 offen offset:4
	s_waitcnt vmcnt(0)
	buffer_store_dword v118, v0, s[0:3], 0 offen
.LBB56_360:
	v_mov_b32_e32 v0, 0
	global_load_dword v115, v0, s[20:21] offset:204
	s_waitcnt vmcnt(0)
	v_add_nc_u32_e32 v115, -1, v115
	v_cmp_eq_u32_e32 vcc_lo, 51, v115
	s_cbranch_vccnz .LBB56_362
; %bb.361:
	v_lshlrev_b32_e32 v115, 3, v115
	s_clause 0x3
	buffer_load_dword v116, v115, s[0:3], 0 offen
	buffer_load_dword v117, v115, s[0:3], 0 offen offset:4
	buffer_load_dword v118, off, s[0:3], 0 offset:408
	buffer_load_dword v119, off, s[0:3], 0 offset:412
	s_waitcnt vmcnt(3)
	buffer_store_dword v116, off, s[0:3], 0 offset:408
	s_waitcnt vmcnt(2)
	buffer_store_dword v117, off, s[0:3], 0 offset:412
	s_waitcnt vmcnt(1)
	buffer_store_dword v118, v115, s[0:3], 0 offen
	s_waitcnt vmcnt(0)
	buffer_store_dword v119, v115, s[0:3], 0 offen offset:4
.LBB56_362:
	global_load_dword v0, v0, s[20:21] offset:200
	s_waitcnt vmcnt(0)
	v_add_nc_u32_e32 v0, -1, v0
	v_cmp_eq_u32_e32 vcc_lo, 50, v0
	s_cbranch_vccnz .LBB56_364
; %bb.363:
	v_lshlrev_b32_e32 v0, 3, v0
	s_clause 0x3
	buffer_load_dword v115, v0, s[0:3], 0 offen
	buffer_load_dword v116, v0, s[0:3], 0 offen offset:4
	buffer_load_dword v117, off, s[0:3], 0 offset:404
	buffer_load_dword v118, off, s[0:3], 0 offset:400
	s_waitcnt vmcnt(3)
	buffer_store_dword v115, off, s[0:3], 0 offset:400
	s_waitcnt vmcnt(2)
	buffer_store_dword v116, off, s[0:3], 0 offset:404
	s_waitcnt vmcnt(1)
	buffer_store_dword v117, v0, s[0:3], 0 offen offset:4
	s_waitcnt vmcnt(0)
	buffer_store_dword v118, v0, s[0:3], 0 offen
.LBB56_364:
	v_mov_b32_e32 v0, 0
	global_load_dword v115, v0, s[20:21] offset:196
	s_waitcnt vmcnt(0)
	v_add_nc_u32_e32 v115, -1, v115
	v_cmp_eq_u32_e32 vcc_lo, 49, v115
	s_cbranch_vccnz .LBB56_366
; %bb.365:
	v_lshlrev_b32_e32 v115, 3, v115
	s_clause 0x3
	buffer_load_dword v116, v115, s[0:3], 0 offen
	buffer_load_dword v117, v115, s[0:3], 0 offen offset:4
	buffer_load_dword v118, off, s[0:3], 0 offset:392
	buffer_load_dword v119, off, s[0:3], 0 offset:396
	s_waitcnt vmcnt(3)
	buffer_store_dword v116, off, s[0:3], 0 offset:392
	s_waitcnt vmcnt(2)
	buffer_store_dword v117, off, s[0:3], 0 offset:396
	s_waitcnt vmcnt(1)
	buffer_store_dword v118, v115, s[0:3], 0 offen
	s_waitcnt vmcnt(0)
	buffer_store_dword v119, v115, s[0:3], 0 offen offset:4
.LBB56_366:
	global_load_dword v0, v0, s[20:21] offset:192
	s_waitcnt vmcnt(0)
	v_add_nc_u32_e32 v0, -1, v0
	v_cmp_eq_u32_e32 vcc_lo, 48, v0
	s_cbranch_vccnz .LBB56_368
; %bb.367:
	v_lshlrev_b32_e32 v0, 3, v0
	s_clause 0x3
	buffer_load_dword v115, v0, s[0:3], 0 offen
	buffer_load_dword v116, v0, s[0:3], 0 offen offset:4
	buffer_load_dword v117, off, s[0:3], 0 offset:388
	buffer_load_dword v118, off, s[0:3], 0 offset:384
	s_waitcnt vmcnt(3)
	buffer_store_dword v115, off, s[0:3], 0 offset:384
	s_waitcnt vmcnt(2)
	buffer_store_dword v116, off, s[0:3], 0 offset:388
	s_waitcnt vmcnt(1)
	buffer_store_dword v117, v0, s[0:3], 0 offen offset:4
	s_waitcnt vmcnt(0)
	buffer_store_dword v118, v0, s[0:3], 0 offen
.LBB56_368:
	v_mov_b32_e32 v0, 0
	global_load_dword v115, v0, s[20:21] offset:188
	s_waitcnt vmcnt(0)
	v_add_nc_u32_e32 v115, -1, v115
	v_cmp_eq_u32_e32 vcc_lo, 47, v115
	s_cbranch_vccnz .LBB56_370
; %bb.369:
	v_lshlrev_b32_e32 v115, 3, v115
	s_clause 0x3
	buffer_load_dword v116, v115, s[0:3], 0 offen
	buffer_load_dword v117, v115, s[0:3], 0 offen offset:4
	buffer_load_dword v118, off, s[0:3], 0 offset:376
	buffer_load_dword v119, off, s[0:3], 0 offset:380
	s_waitcnt vmcnt(3)
	buffer_store_dword v116, off, s[0:3], 0 offset:376
	s_waitcnt vmcnt(2)
	buffer_store_dword v117, off, s[0:3], 0 offset:380
	s_waitcnt vmcnt(1)
	buffer_store_dword v118, v115, s[0:3], 0 offen
	s_waitcnt vmcnt(0)
	buffer_store_dword v119, v115, s[0:3], 0 offen offset:4
.LBB56_370:
	global_load_dword v0, v0, s[20:21] offset:184
	s_waitcnt vmcnt(0)
	v_add_nc_u32_e32 v0, -1, v0
	v_cmp_eq_u32_e32 vcc_lo, 46, v0
	s_cbranch_vccnz .LBB56_372
; %bb.371:
	v_lshlrev_b32_e32 v0, 3, v0
	s_clause 0x3
	buffer_load_dword v115, v0, s[0:3], 0 offen
	buffer_load_dword v116, v0, s[0:3], 0 offen offset:4
	buffer_load_dword v117, off, s[0:3], 0 offset:372
	buffer_load_dword v118, off, s[0:3], 0 offset:368
	s_waitcnt vmcnt(3)
	buffer_store_dword v115, off, s[0:3], 0 offset:368
	s_waitcnt vmcnt(2)
	buffer_store_dword v116, off, s[0:3], 0 offset:372
	s_waitcnt vmcnt(1)
	buffer_store_dword v117, v0, s[0:3], 0 offen offset:4
	s_waitcnt vmcnt(0)
	buffer_store_dword v118, v0, s[0:3], 0 offen
.LBB56_372:
	v_mov_b32_e32 v0, 0
	global_load_dword v115, v0, s[20:21] offset:180
	s_waitcnt vmcnt(0)
	v_add_nc_u32_e32 v115, -1, v115
	v_cmp_eq_u32_e32 vcc_lo, 45, v115
	s_cbranch_vccnz .LBB56_374
; %bb.373:
	v_lshlrev_b32_e32 v115, 3, v115
	s_clause 0x3
	buffer_load_dword v116, v115, s[0:3], 0 offen
	buffer_load_dword v117, v115, s[0:3], 0 offen offset:4
	buffer_load_dword v118, off, s[0:3], 0 offset:360
	buffer_load_dword v119, off, s[0:3], 0 offset:364
	s_waitcnt vmcnt(3)
	buffer_store_dword v116, off, s[0:3], 0 offset:360
	s_waitcnt vmcnt(2)
	buffer_store_dword v117, off, s[0:3], 0 offset:364
	s_waitcnt vmcnt(1)
	buffer_store_dword v118, v115, s[0:3], 0 offen
	s_waitcnt vmcnt(0)
	buffer_store_dword v119, v115, s[0:3], 0 offen offset:4
.LBB56_374:
	global_load_dword v0, v0, s[20:21] offset:176
	s_waitcnt vmcnt(0)
	v_add_nc_u32_e32 v0, -1, v0
	v_cmp_eq_u32_e32 vcc_lo, 44, v0
	s_cbranch_vccnz .LBB56_376
; %bb.375:
	v_lshlrev_b32_e32 v0, 3, v0
	s_clause 0x3
	buffer_load_dword v115, v0, s[0:3], 0 offen
	buffer_load_dword v116, v0, s[0:3], 0 offen offset:4
	buffer_load_dword v117, off, s[0:3], 0 offset:356
	buffer_load_dword v118, off, s[0:3], 0 offset:352
	s_waitcnt vmcnt(3)
	buffer_store_dword v115, off, s[0:3], 0 offset:352
	s_waitcnt vmcnt(2)
	buffer_store_dword v116, off, s[0:3], 0 offset:356
	s_waitcnt vmcnt(1)
	buffer_store_dword v117, v0, s[0:3], 0 offen offset:4
	s_waitcnt vmcnt(0)
	buffer_store_dword v118, v0, s[0:3], 0 offen
.LBB56_376:
	v_mov_b32_e32 v0, 0
	global_load_dword v115, v0, s[20:21] offset:172
	s_waitcnt vmcnt(0)
	v_add_nc_u32_e32 v115, -1, v115
	v_cmp_eq_u32_e32 vcc_lo, 43, v115
	s_cbranch_vccnz .LBB56_378
; %bb.377:
	v_lshlrev_b32_e32 v115, 3, v115
	s_clause 0x3
	buffer_load_dword v116, v115, s[0:3], 0 offen
	buffer_load_dword v117, v115, s[0:3], 0 offen offset:4
	buffer_load_dword v118, off, s[0:3], 0 offset:344
	buffer_load_dword v119, off, s[0:3], 0 offset:348
	s_waitcnt vmcnt(3)
	buffer_store_dword v116, off, s[0:3], 0 offset:344
	s_waitcnt vmcnt(2)
	buffer_store_dword v117, off, s[0:3], 0 offset:348
	s_waitcnt vmcnt(1)
	buffer_store_dword v118, v115, s[0:3], 0 offen
	s_waitcnt vmcnt(0)
	buffer_store_dword v119, v115, s[0:3], 0 offen offset:4
.LBB56_378:
	global_load_dword v0, v0, s[20:21] offset:168
	s_waitcnt vmcnt(0)
	v_add_nc_u32_e32 v0, -1, v0
	v_cmp_eq_u32_e32 vcc_lo, 42, v0
	s_cbranch_vccnz .LBB56_380
; %bb.379:
	v_lshlrev_b32_e32 v0, 3, v0
	s_clause 0x3
	buffer_load_dword v115, v0, s[0:3], 0 offen
	buffer_load_dword v116, v0, s[0:3], 0 offen offset:4
	buffer_load_dword v117, off, s[0:3], 0 offset:340
	buffer_load_dword v118, off, s[0:3], 0 offset:336
	s_waitcnt vmcnt(3)
	buffer_store_dword v115, off, s[0:3], 0 offset:336
	s_waitcnt vmcnt(2)
	buffer_store_dword v116, off, s[0:3], 0 offset:340
	s_waitcnt vmcnt(1)
	buffer_store_dword v117, v0, s[0:3], 0 offen offset:4
	s_waitcnt vmcnt(0)
	buffer_store_dword v118, v0, s[0:3], 0 offen
.LBB56_380:
	v_mov_b32_e32 v0, 0
	global_load_dword v115, v0, s[20:21] offset:164
	s_waitcnt vmcnt(0)
	v_add_nc_u32_e32 v115, -1, v115
	v_cmp_eq_u32_e32 vcc_lo, 41, v115
	s_cbranch_vccnz .LBB56_382
; %bb.381:
	v_lshlrev_b32_e32 v115, 3, v115
	s_clause 0x3
	buffer_load_dword v116, v115, s[0:3], 0 offen
	buffer_load_dword v117, v115, s[0:3], 0 offen offset:4
	buffer_load_dword v118, off, s[0:3], 0 offset:328
	buffer_load_dword v119, off, s[0:3], 0 offset:332
	s_waitcnt vmcnt(3)
	buffer_store_dword v116, off, s[0:3], 0 offset:328
	s_waitcnt vmcnt(2)
	buffer_store_dword v117, off, s[0:3], 0 offset:332
	s_waitcnt vmcnt(1)
	buffer_store_dword v118, v115, s[0:3], 0 offen
	s_waitcnt vmcnt(0)
	buffer_store_dword v119, v115, s[0:3], 0 offen offset:4
.LBB56_382:
	global_load_dword v0, v0, s[20:21] offset:160
	s_waitcnt vmcnt(0)
	v_add_nc_u32_e32 v0, -1, v0
	v_cmp_eq_u32_e32 vcc_lo, 40, v0
	s_cbranch_vccnz .LBB56_384
; %bb.383:
	v_lshlrev_b32_e32 v0, 3, v0
	s_clause 0x3
	buffer_load_dword v115, v0, s[0:3], 0 offen
	buffer_load_dword v116, v0, s[0:3], 0 offen offset:4
	buffer_load_dword v117, off, s[0:3], 0 offset:324
	buffer_load_dword v118, off, s[0:3], 0 offset:320
	s_waitcnt vmcnt(3)
	buffer_store_dword v115, off, s[0:3], 0 offset:320
	s_waitcnt vmcnt(2)
	buffer_store_dword v116, off, s[0:3], 0 offset:324
	s_waitcnt vmcnt(1)
	buffer_store_dword v117, v0, s[0:3], 0 offen offset:4
	s_waitcnt vmcnt(0)
	buffer_store_dword v118, v0, s[0:3], 0 offen
.LBB56_384:
	v_mov_b32_e32 v0, 0
	global_load_dword v115, v0, s[20:21] offset:156
	s_waitcnt vmcnt(0)
	v_add_nc_u32_e32 v115, -1, v115
	v_cmp_eq_u32_e32 vcc_lo, 39, v115
	s_cbranch_vccnz .LBB56_386
; %bb.385:
	v_lshlrev_b32_e32 v115, 3, v115
	s_clause 0x3
	buffer_load_dword v116, v115, s[0:3], 0 offen
	buffer_load_dword v117, v115, s[0:3], 0 offen offset:4
	buffer_load_dword v118, off, s[0:3], 0 offset:312
	buffer_load_dword v119, off, s[0:3], 0 offset:316
	s_waitcnt vmcnt(3)
	buffer_store_dword v116, off, s[0:3], 0 offset:312
	s_waitcnt vmcnt(2)
	buffer_store_dword v117, off, s[0:3], 0 offset:316
	s_waitcnt vmcnt(1)
	buffer_store_dword v118, v115, s[0:3], 0 offen
	s_waitcnt vmcnt(0)
	buffer_store_dword v119, v115, s[0:3], 0 offen offset:4
.LBB56_386:
	global_load_dword v0, v0, s[20:21] offset:152
	s_waitcnt vmcnt(0)
	v_add_nc_u32_e32 v0, -1, v0
	v_cmp_eq_u32_e32 vcc_lo, 38, v0
	s_cbranch_vccnz .LBB56_388
; %bb.387:
	v_lshlrev_b32_e32 v0, 3, v0
	s_clause 0x3
	buffer_load_dword v115, v0, s[0:3], 0 offen
	buffer_load_dword v116, v0, s[0:3], 0 offen offset:4
	buffer_load_dword v117, off, s[0:3], 0 offset:308
	buffer_load_dword v118, off, s[0:3], 0 offset:304
	s_waitcnt vmcnt(3)
	buffer_store_dword v115, off, s[0:3], 0 offset:304
	s_waitcnt vmcnt(2)
	buffer_store_dword v116, off, s[0:3], 0 offset:308
	s_waitcnt vmcnt(1)
	buffer_store_dword v117, v0, s[0:3], 0 offen offset:4
	s_waitcnt vmcnt(0)
	buffer_store_dword v118, v0, s[0:3], 0 offen
.LBB56_388:
	v_mov_b32_e32 v0, 0
	global_load_dword v115, v0, s[20:21] offset:148
	s_waitcnt vmcnt(0)
	v_add_nc_u32_e32 v115, -1, v115
	v_cmp_eq_u32_e32 vcc_lo, 37, v115
	s_cbranch_vccnz .LBB56_390
; %bb.389:
	v_lshlrev_b32_e32 v115, 3, v115
	s_clause 0x3
	buffer_load_dword v116, v115, s[0:3], 0 offen
	buffer_load_dword v117, v115, s[0:3], 0 offen offset:4
	buffer_load_dword v118, off, s[0:3], 0 offset:296
	buffer_load_dword v119, off, s[0:3], 0 offset:300
	s_waitcnt vmcnt(3)
	buffer_store_dword v116, off, s[0:3], 0 offset:296
	s_waitcnt vmcnt(2)
	buffer_store_dword v117, off, s[0:3], 0 offset:300
	s_waitcnt vmcnt(1)
	buffer_store_dword v118, v115, s[0:3], 0 offen
	s_waitcnt vmcnt(0)
	buffer_store_dword v119, v115, s[0:3], 0 offen offset:4
.LBB56_390:
	global_load_dword v0, v0, s[20:21] offset:144
	s_waitcnt vmcnt(0)
	v_add_nc_u32_e32 v0, -1, v0
	v_cmp_eq_u32_e32 vcc_lo, 36, v0
	s_cbranch_vccnz .LBB56_392
; %bb.391:
	v_lshlrev_b32_e32 v0, 3, v0
	s_clause 0x3
	buffer_load_dword v115, v0, s[0:3], 0 offen
	buffer_load_dword v116, v0, s[0:3], 0 offen offset:4
	buffer_load_dword v117, off, s[0:3], 0 offset:292
	buffer_load_dword v118, off, s[0:3], 0 offset:288
	s_waitcnt vmcnt(3)
	buffer_store_dword v115, off, s[0:3], 0 offset:288
	s_waitcnt vmcnt(2)
	buffer_store_dword v116, off, s[0:3], 0 offset:292
	s_waitcnt vmcnt(1)
	buffer_store_dword v117, v0, s[0:3], 0 offen offset:4
	s_waitcnt vmcnt(0)
	buffer_store_dword v118, v0, s[0:3], 0 offen
.LBB56_392:
	v_mov_b32_e32 v0, 0
	global_load_dword v115, v0, s[20:21] offset:140
	s_waitcnt vmcnt(0)
	v_add_nc_u32_e32 v115, -1, v115
	v_cmp_eq_u32_e32 vcc_lo, 35, v115
	s_cbranch_vccnz .LBB56_394
; %bb.393:
	v_lshlrev_b32_e32 v115, 3, v115
	s_clause 0x3
	buffer_load_dword v116, v115, s[0:3], 0 offen
	buffer_load_dword v117, v115, s[0:3], 0 offen offset:4
	buffer_load_dword v118, off, s[0:3], 0 offset:280
	buffer_load_dword v119, off, s[0:3], 0 offset:284
	s_waitcnt vmcnt(3)
	buffer_store_dword v116, off, s[0:3], 0 offset:280
	s_waitcnt vmcnt(2)
	buffer_store_dword v117, off, s[0:3], 0 offset:284
	s_waitcnt vmcnt(1)
	buffer_store_dword v118, v115, s[0:3], 0 offen
	s_waitcnt vmcnt(0)
	buffer_store_dword v119, v115, s[0:3], 0 offen offset:4
.LBB56_394:
	global_load_dword v0, v0, s[20:21] offset:136
	s_waitcnt vmcnt(0)
	v_add_nc_u32_e32 v0, -1, v0
	v_cmp_eq_u32_e32 vcc_lo, 34, v0
	s_cbranch_vccnz .LBB56_396
; %bb.395:
	v_lshlrev_b32_e32 v0, 3, v0
	s_clause 0x3
	buffer_load_dword v115, v0, s[0:3], 0 offen
	buffer_load_dword v116, v0, s[0:3], 0 offen offset:4
	buffer_load_dword v117, off, s[0:3], 0 offset:276
	buffer_load_dword v118, off, s[0:3], 0 offset:272
	s_waitcnt vmcnt(3)
	buffer_store_dword v115, off, s[0:3], 0 offset:272
	s_waitcnt vmcnt(2)
	buffer_store_dword v116, off, s[0:3], 0 offset:276
	s_waitcnt vmcnt(1)
	buffer_store_dword v117, v0, s[0:3], 0 offen offset:4
	s_waitcnt vmcnt(0)
	buffer_store_dword v118, v0, s[0:3], 0 offen
.LBB56_396:
	v_mov_b32_e32 v0, 0
	global_load_dword v115, v0, s[20:21] offset:132
	s_waitcnt vmcnt(0)
	v_add_nc_u32_e32 v115, -1, v115
	v_cmp_eq_u32_e32 vcc_lo, 33, v115
	s_cbranch_vccnz .LBB56_398
; %bb.397:
	v_lshlrev_b32_e32 v115, 3, v115
	s_clause 0x3
	buffer_load_dword v116, v115, s[0:3], 0 offen
	buffer_load_dword v117, v115, s[0:3], 0 offen offset:4
	buffer_load_dword v118, off, s[0:3], 0 offset:264
	buffer_load_dword v119, off, s[0:3], 0 offset:268
	s_waitcnt vmcnt(3)
	buffer_store_dword v116, off, s[0:3], 0 offset:264
	s_waitcnt vmcnt(2)
	buffer_store_dword v117, off, s[0:3], 0 offset:268
	s_waitcnt vmcnt(1)
	buffer_store_dword v118, v115, s[0:3], 0 offen
	s_waitcnt vmcnt(0)
	buffer_store_dword v119, v115, s[0:3], 0 offen offset:4
.LBB56_398:
	global_load_dword v0, v0, s[20:21] offset:128
	s_waitcnt vmcnt(0)
	v_add_nc_u32_e32 v0, -1, v0
	v_cmp_eq_u32_e32 vcc_lo, 32, v0
	s_cbranch_vccnz .LBB56_400
; %bb.399:
	v_lshlrev_b32_e32 v0, 3, v0
	s_clause 0x3
	buffer_load_dword v115, v0, s[0:3], 0 offen
	buffer_load_dword v116, v0, s[0:3], 0 offen offset:4
	buffer_load_dword v117, off, s[0:3], 0 offset:260
	buffer_load_dword v118, off, s[0:3], 0 offset:256
	s_waitcnt vmcnt(3)
	buffer_store_dword v115, off, s[0:3], 0 offset:256
	s_waitcnt vmcnt(2)
	buffer_store_dword v116, off, s[0:3], 0 offset:260
	s_waitcnt vmcnt(1)
	buffer_store_dword v117, v0, s[0:3], 0 offen offset:4
	s_waitcnt vmcnt(0)
	buffer_store_dword v118, v0, s[0:3], 0 offen
.LBB56_400:
	v_mov_b32_e32 v0, 0
	global_load_dword v115, v0, s[20:21] offset:124
	s_waitcnt vmcnt(0)
	v_add_nc_u32_e32 v115, -1, v115
	v_cmp_eq_u32_e32 vcc_lo, 31, v115
	s_cbranch_vccnz .LBB56_402
; %bb.401:
	v_lshlrev_b32_e32 v115, 3, v115
	s_clause 0x3
	buffer_load_dword v116, v115, s[0:3], 0 offen
	buffer_load_dword v117, v115, s[0:3], 0 offen offset:4
	buffer_load_dword v118, off, s[0:3], 0 offset:248
	buffer_load_dword v119, off, s[0:3], 0 offset:252
	s_waitcnt vmcnt(3)
	buffer_store_dword v116, off, s[0:3], 0 offset:248
	s_waitcnt vmcnt(2)
	buffer_store_dword v117, off, s[0:3], 0 offset:252
	s_waitcnt vmcnt(1)
	buffer_store_dword v118, v115, s[0:3], 0 offen
	s_waitcnt vmcnt(0)
	buffer_store_dword v119, v115, s[0:3], 0 offen offset:4
.LBB56_402:
	global_load_dword v0, v0, s[20:21] offset:120
	s_waitcnt vmcnt(0)
	v_add_nc_u32_e32 v0, -1, v0
	v_cmp_eq_u32_e32 vcc_lo, 30, v0
	s_cbranch_vccnz .LBB56_404
; %bb.403:
	v_lshlrev_b32_e32 v0, 3, v0
	s_clause 0x3
	buffer_load_dword v115, v0, s[0:3], 0 offen
	buffer_load_dword v116, v0, s[0:3], 0 offen offset:4
	buffer_load_dword v117, off, s[0:3], 0 offset:244
	buffer_load_dword v118, off, s[0:3], 0 offset:240
	s_waitcnt vmcnt(3)
	buffer_store_dword v115, off, s[0:3], 0 offset:240
	s_waitcnt vmcnt(2)
	buffer_store_dword v116, off, s[0:3], 0 offset:244
	s_waitcnt vmcnt(1)
	buffer_store_dword v117, v0, s[0:3], 0 offen offset:4
	s_waitcnt vmcnt(0)
	buffer_store_dword v118, v0, s[0:3], 0 offen
.LBB56_404:
	v_mov_b32_e32 v0, 0
	global_load_dword v115, v0, s[20:21] offset:116
	s_waitcnt vmcnt(0)
	v_add_nc_u32_e32 v115, -1, v115
	v_cmp_eq_u32_e32 vcc_lo, 29, v115
	s_cbranch_vccnz .LBB56_406
; %bb.405:
	v_lshlrev_b32_e32 v115, 3, v115
	s_clause 0x3
	buffer_load_dword v116, v115, s[0:3], 0 offen
	buffer_load_dword v117, v115, s[0:3], 0 offen offset:4
	buffer_load_dword v118, off, s[0:3], 0 offset:232
	buffer_load_dword v119, off, s[0:3], 0 offset:236
	s_waitcnt vmcnt(3)
	buffer_store_dword v116, off, s[0:3], 0 offset:232
	s_waitcnt vmcnt(2)
	buffer_store_dword v117, off, s[0:3], 0 offset:236
	s_waitcnt vmcnt(1)
	buffer_store_dword v118, v115, s[0:3], 0 offen
	s_waitcnt vmcnt(0)
	buffer_store_dword v119, v115, s[0:3], 0 offen offset:4
.LBB56_406:
	global_load_dword v0, v0, s[20:21] offset:112
	s_waitcnt vmcnt(0)
	v_add_nc_u32_e32 v0, -1, v0
	v_cmp_eq_u32_e32 vcc_lo, 28, v0
	s_cbranch_vccnz .LBB56_408
; %bb.407:
	v_lshlrev_b32_e32 v0, 3, v0
	s_clause 0x3
	buffer_load_dword v115, v0, s[0:3], 0 offen
	buffer_load_dword v116, v0, s[0:3], 0 offen offset:4
	buffer_load_dword v117, off, s[0:3], 0 offset:228
	buffer_load_dword v118, off, s[0:3], 0 offset:224
	s_waitcnt vmcnt(3)
	buffer_store_dword v115, off, s[0:3], 0 offset:224
	s_waitcnt vmcnt(2)
	buffer_store_dword v116, off, s[0:3], 0 offset:228
	s_waitcnt vmcnt(1)
	buffer_store_dword v117, v0, s[0:3], 0 offen offset:4
	s_waitcnt vmcnt(0)
	buffer_store_dword v118, v0, s[0:3], 0 offen
.LBB56_408:
	v_mov_b32_e32 v0, 0
	global_load_dword v115, v0, s[20:21] offset:108
	s_waitcnt vmcnt(0)
	v_add_nc_u32_e32 v115, -1, v115
	v_cmp_eq_u32_e32 vcc_lo, 27, v115
	s_cbranch_vccnz .LBB56_410
; %bb.409:
	v_lshlrev_b32_e32 v115, 3, v115
	s_clause 0x3
	buffer_load_dword v116, v115, s[0:3], 0 offen
	buffer_load_dword v117, v115, s[0:3], 0 offen offset:4
	buffer_load_dword v118, off, s[0:3], 0 offset:216
	buffer_load_dword v119, off, s[0:3], 0 offset:220
	s_waitcnt vmcnt(3)
	buffer_store_dword v116, off, s[0:3], 0 offset:216
	s_waitcnt vmcnt(2)
	buffer_store_dword v117, off, s[0:3], 0 offset:220
	s_waitcnt vmcnt(1)
	buffer_store_dword v118, v115, s[0:3], 0 offen
	s_waitcnt vmcnt(0)
	buffer_store_dword v119, v115, s[0:3], 0 offen offset:4
.LBB56_410:
	global_load_dword v0, v0, s[20:21] offset:104
	s_waitcnt vmcnt(0)
	v_add_nc_u32_e32 v0, -1, v0
	v_cmp_eq_u32_e32 vcc_lo, 26, v0
	s_cbranch_vccnz .LBB56_412
; %bb.411:
	v_lshlrev_b32_e32 v0, 3, v0
	s_clause 0x3
	buffer_load_dword v115, v0, s[0:3], 0 offen
	buffer_load_dword v116, v0, s[0:3], 0 offen offset:4
	buffer_load_dword v117, off, s[0:3], 0 offset:212
	buffer_load_dword v118, off, s[0:3], 0 offset:208
	s_waitcnt vmcnt(3)
	buffer_store_dword v115, off, s[0:3], 0 offset:208
	s_waitcnt vmcnt(2)
	buffer_store_dword v116, off, s[0:3], 0 offset:212
	s_waitcnt vmcnt(1)
	buffer_store_dword v117, v0, s[0:3], 0 offen offset:4
	s_waitcnt vmcnt(0)
	buffer_store_dword v118, v0, s[0:3], 0 offen
.LBB56_412:
	v_mov_b32_e32 v0, 0
	global_load_dword v115, v0, s[20:21] offset:100
	s_waitcnt vmcnt(0)
	v_add_nc_u32_e32 v115, -1, v115
	v_cmp_eq_u32_e32 vcc_lo, 25, v115
	s_cbranch_vccnz .LBB56_414
; %bb.413:
	v_lshlrev_b32_e32 v115, 3, v115
	s_clause 0x3
	buffer_load_dword v116, v115, s[0:3], 0 offen
	buffer_load_dword v117, v115, s[0:3], 0 offen offset:4
	buffer_load_dword v118, off, s[0:3], 0 offset:200
	buffer_load_dword v119, off, s[0:3], 0 offset:204
	s_waitcnt vmcnt(3)
	buffer_store_dword v116, off, s[0:3], 0 offset:200
	s_waitcnt vmcnt(2)
	buffer_store_dword v117, off, s[0:3], 0 offset:204
	s_waitcnt vmcnt(1)
	buffer_store_dword v118, v115, s[0:3], 0 offen
	s_waitcnt vmcnt(0)
	buffer_store_dword v119, v115, s[0:3], 0 offen offset:4
.LBB56_414:
	global_load_dword v0, v0, s[20:21] offset:96
	s_waitcnt vmcnt(0)
	v_add_nc_u32_e32 v0, -1, v0
	v_cmp_eq_u32_e32 vcc_lo, 24, v0
	s_cbranch_vccnz .LBB56_416
; %bb.415:
	v_lshlrev_b32_e32 v0, 3, v0
	s_clause 0x3
	buffer_load_dword v115, v0, s[0:3], 0 offen
	buffer_load_dword v116, v0, s[0:3], 0 offen offset:4
	buffer_load_dword v117, off, s[0:3], 0 offset:196
	buffer_load_dword v118, off, s[0:3], 0 offset:192
	s_waitcnt vmcnt(3)
	buffer_store_dword v115, off, s[0:3], 0 offset:192
	s_waitcnt vmcnt(2)
	buffer_store_dword v116, off, s[0:3], 0 offset:196
	s_waitcnt vmcnt(1)
	buffer_store_dword v117, v0, s[0:3], 0 offen offset:4
	s_waitcnt vmcnt(0)
	buffer_store_dword v118, v0, s[0:3], 0 offen
.LBB56_416:
	v_mov_b32_e32 v0, 0
	global_load_dword v115, v0, s[20:21] offset:92
	s_waitcnt vmcnt(0)
	v_add_nc_u32_e32 v115, -1, v115
	v_cmp_eq_u32_e32 vcc_lo, 23, v115
	s_cbranch_vccnz .LBB56_418
; %bb.417:
	v_lshlrev_b32_e32 v115, 3, v115
	s_clause 0x3
	buffer_load_dword v116, v115, s[0:3], 0 offen
	buffer_load_dword v117, v115, s[0:3], 0 offen offset:4
	buffer_load_dword v118, off, s[0:3], 0 offset:184
	buffer_load_dword v119, off, s[0:3], 0 offset:188
	s_waitcnt vmcnt(3)
	buffer_store_dword v116, off, s[0:3], 0 offset:184
	s_waitcnt vmcnt(2)
	buffer_store_dword v117, off, s[0:3], 0 offset:188
	s_waitcnt vmcnt(1)
	buffer_store_dword v118, v115, s[0:3], 0 offen
	s_waitcnt vmcnt(0)
	buffer_store_dword v119, v115, s[0:3], 0 offen offset:4
.LBB56_418:
	global_load_dword v0, v0, s[20:21] offset:88
	s_waitcnt vmcnt(0)
	v_add_nc_u32_e32 v0, -1, v0
	v_cmp_eq_u32_e32 vcc_lo, 22, v0
	s_cbranch_vccnz .LBB56_420
; %bb.419:
	v_lshlrev_b32_e32 v0, 3, v0
	s_clause 0x3
	buffer_load_dword v115, v0, s[0:3], 0 offen
	buffer_load_dword v116, v0, s[0:3], 0 offen offset:4
	buffer_load_dword v117, off, s[0:3], 0 offset:180
	buffer_load_dword v118, off, s[0:3], 0 offset:176
	s_waitcnt vmcnt(3)
	buffer_store_dword v115, off, s[0:3], 0 offset:176
	s_waitcnt vmcnt(2)
	buffer_store_dword v116, off, s[0:3], 0 offset:180
	s_waitcnt vmcnt(1)
	buffer_store_dword v117, v0, s[0:3], 0 offen offset:4
	s_waitcnt vmcnt(0)
	buffer_store_dword v118, v0, s[0:3], 0 offen
.LBB56_420:
	v_mov_b32_e32 v0, 0
	global_load_dword v115, v0, s[20:21] offset:84
	s_waitcnt vmcnt(0)
	v_add_nc_u32_e32 v115, -1, v115
	v_cmp_eq_u32_e32 vcc_lo, 21, v115
	s_cbranch_vccnz .LBB56_422
; %bb.421:
	v_lshlrev_b32_e32 v115, 3, v115
	s_clause 0x3
	buffer_load_dword v116, v115, s[0:3], 0 offen
	buffer_load_dword v117, v115, s[0:3], 0 offen offset:4
	buffer_load_dword v118, off, s[0:3], 0 offset:168
	buffer_load_dword v119, off, s[0:3], 0 offset:172
	s_waitcnt vmcnt(3)
	buffer_store_dword v116, off, s[0:3], 0 offset:168
	s_waitcnt vmcnt(2)
	buffer_store_dword v117, off, s[0:3], 0 offset:172
	s_waitcnt vmcnt(1)
	buffer_store_dword v118, v115, s[0:3], 0 offen
	s_waitcnt vmcnt(0)
	buffer_store_dword v119, v115, s[0:3], 0 offen offset:4
.LBB56_422:
	global_load_dword v0, v0, s[20:21] offset:80
	s_waitcnt vmcnt(0)
	v_add_nc_u32_e32 v0, -1, v0
	v_cmp_eq_u32_e32 vcc_lo, 20, v0
	s_cbranch_vccnz .LBB56_424
; %bb.423:
	v_lshlrev_b32_e32 v0, 3, v0
	s_clause 0x3
	buffer_load_dword v115, v0, s[0:3], 0 offen
	buffer_load_dword v116, v0, s[0:3], 0 offen offset:4
	buffer_load_dword v117, off, s[0:3], 0 offset:164
	buffer_load_dword v118, off, s[0:3], 0 offset:160
	s_waitcnt vmcnt(3)
	buffer_store_dword v115, off, s[0:3], 0 offset:160
	s_waitcnt vmcnt(2)
	buffer_store_dword v116, off, s[0:3], 0 offset:164
	s_waitcnt vmcnt(1)
	buffer_store_dword v117, v0, s[0:3], 0 offen offset:4
	s_waitcnt vmcnt(0)
	buffer_store_dword v118, v0, s[0:3], 0 offen
.LBB56_424:
	v_mov_b32_e32 v0, 0
	global_load_dword v115, v0, s[20:21] offset:76
	s_waitcnt vmcnt(0)
	v_add_nc_u32_e32 v115, -1, v115
	v_cmp_eq_u32_e32 vcc_lo, 19, v115
	s_cbranch_vccnz .LBB56_426
; %bb.425:
	v_lshlrev_b32_e32 v115, 3, v115
	s_clause 0x3
	buffer_load_dword v116, v115, s[0:3], 0 offen
	buffer_load_dword v117, v115, s[0:3], 0 offen offset:4
	buffer_load_dword v118, off, s[0:3], 0 offset:152
	buffer_load_dword v119, off, s[0:3], 0 offset:156
	s_waitcnt vmcnt(3)
	buffer_store_dword v116, off, s[0:3], 0 offset:152
	s_waitcnt vmcnt(2)
	buffer_store_dword v117, off, s[0:3], 0 offset:156
	s_waitcnt vmcnt(1)
	buffer_store_dword v118, v115, s[0:3], 0 offen
	s_waitcnt vmcnt(0)
	buffer_store_dword v119, v115, s[0:3], 0 offen offset:4
.LBB56_426:
	global_load_dword v0, v0, s[20:21] offset:72
	s_waitcnt vmcnt(0)
	v_add_nc_u32_e32 v0, -1, v0
	v_cmp_eq_u32_e32 vcc_lo, 18, v0
	s_cbranch_vccnz .LBB56_428
; %bb.427:
	v_lshlrev_b32_e32 v0, 3, v0
	s_clause 0x3
	buffer_load_dword v115, v0, s[0:3], 0 offen
	buffer_load_dword v116, v0, s[0:3], 0 offen offset:4
	buffer_load_dword v117, off, s[0:3], 0 offset:148
	buffer_load_dword v118, off, s[0:3], 0 offset:144
	s_waitcnt vmcnt(3)
	buffer_store_dword v115, off, s[0:3], 0 offset:144
	s_waitcnt vmcnt(2)
	buffer_store_dword v116, off, s[0:3], 0 offset:148
	s_waitcnt vmcnt(1)
	buffer_store_dword v117, v0, s[0:3], 0 offen offset:4
	s_waitcnt vmcnt(0)
	buffer_store_dword v118, v0, s[0:3], 0 offen
.LBB56_428:
	v_mov_b32_e32 v0, 0
	global_load_dword v115, v0, s[20:21] offset:68
	s_waitcnt vmcnt(0)
	v_add_nc_u32_e32 v115, -1, v115
	v_cmp_eq_u32_e32 vcc_lo, 17, v115
	s_cbranch_vccnz .LBB56_430
; %bb.429:
	v_lshlrev_b32_e32 v115, 3, v115
	s_clause 0x3
	buffer_load_dword v116, v115, s[0:3], 0 offen
	buffer_load_dword v117, v115, s[0:3], 0 offen offset:4
	buffer_load_dword v118, off, s[0:3], 0 offset:136
	buffer_load_dword v119, off, s[0:3], 0 offset:140
	s_waitcnt vmcnt(3)
	buffer_store_dword v116, off, s[0:3], 0 offset:136
	s_waitcnt vmcnt(2)
	buffer_store_dword v117, off, s[0:3], 0 offset:140
	s_waitcnt vmcnt(1)
	buffer_store_dword v118, v115, s[0:3], 0 offen
	s_waitcnt vmcnt(0)
	buffer_store_dword v119, v115, s[0:3], 0 offen offset:4
.LBB56_430:
	global_load_dword v0, v0, s[20:21] offset:64
	s_waitcnt vmcnt(0)
	v_add_nc_u32_e32 v0, -1, v0
	v_cmp_eq_u32_e32 vcc_lo, 16, v0
	s_cbranch_vccnz .LBB56_432
; %bb.431:
	v_lshlrev_b32_e32 v0, 3, v0
	s_clause 0x3
	buffer_load_dword v115, v0, s[0:3], 0 offen
	buffer_load_dword v116, v0, s[0:3], 0 offen offset:4
	buffer_load_dword v117, off, s[0:3], 0 offset:132
	buffer_load_dword v118, off, s[0:3], 0 offset:128
	s_waitcnt vmcnt(3)
	buffer_store_dword v115, off, s[0:3], 0 offset:128
	s_waitcnt vmcnt(2)
	buffer_store_dword v116, off, s[0:3], 0 offset:132
	s_waitcnt vmcnt(1)
	buffer_store_dword v117, v0, s[0:3], 0 offen offset:4
	s_waitcnt vmcnt(0)
	buffer_store_dword v118, v0, s[0:3], 0 offen
.LBB56_432:
	v_mov_b32_e32 v0, 0
	global_load_dword v115, v0, s[20:21] offset:60
	s_waitcnt vmcnt(0)
	v_add_nc_u32_e32 v115, -1, v115
	v_cmp_eq_u32_e32 vcc_lo, 15, v115
	s_cbranch_vccnz .LBB56_434
; %bb.433:
	v_lshlrev_b32_e32 v115, 3, v115
	s_clause 0x3
	buffer_load_dword v116, v115, s[0:3], 0 offen
	buffer_load_dword v117, v115, s[0:3], 0 offen offset:4
	buffer_load_dword v118, off, s[0:3], 0 offset:120
	buffer_load_dword v119, off, s[0:3], 0 offset:124
	s_waitcnt vmcnt(3)
	buffer_store_dword v116, off, s[0:3], 0 offset:120
	s_waitcnt vmcnt(2)
	buffer_store_dword v117, off, s[0:3], 0 offset:124
	s_waitcnt vmcnt(1)
	buffer_store_dword v118, v115, s[0:3], 0 offen
	s_waitcnt vmcnt(0)
	buffer_store_dword v119, v115, s[0:3], 0 offen offset:4
.LBB56_434:
	global_load_dword v0, v0, s[20:21] offset:56
	s_waitcnt vmcnt(0)
	v_add_nc_u32_e32 v0, -1, v0
	v_cmp_eq_u32_e32 vcc_lo, 14, v0
	s_cbranch_vccnz .LBB56_436
; %bb.435:
	v_lshlrev_b32_e32 v0, 3, v0
	s_clause 0x3
	buffer_load_dword v115, v0, s[0:3], 0 offen
	buffer_load_dword v116, v0, s[0:3], 0 offen offset:4
	buffer_load_dword v117, off, s[0:3], 0 offset:116
	buffer_load_dword v118, off, s[0:3], 0 offset:112
	s_waitcnt vmcnt(3)
	buffer_store_dword v115, off, s[0:3], 0 offset:112
	s_waitcnt vmcnt(2)
	buffer_store_dword v116, off, s[0:3], 0 offset:116
	s_waitcnt vmcnt(1)
	buffer_store_dword v117, v0, s[0:3], 0 offen offset:4
	s_waitcnt vmcnt(0)
	buffer_store_dword v118, v0, s[0:3], 0 offen
.LBB56_436:
	v_mov_b32_e32 v0, 0
	global_load_dword v115, v0, s[20:21] offset:52
	s_waitcnt vmcnt(0)
	v_add_nc_u32_e32 v115, -1, v115
	v_cmp_eq_u32_e32 vcc_lo, 13, v115
	s_cbranch_vccnz .LBB56_438
; %bb.437:
	v_lshlrev_b32_e32 v115, 3, v115
	s_clause 0x3
	buffer_load_dword v116, v115, s[0:3], 0 offen
	buffer_load_dword v117, v115, s[0:3], 0 offen offset:4
	buffer_load_dword v118, off, s[0:3], 0 offset:104
	buffer_load_dword v119, off, s[0:3], 0 offset:108
	s_waitcnt vmcnt(3)
	buffer_store_dword v116, off, s[0:3], 0 offset:104
	s_waitcnt vmcnt(2)
	buffer_store_dword v117, off, s[0:3], 0 offset:108
	s_waitcnt vmcnt(1)
	buffer_store_dword v118, v115, s[0:3], 0 offen
	s_waitcnt vmcnt(0)
	buffer_store_dword v119, v115, s[0:3], 0 offen offset:4
.LBB56_438:
	global_load_dword v0, v0, s[20:21] offset:48
	s_waitcnt vmcnt(0)
	v_add_nc_u32_e32 v0, -1, v0
	v_cmp_eq_u32_e32 vcc_lo, 12, v0
	s_cbranch_vccnz .LBB56_440
; %bb.439:
	v_lshlrev_b32_e32 v0, 3, v0
	s_clause 0x3
	buffer_load_dword v115, v0, s[0:3], 0 offen
	buffer_load_dword v116, v0, s[0:3], 0 offen offset:4
	buffer_load_dword v117, off, s[0:3], 0 offset:100
	buffer_load_dword v118, off, s[0:3], 0 offset:96
	s_waitcnt vmcnt(3)
	buffer_store_dword v115, off, s[0:3], 0 offset:96
	s_waitcnt vmcnt(2)
	buffer_store_dword v116, off, s[0:3], 0 offset:100
	s_waitcnt vmcnt(1)
	buffer_store_dword v117, v0, s[0:3], 0 offen offset:4
	s_waitcnt vmcnt(0)
	buffer_store_dword v118, v0, s[0:3], 0 offen
.LBB56_440:
	v_mov_b32_e32 v0, 0
	global_load_dword v115, v0, s[20:21] offset:44
	s_waitcnt vmcnt(0)
	v_add_nc_u32_e32 v115, -1, v115
	v_cmp_eq_u32_e32 vcc_lo, 11, v115
	s_cbranch_vccnz .LBB56_442
; %bb.441:
	v_lshlrev_b32_e32 v115, 3, v115
	s_clause 0x3
	buffer_load_dword v116, v115, s[0:3], 0 offen
	buffer_load_dword v117, v115, s[0:3], 0 offen offset:4
	buffer_load_dword v118, off, s[0:3], 0 offset:88
	buffer_load_dword v119, off, s[0:3], 0 offset:92
	s_waitcnt vmcnt(3)
	buffer_store_dword v116, off, s[0:3], 0 offset:88
	s_waitcnt vmcnt(2)
	buffer_store_dword v117, off, s[0:3], 0 offset:92
	s_waitcnt vmcnt(1)
	buffer_store_dword v118, v115, s[0:3], 0 offen
	s_waitcnt vmcnt(0)
	buffer_store_dword v119, v115, s[0:3], 0 offen offset:4
.LBB56_442:
	global_load_dword v0, v0, s[20:21] offset:40
	s_waitcnt vmcnt(0)
	v_add_nc_u32_e32 v0, -1, v0
	v_cmp_eq_u32_e32 vcc_lo, 10, v0
	s_cbranch_vccnz .LBB56_444
; %bb.443:
	v_lshlrev_b32_e32 v0, 3, v0
	s_clause 0x3
	buffer_load_dword v115, v0, s[0:3], 0 offen
	buffer_load_dword v116, v0, s[0:3], 0 offen offset:4
	buffer_load_dword v117, off, s[0:3], 0 offset:84
	buffer_load_dword v118, off, s[0:3], 0 offset:80
	s_waitcnt vmcnt(3)
	buffer_store_dword v115, off, s[0:3], 0 offset:80
	s_waitcnt vmcnt(2)
	buffer_store_dword v116, off, s[0:3], 0 offset:84
	s_waitcnt vmcnt(1)
	buffer_store_dword v117, v0, s[0:3], 0 offen offset:4
	s_waitcnt vmcnt(0)
	buffer_store_dword v118, v0, s[0:3], 0 offen
.LBB56_444:
	v_mov_b32_e32 v0, 0
	global_load_dword v115, v0, s[20:21] offset:36
	s_waitcnt vmcnt(0)
	v_add_nc_u32_e32 v115, -1, v115
	v_cmp_eq_u32_e32 vcc_lo, 9, v115
	s_cbranch_vccnz .LBB56_446
; %bb.445:
	v_lshlrev_b32_e32 v115, 3, v115
	s_clause 0x3
	buffer_load_dword v116, v115, s[0:3], 0 offen
	buffer_load_dword v117, v115, s[0:3], 0 offen offset:4
	buffer_load_dword v118, off, s[0:3], 0 offset:72
	buffer_load_dword v119, off, s[0:3], 0 offset:76
	s_waitcnt vmcnt(3)
	buffer_store_dword v116, off, s[0:3], 0 offset:72
	s_waitcnt vmcnt(2)
	buffer_store_dword v117, off, s[0:3], 0 offset:76
	s_waitcnt vmcnt(1)
	buffer_store_dword v118, v115, s[0:3], 0 offen
	s_waitcnt vmcnt(0)
	buffer_store_dword v119, v115, s[0:3], 0 offen offset:4
.LBB56_446:
	global_load_dword v0, v0, s[20:21] offset:32
	s_waitcnt vmcnt(0)
	v_add_nc_u32_e32 v0, -1, v0
	v_cmp_eq_u32_e32 vcc_lo, 8, v0
	s_cbranch_vccnz .LBB56_448
; %bb.447:
	v_lshlrev_b32_e32 v0, 3, v0
	s_clause 0x3
	buffer_load_dword v115, v0, s[0:3], 0 offen
	buffer_load_dword v116, v0, s[0:3], 0 offen offset:4
	buffer_load_dword v117, off, s[0:3], 0 offset:68
	buffer_load_dword v118, off, s[0:3], 0 offset:64
	s_waitcnt vmcnt(3)
	buffer_store_dword v115, off, s[0:3], 0 offset:64
	s_waitcnt vmcnt(2)
	buffer_store_dword v116, off, s[0:3], 0 offset:68
	s_waitcnt vmcnt(1)
	buffer_store_dword v117, v0, s[0:3], 0 offen offset:4
	s_waitcnt vmcnt(0)
	buffer_store_dword v118, v0, s[0:3], 0 offen
.LBB56_448:
	v_mov_b32_e32 v0, 0
	global_load_dword v115, v0, s[20:21] offset:28
	s_waitcnt vmcnt(0)
	v_add_nc_u32_e32 v115, -1, v115
	v_cmp_eq_u32_e32 vcc_lo, 7, v115
	s_cbranch_vccnz .LBB56_450
; %bb.449:
	v_lshlrev_b32_e32 v115, 3, v115
	s_clause 0x3
	buffer_load_dword v116, v115, s[0:3], 0 offen
	buffer_load_dword v117, v115, s[0:3], 0 offen offset:4
	buffer_load_dword v118, off, s[0:3], 0 offset:56
	buffer_load_dword v119, off, s[0:3], 0 offset:60
	s_waitcnt vmcnt(3)
	buffer_store_dword v116, off, s[0:3], 0 offset:56
	s_waitcnt vmcnt(2)
	buffer_store_dword v117, off, s[0:3], 0 offset:60
	s_waitcnt vmcnt(1)
	buffer_store_dword v118, v115, s[0:3], 0 offen
	s_waitcnt vmcnt(0)
	buffer_store_dword v119, v115, s[0:3], 0 offen offset:4
.LBB56_450:
	global_load_dword v0, v0, s[20:21] offset:24
	s_waitcnt vmcnt(0)
	v_add_nc_u32_e32 v0, -1, v0
	v_cmp_eq_u32_e32 vcc_lo, 6, v0
	s_cbranch_vccnz .LBB56_452
; %bb.451:
	v_lshlrev_b32_e32 v0, 3, v0
	s_clause 0x3
	buffer_load_dword v115, v0, s[0:3], 0 offen
	buffer_load_dword v116, v0, s[0:3], 0 offen offset:4
	buffer_load_dword v117, off, s[0:3], 0 offset:52
	buffer_load_dword v118, off, s[0:3], 0 offset:48
	s_waitcnt vmcnt(3)
	buffer_store_dword v115, off, s[0:3], 0 offset:48
	s_waitcnt vmcnt(2)
	buffer_store_dword v116, off, s[0:3], 0 offset:52
	s_waitcnt vmcnt(1)
	buffer_store_dword v117, v0, s[0:3], 0 offen offset:4
	s_waitcnt vmcnt(0)
	buffer_store_dword v118, v0, s[0:3], 0 offen
.LBB56_452:
	v_mov_b32_e32 v0, 0
	global_load_dword v115, v0, s[20:21] offset:20
	s_waitcnt vmcnt(0)
	v_add_nc_u32_e32 v115, -1, v115
	v_cmp_eq_u32_e32 vcc_lo, 5, v115
	s_cbranch_vccnz .LBB56_454
; %bb.453:
	v_lshlrev_b32_e32 v115, 3, v115
	s_clause 0x3
	buffer_load_dword v116, v115, s[0:3], 0 offen
	buffer_load_dword v117, v115, s[0:3], 0 offen offset:4
	buffer_load_dword v118, off, s[0:3], 0 offset:40
	buffer_load_dword v119, off, s[0:3], 0 offset:44
	s_waitcnt vmcnt(3)
	buffer_store_dword v116, off, s[0:3], 0 offset:40
	s_waitcnt vmcnt(2)
	buffer_store_dword v117, off, s[0:3], 0 offset:44
	s_waitcnt vmcnt(1)
	buffer_store_dword v118, v115, s[0:3], 0 offen
	s_waitcnt vmcnt(0)
	buffer_store_dword v119, v115, s[0:3], 0 offen offset:4
.LBB56_454:
	global_load_dword v0, v0, s[20:21] offset:16
	s_waitcnt vmcnt(0)
	v_add_nc_u32_e32 v0, -1, v0
	v_cmp_eq_u32_e32 vcc_lo, 4, v0
	s_cbranch_vccnz .LBB56_456
; %bb.455:
	v_lshlrev_b32_e32 v0, 3, v0
	s_clause 0x3
	buffer_load_dword v115, v0, s[0:3], 0 offen
	buffer_load_dword v116, v0, s[0:3], 0 offen offset:4
	buffer_load_dword v117, off, s[0:3], 0 offset:36
	buffer_load_dword v118, off, s[0:3], 0 offset:32
	s_waitcnt vmcnt(3)
	buffer_store_dword v115, off, s[0:3], 0 offset:32
	s_waitcnt vmcnt(2)
	buffer_store_dword v116, off, s[0:3], 0 offset:36
	s_waitcnt vmcnt(1)
	buffer_store_dword v117, v0, s[0:3], 0 offen offset:4
	s_waitcnt vmcnt(0)
	buffer_store_dword v118, v0, s[0:3], 0 offen
.LBB56_456:
	v_mov_b32_e32 v0, 0
	global_load_dword v115, v0, s[20:21] offset:12
	s_waitcnt vmcnt(0)
	v_add_nc_u32_e32 v115, -1, v115
	v_cmp_eq_u32_e32 vcc_lo, 3, v115
	s_cbranch_vccnz .LBB56_458
; %bb.457:
	v_lshlrev_b32_e32 v115, 3, v115
	s_clause 0x3
	buffer_load_dword v116, v115, s[0:3], 0 offen
	buffer_load_dword v117, v115, s[0:3], 0 offen offset:4
	buffer_load_dword v118, off, s[0:3], 0 offset:24
	buffer_load_dword v119, off, s[0:3], 0 offset:28
	s_waitcnt vmcnt(3)
	buffer_store_dword v116, off, s[0:3], 0 offset:24
	s_waitcnt vmcnt(2)
	buffer_store_dword v117, off, s[0:3], 0 offset:28
	s_waitcnt vmcnt(1)
	buffer_store_dword v118, v115, s[0:3], 0 offen
	s_waitcnt vmcnt(0)
	buffer_store_dword v119, v115, s[0:3], 0 offen offset:4
.LBB56_458:
	global_load_dword v0, v0, s[20:21] offset:8
	s_waitcnt vmcnt(0)
	v_add_nc_u32_e32 v0, -1, v0
	v_cmp_eq_u32_e32 vcc_lo, 2, v0
	s_cbranch_vccnz .LBB56_460
; %bb.459:
	v_lshlrev_b32_e32 v0, 3, v0
	s_clause 0x3
	buffer_load_dword v115, v0, s[0:3], 0 offen
	buffer_load_dword v116, v0, s[0:3], 0 offen offset:4
	buffer_load_dword v117, off, s[0:3], 0 offset:20
	buffer_load_dword v118, off, s[0:3], 0 offset:16
	s_waitcnt vmcnt(3)
	buffer_store_dword v115, off, s[0:3], 0 offset:16
	s_waitcnt vmcnt(2)
	buffer_store_dword v116, off, s[0:3], 0 offset:20
	s_waitcnt vmcnt(1)
	buffer_store_dword v117, v0, s[0:3], 0 offen offset:4
	s_waitcnt vmcnt(0)
	buffer_store_dword v118, v0, s[0:3], 0 offen
.LBB56_460:
	v_mov_b32_e32 v0, 0
	global_load_dword v115, v0, s[20:21] offset:4
	s_waitcnt vmcnt(0)
	v_add_nc_u32_e32 v115, -1, v115
	v_cmp_eq_u32_e32 vcc_lo, 1, v115
	s_cbranch_vccnz .LBB56_462
; %bb.461:
	v_lshlrev_b32_e32 v115, 3, v115
	s_clause 0x3
	buffer_load_dword v116, v115, s[0:3], 0 offen
	buffer_load_dword v117, v115, s[0:3], 0 offen offset:4
	buffer_load_dword v118, off, s[0:3], 0 offset:8
	buffer_load_dword v119, off, s[0:3], 0 offset:12
	s_waitcnt vmcnt(3)
	buffer_store_dword v116, off, s[0:3], 0 offset:8
	s_waitcnt vmcnt(2)
	buffer_store_dword v117, off, s[0:3], 0 offset:12
	s_waitcnt vmcnt(1)
	buffer_store_dword v118, v115, s[0:3], 0 offen
	s_waitcnt vmcnt(0)
	buffer_store_dword v119, v115, s[0:3], 0 offen offset:4
.LBB56_462:
	global_load_dword v0, v0, s[20:21]
	s_clause 0x1
	buffer_load_dword v115, off, s[0:3], 0
	buffer_load_dword v116, off, s[0:3], 0 offset:4
	s_waitcnt vmcnt(2)
	v_add_nc_u32_e32 v0, -1, v0
	v_cmp_eq_u32_e32 vcc_lo, 0, v0
	s_cbranch_vccnz .LBB56_464
; %bb.463:
	v_lshlrev_b32_e32 v0, 3, v0
	s_clause 0x1
	buffer_load_dword v117, v0, s[0:3], 0 offen offset:4
	buffer_load_dword v118, v0, s[0:3], 0 offen
	s_waitcnt vmcnt(1)
	buffer_store_dword v117, off, s[0:3], 0 offset:4
	s_waitcnt vmcnt(0)
	buffer_store_dword v118, off, s[0:3], 0
	buffer_store_dword v116, v0, s[0:3], 0 offen offset:4
	buffer_store_dword v115, v0, s[0:3], 0 offen
	s_clause 0x1
	buffer_load_dword v115, off, s[0:3], 0
	buffer_load_dword v116, off, s[0:3], 0 offset:4
.LBB56_464:
	s_clause 0x21
	buffer_load_dword v117, off, s[0:3], 0 offset:8
	buffer_load_dword v118, off, s[0:3], 0 offset:12
	;; [unrolled: 1-line block ×34, first 2 shown]
	s_waitcnt vmcnt(34)
	global_store_dwordx2 v[85:86], v[115:116], off
	s_clause 0x5
	buffer_load_dword v85, off, s[0:3], 0 offset:144
	buffer_load_dword v86, off, s[0:3], 0 offset:148
	;; [unrolled: 1-line block ×6, first 2 shown]
	s_waitcnt vmcnt(38)
	global_store_dwordx2 v[75:76], v[117:118], off
	s_clause 0x7
	buffer_load_dword v75, off, s[0:3], 0 offset:168
	buffer_load_dword v76, off, s[0:3], 0 offset:172
	buffer_load_dword v117, off, s[0:3], 0 offset:176
	buffer_load_dword v118, off, s[0:3], 0 offset:180
	buffer_load_dword v153, off, s[0:3], 0 offset:184
	buffer_load_dword v154, off, s[0:3], 0 offset:188
	buffer_load_dword v155, off, s[0:3], 0 offset:192
	buffer_load_dword v156, off, s[0:3], 0 offset:196
	s_waitcnt vmcnt(44)
	global_store_dwordx2 v[43:44], v[119:120], off
	s_waitcnt vmcnt(42)
	global_store_dwordx2 v[51:52], v[121:122], off
	s_clause 0x7
	buffer_load_dword v43, off, s[0:3], 0 offset:200
	buffer_load_dword v44, off, s[0:3], 0 offset:204
	buffer_load_dword v51, off, s[0:3], 0 offset:208
	buffer_load_dword v52, off, s[0:3], 0 offset:212
	buffer_load_dword v119, off, s[0:3], 0 offset:216
	buffer_load_dword v120, off, s[0:3], 0 offset:220
	buffer_load_dword v121, off, s[0:3], 0 offset:224
	buffer_load_dword v122, off, s[0:3], 0 offset:228
	s_waitcnt vmcnt(48)
	global_store_dwordx2 v[27:28], v[123:124], off
	s_waitcnt vmcnt(46)
	global_store_dwordx2 v[37:38], v[125:126], off
	s_clause 0x7
	buffer_load_dword v27, off, s[0:3], 0 offset:232
	buffer_load_dword v28, off, s[0:3], 0 offset:236
	buffer_load_dword v37, off, s[0:3], 0 offset:240
	buffer_load_dword v38, off, s[0:3], 0 offset:244
	buffer_load_dword v123, off, s[0:3], 0 offset:248
	buffer_load_dword v124, off, s[0:3], 0 offset:252
	buffer_load_dword v125, off, s[0:3], 0 offset:256
	buffer_load_dword v126, off, s[0:3], 0 offset:260
	s_waitcnt vmcnt(52)
	global_store_dwordx2 v[17:18], v[127:128], off
	s_waitcnt vmcnt(50)
	global_store_dwordx2 v[29:30], v[129:130], off
	s_clause 0x7
	buffer_load_dword v17, off, s[0:3], 0 offset:264
	buffer_load_dword v18, off, s[0:3], 0 offset:268
	buffer_load_dword v29, off, s[0:3], 0 offset:272
	buffer_load_dword v30, off, s[0:3], 0 offset:276
	buffer_load_dword v127, off, s[0:3], 0 offset:280
	buffer_load_dword v128, off, s[0:3], 0 offset:284
	buffer_load_dword v129, off, s[0:3], 0 offset:288
	buffer_load_dword v130, off, s[0:3], 0 offset:292
	s_waitcnt vmcnt(56)
	global_store_dwordx2 v[7:8], v[131:132], off
	s_waitcnt vmcnt(54)
	global_store_dwordx2 v[45:46], v[133:134], off
	s_clause 0x7
	buffer_load_dword v7, off, s[0:3], 0 offset:296
	buffer_load_dword v8, off, s[0:3], 0 offset:300
	buffer_load_dword v45, off, s[0:3], 0 offset:304
	buffer_load_dword v46, off, s[0:3], 0 offset:308
	buffer_load_dword v131, off, s[0:3], 0 offset:312
	buffer_load_dword v132, off, s[0:3], 0 offset:316
	buffer_load_dword v133, off, s[0:3], 0 offset:320
	buffer_load_dword v134, off, s[0:3], 0 offset:324
	s_waitcnt vmcnt(60)
	global_store_dwordx2 v[21:22], v[135:136], off
	s_waitcnt vmcnt(58)
	global_store_dwordx2 v[55:56], v[137:138], off
	s_clause 0x7
	buffer_load_dword v21, off, s[0:3], 0 offset:328
	buffer_load_dword v22, off, s[0:3], 0 offset:332
	buffer_load_dword v55, off, s[0:3], 0 offset:336
	buffer_load_dword v56, off, s[0:3], 0 offset:340
	buffer_load_dword v135, off, s[0:3], 0 offset:344
	buffer_load_dword v136, off, s[0:3], 0 offset:348
	buffer_load_dword v137, off, s[0:3], 0 offset:352
	buffer_load_dword v138, off, s[0:3], 0 offset:356
	s_waitcnt vmcnt(62)
	global_store_dwordx2 v[35:36], v[139:140], off
	global_store_dwordx2 v[47:48], v[141:142], off
	s_clause 0x7
	buffer_load_dword v35, off, s[0:3], 0 offset:360
	buffer_load_dword v36, off, s[0:3], 0 offset:364
	;; [unrolled: 1-line block ×8, first 2 shown]
	s_waitcnt vmcnt(62)
	global_store_dwordx2 v[23:24], v[143:144], off
	global_store_dwordx2 v[31:32], v[145:146], off
	s_clause 0x7
	buffer_load_dword v23, off, s[0:3], 0 offset:392
	buffer_load_dword v24, off, s[0:3], 0 offset:396
	;; [unrolled: 1-line block ×8, first 2 shown]
	global_store_dwordx2 v[9:10], v[147:148], off
	global_store_dwordx2 v[13:14], v[149:150], off
	s_clause 0x7
	buffer_load_dword v9, off, s[0:3], 0 offset:424
	buffer_load_dword v10, off, s[0:3], 0 offset:428
	;; [unrolled: 1-line block ×8, first 2 shown]
	s_waitcnt vmcnt(62)
	global_store_dwordx2 v[1:2], v[85:86], off
	global_store_dwordx2 v[3:4], v[115:116], off
	;; [unrolled: 1-line block ×8, first 2 shown]
	s_waitcnt vmcnt(60)
	global_store_dwordx2 v[39:40], v[51:52], off
	s_waitcnt vmcnt(58)
	global_store_dwordx2 v[41:42], v[119:120], off
	;; [unrolled: 2-line block ×31, first 2 shown]
	s_endpgm
	.section	.rodata,"a",@progbits
	.p2align	6, 0x0
	.amdhsa_kernel _ZN9rocsolver6v33100L18getri_kernel_smallILi57EdPdEEvT1_iilPiilS4_bb
		.amdhsa_group_segment_fixed_size 920
		.amdhsa_private_segment_fixed_size 464
		.amdhsa_kernarg_size 60
		.amdhsa_user_sgpr_count 6
		.amdhsa_user_sgpr_private_segment_buffer 1
		.amdhsa_user_sgpr_dispatch_ptr 0
		.amdhsa_user_sgpr_queue_ptr 0
		.amdhsa_user_sgpr_kernarg_segment_ptr 1
		.amdhsa_user_sgpr_dispatch_id 0
		.amdhsa_user_sgpr_flat_scratch_init 0
		.amdhsa_user_sgpr_private_segment_size 0
		.amdhsa_wavefront_size32 1
		.amdhsa_uses_dynamic_stack 0
		.amdhsa_system_sgpr_private_segment_wavefront_offset 1
		.amdhsa_system_sgpr_workgroup_id_x 1
		.amdhsa_system_sgpr_workgroup_id_y 0
		.amdhsa_system_sgpr_workgroup_id_z 0
		.amdhsa_system_sgpr_workgroup_info 0
		.amdhsa_system_vgpr_workitem_id 0
		.amdhsa_next_free_vgpr 164
		.amdhsa_next_free_sgpr 23
		.amdhsa_reserve_vcc 1
		.amdhsa_reserve_flat_scratch 0
		.amdhsa_float_round_mode_32 0
		.amdhsa_float_round_mode_16_64 0
		.amdhsa_float_denorm_mode_32 3
		.amdhsa_float_denorm_mode_16_64 3
		.amdhsa_dx10_clamp 1
		.amdhsa_ieee_mode 1
		.amdhsa_fp16_overflow 0
		.amdhsa_workgroup_processor_mode 1
		.amdhsa_memory_ordered 1
		.amdhsa_forward_progress 1
		.amdhsa_shared_vgpr_count 0
		.amdhsa_exception_fp_ieee_invalid_op 0
		.amdhsa_exception_fp_denorm_src 0
		.amdhsa_exception_fp_ieee_div_zero 0
		.amdhsa_exception_fp_ieee_overflow 0
		.amdhsa_exception_fp_ieee_underflow 0
		.amdhsa_exception_fp_ieee_inexact 0
		.amdhsa_exception_int_div_zero 0
	.end_amdhsa_kernel
	.section	.text._ZN9rocsolver6v33100L18getri_kernel_smallILi57EdPdEEvT1_iilPiilS4_bb,"axG",@progbits,_ZN9rocsolver6v33100L18getri_kernel_smallILi57EdPdEEvT1_iilPiilS4_bb,comdat
.Lfunc_end56:
	.size	_ZN9rocsolver6v33100L18getri_kernel_smallILi57EdPdEEvT1_iilPiilS4_bb, .Lfunc_end56-_ZN9rocsolver6v33100L18getri_kernel_smallILi57EdPdEEvT1_iilPiilS4_bb
                                        ; -- End function
	.set _ZN9rocsolver6v33100L18getri_kernel_smallILi57EdPdEEvT1_iilPiilS4_bb.num_vgpr, 164
	.set _ZN9rocsolver6v33100L18getri_kernel_smallILi57EdPdEEvT1_iilPiilS4_bb.num_agpr, 0
	.set _ZN9rocsolver6v33100L18getri_kernel_smallILi57EdPdEEvT1_iilPiilS4_bb.numbered_sgpr, 23
	.set _ZN9rocsolver6v33100L18getri_kernel_smallILi57EdPdEEvT1_iilPiilS4_bb.num_named_barrier, 0
	.set _ZN9rocsolver6v33100L18getri_kernel_smallILi57EdPdEEvT1_iilPiilS4_bb.private_seg_size, 464
	.set _ZN9rocsolver6v33100L18getri_kernel_smallILi57EdPdEEvT1_iilPiilS4_bb.uses_vcc, 1
	.set _ZN9rocsolver6v33100L18getri_kernel_smallILi57EdPdEEvT1_iilPiilS4_bb.uses_flat_scratch, 0
	.set _ZN9rocsolver6v33100L18getri_kernel_smallILi57EdPdEEvT1_iilPiilS4_bb.has_dyn_sized_stack, 0
	.set _ZN9rocsolver6v33100L18getri_kernel_smallILi57EdPdEEvT1_iilPiilS4_bb.has_recursion, 0
	.set _ZN9rocsolver6v33100L18getri_kernel_smallILi57EdPdEEvT1_iilPiilS4_bb.has_indirect_call, 0
	.section	.AMDGPU.csdata,"",@progbits
; Kernel info:
; codeLenInByte = 84160
; TotalNumSgprs: 25
; NumVgprs: 164
; ScratchSize: 464
; MemoryBound: 1
; FloatMode: 240
; IeeeMode: 1
; LDSByteSize: 920 bytes/workgroup (compile time only)
; SGPRBlocks: 0
; VGPRBlocks: 20
; NumSGPRsForWavesPerEU: 25
; NumVGPRsForWavesPerEU: 164
; Occupancy: 5
; WaveLimiterHint : 1
; COMPUTE_PGM_RSRC2:SCRATCH_EN: 1
; COMPUTE_PGM_RSRC2:USER_SGPR: 6
; COMPUTE_PGM_RSRC2:TRAP_HANDLER: 0
; COMPUTE_PGM_RSRC2:TGID_X_EN: 1
; COMPUTE_PGM_RSRC2:TGID_Y_EN: 0
; COMPUTE_PGM_RSRC2:TGID_Z_EN: 0
; COMPUTE_PGM_RSRC2:TIDIG_COMP_CNT: 0
	.section	.text._ZN9rocsolver6v33100L18getri_kernel_smallILi58EdPdEEvT1_iilPiilS4_bb,"axG",@progbits,_ZN9rocsolver6v33100L18getri_kernel_smallILi58EdPdEEvT1_iilPiilS4_bb,comdat
	.globl	_ZN9rocsolver6v33100L18getri_kernel_smallILi58EdPdEEvT1_iilPiilS4_bb ; -- Begin function _ZN9rocsolver6v33100L18getri_kernel_smallILi58EdPdEEvT1_iilPiilS4_bb
	.p2align	8
	.type	_ZN9rocsolver6v33100L18getri_kernel_smallILi58EdPdEEvT1_iilPiilS4_bb,@function
_ZN9rocsolver6v33100L18getri_kernel_smallILi58EdPdEEvT1_iilPiilS4_bb: ; @_ZN9rocsolver6v33100L18getri_kernel_smallILi58EdPdEEvT1_iilPiilS4_bb
; %bb.0:
	s_add_u32 s0, s0, s7
	s_addc_u32 s1, s1, 0
	s_mov_b32 s7, exec_lo
	v_cmpx_gt_u32_e32 58, v0
	s_cbranch_execz .LBB57_242
; %bb.1:
	s_clause 0x2
	s_load_dword s7, s[4:5], 0x38
	s_load_dwordx4 s[16:19], s[4:5], 0x10
	s_load_dwordx4 s[8:11], s[4:5], 0x28
                                        ; implicit-def: $sgpr20_sgpr21
	s_waitcnt lgkmcnt(0)
	s_bitcmp1_b32 s7, 8
	s_cselect_b32 s22, -1, 0
	s_bfe_u32 s12, s7, 0x10008
	s_ashr_i32 s7, s6, 31
	s_cmp_eq_u32 s12, 0
	s_cbranch_scc1 .LBB57_3
; %bb.2:
	s_load_dword s12, s[4:5], 0x20
	s_mul_i32 s13, s8, s7
	s_mul_hi_u32 s14, s8, s6
	s_mul_i32 s9, s9, s6
	s_add_i32 s13, s14, s13
	s_mul_i32 s8, s8, s6
	s_add_i32 s9, s13, s9
	s_lshl_b64 s[8:9], s[8:9], 2
	s_waitcnt lgkmcnt(0)
	s_ashr_i32 s13, s12, 31
	s_add_u32 s14, s18, s8
	s_addc_u32 s15, s19, s9
	s_lshl_b64 s[8:9], s[12:13], 2
	s_add_u32 s20, s14, s8
	s_addc_u32 s21, s15, s9
.LBB57_3:
	s_load_dwordx4 s[12:15], s[4:5], 0x0
	s_mul_i32 s8, s16, s7
	s_mul_hi_u32 s9, s16, s6
	s_mul_i32 s17, s17, s6
	s_add_i32 s8, s9, s8
	s_mul_i32 s16, s16, s6
	s_add_i32 s17, s8, s17
	s_load_dword s8, s[4:5], 0x38
	s_lshl_b64 s[4:5], s[16:17], 3
	v_lshlrev_b32_e32 v119, 3, v0
	s_waitcnt lgkmcnt(0)
	v_add3_u32 v1, s15, s15, v0
	s_ashr_i32 s17, s14, 31
	s_mov_b32 s16, s14
	s_add_u32 s12, s12, s4
	s_addc_u32 s9, s13, s5
	v_add_nc_u32_e32 v3, s15, v1
	v_ashrrev_i32_e32 v2, 31, v1
	s_lshl_b64 s[4:5], s[16:17], 3
	s_add_u32 s4, s12, s4
	v_add_nc_u32_e32 v5, s15, v3
	v_ashrrev_i32_e32 v4, 31, v3
	v_lshlrev_b64 v[1:2], 3, v[1:2]
	s_addc_u32 s5, s9, s5
	v_add_co_u32 v77, s9, s4, v119
	v_ashrrev_i32_e32 v6, 31, v5
	v_add_nc_u32_e32 v7, s15, v5
	v_lshlrev_b64 v[3:4], 3, v[3:4]
	v_add_co_u32 v59, vcc_lo, s4, v1
	v_add_co_ci_u32_e64 v60, null, s5, v2, vcc_lo
	v_lshlrev_b64 v[1:2], 3, v[5:6]
	v_ashrrev_i32_e32 v8, 31, v7
	v_add_nc_u32_e32 v5, s15, v7
	v_add_co_u32 v41, vcc_lo, s4, v3
	v_add_co_ci_u32_e64 v42, null, s5, v4, vcc_lo
	v_lshlrev_b64 v[3:4], 3, v[7:8]
	v_ashrrev_i32_e32 v6, 31, v5
	v_add_nc_u32_e32 v7, s15, v5
	v_add_co_u32 v45, vcc_lo, s4, v1
	v_add_co_ci_u32_e64 v46, null, s5, v2, vcc_lo
	v_lshlrev_b64 v[1:2], 3, v[5:6]
	v_add_nc_u32_e32 v5, s15, v7
	s_ashr_i32 s13, s15, 31
	s_mov_b32 s12, s15
	v_add_co_ci_u32_e64 v78, null, s5, 0, s9
	v_add_co_u32 v19, vcc_lo, s4, v3
	s_lshl_b64 s[12:13], s[12:13], 3
	v_ashrrev_i32_e32 v8, 31, v7
	v_ashrrev_i32_e32 v6, 31, v5
	v_add_nc_u32_e32 v9, s15, v5
	v_add_co_ci_u32_e64 v20, null, s5, v4, vcc_lo
	v_add_co_u32 v73, vcc_lo, v77, s12
	v_add_co_ci_u32_e64 v74, null, s13, v78, vcc_lo
	v_add_co_u32 v33, vcc_lo, s4, v1
	v_lshlrev_b64 v[3:4], 3, v[7:8]
	v_add_co_ci_u32_e64 v34, null, s5, v2, vcc_lo
	v_lshlrev_b64 v[1:2], 3, v[5:6]
	v_add_nc_u32_e32 v5, s15, v9
	v_ashrrev_i32_e32 v10, 31, v9
	s_clause 0x1
	global_load_dwordx2 v[97:98], v119, s[4:5]
	global_load_dwordx2 v[107:108], v[19:20], off
	v_add_co_u32 v7, vcc_lo, s4, v3
	v_ashrrev_i32_e32 v6, 31, v5
	v_add_nc_u32_e32 v11, s15, v5
	global_load_dwordx2 v[99:100], v[73:74], off
	v_add_co_ci_u32_e64 v8, null, s5, v4, vcc_lo
	v_lshlrev_b64 v[3:4], 3, v[9:10]
	s_clause 0x3
	global_load_dwordx2 v[101:102], v[59:60], off
	global_load_dwordx2 v[103:104], v[41:42], off
	;; [unrolled: 1-line block ×4, first 2 shown]
	v_add_co_u32 v13, vcc_lo, s4, v1
	v_add_co_ci_u32_e64 v14, null, s5, v2, vcc_lo
	v_lshlrev_b64 v[1:2], 3, v[5:6]
	v_add_nc_u32_e32 v5, s15, v11
	v_ashrrev_i32_e32 v12, 31, v11
	v_add_co_u32 v9, vcc_lo, s4, v3
	v_add_co_ci_u32_e64 v10, null, s5, v4, vcc_lo
	v_ashrrev_i32_e32 v6, 31, v5
	v_lshlrev_b64 v[3:4], 3, v[11:12]
	v_add_nc_u32_e32 v11, s15, v5
	v_add_co_u32 v15, vcc_lo, s4, v1
	v_lshlrev_b64 v[5:6], 3, v[5:6]
	v_add_co_ci_u32_e64 v16, null, s5, v2, vcc_lo
	v_ashrrev_i32_e32 v12, 31, v11
	v_add_nc_u32_e32 v17, s15, v11
	v_add_co_u32 v1, vcc_lo, s4, v3
	v_add_co_ci_u32_e64 v2, null, s5, v4, vcc_lo
	s_clause 0x3
	global_load_dwordx2 v[111:112], v[7:8], off
	global_load_dwordx2 v[113:114], v[13:14], off
	global_load_dwordx2 v[115:116], v[9:10], off
	global_load_dwordx2 v[117:118], v[15:16], off
	v_lshlrev_b64 v[3:4], 3, v[11:12]
	v_add_co_u32 v11, vcc_lo, s4, v5
	v_ashrrev_i32_e32 v18, 31, v17
	v_add_co_ci_u32_e64 v12, null, s5, v6, vcc_lo
	global_load_dwordx2 v[120:121], v[1:2], off
	v_add_co_u32 v3, vcc_lo, s4, v3
	v_lshlrev_b64 v[5:6], 3, v[17:18]
	global_load_dwordx2 v[122:123], v[11:12], off
	v_add_co_ci_u32_e64 v4, null, s5, v4, vcc_lo
	v_add_nc_u32_e32 v17, s15, v17
	s_bitcmp0_b32 s8, 0
	v_add_co_u32 v5, vcc_lo, s4, v5
	v_add_co_ci_u32_e64 v6, null, s5, v6, vcc_lo
	global_load_dwordx2 v[124:125], v[3:4], off
	v_add_nc_u32_e32 v21, s15, v17
	v_ashrrev_i32_e32 v18, 31, v17
	global_load_dwordx2 v[126:127], v[5:6], off
	v_add_nc_u32_e32 v23, s15, v21
	v_lshlrev_b64 v[17:18], 3, v[17:18]
	v_ashrrev_i32_e32 v22, 31, v21
	v_ashrrev_i32_e32 v24, 31, v23
	v_add_nc_u32_e32 v27, s15, v23
	v_add_co_u32 v25, vcc_lo, s4, v17
	v_lshlrev_b64 v[21:22], 3, v[21:22]
	v_add_co_ci_u32_e64 v26, null, s5, v18, vcc_lo
	v_lshlrev_b64 v[17:18], 3, v[23:24]
	v_add_nc_u32_e32 v23, s15, v27
	v_ashrrev_i32_e32 v28, 31, v27
	v_add_co_u32 v31, vcc_lo, s4, v21
	v_add_co_ci_u32_e64 v32, null, s5, v22, vcc_lo
	v_ashrrev_i32_e32 v24, 31, v23
	v_add_nc_u32_e32 v29, s15, v23
	v_add_co_u32 v21, vcc_lo, s4, v17
	v_add_co_ci_u32_e64 v22, null, s5, v18, vcc_lo
	v_lshlrev_b64 v[17:18], 3, v[23:24]
	v_add_nc_u32_e32 v23, s15, v29
	v_ashrrev_i32_e32 v30, 31, v29
	v_lshlrev_b64 v[27:28], 3, v[27:28]
	s_clause 0x2
	global_load_dwordx2 v[130:131], v[25:26], off
	global_load_dwordx2 v[132:133], v[31:32], off
	global_load_dwordx2 v[134:135], v[21:22], off
	v_add_nc_u32_e32 v35, s15, v23
	v_ashrrev_i32_e32 v24, 31, v23
	v_lshlrev_b64 v[29:30], 3, v[29:30]
	v_add_co_u32 v27, vcc_lo, s4, v27
	v_add_nc_u32_e32 v39, s15, v35
	v_lshlrev_b64 v[37:38], 3, v[23:24]
	v_add_co_ci_u32_e64 v28, null, s5, v28, vcc_lo
	v_add_co_u32 v17, vcc_lo, s4, v17
	v_ashrrev_i32_e32 v40, 31, v39
	v_add_nc_u32_e32 v43, s15, v39
	v_add_co_ci_u32_e64 v18, null, s5, v18, vcc_lo
	v_add_co_u32 v23, vcc_lo, s4, v29
	v_add_co_ci_u32_e64 v24, null, s5, v30, vcc_lo
	v_add_co_u32 v29, vcc_lo, s4, v37
	v_add_co_ci_u32_e64 v30, null, s5, v38, vcc_lo
	v_lshlrev_b64 v[37:38], 3, v[39:40]
	v_add_nc_u32_e32 v39, s15, v43
	v_ashrrev_i32_e32 v36, 31, v35
	v_ashrrev_i32_e32 v44, 31, v43
	s_clause 0x2
	global_load_dwordx2 v[136:137], v[27:28], off
	global_load_dwordx2 v[140:141], v[23:24], off
	;; [unrolled: 1-line block ×3, first 2 shown]
	v_add_nc_u32_e32 v47, s15, v39
	v_lshlrev_b64 v[35:36], 3, v[35:36]
	v_ashrrev_i32_e32 v40, 31, v39
	v_lshlrev_b64 v[43:44], 3, v[43:44]
	global_load_dwordx2 v[142:143], v[29:30], off
	v_add_nc_u32_e32 v51, s15, v47
	v_ashrrev_i32_e32 v48, 31, v47
	v_add_co_u32 v35, vcc_lo, s4, v35
	v_lshlrev_b64 v[49:50], 3, v[39:40]
	v_add_co_ci_u32_e64 v36, null, s5, v36, vcc_lo
	v_add_co_u32 v37, vcc_lo, s4, v37
	v_ashrrev_i32_e32 v52, 31, v51
	v_add_nc_u32_e32 v53, s15, v51
	v_add_co_ci_u32_e64 v38, null, s5, v38, vcc_lo
	v_add_co_u32 v39, vcc_lo, s4, v43
	v_add_co_ci_u32_e64 v40, null, s5, v44, vcc_lo
	v_add_co_u32 v43, vcc_lo, s4, v49
	v_add_co_ci_u32_e64 v44, null, s5, v50, vcc_lo
	v_lshlrev_b64 v[49:50], 3, v[51:52]
	v_add_nc_u32_e32 v51, s15, v53
	v_ashrrev_i32_e32 v54, 31, v53
	v_lshlrev_b64 v[47:48], 3, v[47:48]
	s_clause 0x1
	global_load_dwordx2 v[144:145], v[35:36], off
	global_load_dwordx2 v[148:149], v[37:38], off
	v_add_nc_u32_e32 v55, s15, v51
	v_ashrrev_i32_e32 v52, 31, v51
	v_lshlrev_b64 v[53:54], 3, v[53:54]
	v_add_co_u32 v47, vcc_lo, s4, v47
	v_add_nc_u32_e32 v61, s15, v55
	v_lshlrev_b64 v[57:58], 3, v[51:52]
	v_add_co_ci_u32_e64 v48, null, s5, v48, vcc_lo
	v_add_co_u32 v49, vcc_lo, s4, v49
	v_ashrrev_i32_e32 v62, 31, v61
	v_add_nc_u32_e32 v63, s15, v61
	v_add_co_ci_u32_e64 v50, null, s5, v50, vcc_lo
	v_add_co_u32 v51, vcc_lo, s4, v53
	v_add_co_ci_u32_e64 v52, null, s5, v54, vcc_lo
	v_add_co_u32 v53, vcc_lo, s4, v57
	v_add_co_ci_u32_e64 v54, null, s5, v58, vcc_lo
	v_lshlrev_b64 v[57:58], 3, v[61:62]
	v_add_nc_u32_e32 v61, s15, v63
	v_ashrrev_i32_e32 v56, 31, v55
	v_ashrrev_i32_e32 v64, 31, v63
	s_waitcnt vmcnt(23)
	buffer_store_dword v98, off, s[0:3], 0 offset:4
	buffer_store_dword v97, off, s[0:3], 0
	v_add_nc_u32_e32 v65, s15, v61
	v_lshlrev_b64 v[55:56], 3, v[55:56]
	v_ashrrev_i32_e32 v62, 31, v61
	v_lshlrev_b64 v[63:64], 3, v[63:64]
	global_load_dwordx2 v[150:151], v[39:40], off
	v_add_nc_u32_e32 v69, s15, v65
	v_ashrrev_i32_e32 v66, 31, v65
	v_add_co_u32 v55, vcc_lo, s4, v55
	v_lshlrev_b64 v[67:68], 3, v[61:62]
	v_add_co_ci_u32_e64 v56, null, s5, v56, vcc_lo
	v_add_co_u32 v57, vcc_lo, s4, v57
	v_ashrrev_i32_e32 v70, 31, v69
	v_add_nc_u32_e32 v71, s15, v69
	v_add_co_ci_u32_e64 v58, null, s5, v58, vcc_lo
	v_add_co_u32 v61, vcc_lo, s4, v63
	v_add_co_ci_u32_e64 v62, null, s5, v64, vcc_lo
	v_add_co_u32 v63, vcc_lo, s4, v67
	v_add_co_ci_u32_e64 v64, null, s5, v68, vcc_lo
	v_lshlrev_b64 v[67:68], 3, v[69:70]
	v_add_nc_u32_e32 v69, s15, v71
	v_ashrrev_i32_e32 v72, 31, v71
	v_lshlrev_b64 v[65:66], 3, v[65:66]
	s_waitcnt vmcnt(22)
	buffer_store_dword v100, off, s[0:3], 0 offset:12
	v_add_nc_u32_e32 v75, s15, v69
	v_ashrrev_i32_e32 v70, 31, v69
	v_lshlrev_b64 v[71:72], 3, v[71:72]
	v_add_co_u32 v65, vcc_lo, s4, v65
	v_add_nc_u32_e32 v81, s15, v75
	v_lshlrev_b64 v[79:80], 3, v[69:70]
	v_add_co_ci_u32_e64 v66, null, s5, v66, vcc_lo
	v_add_co_u32 v67, vcc_lo, s4, v67
	v_ashrrev_i32_e32 v82, 31, v81
	v_add_nc_u32_e32 v83, s15, v81
	v_add_co_ci_u32_e64 v68, null, s5, v68, vcc_lo
	v_add_co_u32 v69, vcc_lo, s4, v71
	v_add_co_ci_u32_e64 v70, null, s5, v72, vcc_lo
	v_add_co_u32 v71, vcc_lo, s4, v79
	v_add_co_ci_u32_e64 v72, null, s5, v80, vcc_lo
	v_lshlrev_b64 v[79:80], 3, v[81:82]
	v_add_nc_u32_e32 v81, s15, v83
	v_ashrrev_i32_e32 v76, 31, v75
	v_ashrrev_i32_e32 v84, 31, v83
	v_add_nc_u32_e32 v85, s15, v81
	v_lshlrev_b64 v[75:76], 3, v[75:76]
	v_ashrrev_i32_e32 v82, 31, v81
	v_lshlrev_b64 v[83:84], 3, v[83:84]
	v_add_nc_u32_e32 v89, s15, v85
	v_ashrrev_i32_e32 v86, 31, v85
	v_add_co_u32 v75, vcc_lo, s4, v75
	v_lshlrev_b64 v[87:88], 3, v[81:82]
	v_add_co_ci_u32_e64 v76, null, s5, v76, vcc_lo
	v_add_co_u32 v79, vcc_lo, s4, v79
	v_ashrrev_i32_e32 v90, 31, v89
	v_add_nc_u32_e32 v91, s15, v89
	v_add_co_ci_u32_e64 v80, null, s5, v80, vcc_lo
	v_add_co_u32 v81, vcc_lo, s4, v83
	v_add_co_ci_u32_e64 v82, null, s5, v84, vcc_lo
	v_add_co_u32 v83, vcc_lo, s4, v87
	v_add_co_ci_u32_e64 v84, null, s5, v88, vcc_lo
	v_lshlrev_b64 v[87:88], 3, v[89:90]
	v_add_nc_u32_e32 v89, s15, v91
	v_ashrrev_i32_e32 v92, 31, v91
	v_lshlrev_b64 v[85:86], 3, v[85:86]
	v_add_nc_u32_e32 v93, s15, v89
	v_ashrrev_i32_e32 v90, 31, v89
	v_lshlrev_b64 v[91:92], 3, v[91:92]
	v_add_co_u32 v85, vcc_lo, s4, v85
	v_add_nc_u32_e32 v128, s15, v93
	v_lshlrev_b64 v[95:96], 3, v[89:90]
	v_add_co_ci_u32_e64 v86, null, s5, v86, vcc_lo
	v_add_co_u32 v87, vcc_lo, s4, v87
	v_ashrrev_i32_e32 v129, 31, v128
	v_add_co_ci_u32_e64 v88, null, s5, v88, vcc_lo
	v_add_co_u32 v89, vcc_lo, s4, v91
	v_add_co_ci_u32_e64 v90, null, s5, v92, vcc_lo
	v_add_co_u32 v91, vcc_lo, s4, v95
	v_add_co_ci_u32_e64 v92, null, s5, v96, vcc_lo
	v_lshlrev_b64 v[95:96], 3, v[128:129]
	v_add_nc_u32_e32 v128, s15, v128
	v_ashrrev_i32_e32 v94, 31, v93
	v_ashrrev_i32_e32 v129, 31, v128
	v_lshlrev_b64 v[93:94], 3, v[93:94]
	v_lshlrev_b64 v[146:147], 3, v[128:129]
	v_add_nc_u32_e32 v128, s15, v128
	v_add_co_u32 v93, vcc_lo, s4, v93
	v_add_co_ci_u32_e64 v94, null, s5, v94, vcc_lo
	v_add_co_u32 v95, vcc_lo, s4, v95
	v_ashrrev_i32_e32 v129, 31, v128
	v_add_co_ci_u32_e64 v96, null, s5, v96, vcc_lo
	v_add_co_u32 v97, vcc_lo, s4, v146
	v_add_co_ci_u32_e64 v98, null, s5, v147, vcc_lo
	global_load_dwordx2 v[146:147], v[43:44], off
	buffer_store_dword v99, off, s[0:3], 0 offset:8
	s_waitcnt vmcnt(22)
	buffer_store_dword v102, off, s[0:3], 0 offset:20
	s_clause 0x2
	global_load_dwordx2 v[152:153], v[47:48], off
	global_load_dwordx2 v[154:155], v[49:50], off
	;; [unrolled: 1-line block ×3, first 2 shown]
	buffer_store_dword v101, off, s[0:3], 0 offset:16
	s_waitcnt vmcnt(24)
	buffer_store_dword v104, off, s[0:3], 0 offset:28
	buffer_store_dword v103, off, s[0:3], 0 offset:24
	s_waitcnt vmcnt(23)
	buffer_store_dword v106, off, s[0:3], 0 offset:36
	buffer_store_dword v105, off, s[0:3], 0 offset:32
	;; [unrolled: 1-line block ×4, first 2 shown]
	s_waitcnt vmcnt(22)
	buffer_store_dword v110, off, s[0:3], 0 offset:52
	v_lshlrev_b64 v[99:100], 3, v[128:129]
	v_add_nc_u32_e32 v101, s15, v128
	s_clause 0x3
	global_load_dwordx2 v[128:129], v[53:54], off
	global_load_dwordx2 v[158:159], v[55:56], off
	global_load_dwordx2 v[160:161], v[57:58], off
	global_load_dwordx2 v[162:163], v[61:62], off
	buffer_store_dword v109, off, s[0:3], 0 offset:48
	s_waitcnt vmcnt(25)
	buffer_store_dword v112, off, s[0:3], 0 offset:60
	buffer_store_dword v111, off, s[0:3], 0 offset:56
	s_waitcnt vmcnt(24)
	buffer_store_dword v114, off, s[0:3], 0 offset:68
	;; [unrolled: 3-line block ×4, first 2 shown]
	buffer_store_dword v118, off, s[0:3], 0 offset:84
	global_load_dwordx2 v[117:118], v[63:64], off
	s_waitcnt vmcnt(22)
	buffer_store_dword v120, off, s[0:3], 0 offset:88
	buffer_store_dword v121, off, s[0:3], 0 offset:92
	global_load_dwordx2 v[120:121], v[65:66], off
	s_waitcnt vmcnt(22)
	buffer_store_dword v122, off, s[0:3], 0 offset:96
	buffer_store_dword v123, off, s[0:3], 0 offset:100
	s_clause 0x1
	global_load_dwordx2 v[122:123], v[67:68], off
	global_load_dwordx2 v[164:165], v[69:70], off
	s_waitcnt vmcnt(23)
	buffer_store_dword v124, off, s[0:3], 0 offset:104
	buffer_store_dword v125, off, s[0:3], 0 offset:108
	global_load_dwordx2 v[124:125], v[71:72], off
	s_waitcnt vmcnt(23)
	buffer_store_dword v127, off, s[0:3], 0 offset:116
	buffer_store_dword v126, off, s[0:3], 0 offset:112
	global_load_dwordx2 v[126:127], v[75:76], off
	v_ashrrev_i32_e32 v102, 31, v101
	v_add_nc_u32_e32 v105, s15, v101
	v_add_co_u32 v99, vcc_lo, s4, v99
	v_add_co_ci_u32_e64 v100, null, s5, v100, vcc_lo
	v_lshlrev_b64 v[102:103], 3, v[101:102]
	v_ashrrev_i32_e32 v106, 31, v105
	s_waitcnt vmcnt(23)
	buffer_store_dword v130, off, s[0:3], 0 offset:120
	buffer_store_dword v131, off, s[0:3], 0 offset:124
	s_waitcnt vmcnt(22)
	buffer_store_dword v132, off, s[0:3], 0 offset:128
	buffer_store_dword v133, off, s[0:3], 0 offset:132
	;; [unrolled: 3-line block ×4, first 2 shown]
	s_waitcnt vmcnt(18)
	buffer_store_dword v139, off, s[0:3], 0 offset:156
	v_add_co_u32 v101, vcc_lo, s4, v102
	v_add_co_ci_u32_e64 v102, null, s5, v103, vcc_lo
	v_lshlrev_b64 v[103:104], 3, v[105:106]
	v_add_nc_u32_e32 v105, s15, v105
	buffer_store_dword v138, off, s[0:3], 0 offset:152
	buffer_store_dword v141, off, s[0:3], 0 offset:164
	;; [unrolled: 1-line block ×3, first 2 shown]
	s_waitcnt vmcnt(17)
	buffer_store_dword v142, off, s[0:3], 0 offset:168
	buffer_store_dword v143, off, s[0:3], 0 offset:172
	s_waitcnt vmcnt(16)
	buffer_store_dword v144, off, s[0:3], 0 offset:176
	buffer_store_dword v145, off, s[0:3], 0 offset:180
	;; [unrolled: 3-line block ×4, first 2 shown]
	v_add_nc_u32_e32 v108, s15, v105
	v_ashrrev_i32_e32 v106, 31, v105
	v_add_co_u32 v103, vcc_lo, s4, v103
	v_add_co_ci_u32_e64 v104, null, s5, v104, vcc_lo
	v_ashrrev_i32_e32 v109, 31, v108
	v_lshlrev_b64 v[106:107], 3, v[105:106]
	v_add_nc_u32_e32 v111, s15, v108
	s_waitcnt vmcnt(13)
	buffer_store_dword v147, off, s[0:3], 0 offset:204
	buffer_store_dword v146, off, s[0:3], 0 offset:200
	v_lshlrev_b64 v[109:110], 3, v[108:109]
	v_ashrrev_i32_e32 v112, 31, v111
	v_add_co_u32 v105, vcc_lo, s4, v106
	v_add_co_ci_u32_e64 v106, null, s5, v107, vcc_lo
	v_add_co_u32 v107, vcc_lo, s4, v109
	v_add_co_ci_u32_e64 v108, null, s5, v110, vcc_lo
	v_lshlrev_b64 v[109:110], 3, v[111:112]
	v_add_nc_u32_e32 v111, s15, v111
	s_waitcnt vmcnt(12)
	buffer_store_dword v153, off, s[0:3], 0 offset:212
	buffer_store_dword v152, off, s[0:3], 0 offset:208
	s_waitcnt vmcnt(11)
	buffer_store_dword v154, off, s[0:3], 0 offset:216
	buffer_store_dword v155, off, s[0:3], 0 offset:220
	;; [unrolled: 3-line block ×7, first 2 shown]
	s_clause 0x5
	global_load_dwordx2 v[128:129], v[79:80], off
	global_load_dwordx2 v[130:131], v[81:82], off
	global_load_dwordx2 v[132:133], v[83:84], off
	global_load_dwordx2 v[134:135], v[85:86], off
	global_load_dwordx2 v[136:137], v[87:88], off
	global_load_dwordx2 v[138:139], v[89:90], off
	v_add_nc_u32_e32 v115, s15, v111
	s_clause 0x2
	global_load_dwordx2 v[140:141], v[91:92], off
	global_load_dwordx2 v[142:143], v[93:94], off
	;; [unrolled: 1-line block ×3, first 2 shown]
	v_ashrrev_i32_e32 v112, 31, v111
	v_ashrrev_i32_e32 v116, 31, v115
	s_waitcnt vmcnt(14)
	buffer_store_dword v117, off, s[0:3], 0 offset:264
	buffer_store_dword v118, off, s[0:3], 0 offset:268
	global_load_dwordx2 v[117:118], v[95:96], off
	v_lshlrev_b64 v[111:112], 3, v[111:112]
	v_lshlrev_b64 v[113:114], 3, v[115:116]
	v_add_nc_u32_e32 v115, s15, v115
	s_waitcnt vmcnt(14)
	buffer_store_dword v120, off, s[0:3], 0 offset:272
	buffer_store_dword v121, off, s[0:3], 0 offset:276
	s_clause 0x2
	global_load_dwordx2 v[120:121], v[99:100], off
	global_load_dwordx2 v[146:147], v[101:102], off
	;; [unrolled: 1-line block ×3, first 2 shown]
	v_ashrrev_i32_e32 v116, 31, v115
	v_add_co_u32 v109, vcc_lo, s4, v109
	s_waitcnt vmcnt(16)
	buffer_store_dword v122, off, s[0:3], 0 offset:280
	buffer_store_dword v123, off, s[0:3], 0 offset:284
	v_lshlrev_b64 v[115:116], 3, v[115:116]
	global_load_dwordx2 v[122:123], v[103:104], off
	v_add_co_ci_u32_e64 v110, null, s5, v110, vcc_lo
	v_add_co_u32 v111, vcc_lo, s4, v111
	v_add_co_ci_u32_e64 v112, null, s5, v112, vcc_lo
	v_add_co_u32 v113, vcc_lo, s4, v113
	s_clause 0x1
	global_load_dwordx2 v[150:151], v[107:108], off
	global_load_dwordx2 v[152:153], v[109:110], off
	v_add_co_ci_u32_e64 v114, null, s5, v114, vcc_lo
	v_add_co_u32 v115, vcc_lo, s4, v115
	v_add_co_ci_u32_e64 v116, null, s5, v116, vcc_lo
	s_waitcnt vmcnt(17)
	buffer_store_dword v125, off, s[0:3], 0 offset:300
	buffer_store_dword v124, off, s[0:3], 0 offset:296
	s_clause 0x1
	global_load_dwordx2 v[124:125], v[111:112], off
	global_load_dwordx2 v[154:155], v[113:114], off
	s_waitcnt vmcnt(18)
	buffer_store_dword v127, off, s[0:3], 0 offset:308
	buffer_store_dword v126, off, s[0:3], 0 offset:304
	global_load_dwordx2 v[126:127], v[115:116], off
	s_mov_b32 s5, -1
	buffer_store_dword v164, off, s[0:3], 0 offset:288
	buffer_store_dword v165, off, s[0:3], 0 offset:292
	s_waitcnt vmcnt(18)
	buffer_store_dword v128, off, s[0:3], 0 offset:312
	buffer_store_dword v129, off, s[0:3], 0 offset:316
	s_waitcnt vmcnt(17)
	;; [unrolled: 3-line block ×9, first 2 shown]
	buffer_store_dword v117, off, s[0:3], 0 offset:376
	buffer_store_dword v118, off, s[0:3], 0 offset:380
	;; [unrolled: 1-line block ×4, first 2 shown]
	s_waitcnt vmcnt(8)
	buffer_store_dword v121, off, s[0:3], 0 offset:396
	buffer_store_dword v120, off, s[0:3], 0 offset:392
	s_waitcnt vmcnt(7)
	buffer_store_dword v147, off, s[0:3], 0 offset:404
	buffer_store_dword v146, off, s[0:3], 0 offset:400
	;; [unrolled: 3-line block ×3, first 2 shown]
	buffer_store_dword v148, off, s[0:3], 0 offset:416
	buffer_store_dword v149, off, s[0:3], 0 offset:420
	s_waitcnt vmcnt(4)
	buffer_store_dword v150, off, s[0:3], 0 offset:424
	buffer_store_dword v151, off, s[0:3], 0 offset:428
	s_waitcnt vmcnt(3)
	;; [unrolled: 3-line block ×5, first 2 shown]
	buffer_store_dword v126, off, s[0:3], 0 offset:456
	buffer_store_dword v127, off, s[0:3], 0 offset:460
	s_cbranch_scc1 .LBB57_240
; %bb.4:
	v_cmp_eq_u32_e64 s4, 0, v0
	s_and_saveexec_b32 s5, s4
; %bb.5:
	v_mov_b32_e32 v117, 0
	ds_write_b32 v117, v117 offset:928
; %bb.6:
	s_or_b32 exec_lo, exec_lo, s5
	v_lshl_add_u32 v117, v0, 3, 0
	s_waitcnt lgkmcnt(0)
	s_waitcnt_vscnt null, 0x0
	s_barrier
	buffer_gl0_inv
	s_mov_b32 s8, exec_lo
	s_clause 0x1
	buffer_load_dword v120, v117, s[0:3], 0 offen
	buffer_load_dword v121, v117, s[0:3], 0 offen offset:4
	s_waitcnt vmcnt(0)
	v_cmpx_eq_f64_e32 0, v[120:121]
	s_cbranch_execz .LBB57_10
; %bb.7:
	v_mov_b32_e32 v118, 0
	s_mov_b32 s9, 0
	ds_read_b32 v120, v118 offset:928
	s_waitcnt lgkmcnt(0)
	v_readfirstlane_b32 s5, v120
	v_add_nc_u32_e32 v120, 1, v0
	s_cmp_eq_u32 s5, 0
	v_cmp_gt_i32_e32 vcc_lo, s5, v120
	s_cselect_b32 s12, -1, 0
	s_or_b32 s12, s12, vcc_lo
	s_and_b32 exec_lo, exec_lo, s12
	s_cbranch_execz .LBB57_10
; %bb.8:
	v_mov_b32_e32 v121, s5
.LBB57_9:                               ; =>This Inner Loop Header: Depth=1
	ds_cmpst_rtn_b32 v121, v118, v121, v120 offset:928
	s_waitcnt lgkmcnt(0)
	v_cmp_ne_u32_e32 vcc_lo, 0, v121
	v_cmp_le_i32_e64 s5, v121, v120
	s_and_b32 s5, vcc_lo, s5
	s_and_b32 s5, exec_lo, s5
	s_or_b32 s9, s5, s9
	s_andn2_b32 exec_lo, exec_lo, s9
	s_cbranch_execnz .LBB57_9
.LBB57_10:
	s_or_b32 exec_lo, exec_lo, s8
	v_mov_b32_e32 v118, 0
	s_barrier
	buffer_gl0_inv
	ds_read_b32 v120, v118 offset:928
	s_and_saveexec_b32 s5, s4
	s_cbranch_execz .LBB57_12
; %bb.11:
	s_lshl_b64 s[8:9], s[6:7], 2
	s_add_u32 s8, s10, s8
	s_addc_u32 s9, s11, s9
	s_waitcnt lgkmcnt(0)
	global_store_dword v118, v120, s[8:9]
.LBB57_12:
	s_or_b32 exec_lo, exec_lo, s5
	s_waitcnt lgkmcnt(0)
	v_cmp_ne_u32_e32 vcc_lo, 0, v120
	s_mov_b32 s5, 0
	s_cbranch_vccnz .LBB57_240
; %bb.13:
	s_clause 0x1
	buffer_load_dword v120, v117, s[0:3], 0 offen
	buffer_load_dword v121, v117, s[0:3], 0 offen offset:4
	s_waitcnt vmcnt(0)
	v_div_scale_f64 v[122:123], null, v[120:121], v[120:121], 1.0
	v_div_scale_f64 v[128:129], vcc_lo, 1.0, v[120:121], 1.0
	v_rcp_f64_e32 v[124:125], v[122:123]
	v_fma_f64 v[126:127], -v[122:123], v[124:125], 1.0
	v_fma_f64 v[124:125], v[124:125], v[126:127], v[124:125]
	v_fma_f64 v[126:127], -v[122:123], v[124:125], 1.0
	v_fma_f64 v[124:125], v[124:125], v[126:127], v[124:125]
	v_mul_f64 v[126:127], v[128:129], v[124:125]
	v_fma_f64 v[122:123], -v[122:123], v[126:127], v[128:129]
	v_div_fmas_f64 v[122:123], v[122:123], v[124:125], v[126:127]
	v_div_fixup_f64 v[121:122], v[122:123], v[120:121], 1.0
	v_add_nc_u32_e32 v120, 0x1d0, v119
	buffer_store_dword v122, v117, s[0:3], 0 offen offset:4
	buffer_store_dword v121, v117, s[0:3], 0 offen
	s_clause 0x1
	buffer_load_dword v124, off, s[0:3], 0 offset:12
	buffer_load_dword v123, off, s[0:3], 0 offset:8
	v_xor_b32_e32 v122, 0x80000000, v122
	s_waitcnt vmcnt(0)
	ds_write2_b64 v119, v[121:122], v[123:124] offset1:58
	s_waitcnt lgkmcnt(0)
	s_waitcnt_vscnt null, 0x0
	s_barrier
	buffer_gl0_inv
	s_and_saveexec_b32 s5, s4
	s_cbranch_execz .LBB57_15
; %bb.14:
	s_clause 0x1
	buffer_load_dword v121, v117, s[0:3], 0 offen
	buffer_load_dword v122, v117, s[0:3], 0 offen offset:4
	ds_read_b64 v[123:124], v120
	v_mov_b32_e32 v118, 0
	ds_read_b64 v[125:126], v118 offset:8
	s_waitcnt vmcnt(0) lgkmcnt(1)
	v_fma_f64 v[121:122], v[121:122], v[123:124], 0
	s_waitcnt lgkmcnt(0)
	v_mul_f64 v[121:122], v[121:122], v[125:126]
	buffer_store_dword v121, off, s[0:3], 0 offset:8
	buffer_store_dword v122, off, s[0:3], 0 offset:12
.LBB57_15:
	s_or_b32 exec_lo, exec_lo, s5
	s_waitcnt_vscnt null, 0x0
	s_barrier
	buffer_gl0_inv
	s_clause 0x1
	buffer_load_dword v121, off, s[0:3], 0 offset:16
	buffer_load_dword v122, off, s[0:3], 0 offset:20
	s_mov_b32 s5, exec_lo
	s_waitcnt vmcnt(0)
	ds_write_b64 v120, v[121:122]
	s_waitcnt lgkmcnt(0)
	s_barrier
	buffer_gl0_inv
	v_cmpx_gt_u32_e32 2, v0
	s_cbranch_execz .LBB57_19
; %bb.16:
	s_clause 0x1
	buffer_load_dword v121, v117, s[0:3], 0 offen
	buffer_load_dword v122, v117, s[0:3], 0 offen offset:4
	ds_read_b64 v[117:118], v120
	s_waitcnt vmcnt(0) lgkmcnt(0)
	v_fma_f64 v[117:118], v[121:122], v[117:118], 0
	s_and_saveexec_b32 s8, s4
	s_cbranch_execz .LBB57_18
; %bb.17:
	s_clause 0x1
	buffer_load_dword v121, off, s[0:3], 0 offset:8
	buffer_load_dword v122, off, s[0:3], 0 offset:12
	v_mov_b32_e32 v123, 0
	ds_read_b64 v[123:124], v123 offset:472
	s_waitcnt vmcnt(0) lgkmcnt(0)
	v_fma_f64 v[117:118], v[121:122], v[123:124], v[117:118]
.LBB57_18:
	s_or_b32 exec_lo, exec_lo, s8
	v_mov_b32_e32 v121, 0
	ds_read_b64 v[121:122], v121 offset:16
	s_waitcnt lgkmcnt(0)
	v_mul_f64 v[117:118], v[117:118], v[121:122]
	buffer_store_dword v118, off, s[0:3], 0 offset:20
	buffer_store_dword v117, off, s[0:3], 0 offset:16
.LBB57_19:
	s_or_b32 exec_lo, exec_lo, s5
	s_waitcnt_vscnt null, 0x0
	s_barrier
	buffer_gl0_inv
	s_clause 0x1
	buffer_load_dword v117, off, s[0:3], 0 offset:24
	buffer_load_dword v118, off, s[0:3], 0 offset:28
	v_add_nc_u32_e32 v121, -1, v0
	s_mov_b32 s4, exec_lo
	s_waitcnt vmcnt(0)
	ds_write_b64 v120, v[117:118]
	s_waitcnt lgkmcnt(0)
	s_barrier
	buffer_gl0_inv
	v_cmpx_gt_u32_e32 3, v0
	s_cbranch_execz .LBB57_23
; %bb.20:
	v_mov_b32_e32 v117, 0
	v_add_nc_u32_e32 v122, -1, v0
	v_add_nc_u32_e32 v123, 0x1d0, v119
	v_mov_b32_e32 v118, 0
	v_mov_b32_e32 v124, v119
	s_mov_b32 s5, 0
.LBB57_21:                              ; =>This Inner Loop Header: Depth=1
	s_clause 0x1
	buffer_load_dword v125, v124, s[0:3], 0 offen
	buffer_load_dword v126, v124, s[0:3], 0 offen offset:4
	ds_read_b64 v[127:128], v123
	v_add_nc_u32_e32 v122, 1, v122
	v_add_nc_u32_e32 v123, 8, v123
	v_add_nc_u32_e32 v124, 8, v124
	v_cmp_lt_u32_e32 vcc_lo, 1, v122
	s_or_b32 s5, vcc_lo, s5
	s_waitcnt vmcnt(0) lgkmcnt(0)
	v_fma_f64 v[117:118], v[125:126], v[127:128], v[117:118]
	s_andn2_b32 exec_lo, exec_lo, s5
	s_cbranch_execnz .LBB57_21
; %bb.22:
	s_or_b32 exec_lo, exec_lo, s5
	v_mov_b32_e32 v122, 0
	ds_read_b64 v[122:123], v122 offset:24
	s_waitcnt lgkmcnt(0)
	v_mul_f64 v[117:118], v[117:118], v[122:123]
	buffer_store_dword v118, off, s[0:3], 0 offset:28
	buffer_store_dword v117, off, s[0:3], 0 offset:24
.LBB57_23:
	s_or_b32 exec_lo, exec_lo, s4
	s_waitcnt_vscnt null, 0x0
	s_barrier
	buffer_gl0_inv
	s_clause 0x1
	buffer_load_dword v117, off, s[0:3], 0 offset:32
	buffer_load_dword v118, off, s[0:3], 0 offset:36
	s_mov_b32 s4, exec_lo
	s_waitcnt vmcnt(0)
	ds_write_b64 v120, v[117:118]
	s_waitcnt lgkmcnt(0)
	s_barrier
	buffer_gl0_inv
	v_cmpx_gt_u32_e32 4, v0
	s_cbranch_execz .LBB57_27
; %bb.24:
	v_mov_b32_e32 v117, 0
	v_add_nc_u32_e32 v122, -1, v0
	v_add_nc_u32_e32 v123, 0x1d0, v119
	v_mov_b32_e32 v118, 0
	v_mov_b32_e32 v124, v119
	s_mov_b32 s5, 0
.LBB57_25:                              ; =>This Inner Loop Header: Depth=1
	s_clause 0x1
	buffer_load_dword v125, v124, s[0:3], 0 offen
	buffer_load_dword v126, v124, s[0:3], 0 offen offset:4
	ds_read_b64 v[127:128], v123
	v_add_nc_u32_e32 v122, 1, v122
	v_add_nc_u32_e32 v123, 8, v123
	v_add_nc_u32_e32 v124, 8, v124
	v_cmp_lt_u32_e32 vcc_lo, 2, v122
	s_or_b32 s5, vcc_lo, s5
	s_waitcnt vmcnt(0) lgkmcnt(0)
	v_fma_f64 v[117:118], v[125:126], v[127:128], v[117:118]
	s_andn2_b32 exec_lo, exec_lo, s5
	s_cbranch_execnz .LBB57_25
; %bb.26:
	s_or_b32 exec_lo, exec_lo, s5
	v_mov_b32_e32 v122, 0
	ds_read_b64 v[122:123], v122 offset:32
	s_waitcnt lgkmcnt(0)
	v_mul_f64 v[117:118], v[117:118], v[122:123]
	buffer_store_dword v118, off, s[0:3], 0 offset:36
	buffer_store_dword v117, off, s[0:3], 0 offset:32
.LBB57_27:
	s_or_b32 exec_lo, exec_lo, s4
	s_waitcnt_vscnt null, 0x0
	s_barrier
	buffer_gl0_inv
	s_clause 0x1
	buffer_load_dword v117, off, s[0:3], 0 offset:40
	buffer_load_dword v118, off, s[0:3], 0 offset:44
	;; [unrolled: 45-line block ×20, first 2 shown]
	s_mov_b32 s4, exec_lo
	s_waitcnt vmcnt(0)
	ds_write_b64 v120, v[117:118]
	s_waitcnt lgkmcnt(0)
	s_barrier
	buffer_gl0_inv
	v_cmpx_gt_u32_e32 23, v0
	s_cbranch_execz .LBB57_103
; %bb.100:
	v_mov_b32_e32 v117, 0
	v_add_nc_u32_e32 v122, -1, v0
	v_add_nc_u32_e32 v123, 0x1d0, v119
	v_mov_b32_e32 v118, 0
	v_mov_b32_e32 v124, v119
	s_mov_b32 s5, 0
.LBB57_101:                             ; =>This Inner Loop Header: Depth=1
	s_clause 0x1
	buffer_load_dword v125, v124, s[0:3], 0 offen
	buffer_load_dword v126, v124, s[0:3], 0 offen offset:4
	ds_read_b64 v[127:128], v123
	v_add_nc_u32_e32 v122, 1, v122
	v_add_nc_u32_e32 v123, 8, v123
	v_add_nc_u32_e32 v124, 8, v124
	v_cmp_lt_u32_e32 vcc_lo, 21, v122
	s_or_b32 s5, vcc_lo, s5
	s_waitcnt vmcnt(0) lgkmcnt(0)
	v_fma_f64 v[117:118], v[125:126], v[127:128], v[117:118]
	s_andn2_b32 exec_lo, exec_lo, s5
	s_cbranch_execnz .LBB57_101
; %bb.102:
	s_or_b32 exec_lo, exec_lo, s5
	v_mov_b32_e32 v122, 0
	ds_read_b64 v[122:123], v122 offset:184
	s_waitcnt lgkmcnt(0)
	v_mul_f64 v[117:118], v[117:118], v[122:123]
	buffer_store_dword v118, off, s[0:3], 0 offset:188
	buffer_store_dword v117, off, s[0:3], 0 offset:184
.LBB57_103:
	s_or_b32 exec_lo, exec_lo, s4
	s_waitcnt_vscnt null, 0x0
	s_barrier
	buffer_gl0_inv
	s_clause 0x1
	buffer_load_dword v117, off, s[0:3], 0 offset:192
	buffer_load_dword v118, off, s[0:3], 0 offset:196
	s_mov_b32 s4, exec_lo
	s_waitcnt vmcnt(0)
	ds_write_b64 v120, v[117:118]
	s_waitcnt lgkmcnt(0)
	s_barrier
	buffer_gl0_inv
	v_cmpx_gt_u32_e32 24, v0
	s_cbranch_execz .LBB57_107
; %bb.104:
	v_mov_b32_e32 v117, 0
	v_add_nc_u32_e32 v122, -1, v0
	v_add_nc_u32_e32 v123, 0x1d0, v119
	v_mov_b32_e32 v118, 0
	v_mov_b32_e32 v124, v119
	s_mov_b32 s5, 0
.LBB57_105:                             ; =>This Inner Loop Header: Depth=1
	s_clause 0x1
	buffer_load_dword v125, v124, s[0:3], 0 offen
	buffer_load_dword v126, v124, s[0:3], 0 offen offset:4
	ds_read_b64 v[127:128], v123
	v_add_nc_u32_e32 v122, 1, v122
	v_add_nc_u32_e32 v123, 8, v123
	v_add_nc_u32_e32 v124, 8, v124
	v_cmp_lt_u32_e32 vcc_lo, 22, v122
	s_or_b32 s5, vcc_lo, s5
	s_waitcnt vmcnt(0) lgkmcnt(0)
	v_fma_f64 v[117:118], v[125:126], v[127:128], v[117:118]
	s_andn2_b32 exec_lo, exec_lo, s5
	s_cbranch_execnz .LBB57_105
; %bb.106:
	s_or_b32 exec_lo, exec_lo, s5
	v_mov_b32_e32 v122, 0
	ds_read_b64 v[122:123], v122 offset:192
	s_waitcnt lgkmcnt(0)
	v_mul_f64 v[117:118], v[117:118], v[122:123]
	buffer_store_dword v118, off, s[0:3], 0 offset:196
	buffer_store_dword v117, off, s[0:3], 0 offset:192
.LBB57_107:
	s_or_b32 exec_lo, exec_lo, s4
	s_waitcnt_vscnt null, 0x0
	s_barrier
	buffer_gl0_inv
	s_clause 0x1
	buffer_load_dword v117, off, s[0:3], 0 offset:200
	buffer_load_dword v118, off, s[0:3], 0 offset:204
	;; [unrolled: 45-line block ×34, first 2 shown]
	s_mov_b32 s4, exec_lo
	s_waitcnt vmcnt(0)
	ds_write_b64 v120, v[117:118]
	s_waitcnt lgkmcnt(0)
	s_barrier
	buffer_gl0_inv
	v_cmpx_ne_u32_e32 57, v0
	s_cbranch_execz .LBB57_239
; %bb.236:
	v_mov_b32_e32 v117, 0
	v_mov_b32_e32 v118, 0
	s_mov_b32 s5, 0
.LBB57_237:                             ; =>This Inner Loop Header: Depth=1
	s_clause 0x1
	buffer_load_dword v122, v119, s[0:3], 0 offen
	buffer_load_dword v123, v119, s[0:3], 0 offen offset:4
	ds_read_b64 v[124:125], v120
	v_add_nc_u32_e32 v121, 1, v121
	v_add_nc_u32_e32 v120, 8, v120
	;; [unrolled: 1-line block ×3, first 2 shown]
	v_cmp_lt_u32_e32 vcc_lo, 55, v121
	s_or_b32 s5, vcc_lo, s5
	s_waitcnt vmcnt(0) lgkmcnt(0)
	v_fma_f64 v[117:118], v[122:123], v[124:125], v[117:118]
	s_andn2_b32 exec_lo, exec_lo, s5
	s_cbranch_execnz .LBB57_237
; %bb.238:
	s_or_b32 exec_lo, exec_lo, s5
	v_mov_b32_e32 v119, 0
	ds_read_b64 v[119:120], v119 offset:456
	s_waitcnt lgkmcnt(0)
	v_mul_f64 v[117:118], v[117:118], v[119:120]
	buffer_store_dword v118, off, s[0:3], 0 offset:460
	buffer_store_dword v117, off, s[0:3], 0 offset:456
.LBB57_239:
	s_or_b32 exec_lo, exec_lo, s4
	s_mov_b32 s5, -1
	s_waitcnt_vscnt null, 0x0
	s_barrier
	buffer_gl0_inv
.LBB57_240:
	s_and_b32 vcc_lo, exec_lo, s5
	s_cbranch_vccz .LBB57_242
; %bb.241:
	s_lshl_b64 s[4:5], s[6:7], 2
	v_mov_b32_e32 v117, 0
	s_add_u32 s4, s10, s4
	s_addc_u32 s5, s11, s5
	global_load_dword v117, v117, s[4:5]
	s_waitcnt vmcnt(0)
	v_cmp_ne_u32_e32 vcc_lo, 0, v117
	s_cbranch_vccz .LBB57_243
.LBB57_242:
	s_endpgm
.LBB57_243:
	v_lshl_add_u32 v117, v0, 3, 0x1d0
	s_mov_b32 s4, exec_lo
	v_cmpx_eq_u32_e32 57, v0
	s_cbranch_execz .LBB57_245
; %bb.244:
	s_clause 0x1
	buffer_load_dword v118, off, s[0:3], 0 offset:448
	buffer_load_dword v119, off, s[0:3], 0 offset:452
	v_mov_b32_e32 v120, 0
	buffer_store_dword v120, off, s[0:3], 0 offset:448
	buffer_store_dword v120, off, s[0:3], 0 offset:452
	s_waitcnt vmcnt(0)
	ds_write_b64 v117, v[118:119]
.LBB57_245:
	s_or_b32 exec_lo, exec_lo, s4
	s_waitcnt lgkmcnt(0)
	s_waitcnt_vscnt null, 0x0
	s_barrier
	buffer_gl0_inv
	s_clause 0x3
	buffer_load_dword v119, off, s[0:3], 0 offset:456
	buffer_load_dword v120, off, s[0:3], 0 offset:460
	;; [unrolled: 1-line block ×4, first 2 shown]
	v_mov_b32_e32 v118, 0
	s_mov_b32 s4, exec_lo
	ds_read_b64 v[123:124], v118 offset:920
	s_waitcnt vmcnt(2) lgkmcnt(0)
	v_fma_f64 v[119:120], v[119:120], v[123:124], 0
	s_waitcnt vmcnt(0)
	v_add_f64 v[119:120], v[121:122], -v[119:120]
	buffer_store_dword v119, off, s[0:3], 0 offset:448
	buffer_store_dword v120, off, s[0:3], 0 offset:452
	v_cmpx_lt_u32_e32 55, v0
	s_cbranch_execz .LBB57_247
; %bb.246:
	s_clause 0x1
	buffer_load_dword v119, off, s[0:3], 0 offset:440
	buffer_load_dword v120, off, s[0:3], 0 offset:444
	buffer_store_dword v118, off, s[0:3], 0 offset:440
	buffer_store_dword v118, off, s[0:3], 0 offset:444
	s_waitcnt vmcnt(0)
	ds_write_b64 v117, v[119:120]
.LBB57_247:
	s_or_b32 exec_lo, exec_lo, s4
	s_waitcnt lgkmcnt(0)
	s_waitcnt_vscnt null, 0x0
	s_barrier
	buffer_gl0_inv
	s_clause 0x5
	buffer_load_dword v122, off, s[0:3], 0 offset:448
	buffer_load_dword v123, off, s[0:3], 0 offset:452
	;; [unrolled: 1-line block ×6, first 2 shown]
	ds_read_b128 v[118:121], v118 offset:912
	s_mov_b32 s4, exec_lo
	s_waitcnt vmcnt(4) lgkmcnt(0)
	v_fma_f64 v[118:119], v[122:123], v[118:119], 0
	s_waitcnt vmcnt(2)
	v_fma_f64 v[118:119], v[124:125], v[120:121], v[118:119]
	s_waitcnt vmcnt(0)
	v_add_f64 v[118:119], v[126:127], -v[118:119]
	buffer_store_dword v118, off, s[0:3], 0 offset:440
	buffer_store_dword v119, off, s[0:3], 0 offset:444
	v_cmpx_lt_u32_e32 54, v0
	s_cbranch_execz .LBB57_249
; %bb.248:
	s_clause 0x1
	buffer_load_dword v118, off, s[0:3], 0 offset:432
	buffer_load_dword v119, off, s[0:3], 0 offset:436
	v_mov_b32_e32 v120, 0
	buffer_store_dword v120, off, s[0:3], 0 offset:432
	buffer_store_dword v120, off, s[0:3], 0 offset:436
	s_waitcnt vmcnt(0)
	ds_write_b64 v117, v[118:119]
.LBB57_249:
	s_or_b32 exec_lo, exec_lo, s4
	s_waitcnt lgkmcnt(0)
	s_waitcnt_vscnt null, 0x0
	s_barrier
	buffer_gl0_inv
	s_clause 0x7
	buffer_load_dword v123, off, s[0:3], 0 offset:440
	buffer_load_dword v124, off, s[0:3], 0 offset:444
	;; [unrolled: 1-line block ×8, first 2 shown]
	v_mov_b32_e32 v118, 0
	ds_read2_b64 v[119:122], v118 offset0:113 offset1:114
	ds_read_b64 v[131:132], v118 offset:920
	s_mov_b32 s4, exec_lo
	s_waitcnt vmcnt(6) lgkmcnt(1)
	v_fma_f64 v[119:120], v[123:124], v[119:120], 0
	s_waitcnt vmcnt(4)
	v_fma_f64 v[119:120], v[125:126], v[121:122], v[119:120]
	s_waitcnt vmcnt(2) lgkmcnt(0)
	v_fma_f64 v[119:120], v[127:128], v[131:132], v[119:120]
	s_waitcnt vmcnt(0)
	v_add_f64 v[119:120], v[129:130], -v[119:120]
	buffer_store_dword v119, off, s[0:3], 0 offset:432
	buffer_store_dword v120, off, s[0:3], 0 offset:436
	v_cmpx_lt_u32_e32 53, v0
	s_cbranch_execz .LBB57_251
; %bb.250:
	s_clause 0x1
	buffer_load_dword v119, off, s[0:3], 0 offset:424
	buffer_load_dword v120, off, s[0:3], 0 offset:428
	buffer_store_dword v118, off, s[0:3], 0 offset:424
	buffer_store_dword v118, off, s[0:3], 0 offset:428
	s_waitcnt vmcnt(0)
	ds_write_b64 v117, v[119:120]
.LBB57_251:
	s_or_b32 exec_lo, exec_lo, s4
	s_waitcnt lgkmcnt(0)
	s_waitcnt_vscnt null, 0x0
	s_barrier
	buffer_gl0_inv
	s_clause 0x9
	buffer_load_dword v127, off, s[0:3], 0 offset:432
	buffer_load_dword v128, off, s[0:3], 0 offset:436
	;; [unrolled: 1-line block ×10, first 2 shown]
	ds_read_b128 v[119:122], v118 offset:896
	ds_read_b128 v[123:126], v118 offset:912
	s_mov_b32 s4, exec_lo
	s_waitcnt vmcnt(8) lgkmcnt(1)
	v_fma_f64 v[118:119], v[127:128], v[119:120], 0
	s_waitcnt vmcnt(6)
	v_fma_f64 v[118:119], v[129:130], v[121:122], v[118:119]
	s_waitcnt vmcnt(4) lgkmcnt(0)
	v_fma_f64 v[118:119], v[131:132], v[123:124], v[118:119]
	s_waitcnt vmcnt(2)
	v_fma_f64 v[118:119], v[133:134], v[125:126], v[118:119]
	s_waitcnt vmcnt(0)
	v_add_f64 v[118:119], v[135:136], -v[118:119]
	buffer_store_dword v118, off, s[0:3], 0 offset:424
	buffer_store_dword v119, off, s[0:3], 0 offset:428
	v_cmpx_lt_u32_e32 52, v0
	s_cbranch_execz .LBB57_253
; %bb.252:
	s_clause 0x1
	buffer_load_dword v118, off, s[0:3], 0 offset:416
	buffer_load_dword v119, off, s[0:3], 0 offset:420
	v_mov_b32_e32 v120, 0
	buffer_store_dword v120, off, s[0:3], 0 offset:416
	buffer_store_dword v120, off, s[0:3], 0 offset:420
	s_waitcnt vmcnt(0)
	ds_write_b64 v117, v[118:119]
.LBB57_253:
	s_or_b32 exec_lo, exec_lo, s4
	s_waitcnt lgkmcnt(0)
	s_waitcnt_vscnt null, 0x0
	s_barrier
	buffer_gl0_inv
	s_clause 0xb
	buffer_load_dword v127, off, s[0:3], 0 offset:424
	buffer_load_dword v128, off, s[0:3], 0 offset:428
	;; [unrolled: 1-line block ×12, first 2 shown]
	v_mov_b32_e32 v118, 0
	ds_read2_b64 v[119:122], v118 offset0:111 offset1:112
	ds_read2_b64 v[123:126], v118 offset0:113 offset1:114
	s_mov_b32 s4, exec_lo
	s_waitcnt vmcnt(10) lgkmcnt(1)
	v_fma_f64 v[119:120], v[127:128], v[119:120], 0
	s_waitcnt vmcnt(8)
	v_fma_f64 v[119:120], v[129:130], v[121:122], v[119:120]
	ds_read_b64 v[121:122], v118 offset:920
	s_waitcnt vmcnt(6) lgkmcnt(1)
	v_fma_f64 v[119:120], v[131:132], v[123:124], v[119:120]
	s_waitcnt vmcnt(4)
	v_fma_f64 v[119:120], v[133:134], v[125:126], v[119:120]
	s_waitcnt vmcnt(2) lgkmcnt(0)
	v_fma_f64 v[119:120], v[135:136], v[121:122], v[119:120]
	s_waitcnt vmcnt(0)
	v_add_f64 v[119:120], v[137:138], -v[119:120]
	buffer_store_dword v119, off, s[0:3], 0 offset:416
	buffer_store_dword v120, off, s[0:3], 0 offset:420
	v_cmpx_lt_u32_e32 51, v0
	s_cbranch_execz .LBB57_255
; %bb.254:
	s_clause 0x1
	buffer_load_dword v119, off, s[0:3], 0 offset:408
	buffer_load_dword v120, off, s[0:3], 0 offset:412
	buffer_store_dword v118, off, s[0:3], 0 offset:408
	buffer_store_dword v118, off, s[0:3], 0 offset:412
	s_waitcnt vmcnt(0)
	ds_write_b64 v117, v[119:120]
.LBB57_255:
	s_or_b32 exec_lo, exec_lo, s4
	s_waitcnt lgkmcnt(0)
	s_waitcnt_vscnt null, 0x0
	s_barrier
	buffer_gl0_inv
	s_clause 0xd
	buffer_load_dword v127, off, s[0:3], 0 offset:416
	buffer_load_dword v128, off, s[0:3], 0 offset:420
	;; [unrolled: 1-line block ×14, first 2 shown]
	ds_read_b128 v[119:122], v118 offset:880
	ds_read_b128 v[123:126], v118 offset:896
	s_mov_b32 s4, exec_lo
	s_waitcnt vmcnt(12) lgkmcnt(1)
	v_fma_f64 v[119:120], v[127:128], v[119:120], 0
	s_waitcnt vmcnt(10)
	v_fma_f64 v[119:120], v[129:130], v[121:122], v[119:120]
	s_waitcnt vmcnt(8) lgkmcnt(0)
	v_fma_f64 v[119:120], v[131:132], v[123:124], v[119:120]
	s_waitcnt vmcnt(6)
	v_fma_f64 v[122:123], v[133:134], v[125:126], v[119:120]
	ds_read_b128 v[118:121], v118 offset:912
	s_waitcnt vmcnt(4) lgkmcnt(0)
	v_fma_f64 v[118:119], v[135:136], v[118:119], v[122:123]
	s_waitcnt vmcnt(2)
	v_fma_f64 v[118:119], v[137:138], v[120:121], v[118:119]
	s_waitcnt vmcnt(0)
	v_add_f64 v[118:119], v[139:140], -v[118:119]
	buffer_store_dword v118, off, s[0:3], 0 offset:408
	buffer_store_dword v119, off, s[0:3], 0 offset:412
	v_cmpx_lt_u32_e32 50, v0
	s_cbranch_execz .LBB57_257
; %bb.256:
	s_clause 0x1
	buffer_load_dword v118, off, s[0:3], 0 offset:400
	buffer_load_dword v119, off, s[0:3], 0 offset:404
	v_mov_b32_e32 v120, 0
	buffer_store_dword v120, off, s[0:3], 0 offset:400
	buffer_store_dword v120, off, s[0:3], 0 offset:404
	s_waitcnt vmcnt(0)
	ds_write_b64 v117, v[118:119]
.LBB57_257:
	s_or_b32 exec_lo, exec_lo, s4
	s_waitcnt lgkmcnt(0)
	s_waitcnt_vscnt null, 0x0
	s_barrier
	buffer_gl0_inv
	s_clause 0xf
	buffer_load_dword v127, off, s[0:3], 0 offset:408
	buffer_load_dword v128, off, s[0:3], 0 offset:412
	;; [unrolled: 1-line block ×16, first 2 shown]
	v_mov_b32_e32 v118, 0
	ds_read2_b64 v[119:122], v118 offset0:109 offset1:110
	ds_read2_b64 v[123:126], v118 offset0:111 offset1:112
	s_mov_b32 s4, exec_lo
	s_waitcnt vmcnt(14) lgkmcnt(1)
	v_fma_f64 v[119:120], v[127:128], v[119:120], 0
	s_waitcnt vmcnt(12)
	v_fma_f64 v[119:120], v[129:130], v[121:122], v[119:120]
	s_waitcnt vmcnt(10) lgkmcnt(0)
	v_fma_f64 v[119:120], v[131:132], v[123:124], v[119:120]
	s_waitcnt vmcnt(8)
	v_fma_f64 v[123:124], v[133:134], v[125:126], v[119:120]
	ds_read2_b64 v[119:122], v118 offset0:113 offset1:114
	ds_read_b64 v[125:126], v118 offset:920
	s_waitcnt vmcnt(6) lgkmcnt(1)
	v_fma_f64 v[119:120], v[135:136], v[119:120], v[123:124]
	s_waitcnt vmcnt(4)
	v_fma_f64 v[119:120], v[137:138], v[121:122], v[119:120]
	s_waitcnt vmcnt(2) lgkmcnt(0)
	v_fma_f64 v[119:120], v[139:140], v[125:126], v[119:120]
	s_waitcnt vmcnt(0)
	v_add_f64 v[119:120], v[141:142], -v[119:120]
	buffer_store_dword v119, off, s[0:3], 0 offset:400
	buffer_store_dword v120, off, s[0:3], 0 offset:404
	v_cmpx_lt_u32_e32 49, v0
	s_cbranch_execz .LBB57_259
; %bb.258:
	s_clause 0x1
	buffer_load_dword v119, off, s[0:3], 0 offset:392
	buffer_load_dword v120, off, s[0:3], 0 offset:396
	buffer_store_dword v118, off, s[0:3], 0 offset:392
	buffer_store_dword v118, off, s[0:3], 0 offset:396
	s_waitcnt vmcnt(0)
	ds_write_b64 v117, v[119:120]
.LBB57_259:
	s_or_b32 exec_lo, exec_lo, s4
	s_waitcnt lgkmcnt(0)
	s_waitcnt_vscnt null, 0x0
	s_barrier
	buffer_gl0_inv
	s_clause 0x11
	buffer_load_dword v127, off, s[0:3], 0 offset:400
	buffer_load_dword v128, off, s[0:3], 0 offset:404
	;; [unrolled: 1-line block ×18, first 2 shown]
	ds_read_b128 v[119:122], v118 offset:864
	ds_read_b128 v[123:126], v118 offset:880
	s_mov_b32 s4, exec_lo
	s_waitcnt vmcnt(16) lgkmcnt(1)
	v_fma_f64 v[119:120], v[127:128], v[119:120], 0
	s_waitcnt vmcnt(14)
	v_fma_f64 v[119:120], v[129:130], v[121:122], v[119:120]
	s_waitcnt vmcnt(12) lgkmcnt(0)
	v_fma_f64 v[119:120], v[131:132], v[123:124], v[119:120]
	s_waitcnt vmcnt(10)
	v_fma_f64 v[127:128], v[133:134], v[125:126], v[119:120]
	ds_read_b128 v[119:122], v118 offset:896
	ds_read_b128 v[123:126], v118 offset:912
	s_waitcnt vmcnt(8) lgkmcnt(1)
	v_fma_f64 v[118:119], v[135:136], v[119:120], v[127:128]
	s_waitcnt vmcnt(6)
	v_fma_f64 v[118:119], v[137:138], v[121:122], v[118:119]
	s_waitcnt vmcnt(4) lgkmcnt(0)
	v_fma_f64 v[118:119], v[139:140], v[123:124], v[118:119]
	s_waitcnt vmcnt(2)
	v_fma_f64 v[118:119], v[141:142], v[125:126], v[118:119]
	s_waitcnt vmcnt(0)
	v_add_f64 v[118:119], v[143:144], -v[118:119]
	buffer_store_dword v118, off, s[0:3], 0 offset:392
	buffer_store_dword v119, off, s[0:3], 0 offset:396
	v_cmpx_lt_u32_e32 48, v0
	s_cbranch_execz .LBB57_261
; %bb.260:
	s_clause 0x1
	buffer_load_dword v118, off, s[0:3], 0 offset:384
	buffer_load_dword v119, off, s[0:3], 0 offset:388
	v_mov_b32_e32 v120, 0
	buffer_store_dword v120, off, s[0:3], 0 offset:384
	buffer_store_dword v120, off, s[0:3], 0 offset:388
	s_waitcnt vmcnt(0)
	ds_write_b64 v117, v[118:119]
.LBB57_261:
	s_or_b32 exec_lo, exec_lo, s4
	s_waitcnt lgkmcnt(0)
	s_waitcnt_vscnt null, 0x0
	s_barrier
	buffer_gl0_inv
	s_clause 0x13
	buffer_load_dword v127, off, s[0:3], 0 offset:392
	buffer_load_dword v128, off, s[0:3], 0 offset:396
	;; [unrolled: 1-line block ×20, first 2 shown]
	v_mov_b32_e32 v118, 0
	ds_read2_b64 v[119:122], v118 offset0:107 offset1:108
	ds_read2_b64 v[123:126], v118 offset0:109 offset1:110
	s_mov_b32 s4, exec_lo
	s_waitcnt vmcnt(18) lgkmcnt(1)
	v_fma_f64 v[119:120], v[127:128], v[119:120], 0
	s_waitcnt vmcnt(16)
	v_fma_f64 v[119:120], v[129:130], v[121:122], v[119:120]
	s_waitcnt vmcnt(14) lgkmcnt(0)
	v_fma_f64 v[119:120], v[131:132], v[123:124], v[119:120]
	s_waitcnt vmcnt(12)
	v_fma_f64 v[127:128], v[133:134], v[125:126], v[119:120]
	ds_read2_b64 v[119:122], v118 offset0:111 offset1:112
	ds_read2_b64 v[123:126], v118 offset0:113 offset1:114
	s_waitcnt vmcnt(10) lgkmcnt(1)
	v_fma_f64 v[119:120], v[135:136], v[119:120], v[127:128]
	s_waitcnt vmcnt(8)
	v_fma_f64 v[119:120], v[137:138], v[121:122], v[119:120]
	ds_read_b64 v[121:122], v118 offset:920
	s_waitcnt vmcnt(6) lgkmcnt(1)
	v_fma_f64 v[119:120], v[139:140], v[123:124], v[119:120]
	s_waitcnt vmcnt(3)
	v_fma_f64 v[119:120], v[141:142], v[125:126], v[119:120]
	s_waitcnt vmcnt(2) lgkmcnt(0)
	v_fma_f64 v[119:120], v[143:144], v[121:122], v[119:120]
	s_waitcnt vmcnt(0)
	v_add_f64 v[119:120], v[145:146], -v[119:120]
	buffer_store_dword v119, off, s[0:3], 0 offset:384
	buffer_store_dword v120, off, s[0:3], 0 offset:388
	v_cmpx_lt_u32_e32 47, v0
	s_cbranch_execz .LBB57_263
; %bb.262:
	s_clause 0x1
	buffer_load_dword v119, off, s[0:3], 0 offset:376
	buffer_load_dword v120, off, s[0:3], 0 offset:380
	buffer_store_dword v118, off, s[0:3], 0 offset:376
	buffer_store_dword v118, off, s[0:3], 0 offset:380
	s_waitcnt vmcnt(0)
	ds_write_b64 v117, v[119:120]
.LBB57_263:
	s_or_b32 exec_lo, exec_lo, s4
	s_waitcnt lgkmcnt(0)
	s_waitcnt_vscnt null, 0x0
	s_barrier
	buffer_gl0_inv
	s_clause 0x15
	buffer_load_dword v127, off, s[0:3], 0 offset:384
	buffer_load_dword v128, off, s[0:3], 0 offset:388
	;; [unrolled: 1-line block ×22, first 2 shown]
	ds_read_b128 v[119:122], v118 offset:848
	ds_read_b128 v[123:126], v118 offset:864
	s_mov_b32 s4, exec_lo
	s_waitcnt vmcnt(20) lgkmcnt(1)
	v_fma_f64 v[119:120], v[127:128], v[119:120], 0
	s_waitcnt vmcnt(18)
	v_fma_f64 v[119:120], v[129:130], v[121:122], v[119:120]
	s_waitcnt vmcnt(16) lgkmcnt(0)
	v_fma_f64 v[119:120], v[131:132], v[123:124], v[119:120]
	s_waitcnt vmcnt(14)
	v_fma_f64 v[127:128], v[133:134], v[125:126], v[119:120]
	ds_read_b128 v[119:122], v118 offset:880
	ds_read_b128 v[123:126], v118 offset:896
	s_waitcnt vmcnt(12) lgkmcnt(1)
	v_fma_f64 v[119:120], v[135:136], v[119:120], v[127:128]
	s_waitcnt vmcnt(10)
	v_fma_f64 v[119:120], v[137:138], v[121:122], v[119:120]
	s_waitcnt vmcnt(8) lgkmcnt(0)
	v_fma_f64 v[119:120], v[139:140], v[123:124], v[119:120]
	s_waitcnt vmcnt(4)
	v_fma_f64 v[122:123], v[141:142], v[125:126], v[119:120]
	ds_read_b128 v[118:121], v118 offset:912
	s_waitcnt vmcnt(3) lgkmcnt(0)
	v_fma_f64 v[118:119], v[145:146], v[118:119], v[122:123]
	s_waitcnt vmcnt(2)
	v_fma_f64 v[118:119], v[143:144], v[120:121], v[118:119]
	s_waitcnt vmcnt(0)
	v_add_f64 v[118:119], v[147:148], -v[118:119]
	buffer_store_dword v118, off, s[0:3], 0 offset:376
	buffer_store_dword v119, off, s[0:3], 0 offset:380
	v_cmpx_lt_u32_e32 46, v0
	s_cbranch_execz .LBB57_265
; %bb.264:
	s_clause 0x1
	buffer_load_dword v118, off, s[0:3], 0 offset:368
	buffer_load_dword v119, off, s[0:3], 0 offset:372
	v_mov_b32_e32 v120, 0
	buffer_store_dword v120, off, s[0:3], 0 offset:368
	buffer_store_dword v120, off, s[0:3], 0 offset:372
	s_waitcnt vmcnt(0)
	ds_write_b64 v117, v[118:119]
.LBB57_265:
	s_or_b32 exec_lo, exec_lo, s4
	s_waitcnt lgkmcnt(0)
	s_waitcnt_vscnt null, 0x0
	s_barrier
	buffer_gl0_inv
	s_clause 0x17
	buffer_load_dword v127, off, s[0:3], 0 offset:376
	buffer_load_dword v128, off, s[0:3], 0 offset:380
	;; [unrolled: 1-line block ×24, first 2 shown]
	v_mov_b32_e32 v118, 0
	ds_read2_b64 v[119:122], v118 offset0:105 offset1:106
	ds_read2_b64 v[123:126], v118 offset0:107 offset1:108
	s_mov_b32 s4, exec_lo
	s_waitcnt vmcnt(22) lgkmcnt(1)
	v_fma_f64 v[119:120], v[127:128], v[119:120], 0
	s_waitcnt vmcnt(20)
	v_fma_f64 v[119:120], v[129:130], v[121:122], v[119:120]
	s_waitcnt vmcnt(18) lgkmcnt(0)
	v_fma_f64 v[119:120], v[131:132], v[123:124], v[119:120]
	s_waitcnt vmcnt(16)
	v_fma_f64 v[127:128], v[133:134], v[125:126], v[119:120]
	ds_read2_b64 v[119:122], v118 offset0:109 offset1:110
	ds_read2_b64 v[123:126], v118 offset0:111 offset1:112
	s_waitcnt vmcnt(14) lgkmcnt(1)
	v_fma_f64 v[119:120], v[135:136], v[119:120], v[127:128]
	s_waitcnt vmcnt(12)
	v_fma_f64 v[119:120], v[137:138], v[121:122], v[119:120]
	s_waitcnt vmcnt(10) lgkmcnt(0)
	v_fma_f64 v[119:120], v[139:140], v[123:124], v[119:120]
	s_waitcnt vmcnt(5)
	v_fma_f64 v[123:124], v[141:142], v[125:126], v[119:120]
	ds_read2_b64 v[119:122], v118 offset0:113 offset1:114
	ds_read_b64 v[125:126], v118 offset:920
	s_waitcnt vmcnt(4) lgkmcnt(1)
	v_fma_f64 v[119:120], v[147:148], v[119:120], v[123:124]
	s_waitcnt vmcnt(3)
	v_fma_f64 v[119:120], v[145:146], v[121:122], v[119:120]
	s_waitcnt vmcnt(2) lgkmcnt(0)
	v_fma_f64 v[119:120], v[143:144], v[125:126], v[119:120]
	s_waitcnt vmcnt(0)
	v_add_f64 v[119:120], v[149:150], -v[119:120]
	buffer_store_dword v120, off, s[0:3], 0 offset:372
	buffer_store_dword v119, off, s[0:3], 0 offset:368
	v_cmpx_lt_u32_e32 45, v0
	s_cbranch_execz .LBB57_267
; %bb.266:
	s_clause 0x1
	buffer_load_dword v119, off, s[0:3], 0 offset:360
	buffer_load_dword v120, off, s[0:3], 0 offset:364
	buffer_store_dword v118, off, s[0:3], 0 offset:360
	buffer_store_dword v118, off, s[0:3], 0 offset:364
	s_waitcnt vmcnt(0)
	ds_write_b64 v117, v[119:120]
.LBB57_267:
	s_or_b32 exec_lo, exec_lo, s4
	s_waitcnt lgkmcnt(0)
	s_waitcnt_vscnt null, 0x0
	s_barrier
	buffer_gl0_inv
	s_clause 0x19
	buffer_load_dword v127, off, s[0:3], 0 offset:368
	buffer_load_dword v128, off, s[0:3], 0 offset:372
	;; [unrolled: 1-line block ×26, first 2 shown]
	ds_read_b128 v[119:122], v118 offset:832
	ds_read_b128 v[123:126], v118 offset:848
	s_mov_b32 s4, exec_lo
	s_waitcnt vmcnt(24) lgkmcnt(1)
	v_fma_f64 v[119:120], v[127:128], v[119:120], 0
	s_waitcnt vmcnt(22)
	v_fma_f64 v[119:120], v[129:130], v[121:122], v[119:120]
	s_waitcnt vmcnt(20) lgkmcnt(0)
	v_fma_f64 v[119:120], v[131:132], v[123:124], v[119:120]
	s_waitcnt vmcnt(18)
	v_fma_f64 v[127:128], v[133:134], v[125:126], v[119:120]
	ds_read_b128 v[119:122], v118 offset:864
	ds_read_b128 v[123:126], v118 offset:880
	s_waitcnt vmcnt(16) lgkmcnt(1)
	v_fma_f64 v[119:120], v[135:136], v[119:120], v[127:128]
	s_waitcnt vmcnt(14)
	v_fma_f64 v[119:120], v[137:138], v[121:122], v[119:120]
	s_waitcnt vmcnt(12) lgkmcnt(0)
	v_fma_f64 v[119:120], v[139:140], v[123:124], v[119:120]
	s_waitcnt vmcnt(7)
	v_fma_f64 v[127:128], v[141:142], v[125:126], v[119:120]
	ds_read_b128 v[119:122], v118 offset:896
	ds_read_b128 v[123:126], v118 offset:912
	s_waitcnt vmcnt(6) lgkmcnt(1)
	v_fma_f64 v[118:119], v[147:148], v[119:120], v[127:128]
	s_waitcnt vmcnt(5)
	v_fma_f64 v[118:119], v[145:146], v[121:122], v[118:119]
	s_waitcnt vmcnt(4) lgkmcnt(0)
	v_fma_f64 v[118:119], v[143:144], v[123:124], v[118:119]
	s_waitcnt vmcnt(2)
	v_fma_f64 v[118:119], v[149:150], v[125:126], v[118:119]
	s_waitcnt vmcnt(0)
	v_add_f64 v[118:119], v[151:152], -v[118:119]
	buffer_store_dword v119, off, s[0:3], 0 offset:364
	buffer_store_dword v118, off, s[0:3], 0 offset:360
	v_cmpx_lt_u32_e32 44, v0
	s_cbranch_execz .LBB57_269
; %bb.268:
	s_clause 0x1
	buffer_load_dword v118, off, s[0:3], 0 offset:352
	buffer_load_dword v119, off, s[0:3], 0 offset:356
	v_mov_b32_e32 v120, 0
	buffer_store_dword v120, off, s[0:3], 0 offset:352
	buffer_store_dword v120, off, s[0:3], 0 offset:356
	s_waitcnt vmcnt(0)
	ds_write_b64 v117, v[118:119]
.LBB57_269:
	s_or_b32 exec_lo, exec_lo, s4
	s_waitcnt lgkmcnt(0)
	s_waitcnt_vscnt null, 0x0
	s_barrier
	buffer_gl0_inv
	s_clause 0x1b
	buffer_load_dword v127, off, s[0:3], 0 offset:360
	buffer_load_dword v128, off, s[0:3], 0 offset:364
	;; [unrolled: 1-line block ×28, first 2 shown]
	v_mov_b32_e32 v118, 0
	ds_read2_b64 v[119:122], v118 offset0:103 offset1:104
	ds_read2_b64 v[123:126], v118 offset0:105 offset1:106
	s_mov_b32 s4, exec_lo
	s_waitcnt vmcnt(26) lgkmcnt(1)
	v_fma_f64 v[119:120], v[127:128], v[119:120], 0
	s_waitcnt vmcnt(24)
	v_fma_f64 v[119:120], v[129:130], v[121:122], v[119:120]
	s_waitcnt vmcnt(22) lgkmcnt(0)
	v_fma_f64 v[119:120], v[131:132], v[123:124], v[119:120]
	s_waitcnt vmcnt(20)
	v_fma_f64 v[127:128], v[133:134], v[125:126], v[119:120]
	ds_read2_b64 v[119:122], v118 offset0:107 offset1:108
	ds_read2_b64 v[123:126], v118 offset0:109 offset1:110
	s_waitcnt vmcnt(18) lgkmcnt(1)
	v_fma_f64 v[119:120], v[135:136], v[119:120], v[127:128]
	s_waitcnt vmcnt(16)
	v_fma_f64 v[119:120], v[137:138], v[121:122], v[119:120]
	s_waitcnt vmcnt(14) lgkmcnt(0)
	v_fma_f64 v[119:120], v[139:140], v[123:124], v[119:120]
	s_waitcnt vmcnt(9)
	v_fma_f64 v[127:128], v[141:142], v[125:126], v[119:120]
	ds_read2_b64 v[119:122], v118 offset0:111 offset1:112
	ds_read2_b64 v[123:126], v118 offset0:113 offset1:114
	s_waitcnt vmcnt(8) lgkmcnt(1)
	v_fma_f64 v[119:120], v[147:148], v[119:120], v[127:128]
	s_waitcnt vmcnt(7)
	v_fma_f64 v[119:120], v[145:146], v[121:122], v[119:120]
	ds_read_b64 v[121:122], v118 offset:920
	s_waitcnt vmcnt(6) lgkmcnt(1)
	v_fma_f64 v[119:120], v[143:144], v[123:124], v[119:120]
	s_waitcnt vmcnt(3)
	v_fma_f64 v[119:120], v[149:150], v[125:126], v[119:120]
	s_waitcnt vmcnt(2) lgkmcnt(0)
	v_fma_f64 v[119:120], v[151:152], v[121:122], v[119:120]
	s_waitcnt vmcnt(0)
	v_add_f64 v[119:120], v[153:154], -v[119:120]
	buffer_store_dword v120, off, s[0:3], 0 offset:356
	buffer_store_dword v119, off, s[0:3], 0 offset:352
	v_cmpx_lt_u32_e32 43, v0
	s_cbranch_execz .LBB57_271
; %bb.270:
	s_clause 0x1
	buffer_load_dword v119, off, s[0:3], 0 offset:344
	buffer_load_dword v120, off, s[0:3], 0 offset:348
	buffer_store_dword v118, off, s[0:3], 0 offset:344
	buffer_store_dword v118, off, s[0:3], 0 offset:348
	s_waitcnt vmcnt(0)
	ds_write_b64 v117, v[119:120]
.LBB57_271:
	s_or_b32 exec_lo, exec_lo, s4
	s_waitcnt lgkmcnt(0)
	s_waitcnt_vscnt null, 0x0
	s_barrier
	buffer_gl0_inv
	s_clause 0x1b
	buffer_load_dword v127, off, s[0:3], 0 offset:352
	buffer_load_dword v128, off, s[0:3], 0 offset:356
	;; [unrolled: 1-line block ×28, first 2 shown]
	ds_read_b128 v[119:122], v118 offset:816
	s_clause 0x1
	buffer_load_dword v155, off, s[0:3], 0 offset:344
	buffer_load_dword v156, off, s[0:3], 0 offset:348
	ds_read_b128 v[123:126], v118 offset:832
	s_mov_b32 s4, exec_lo
	s_waitcnt vmcnt(28) lgkmcnt(1)
	v_fma_f64 v[119:120], v[127:128], v[119:120], 0
	s_waitcnt vmcnt(26)
	v_fma_f64 v[119:120], v[129:130], v[121:122], v[119:120]
	s_waitcnt vmcnt(24) lgkmcnt(0)
	v_fma_f64 v[119:120], v[131:132], v[123:124], v[119:120]
	s_waitcnt vmcnt(22)
	v_fma_f64 v[127:128], v[133:134], v[125:126], v[119:120]
	ds_read_b128 v[119:122], v118 offset:848
	ds_read_b128 v[123:126], v118 offset:864
	s_waitcnt vmcnt(20) lgkmcnt(1)
	v_fma_f64 v[119:120], v[135:136], v[119:120], v[127:128]
	s_waitcnt vmcnt(18)
	v_fma_f64 v[119:120], v[137:138], v[121:122], v[119:120]
	s_waitcnt vmcnt(16) lgkmcnt(0)
	v_fma_f64 v[119:120], v[139:140], v[123:124], v[119:120]
	s_waitcnt vmcnt(11)
	v_fma_f64 v[127:128], v[141:142], v[125:126], v[119:120]
	ds_read_b128 v[119:122], v118 offset:880
	ds_read_b128 v[123:126], v118 offset:896
	s_waitcnt vmcnt(10) lgkmcnt(1)
	v_fma_f64 v[119:120], v[147:148], v[119:120], v[127:128]
	s_waitcnt vmcnt(9)
	v_fma_f64 v[119:120], v[145:146], v[121:122], v[119:120]
	s_waitcnt vmcnt(8) lgkmcnt(0)
	v_fma_f64 v[119:120], v[143:144], v[123:124], v[119:120]
	s_waitcnt vmcnt(4)
	v_fma_f64 v[122:123], v[149:150], v[125:126], v[119:120]
	ds_read_b128 v[118:121], v118 offset:912
	s_waitcnt vmcnt(3) lgkmcnt(0)
	v_fma_f64 v[118:119], v[153:154], v[118:119], v[122:123]
	s_waitcnt vmcnt(2)
	v_fma_f64 v[118:119], v[151:152], v[120:121], v[118:119]
	s_waitcnt vmcnt(0)
	v_add_f64 v[118:119], v[155:156], -v[118:119]
	buffer_store_dword v119, off, s[0:3], 0 offset:348
	buffer_store_dword v118, off, s[0:3], 0 offset:344
	v_cmpx_lt_u32_e32 42, v0
	s_cbranch_execz .LBB57_273
; %bb.272:
	s_clause 0x1
	buffer_load_dword v118, off, s[0:3], 0 offset:336
	buffer_load_dword v119, off, s[0:3], 0 offset:340
	v_mov_b32_e32 v120, 0
	buffer_store_dword v120, off, s[0:3], 0 offset:336
	buffer_store_dword v120, off, s[0:3], 0 offset:340
	s_waitcnt vmcnt(0)
	ds_write_b64 v117, v[118:119]
.LBB57_273:
	s_or_b32 exec_lo, exec_lo, s4
	s_waitcnt lgkmcnt(0)
	s_waitcnt_vscnt null, 0x0
	s_barrier
	buffer_gl0_inv
	s_clause 0x1c
	buffer_load_dword v127, off, s[0:3], 0 offset:344
	buffer_load_dword v128, off, s[0:3], 0 offset:348
	;; [unrolled: 1-line block ×29, first 2 shown]
	v_mov_b32_e32 v118, 0
	buffer_load_dword v152, off, s[0:3], 0 offset:460
	s_mov_b32 s4, exec_lo
	ds_read2_b64 v[119:122], v118 offset0:101 offset1:102
	ds_read2_b64 v[123:126], v118 offset0:103 offset1:104
	s_waitcnt vmcnt(28) lgkmcnt(1)
	v_fma_f64 v[119:120], v[127:128], v[119:120], 0
	s_clause 0x1
	buffer_load_dword v127, off, s[0:3], 0 offset:336
	buffer_load_dword v128, off, s[0:3], 0 offset:340
	s_waitcnt vmcnt(28)
	v_fma_f64 v[119:120], v[129:130], v[121:122], v[119:120]
	s_waitcnt vmcnt(26) lgkmcnt(0)
	v_fma_f64 v[119:120], v[131:132], v[123:124], v[119:120]
	s_waitcnt vmcnt(24)
	v_fma_f64 v[129:130], v[133:134], v[125:126], v[119:120]
	ds_read2_b64 v[119:122], v118 offset0:105 offset1:106
	ds_read2_b64 v[123:126], v118 offset0:107 offset1:108
	s_waitcnt vmcnt(22) lgkmcnt(1)
	v_fma_f64 v[119:120], v[135:136], v[119:120], v[129:130]
	s_waitcnt vmcnt(20)
	v_fma_f64 v[119:120], v[137:138], v[121:122], v[119:120]
	s_waitcnt vmcnt(18) lgkmcnt(0)
	v_fma_f64 v[119:120], v[139:140], v[123:124], v[119:120]
	s_waitcnt vmcnt(13)
	v_fma_f64 v[129:130], v[141:142], v[125:126], v[119:120]
	ds_read2_b64 v[119:122], v118 offset0:109 offset1:110
	ds_read2_b64 v[123:126], v118 offset0:111 offset1:112
	s_waitcnt vmcnt(12) lgkmcnt(1)
	v_fma_f64 v[119:120], v[147:148], v[119:120], v[129:130]
	s_waitcnt vmcnt(11)
	v_fma_f64 v[119:120], v[145:146], v[121:122], v[119:120]
	s_waitcnt vmcnt(10) lgkmcnt(0)
	v_fma_f64 v[119:120], v[143:144], v[123:124], v[119:120]
	s_waitcnt vmcnt(5)
	v_fma_f64 v[123:124], v[149:150], v[125:126], v[119:120]
	ds_read2_b64 v[119:122], v118 offset0:113 offset1:114
	ds_read_b64 v[125:126], v118 offset:920
	s_waitcnt vmcnt(4) lgkmcnt(1)
	v_fma_f64 v[119:120], v[155:156], v[119:120], v[123:124]
	s_waitcnt vmcnt(3)
	v_fma_f64 v[119:120], v[153:154], v[121:122], v[119:120]
	s_waitcnt vmcnt(2) lgkmcnt(0)
	v_fma_f64 v[119:120], v[151:152], v[125:126], v[119:120]
	s_waitcnt vmcnt(0)
	v_add_f64 v[119:120], v[127:128], -v[119:120]
	buffer_store_dword v120, off, s[0:3], 0 offset:340
	buffer_store_dword v119, off, s[0:3], 0 offset:336
	v_cmpx_lt_u32_e32 41, v0
	s_cbranch_execz .LBB57_275
; %bb.274:
	s_clause 0x1
	buffer_load_dword v119, off, s[0:3], 0 offset:328
	buffer_load_dword v120, off, s[0:3], 0 offset:332
	buffer_store_dword v118, off, s[0:3], 0 offset:328
	buffer_store_dword v118, off, s[0:3], 0 offset:332
	s_waitcnt vmcnt(0)
	ds_write_b64 v117, v[119:120]
.LBB57_275:
	s_or_b32 exec_lo, exec_lo, s4
	s_waitcnt lgkmcnt(0)
	s_waitcnt_vscnt null, 0x0
	s_barrier
	buffer_gl0_inv
	s_clause 0x1c
	buffer_load_dword v127, off, s[0:3], 0 offset:336
	buffer_load_dword v128, off, s[0:3], 0 offset:340
	;; [unrolled: 1-line block ×29, first 2 shown]
	ds_read_b128 v[119:122], v118 offset:800
	ds_read_b128 v[123:126], v118 offset:816
	buffer_load_dword v152, off, s[0:3], 0 offset:452
	s_mov_b32 s4, exec_lo
	s_waitcnt vmcnt(28) lgkmcnt(1)
	v_fma_f64 v[119:120], v[127:128], v[119:120], 0
	s_clause 0x1
	buffer_load_dword v128, off, s[0:3], 0 offset:460
	buffer_load_dword v127, off, s[0:3], 0 offset:456
	s_waitcnt vmcnt(28)
	v_fma_f64 v[119:120], v[129:130], v[121:122], v[119:120]
	s_clause 0x1
	buffer_load_dword v129, off, s[0:3], 0 offset:328
	buffer_load_dword v130, off, s[0:3], 0 offset:332
	s_waitcnt vmcnt(28) lgkmcnt(0)
	v_fma_f64 v[119:120], v[131:132], v[123:124], v[119:120]
	s_waitcnt vmcnt(26)
	v_fma_f64 v[131:132], v[133:134], v[125:126], v[119:120]
	ds_read_b128 v[119:122], v118 offset:832
	ds_read_b128 v[123:126], v118 offset:848
	s_waitcnt vmcnt(24) lgkmcnt(1)
	v_fma_f64 v[119:120], v[135:136], v[119:120], v[131:132]
	s_waitcnt vmcnt(22)
	v_fma_f64 v[119:120], v[137:138], v[121:122], v[119:120]
	s_waitcnt vmcnt(20) lgkmcnt(0)
	v_fma_f64 v[119:120], v[139:140], v[123:124], v[119:120]
	s_waitcnt vmcnt(15)
	v_fma_f64 v[131:132], v[141:142], v[125:126], v[119:120]
	ds_read_b128 v[119:122], v118 offset:864
	ds_read_b128 v[123:126], v118 offset:880
	s_waitcnt vmcnt(14) lgkmcnt(1)
	v_fma_f64 v[119:120], v[147:148], v[119:120], v[131:132]
	s_waitcnt vmcnt(13)
	v_fma_f64 v[119:120], v[145:146], v[121:122], v[119:120]
	;; [unrolled: 10-line block ×3, first 2 shown]
	s_waitcnt vmcnt(4) lgkmcnt(0)
	v_fma_f64 v[118:119], v[151:152], v[123:124], v[118:119]
	s_waitcnt vmcnt(2)
	v_fma_f64 v[118:119], v[127:128], v[125:126], v[118:119]
	s_waitcnt vmcnt(0)
	v_add_f64 v[118:119], v[129:130], -v[118:119]
	buffer_store_dword v119, off, s[0:3], 0 offset:332
	buffer_store_dword v118, off, s[0:3], 0 offset:328
	v_cmpx_lt_u32_e32 40, v0
	s_cbranch_execz .LBB57_277
; %bb.276:
	s_clause 0x1
	buffer_load_dword v118, off, s[0:3], 0 offset:320
	buffer_load_dword v119, off, s[0:3], 0 offset:324
	v_mov_b32_e32 v120, 0
	buffer_store_dword v120, off, s[0:3], 0 offset:320
	buffer_store_dword v120, off, s[0:3], 0 offset:324
	s_waitcnt vmcnt(0)
	ds_write_b64 v117, v[118:119]
.LBB57_277:
	s_or_b32 exec_lo, exec_lo, s4
	s_waitcnt lgkmcnt(0)
	s_waitcnt_vscnt null, 0x0
	s_barrier
	buffer_gl0_inv
	s_clause 0x1c
	buffer_load_dword v127, off, s[0:3], 0 offset:328
	buffer_load_dword v128, off, s[0:3], 0 offset:332
	;; [unrolled: 1-line block ×29, first 2 shown]
	v_mov_b32_e32 v118, 0
	buffer_load_dword v152, off, s[0:3], 0 offset:444
	s_mov_b32 s4, exec_lo
	ds_read2_b64 v[119:122], v118 offset0:99 offset1:100
	ds_read2_b64 v[123:126], v118 offset0:101 offset1:102
	s_waitcnt vmcnt(28) lgkmcnt(1)
	v_fma_f64 v[119:120], v[127:128], v[119:120], 0
	s_clause 0x3
	buffer_load_dword v128, off, s[0:3], 0 offset:452
	buffer_load_dword v157, off, s[0:3], 0 offset:456
	;; [unrolled: 1-line block ×4, first 2 shown]
	s_waitcnt vmcnt(30)
	v_fma_f64 v[119:120], v[129:130], v[121:122], v[119:120]
	s_clause 0x1
	buffer_load_dword v129, off, s[0:3], 0 offset:320
	buffer_load_dword v130, off, s[0:3], 0 offset:324
	s_waitcnt vmcnt(30) lgkmcnt(0)
	v_fma_f64 v[119:120], v[131:132], v[123:124], v[119:120]
	s_waitcnt vmcnt(28)
	v_fma_f64 v[131:132], v[133:134], v[125:126], v[119:120]
	ds_read2_b64 v[119:122], v118 offset0:103 offset1:104
	ds_read2_b64 v[123:126], v118 offset0:105 offset1:106
	s_waitcnt vmcnt(26) lgkmcnt(1)
	v_fma_f64 v[119:120], v[135:136], v[119:120], v[131:132]
	s_waitcnt vmcnt(24)
	v_fma_f64 v[119:120], v[137:138], v[121:122], v[119:120]
	s_waitcnt vmcnt(22) lgkmcnt(0)
	v_fma_f64 v[119:120], v[139:140], v[123:124], v[119:120]
	s_waitcnt vmcnt(17)
	v_fma_f64 v[131:132], v[141:142], v[125:126], v[119:120]
	ds_read2_b64 v[119:122], v118 offset0:107 offset1:108
	ds_read2_b64 v[123:126], v118 offset0:109 offset1:110
	s_waitcnt vmcnt(16) lgkmcnt(1)
	v_fma_f64 v[119:120], v[147:148], v[119:120], v[131:132]
	s_waitcnt vmcnt(15)
	v_fma_f64 v[119:120], v[145:146], v[121:122], v[119:120]
	;; [unrolled: 10-line block ×3, first 2 shown]
	ds_read_b64 v[121:122], v118 offset:920
	s_waitcnt vmcnt(6) lgkmcnt(1)
	v_fma_f64 v[119:120], v[151:152], v[123:124], v[119:120]
	s_waitcnt vmcnt(3)
	v_fma_f64 v[119:120], v[127:128], v[125:126], v[119:120]
	s_waitcnt vmcnt(2) lgkmcnt(0)
	v_fma_f64 v[119:120], v[157:158], v[121:122], v[119:120]
	s_waitcnt vmcnt(0)
	v_add_f64 v[119:120], v[129:130], -v[119:120]
	buffer_store_dword v120, off, s[0:3], 0 offset:324
	buffer_store_dword v119, off, s[0:3], 0 offset:320
	v_cmpx_lt_u32_e32 39, v0
	s_cbranch_execz .LBB57_279
; %bb.278:
	s_clause 0x1
	buffer_load_dword v119, off, s[0:3], 0 offset:312
	buffer_load_dword v120, off, s[0:3], 0 offset:316
	buffer_store_dword v118, off, s[0:3], 0 offset:312
	buffer_store_dword v118, off, s[0:3], 0 offset:316
	s_waitcnt vmcnt(0)
	ds_write_b64 v117, v[119:120]
.LBB57_279:
	s_or_b32 exec_lo, exec_lo, s4
	s_waitcnt lgkmcnt(0)
	s_waitcnt_vscnt null, 0x0
	s_barrier
	buffer_gl0_inv
	s_clause 0x1b
	buffer_load_dword v123, off, s[0:3], 0 offset:320
	buffer_load_dword v124, off, s[0:3], 0 offset:324
	;; [unrolled: 1-line block ×28, first 2 shown]
	ds_read_b128 v[119:122], v118 offset:784
	s_clause 0x1
	buffer_load_dword v151, off, s[0:3], 0 offset:432
	buffer_load_dword v152, off, s[0:3], 0 offset:436
	s_mov_b32 s4, exec_lo
	s_waitcnt vmcnt(28) lgkmcnt(0)
	v_fma_f64 v[119:120], v[123:124], v[119:120], 0
	s_clause 0x1
	buffer_load_dword v124, off, s[0:3], 0 offset:444
	buffer_load_dword v123, off, s[0:3], 0 offset:440
	s_waitcnt vmcnt(28)
	v_fma_f64 v[125:126], v[125:126], v[121:122], v[119:120]
	ds_read_b128 v[119:122], v118 offset:800
	s_clause 0x1
	buffer_load_dword v153, off, s[0:3], 0 offset:448
	buffer_load_dword v154, off, s[0:3], 0 offset:452
	s_waitcnt vmcnt(28) lgkmcnt(0)
	v_fma_f64 v[119:120], v[127:128], v[119:120], v[125:126]
	s_clause 0x1
	buffer_load_dword v125, off, s[0:3], 0 offset:456
	buffer_load_dword v126, off, s[0:3], 0 offset:460
	s_waitcnt vmcnt(28)
	v_fma_f64 v[127:128], v[129:130], v[121:122], v[119:120]
	ds_read_b128 v[119:122], v118 offset:816
	s_clause 0x1
	buffer_load_dword v129, off, s[0:3], 0 offset:312
	buffer_load_dword v130, off, s[0:3], 0 offset:316
	s_waitcnt vmcnt(28) lgkmcnt(0)
	v_fma_f64 v[119:120], v[131:132], v[119:120], v[127:128]
	s_waitcnt vmcnt(26)
	v_fma_f64 v[127:128], v[133:134], v[121:122], v[119:120]
	ds_read_b128 v[119:122], v118 offset:832
	s_waitcnt vmcnt(24) lgkmcnt(0)
	v_fma_f64 v[119:120], v[135:136], v[119:120], v[127:128]
	s_waitcnt vmcnt(22)
	v_fma_f64 v[127:128], v[137:138], v[121:122], v[119:120]
	ds_read_b128 v[119:122], v118 offset:848
	s_waitcnt vmcnt(20) lgkmcnt(0)
	v_fma_f64 v[119:120], v[139:140], v[119:120], v[127:128]
	s_waitcnt vmcnt(18)
	v_fma_f64 v[127:128], v[141:142], v[121:122], v[119:120]
	ds_read_b128 v[119:122], v118 offset:864
	s_waitcnt vmcnt(16) lgkmcnt(0)
	v_fma_f64 v[119:120], v[143:144], v[119:120], v[127:128]
	s_waitcnt vmcnt(14)
	v_fma_f64 v[127:128], v[145:146], v[121:122], v[119:120]
	ds_read_b128 v[119:122], v118 offset:880
	s_waitcnt vmcnt(12) lgkmcnt(0)
	v_fma_f64 v[119:120], v[147:148], v[119:120], v[127:128]
	s_waitcnt vmcnt(10)
	v_fma_f64 v[127:128], v[149:150], v[121:122], v[119:120]
	ds_read_b128 v[119:122], v118 offset:896
	s_waitcnt vmcnt(8) lgkmcnt(0)
	v_fma_f64 v[119:120], v[151:152], v[119:120], v[127:128]
	s_waitcnt vmcnt(6)
	v_fma_f64 v[122:123], v[123:124], v[121:122], v[119:120]
	ds_read_b128 v[118:121], v118 offset:912
	s_waitcnt vmcnt(4) lgkmcnt(0)
	v_fma_f64 v[118:119], v[153:154], v[118:119], v[122:123]
	s_waitcnt vmcnt(2)
	v_fma_f64 v[118:119], v[125:126], v[120:121], v[118:119]
	s_waitcnt vmcnt(0)
	v_add_f64 v[118:119], v[129:130], -v[118:119]
	buffer_store_dword v119, off, s[0:3], 0 offset:316
	buffer_store_dword v118, off, s[0:3], 0 offset:312
	v_cmpx_lt_u32_e32 38, v0
	s_cbranch_execz .LBB57_281
; %bb.280:
	s_clause 0x1
	buffer_load_dword v118, off, s[0:3], 0 offset:304
	buffer_load_dword v119, off, s[0:3], 0 offset:308
	v_mov_b32_e32 v120, 0
	buffer_store_dword v120, off, s[0:3], 0 offset:304
	buffer_store_dword v120, off, s[0:3], 0 offset:308
	s_waitcnt vmcnt(0)
	ds_write_b64 v117, v[118:119]
.LBB57_281:
	s_or_b32 exec_lo, exec_lo, s4
	s_waitcnt lgkmcnt(0)
	s_waitcnt_vscnt null, 0x0
	s_barrier
	buffer_gl0_inv
	s_clause 0x1b
	buffer_load_dword v123, off, s[0:3], 0 offset:312
	buffer_load_dword v124, off, s[0:3], 0 offset:316
	;; [unrolled: 1-line block ×28, first 2 shown]
	v_mov_b32_e32 v118, 0
	s_mov_b32 s4, exec_lo
	ds_read2_b64 v[119:122], v118 offset0:97 offset1:98
	s_clause 0x1
	buffer_load_dword v151, off, s[0:3], 0 offset:424
	buffer_load_dword v152, off, s[0:3], 0 offset:428
	s_waitcnt vmcnt(28) lgkmcnt(0)
	v_fma_f64 v[119:120], v[123:124], v[119:120], 0
	s_clause 0x1
	buffer_load_dword v124, off, s[0:3], 0 offset:436
	buffer_load_dword v123, off, s[0:3], 0 offset:432
	s_waitcnt vmcnt(28)
	v_fma_f64 v[125:126], v[125:126], v[121:122], v[119:120]
	ds_read2_b64 v[119:122], v118 offset0:99 offset1:100
	s_clause 0x1
	buffer_load_dword v153, off, s[0:3], 0 offset:440
	buffer_load_dword v154, off, s[0:3], 0 offset:444
	s_waitcnt vmcnt(28) lgkmcnt(0)
	v_fma_f64 v[119:120], v[127:128], v[119:120], v[125:126]
	s_clause 0x1
	buffer_load_dword v125, off, s[0:3], 0 offset:448
	buffer_load_dword v126, off, s[0:3], 0 offset:452
	s_waitcnt vmcnt(28)
	v_fma_f64 v[127:128], v[129:130], v[121:122], v[119:120]
	;; [unrolled: 11-line block ×3, first 2 shown]
	ds_read2_b64 v[119:122], v118 offset0:103 offset1:104
	s_waitcnt vmcnt(26) lgkmcnt(0)
	v_fma_f64 v[119:120], v[135:136], v[119:120], v[131:132]
	s_waitcnt vmcnt(24)
	v_fma_f64 v[131:132], v[137:138], v[121:122], v[119:120]
	ds_read2_b64 v[119:122], v118 offset0:105 offset1:106
	s_waitcnt vmcnt(22) lgkmcnt(0)
	v_fma_f64 v[119:120], v[139:140], v[119:120], v[131:132]
	s_waitcnt vmcnt(20)
	v_fma_f64 v[131:132], v[141:142], v[121:122], v[119:120]
	;; [unrolled: 5-line block ×6, first 2 shown]
	ds_read_b64 v[121:122], v118 offset:920
	s_waitcnt vmcnt(2) lgkmcnt(0)
	v_fma_f64 v[119:120], v[129:130], v[121:122], v[119:120]
	s_waitcnt vmcnt(0)
	v_add_f64 v[119:120], v[127:128], -v[119:120]
	buffer_store_dword v120, off, s[0:3], 0 offset:308
	buffer_store_dword v119, off, s[0:3], 0 offset:304
	v_cmpx_lt_u32_e32 37, v0
	s_cbranch_execz .LBB57_283
; %bb.282:
	s_clause 0x1
	buffer_load_dword v119, off, s[0:3], 0 offset:296
	buffer_load_dword v120, off, s[0:3], 0 offset:300
	buffer_store_dword v118, off, s[0:3], 0 offset:296
	buffer_store_dword v118, off, s[0:3], 0 offset:300
	s_waitcnt vmcnt(0)
	ds_write_b64 v117, v[119:120]
.LBB57_283:
	s_or_b32 exec_lo, exec_lo, s4
	s_waitcnt lgkmcnt(0)
	s_waitcnt_vscnt null, 0x0
	s_barrier
	buffer_gl0_inv
	s_clause 0x1b
	buffer_load_dword v123, off, s[0:3], 0 offset:304
	buffer_load_dword v124, off, s[0:3], 0 offset:308
	;; [unrolled: 1-line block ×28, first 2 shown]
	ds_read_b128 v[119:122], v118 offset:768
	s_clause 0x1
	buffer_load_dword v151, off, s[0:3], 0 offset:416
	buffer_load_dword v152, off, s[0:3], 0 offset:420
	s_mov_b32 s4, exec_lo
	s_waitcnt vmcnt(28) lgkmcnt(0)
	v_fma_f64 v[119:120], v[123:124], v[119:120], 0
	s_clause 0x1
	buffer_load_dword v124, off, s[0:3], 0 offset:428
	buffer_load_dword v123, off, s[0:3], 0 offset:424
	s_waitcnt vmcnt(28)
	v_fma_f64 v[125:126], v[125:126], v[121:122], v[119:120]
	ds_read_b128 v[119:122], v118 offset:784
	s_clause 0x1
	buffer_load_dword v153, off, s[0:3], 0 offset:432
	buffer_load_dword v154, off, s[0:3], 0 offset:436
	s_waitcnt vmcnt(28) lgkmcnt(0)
	v_fma_f64 v[119:120], v[127:128], v[119:120], v[125:126]
	s_clause 0x1
	buffer_load_dword v125, off, s[0:3], 0 offset:440
	buffer_load_dword v126, off, s[0:3], 0 offset:444
	s_waitcnt vmcnt(28)
	v_fma_f64 v[127:128], v[129:130], v[121:122], v[119:120]
	ds_read_b128 v[119:122], v118 offset:800
	s_clause 0x1
	buffer_load_dword v129, off, s[0:3], 0 offset:448
	buffer_load_dword v130, off, s[0:3], 0 offset:452
	;; [unrolled: 11-line block ×3, first 2 shown]
	s_waitcnt vmcnt(28) lgkmcnt(0)
	v_fma_f64 v[119:120], v[135:136], v[119:120], v[131:132]
	s_waitcnt vmcnt(26)
	v_fma_f64 v[131:132], v[137:138], v[121:122], v[119:120]
	ds_read_b128 v[119:122], v118 offset:832
	s_waitcnt vmcnt(24) lgkmcnt(0)
	v_fma_f64 v[119:120], v[139:140], v[119:120], v[131:132]
	s_waitcnt vmcnt(22)
	v_fma_f64 v[131:132], v[141:142], v[121:122], v[119:120]
	ds_read_b128 v[119:122], v118 offset:848
	;; [unrolled: 5-line block ×6, first 2 shown]
	s_waitcnt vmcnt(4) lgkmcnt(0)
	v_fma_f64 v[118:119], v[129:130], v[118:119], v[122:123]
	s_waitcnt vmcnt(2)
	v_fma_f64 v[118:119], v[127:128], v[120:121], v[118:119]
	s_waitcnt vmcnt(0)
	v_add_f64 v[118:119], v[133:134], -v[118:119]
	buffer_store_dword v119, off, s[0:3], 0 offset:300
	buffer_store_dword v118, off, s[0:3], 0 offset:296
	v_cmpx_lt_u32_e32 36, v0
	s_cbranch_execz .LBB57_285
; %bb.284:
	s_clause 0x1
	buffer_load_dword v118, off, s[0:3], 0 offset:288
	buffer_load_dword v119, off, s[0:3], 0 offset:292
	v_mov_b32_e32 v120, 0
	buffer_store_dword v120, off, s[0:3], 0 offset:288
	buffer_store_dword v120, off, s[0:3], 0 offset:292
	s_waitcnt vmcnt(0)
	ds_write_b64 v117, v[118:119]
.LBB57_285:
	s_or_b32 exec_lo, exec_lo, s4
	s_waitcnt lgkmcnt(0)
	s_waitcnt_vscnt null, 0x0
	s_barrier
	buffer_gl0_inv
	s_clause 0x1b
	buffer_load_dword v123, off, s[0:3], 0 offset:296
	buffer_load_dword v124, off, s[0:3], 0 offset:300
	;; [unrolled: 1-line block ×28, first 2 shown]
	v_mov_b32_e32 v118, 0
	s_mov_b32 s4, exec_lo
	ds_read2_b64 v[119:122], v118 offset0:95 offset1:96
	s_clause 0x1
	buffer_load_dword v151, off, s[0:3], 0 offset:408
	buffer_load_dword v152, off, s[0:3], 0 offset:412
	s_waitcnt vmcnt(28) lgkmcnt(0)
	v_fma_f64 v[119:120], v[123:124], v[119:120], 0
	s_clause 0x1
	buffer_load_dword v124, off, s[0:3], 0 offset:420
	buffer_load_dword v123, off, s[0:3], 0 offset:416
	s_waitcnt vmcnt(28)
	v_fma_f64 v[125:126], v[125:126], v[121:122], v[119:120]
	ds_read2_b64 v[119:122], v118 offset0:97 offset1:98
	s_clause 0x1
	buffer_load_dword v153, off, s[0:3], 0 offset:424
	buffer_load_dword v154, off, s[0:3], 0 offset:428
	s_waitcnt vmcnt(28) lgkmcnt(0)
	v_fma_f64 v[119:120], v[127:128], v[119:120], v[125:126]
	s_clause 0x1
	buffer_load_dword v125, off, s[0:3], 0 offset:432
	buffer_load_dword v126, off, s[0:3], 0 offset:436
	s_waitcnt vmcnt(28)
	v_fma_f64 v[127:128], v[129:130], v[121:122], v[119:120]
	ds_read2_b64 v[119:122], v118 offset0:99 offset1:100
	s_clause 0x1
	buffer_load_dword v129, off, s[0:3], 0 offset:440
	buffer_load_dword v130, off, s[0:3], 0 offset:444
	s_waitcnt vmcnt(28) lgkmcnt(0)
	v_fma_f64 v[119:120], v[131:132], v[119:120], v[127:128]
	s_clause 0x1
	buffer_load_dword v128, off, s[0:3], 0 offset:452
	buffer_load_dword v127, off, s[0:3], 0 offset:448
	s_waitcnt vmcnt(28)
	v_fma_f64 v[131:132], v[133:134], v[121:122], v[119:120]
	ds_read2_b64 v[119:122], v118 offset0:101 offset1:102
	s_clause 0x1
	buffer_load_dword v133, off, s[0:3], 0 offset:456
	buffer_load_dword v134, off, s[0:3], 0 offset:460
	s_waitcnt vmcnt(28) lgkmcnt(0)
	v_fma_f64 v[119:120], v[135:136], v[119:120], v[131:132]
	s_clause 0x1
	buffer_load_dword v131, off, s[0:3], 0 offset:288
	buffer_load_dword v132, off, s[0:3], 0 offset:292
	s_waitcnt vmcnt(28)
	v_fma_f64 v[135:136], v[137:138], v[121:122], v[119:120]
	ds_read2_b64 v[119:122], v118 offset0:103 offset1:104
	s_waitcnt vmcnt(26) lgkmcnt(0)
	v_fma_f64 v[119:120], v[139:140], v[119:120], v[135:136]
	s_waitcnt vmcnt(24)
	v_fma_f64 v[135:136], v[141:142], v[121:122], v[119:120]
	ds_read2_b64 v[119:122], v118 offset0:105 offset1:106
	s_waitcnt vmcnt(22) lgkmcnt(0)
	v_fma_f64 v[119:120], v[143:144], v[119:120], v[135:136]
	s_waitcnt vmcnt(20)
	v_fma_f64 v[135:136], v[145:146], v[121:122], v[119:120]
	ds_read2_b64 v[119:122], v118 offset0:107 offset1:108
	s_waitcnt vmcnt(18) lgkmcnt(0)
	v_fma_f64 v[119:120], v[147:148], v[119:120], v[135:136]
	s_waitcnt vmcnt(16)
	v_fma_f64 v[135:136], v[149:150], v[121:122], v[119:120]
	ds_read2_b64 v[119:122], v118 offset0:109 offset1:110
	s_waitcnt vmcnt(14) lgkmcnt(0)
	v_fma_f64 v[119:120], v[151:152], v[119:120], v[135:136]
	s_waitcnt vmcnt(12)
	v_fma_f64 v[123:124], v[123:124], v[121:122], v[119:120]
	ds_read2_b64 v[119:122], v118 offset0:111 offset1:112
	s_waitcnt vmcnt(10) lgkmcnt(0)
	v_fma_f64 v[119:120], v[153:154], v[119:120], v[123:124]
	s_waitcnt vmcnt(8)
	v_fma_f64 v[123:124], v[125:126], v[121:122], v[119:120]
	ds_read2_b64 v[119:122], v118 offset0:113 offset1:114
	s_waitcnt vmcnt(6) lgkmcnt(0)
	v_fma_f64 v[119:120], v[129:130], v[119:120], v[123:124]
	s_waitcnt vmcnt(4)
	v_fma_f64 v[119:120], v[127:128], v[121:122], v[119:120]
	ds_read_b64 v[121:122], v118 offset:920
	s_waitcnt vmcnt(2) lgkmcnt(0)
	v_fma_f64 v[119:120], v[133:134], v[121:122], v[119:120]
	s_waitcnt vmcnt(0)
	v_add_f64 v[119:120], v[131:132], -v[119:120]
	buffer_store_dword v120, off, s[0:3], 0 offset:292
	buffer_store_dword v119, off, s[0:3], 0 offset:288
	v_cmpx_lt_u32_e32 35, v0
	s_cbranch_execz .LBB57_287
; %bb.286:
	s_clause 0x1
	buffer_load_dword v119, off, s[0:3], 0 offset:280
	buffer_load_dword v120, off, s[0:3], 0 offset:284
	buffer_store_dword v118, off, s[0:3], 0 offset:280
	buffer_store_dword v118, off, s[0:3], 0 offset:284
	s_waitcnt vmcnt(0)
	ds_write_b64 v117, v[119:120]
.LBB57_287:
	s_or_b32 exec_lo, exec_lo, s4
	s_waitcnt lgkmcnt(0)
	s_waitcnt_vscnt null, 0x0
	s_barrier
	buffer_gl0_inv
	s_clause 0x1b
	buffer_load_dword v123, off, s[0:3], 0 offset:288
	buffer_load_dword v124, off, s[0:3], 0 offset:292
	;; [unrolled: 1-line block ×28, first 2 shown]
	ds_read_b128 v[119:122], v118 offset:752
	s_clause 0x1
	buffer_load_dword v151, off, s[0:3], 0 offset:400
	buffer_load_dword v152, off, s[0:3], 0 offset:404
	s_mov_b32 s4, exec_lo
	s_waitcnt vmcnt(28) lgkmcnt(0)
	v_fma_f64 v[119:120], v[123:124], v[119:120], 0
	s_clause 0x1
	buffer_load_dword v124, off, s[0:3], 0 offset:412
	buffer_load_dword v123, off, s[0:3], 0 offset:408
	s_waitcnt vmcnt(28)
	v_fma_f64 v[125:126], v[125:126], v[121:122], v[119:120]
	ds_read_b128 v[119:122], v118 offset:768
	s_clause 0x1
	buffer_load_dword v153, off, s[0:3], 0 offset:416
	buffer_load_dword v154, off, s[0:3], 0 offset:420
	s_waitcnt vmcnt(28) lgkmcnt(0)
	v_fma_f64 v[119:120], v[127:128], v[119:120], v[125:126]
	s_clause 0x1
	buffer_load_dword v125, off, s[0:3], 0 offset:424
	buffer_load_dword v126, off, s[0:3], 0 offset:428
	s_waitcnt vmcnt(28)
	v_fma_f64 v[127:128], v[129:130], v[121:122], v[119:120]
	ds_read_b128 v[119:122], v118 offset:784
	s_clause 0x1
	buffer_load_dword v129, off, s[0:3], 0 offset:432
	buffer_load_dword v130, off, s[0:3], 0 offset:436
	;; [unrolled: 11-line block ×4, first 2 shown]
	s_waitcnt vmcnt(28) lgkmcnt(0)
	v_fma_f64 v[119:120], v[139:140], v[119:120], v[135:136]
	s_waitcnt vmcnt(26)
	v_fma_f64 v[135:136], v[141:142], v[121:122], v[119:120]
	ds_read_b128 v[119:122], v118 offset:832
	s_waitcnt vmcnt(24) lgkmcnt(0)
	v_fma_f64 v[119:120], v[143:144], v[119:120], v[135:136]
	s_waitcnt vmcnt(22)
	v_fma_f64 v[135:136], v[145:146], v[121:122], v[119:120]
	ds_read_b128 v[119:122], v118 offset:848
	;; [unrolled: 5-line block ×6, first 2 shown]
	s_waitcnt vmcnt(4) lgkmcnt(0)
	v_fma_f64 v[118:119], v[133:134], v[118:119], v[122:123]
	s_waitcnt vmcnt(2)
	v_fma_f64 v[118:119], v[131:132], v[120:121], v[118:119]
	s_waitcnt vmcnt(0)
	v_add_f64 v[118:119], v[137:138], -v[118:119]
	buffer_store_dword v119, off, s[0:3], 0 offset:284
	buffer_store_dword v118, off, s[0:3], 0 offset:280
	v_cmpx_lt_u32_e32 34, v0
	s_cbranch_execz .LBB57_289
; %bb.288:
	s_clause 0x1
	buffer_load_dword v118, off, s[0:3], 0 offset:272
	buffer_load_dword v119, off, s[0:3], 0 offset:276
	v_mov_b32_e32 v120, 0
	buffer_store_dword v120, off, s[0:3], 0 offset:272
	buffer_store_dword v120, off, s[0:3], 0 offset:276
	s_waitcnt vmcnt(0)
	ds_write_b64 v117, v[118:119]
.LBB57_289:
	s_or_b32 exec_lo, exec_lo, s4
	s_waitcnt lgkmcnt(0)
	s_waitcnt_vscnt null, 0x0
	s_barrier
	buffer_gl0_inv
	s_clause 0x1b
	buffer_load_dword v123, off, s[0:3], 0 offset:280
	buffer_load_dword v124, off, s[0:3], 0 offset:284
	;; [unrolled: 1-line block ×28, first 2 shown]
	v_mov_b32_e32 v118, 0
	s_mov_b32 s4, exec_lo
	ds_read2_b64 v[119:122], v118 offset0:93 offset1:94
	s_clause 0x1
	buffer_load_dword v151, off, s[0:3], 0 offset:392
	buffer_load_dword v152, off, s[0:3], 0 offset:396
	s_waitcnt vmcnt(28) lgkmcnt(0)
	v_fma_f64 v[119:120], v[123:124], v[119:120], 0
	s_clause 0x1
	buffer_load_dword v124, off, s[0:3], 0 offset:404
	buffer_load_dword v123, off, s[0:3], 0 offset:400
	s_waitcnt vmcnt(28)
	v_fma_f64 v[125:126], v[125:126], v[121:122], v[119:120]
	ds_read2_b64 v[119:122], v118 offset0:95 offset1:96
	s_clause 0x1
	buffer_load_dword v153, off, s[0:3], 0 offset:408
	buffer_load_dword v154, off, s[0:3], 0 offset:412
	s_waitcnt vmcnt(28) lgkmcnt(0)
	v_fma_f64 v[119:120], v[127:128], v[119:120], v[125:126]
	s_clause 0x1
	buffer_load_dword v125, off, s[0:3], 0 offset:416
	buffer_load_dword v126, off, s[0:3], 0 offset:420
	s_waitcnt vmcnt(28)
	v_fma_f64 v[127:128], v[129:130], v[121:122], v[119:120]
	;; [unrolled: 11-line block ×5, first 2 shown]
	ds_read2_b64 v[119:122], v118 offset0:103 offset1:104
	s_waitcnt vmcnt(26) lgkmcnt(0)
	v_fma_f64 v[119:120], v[143:144], v[119:120], v[139:140]
	s_waitcnt vmcnt(24)
	v_fma_f64 v[139:140], v[145:146], v[121:122], v[119:120]
	ds_read2_b64 v[119:122], v118 offset0:105 offset1:106
	s_waitcnt vmcnt(22) lgkmcnt(0)
	v_fma_f64 v[119:120], v[147:148], v[119:120], v[139:140]
	s_waitcnt vmcnt(20)
	v_fma_f64 v[139:140], v[149:150], v[121:122], v[119:120]
	ds_read2_b64 v[119:122], v118 offset0:107 offset1:108
	s_waitcnt vmcnt(18) lgkmcnt(0)
	v_fma_f64 v[119:120], v[151:152], v[119:120], v[139:140]
	s_waitcnt vmcnt(16)
	v_fma_f64 v[123:124], v[123:124], v[121:122], v[119:120]
	ds_read2_b64 v[119:122], v118 offset0:109 offset1:110
	s_waitcnt vmcnt(14) lgkmcnt(0)
	v_fma_f64 v[119:120], v[153:154], v[119:120], v[123:124]
	s_waitcnt vmcnt(12)
	v_fma_f64 v[123:124], v[125:126], v[121:122], v[119:120]
	ds_read2_b64 v[119:122], v118 offset0:111 offset1:112
	s_waitcnt vmcnt(10) lgkmcnt(0)
	v_fma_f64 v[119:120], v[129:130], v[119:120], v[123:124]
	s_waitcnt vmcnt(8)
	v_fma_f64 v[123:124], v[127:128], v[121:122], v[119:120]
	ds_read2_b64 v[119:122], v118 offset0:113 offset1:114
	s_waitcnt vmcnt(6) lgkmcnt(0)
	v_fma_f64 v[119:120], v[133:134], v[119:120], v[123:124]
	s_waitcnt vmcnt(4)
	v_fma_f64 v[119:120], v[131:132], v[121:122], v[119:120]
	ds_read_b64 v[121:122], v118 offset:920
	s_waitcnt vmcnt(2) lgkmcnt(0)
	v_fma_f64 v[119:120], v[137:138], v[121:122], v[119:120]
	s_waitcnt vmcnt(0)
	v_add_f64 v[119:120], v[135:136], -v[119:120]
	buffer_store_dword v120, off, s[0:3], 0 offset:276
	buffer_store_dword v119, off, s[0:3], 0 offset:272
	v_cmpx_lt_u32_e32 33, v0
	s_cbranch_execz .LBB57_291
; %bb.290:
	s_clause 0x1
	buffer_load_dword v119, off, s[0:3], 0 offset:264
	buffer_load_dword v120, off, s[0:3], 0 offset:268
	buffer_store_dword v118, off, s[0:3], 0 offset:264
	buffer_store_dword v118, off, s[0:3], 0 offset:268
	s_waitcnt vmcnt(0)
	ds_write_b64 v117, v[119:120]
.LBB57_291:
	s_or_b32 exec_lo, exec_lo, s4
	s_waitcnt lgkmcnt(0)
	s_waitcnt_vscnt null, 0x0
	s_barrier
	buffer_gl0_inv
	s_clause 0x1b
	buffer_load_dword v123, off, s[0:3], 0 offset:272
	buffer_load_dword v124, off, s[0:3], 0 offset:276
	;; [unrolled: 1-line block ×28, first 2 shown]
	ds_read_b128 v[119:122], v118 offset:736
	s_clause 0x1
	buffer_load_dword v151, off, s[0:3], 0 offset:384
	buffer_load_dword v152, off, s[0:3], 0 offset:388
	s_mov_b32 s4, exec_lo
	s_waitcnt vmcnt(28) lgkmcnt(0)
	v_fma_f64 v[119:120], v[123:124], v[119:120], 0
	s_clause 0x1
	buffer_load_dword v124, off, s[0:3], 0 offset:396
	buffer_load_dword v123, off, s[0:3], 0 offset:392
	s_waitcnt vmcnt(28)
	v_fma_f64 v[125:126], v[125:126], v[121:122], v[119:120]
	ds_read_b128 v[119:122], v118 offset:752
	s_clause 0x1
	buffer_load_dword v153, off, s[0:3], 0 offset:400
	buffer_load_dword v154, off, s[0:3], 0 offset:404
	s_waitcnt vmcnt(28) lgkmcnt(0)
	v_fma_f64 v[119:120], v[127:128], v[119:120], v[125:126]
	s_clause 0x1
	buffer_load_dword v125, off, s[0:3], 0 offset:408
	buffer_load_dword v126, off, s[0:3], 0 offset:412
	s_waitcnt vmcnt(28)
	v_fma_f64 v[127:128], v[129:130], v[121:122], v[119:120]
	ds_read_b128 v[119:122], v118 offset:768
	s_clause 0x1
	buffer_load_dword v129, off, s[0:3], 0 offset:416
	buffer_load_dword v130, off, s[0:3], 0 offset:420
	;; [unrolled: 11-line block ×5, first 2 shown]
	s_waitcnt vmcnt(28) lgkmcnt(0)
	v_fma_f64 v[119:120], v[143:144], v[119:120], v[139:140]
	s_waitcnt vmcnt(26)
	v_fma_f64 v[139:140], v[145:146], v[121:122], v[119:120]
	ds_read_b128 v[119:122], v118 offset:832
	s_waitcnt vmcnt(24) lgkmcnt(0)
	v_fma_f64 v[119:120], v[147:148], v[119:120], v[139:140]
	s_waitcnt vmcnt(22)
	v_fma_f64 v[139:140], v[149:150], v[121:122], v[119:120]
	ds_read_b128 v[119:122], v118 offset:848
	s_waitcnt vmcnt(20) lgkmcnt(0)
	v_fma_f64 v[119:120], v[151:152], v[119:120], v[139:140]
	s_waitcnt vmcnt(18)
	v_fma_f64 v[123:124], v[123:124], v[121:122], v[119:120]
	ds_read_b128 v[119:122], v118 offset:864
	s_waitcnt vmcnt(16) lgkmcnt(0)
	v_fma_f64 v[119:120], v[153:154], v[119:120], v[123:124]
	s_waitcnt vmcnt(14)
	v_fma_f64 v[123:124], v[125:126], v[121:122], v[119:120]
	ds_read_b128 v[119:122], v118 offset:880
	s_waitcnt vmcnt(12) lgkmcnt(0)
	v_fma_f64 v[119:120], v[129:130], v[119:120], v[123:124]
	s_waitcnt vmcnt(10)
	v_fma_f64 v[123:124], v[127:128], v[121:122], v[119:120]
	ds_read_b128 v[119:122], v118 offset:896
	s_waitcnt vmcnt(8) lgkmcnt(0)
	v_fma_f64 v[119:120], v[133:134], v[119:120], v[123:124]
	s_waitcnt vmcnt(6)
	v_fma_f64 v[122:123], v[131:132], v[121:122], v[119:120]
	ds_read_b128 v[118:121], v118 offset:912
	s_waitcnt vmcnt(4) lgkmcnt(0)
	v_fma_f64 v[118:119], v[137:138], v[118:119], v[122:123]
	s_waitcnt vmcnt(2)
	v_fma_f64 v[118:119], v[135:136], v[120:121], v[118:119]
	s_waitcnt vmcnt(0)
	v_add_f64 v[118:119], v[141:142], -v[118:119]
	buffer_store_dword v119, off, s[0:3], 0 offset:268
	buffer_store_dword v118, off, s[0:3], 0 offset:264
	v_cmpx_lt_u32_e32 32, v0
	s_cbranch_execz .LBB57_293
; %bb.292:
	s_clause 0x1
	buffer_load_dword v118, off, s[0:3], 0 offset:256
	buffer_load_dword v119, off, s[0:3], 0 offset:260
	v_mov_b32_e32 v120, 0
	buffer_store_dword v120, off, s[0:3], 0 offset:256
	buffer_store_dword v120, off, s[0:3], 0 offset:260
	s_waitcnt vmcnt(0)
	ds_write_b64 v117, v[118:119]
.LBB57_293:
	s_or_b32 exec_lo, exec_lo, s4
	s_waitcnt lgkmcnt(0)
	s_waitcnt_vscnt null, 0x0
	s_barrier
	buffer_gl0_inv
	s_clause 0x1b
	buffer_load_dword v123, off, s[0:3], 0 offset:264
	buffer_load_dword v124, off, s[0:3], 0 offset:268
	;; [unrolled: 1-line block ×28, first 2 shown]
	v_mov_b32_e32 v118, 0
	s_mov_b32 s4, exec_lo
	ds_read2_b64 v[119:122], v118 offset0:91 offset1:92
	s_clause 0x1
	buffer_load_dword v151, off, s[0:3], 0 offset:376
	buffer_load_dword v152, off, s[0:3], 0 offset:380
	s_waitcnt vmcnt(28) lgkmcnt(0)
	v_fma_f64 v[119:120], v[123:124], v[119:120], 0
	s_clause 0x1
	buffer_load_dword v124, off, s[0:3], 0 offset:388
	buffer_load_dword v123, off, s[0:3], 0 offset:384
	s_waitcnt vmcnt(28)
	v_fma_f64 v[125:126], v[125:126], v[121:122], v[119:120]
	ds_read2_b64 v[119:122], v118 offset0:93 offset1:94
	s_clause 0x1
	buffer_load_dword v153, off, s[0:3], 0 offset:392
	buffer_load_dword v154, off, s[0:3], 0 offset:396
	s_waitcnt vmcnt(28) lgkmcnt(0)
	v_fma_f64 v[119:120], v[127:128], v[119:120], v[125:126]
	s_clause 0x1
	buffer_load_dword v125, off, s[0:3], 0 offset:400
	buffer_load_dword v126, off, s[0:3], 0 offset:404
	s_waitcnt vmcnt(28)
	v_fma_f64 v[127:128], v[129:130], v[121:122], v[119:120]
	;; [unrolled: 11-line block ×6, first 2 shown]
	ds_read2_b64 v[119:122], v118 offset0:103 offset1:104
	s_waitcnt vmcnt(26) lgkmcnt(0)
	v_fma_f64 v[119:120], v[147:148], v[119:120], v[143:144]
	s_waitcnt vmcnt(24)
	v_fma_f64 v[143:144], v[149:150], v[121:122], v[119:120]
	ds_read2_b64 v[119:122], v118 offset0:105 offset1:106
	s_waitcnt vmcnt(22) lgkmcnt(0)
	v_fma_f64 v[119:120], v[151:152], v[119:120], v[143:144]
	s_waitcnt vmcnt(20)
	v_fma_f64 v[123:124], v[123:124], v[121:122], v[119:120]
	;; [unrolled: 5-line block ×6, first 2 shown]
	ds_read_b64 v[121:122], v118 offset:920
	s_waitcnt vmcnt(2) lgkmcnt(0)
	v_fma_f64 v[119:120], v[141:142], v[121:122], v[119:120]
	s_waitcnt vmcnt(0)
	v_add_f64 v[119:120], v[139:140], -v[119:120]
	buffer_store_dword v120, off, s[0:3], 0 offset:260
	buffer_store_dword v119, off, s[0:3], 0 offset:256
	v_cmpx_lt_u32_e32 31, v0
	s_cbranch_execz .LBB57_295
; %bb.294:
	s_clause 0x1
	buffer_load_dword v119, off, s[0:3], 0 offset:248
	buffer_load_dword v120, off, s[0:3], 0 offset:252
	buffer_store_dword v118, off, s[0:3], 0 offset:248
	buffer_store_dword v118, off, s[0:3], 0 offset:252
	s_waitcnt vmcnt(0)
	ds_write_b64 v117, v[119:120]
.LBB57_295:
	s_or_b32 exec_lo, exec_lo, s4
	s_waitcnt lgkmcnt(0)
	s_waitcnt_vscnt null, 0x0
	s_barrier
	buffer_gl0_inv
	s_clause 0x1b
	buffer_load_dword v123, off, s[0:3], 0 offset:256
	buffer_load_dword v124, off, s[0:3], 0 offset:260
	;; [unrolled: 1-line block ×28, first 2 shown]
	ds_read_b128 v[119:122], v118 offset:720
	s_clause 0x1
	buffer_load_dword v151, off, s[0:3], 0 offset:368
	buffer_load_dword v152, off, s[0:3], 0 offset:372
	s_mov_b32 s4, exec_lo
	s_waitcnt vmcnt(28) lgkmcnt(0)
	v_fma_f64 v[119:120], v[123:124], v[119:120], 0
	s_clause 0x1
	buffer_load_dword v124, off, s[0:3], 0 offset:380
	buffer_load_dword v123, off, s[0:3], 0 offset:376
	s_waitcnt vmcnt(28)
	v_fma_f64 v[125:126], v[125:126], v[121:122], v[119:120]
	ds_read_b128 v[119:122], v118 offset:736
	s_clause 0x1
	buffer_load_dword v153, off, s[0:3], 0 offset:384
	buffer_load_dword v154, off, s[0:3], 0 offset:388
	s_waitcnt vmcnt(28) lgkmcnt(0)
	v_fma_f64 v[119:120], v[127:128], v[119:120], v[125:126]
	s_clause 0x1
	buffer_load_dword v125, off, s[0:3], 0 offset:392
	buffer_load_dword v126, off, s[0:3], 0 offset:396
	s_waitcnt vmcnt(28)
	v_fma_f64 v[127:128], v[129:130], v[121:122], v[119:120]
	ds_read_b128 v[119:122], v118 offset:752
	s_clause 0x1
	buffer_load_dword v129, off, s[0:3], 0 offset:400
	buffer_load_dword v130, off, s[0:3], 0 offset:404
	;; [unrolled: 11-line block ×6, first 2 shown]
	s_waitcnt vmcnt(28) lgkmcnt(0)
	v_fma_f64 v[119:120], v[147:148], v[119:120], v[143:144]
	s_waitcnt vmcnt(26)
	v_fma_f64 v[143:144], v[149:150], v[121:122], v[119:120]
	ds_read_b128 v[119:122], v118 offset:832
	s_waitcnt vmcnt(24) lgkmcnt(0)
	v_fma_f64 v[119:120], v[151:152], v[119:120], v[143:144]
	s_waitcnt vmcnt(22)
	v_fma_f64 v[123:124], v[123:124], v[121:122], v[119:120]
	ds_read_b128 v[119:122], v118 offset:848
	;; [unrolled: 5-line block ×6, first 2 shown]
	s_waitcnt vmcnt(4) lgkmcnt(0)
	v_fma_f64 v[118:119], v[141:142], v[118:119], v[122:123]
	s_waitcnt vmcnt(2)
	v_fma_f64 v[118:119], v[139:140], v[120:121], v[118:119]
	s_waitcnt vmcnt(0)
	v_add_f64 v[118:119], v[145:146], -v[118:119]
	buffer_store_dword v119, off, s[0:3], 0 offset:252
	buffer_store_dword v118, off, s[0:3], 0 offset:248
	v_cmpx_lt_u32_e32 30, v0
	s_cbranch_execz .LBB57_297
; %bb.296:
	s_clause 0x1
	buffer_load_dword v118, off, s[0:3], 0 offset:240
	buffer_load_dword v119, off, s[0:3], 0 offset:244
	v_mov_b32_e32 v120, 0
	buffer_store_dword v120, off, s[0:3], 0 offset:240
	buffer_store_dword v120, off, s[0:3], 0 offset:244
	s_waitcnt vmcnt(0)
	ds_write_b64 v117, v[118:119]
.LBB57_297:
	s_or_b32 exec_lo, exec_lo, s4
	s_waitcnt lgkmcnt(0)
	s_waitcnt_vscnt null, 0x0
	s_barrier
	buffer_gl0_inv
	s_clause 0x1b
	buffer_load_dword v123, off, s[0:3], 0 offset:248
	buffer_load_dword v124, off, s[0:3], 0 offset:252
	;; [unrolled: 1-line block ×28, first 2 shown]
	v_mov_b32_e32 v118, 0
	s_mov_b32 s4, exec_lo
	ds_read2_b64 v[119:122], v118 offset0:89 offset1:90
	s_clause 0x1
	buffer_load_dword v151, off, s[0:3], 0 offset:360
	buffer_load_dword v152, off, s[0:3], 0 offset:364
	s_waitcnt vmcnt(28) lgkmcnt(0)
	v_fma_f64 v[119:120], v[123:124], v[119:120], 0
	s_clause 0x1
	buffer_load_dword v124, off, s[0:3], 0 offset:372
	buffer_load_dword v123, off, s[0:3], 0 offset:368
	s_waitcnt vmcnt(28)
	v_fma_f64 v[125:126], v[125:126], v[121:122], v[119:120]
	ds_read2_b64 v[119:122], v118 offset0:91 offset1:92
	s_clause 0x1
	buffer_load_dword v153, off, s[0:3], 0 offset:376
	buffer_load_dword v154, off, s[0:3], 0 offset:380
	s_waitcnt vmcnt(28) lgkmcnt(0)
	v_fma_f64 v[119:120], v[127:128], v[119:120], v[125:126]
	s_clause 0x1
	buffer_load_dword v125, off, s[0:3], 0 offset:384
	buffer_load_dword v126, off, s[0:3], 0 offset:388
	s_waitcnt vmcnt(28)
	v_fma_f64 v[127:128], v[129:130], v[121:122], v[119:120]
	;; [unrolled: 11-line block ×7, first 2 shown]
	ds_read2_b64 v[119:122], v118 offset0:103 offset1:104
	s_waitcnt vmcnt(26) lgkmcnt(0)
	v_fma_f64 v[119:120], v[151:152], v[119:120], v[147:148]
	s_waitcnt vmcnt(24)
	v_fma_f64 v[123:124], v[123:124], v[121:122], v[119:120]
	ds_read2_b64 v[119:122], v118 offset0:105 offset1:106
	s_waitcnt vmcnt(22) lgkmcnt(0)
	v_fma_f64 v[119:120], v[153:154], v[119:120], v[123:124]
	s_waitcnt vmcnt(20)
	v_fma_f64 v[123:124], v[125:126], v[121:122], v[119:120]
	;; [unrolled: 5-line block ×6, first 2 shown]
	ds_read_b64 v[121:122], v118 offset:920
	s_waitcnt vmcnt(2) lgkmcnt(0)
	v_fma_f64 v[119:120], v[145:146], v[121:122], v[119:120]
	s_waitcnt vmcnt(0)
	v_add_f64 v[119:120], v[143:144], -v[119:120]
	buffer_store_dword v120, off, s[0:3], 0 offset:244
	buffer_store_dword v119, off, s[0:3], 0 offset:240
	v_cmpx_lt_u32_e32 29, v0
	s_cbranch_execz .LBB57_299
; %bb.298:
	s_clause 0x1
	buffer_load_dword v119, off, s[0:3], 0 offset:232
	buffer_load_dword v120, off, s[0:3], 0 offset:236
	buffer_store_dword v118, off, s[0:3], 0 offset:232
	buffer_store_dword v118, off, s[0:3], 0 offset:236
	s_waitcnt vmcnt(0)
	ds_write_b64 v117, v[119:120]
.LBB57_299:
	s_or_b32 exec_lo, exec_lo, s4
	s_waitcnt lgkmcnt(0)
	s_waitcnt_vscnt null, 0x0
	s_barrier
	buffer_gl0_inv
	s_clause 0x1b
	buffer_load_dword v123, off, s[0:3], 0 offset:240
	buffer_load_dword v124, off, s[0:3], 0 offset:244
	;; [unrolled: 1-line block ×28, first 2 shown]
	ds_read_b128 v[119:122], v118 offset:704
	s_clause 0x1
	buffer_load_dword v151, off, s[0:3], 0 offset:352
	buffer_load_dword v152, off, s[0:3], 0 offset:356
	s_mov_b32 s4, exec_lo
	s_waitcnt vmcnt(28) lgkmcnt(0)
	v_fma_f64 v[119:120], v[123:124], v[119:120], 0
	s_clause 0x1
	buffer_load_dword v124, off, s[0:3], 0 offset:364
	buffer_load_dword v123, off, s[0:3], 0 offset:360
	s_waitcnt vmcnt(28)
	v_fma_f64 v[125:126], v[125:126], v[121:122], v[119:120]
	ds_read_b128 v[119:122], v118 offset:720
	s_clause 0x1
	buffer_load_dword v153, off, s[0:3], 0 offset:368
	buffer_load_dword v154, off, s[0:3], 0 offset:372
	s_waitcnt vmcnt(28) lgkmcnt(0)
	v_fma_f64 v[119:120], v[127:128], v[119:120], v[125:126]
	s_clause 0x1
	buffer_load_dword v125, off, s[0:3], 0 offset:376
	buffer_load_dword v126, off, s[0:3], 0 offset:380
	s_waitcnt vmcnt(28)
	v_fma_f64 v[127:128], v[129:130], v[121:122], v[119:120]
	ds_read_b128 v[119:122], v118 offset:736
	s_clause 0x1
	buffer_load_dword v129, off, s[0:3], 0 offset:384
	buffer_load_dword v130, off, s[0:3], 0 offset:388
	;; [unrolled: 11-line block ×7, first 2 shown]
	s_waitcnt vmcnt(28) lgkmcnt(0)
	v_fma_f64 v[119:120], v[151:152], v[119:120], v[147:148]
	s_waitcnt vmcnt(26)
	v_fma_f64 v[123:124], v[123:124], v[121:122], v[119:120]
	ds_read_b128 v[119:122], v118 offset:832
	s_waitcnt vmcnt(24) lgkmcnt(0)
	v_fma_f64 v[119:120], v[153:154], v[119:120], v[123:124]
	s_waitcnt vmcnt(22)
	v_fma_f64 v[123:124], v[125:126], v[121:122], v[119:120]
	ds_read_b128 v[119:122], v118 offset:848
	s_waitcnt vmcnt(20) lgkmcnt(0)
	v_fma_f64 v[119:120], v[129:130], v[119:120], v[123:124]
	s_waitcnt vmcnt(18)
	v_fma_f64 v[123:124], v[127:128], v[121:122], v[119:120]
	ds_read_b128 v[119:122], v118 offset:864
	s_waitcnt vmcnt(16) lgkmcnt(0)
	v_fma_f64 v[119:120], v[133:134], v[119:120], v[123:124]
	s_waitcnt vmcnt(14)
	v_fma_f64 v[123:124], v[131:132], v[121:122], v[119:120]
	ds_read_b128 v[119:122], v118 offset:880
	s_waitcnt vmcnt(12) lgkmcnt(0)
	v_fma_f64 v[119:120], v[137:138], v[119:120], v[123:124]
	s_waitcnt vmcnt(10)
	v_fma_f64 v[123:124], v[135:136], v[121:122], v[119:120]
	ds_read_b128 v[119:122], v118 offset:896
	s_waitcnt vmcnt(8) lgkmcnt(0)
	v_fma_f64 v[119:120], v[141:142], v[119:120], v[123:124]
	s_waitcnt vmcnt(6)
	v_fma_f64 v[122:123], v[139:140], v[121:122], v[119:120]
	ds_read_b128 v[118:121], v118 offset:912
	s_waitcnt vmcnt(4) lgkmcnt(0)
	v_fma_f64 v[118:119], v[145:146], v[118:119], v[122:123]
	s_waitcnt vmcnt(2)
	v_fma_f64 v[118:119], v[143:144], v[120:121], v[118:119]
	s_waitcnt vmcnt(0)
	v_add_f64 v[118:119], v[149:150], -v[118:119]
	buffer_store_dword v119, off, s[0:3], 0 offset:236
	buffer_store_dword v118, off, s[0:3], 0 offset:232
	v_cmpx_lt_u32_e32 28, v0
	s_cbranch_execz .LBB57_301
; %bb.300:
	s_clause 0x1
	buffer_load_dword v118, off, s[0:3], 0 offset:224
	buffer_load_dword v119, off, s[0:3], 0 offset:228
	v_mov_b32_e32 v120, 0
	buffer_store_dword v120, off, s[0:3], 0 offset:224
	buffer_store_dword v120, off, s[0:3], 0 offset:228
	s_waitcnt vmcnt(0)
	ds_write_b64 v117, v[118:119]
.LBB57_301:
	s_or_b32 exec_lo, exec_lo, s4
	s_waitcnt lgkmcnt(0)
	s_waitcnt_vscnt null, 0x0
	s_barrier
	buffer_gl0_inv
	s_clause 0x1b
	buffer_load_dword v123, off, s[0:3], 0 offset:232
	buffer_load_dword v124, off, s[0:3], 0 offset:236
	;; [unrolled: 1-line block ×28, first 2 shown]
	v_mov_b32_e32 v118, 0
	s_mov_b32 s4, exec_lo
	ds_read2_b64 v[119:122], v118 offset0:87 offset1:88
	s_clause 0x1
	buffer_load_dword v151, off, s[0:3], 0 offset:344
	buffer_load_dword v152, off, s[0:3], 0 offset:348
	s_waitcnt vmcnt(28) lgkmcnt(0)
	v_fma_f64 v[119:120], v[123:124], v[119:120], 0
	s_clause 0x1
	buffer_load_dword v124, off, s[0:3], 0 offset:356
	buffer_load_dword v123, off, s[0:3], 0 offset:352
	s_waitcnt vmcnt(28)
	v_fma_f64 v[125:126], v[125:126], v[121:122], v[119:120]
	ds_read2_b64 v[119:122], v118 offset0:89 offset1:90
	s_clause 0x1
	buffer_load_dword v153, off, s[0:3], 0 offset:360
	buffer_load_dword v154, off, s[0:3], 0 offset:364
	s_waitcnt vmcnt(28) lgkmcnt(0)
	v_fma_f64 v[119:120], v[127:128], v[119:120], v[125:126]
	s_clause 0x1
	buffer_load_dword v125, off, s[0:3], 0 offset:368
	buffer_load_dword v126, off, s[0:3], 0 offset:372
	s_waitcnt vmcnt(28)
	v_fma_f64 v[127:128], v[129:130], v[121:122], v[119:120]
	;; [unrolled: 11-line block ×8, first 2 shown]
	ds_read2_b64 v[119:122], v118 offset0:103 offset1:104
	s_waitcnt vmcnt(26) lgkmcnt(0)
	v_fma_f64 v[119:120], v[153:154], v[119:120], v[123:124]
	s_waitcnt vmcnt(24)
	v_fma_f64 v[123:124], v[125:126], v[121:122], v[119:120]
	ds_read2_b64 v[119:122], v118 offset0:105 offset1:106
	s_waitcnt vmcnt(22) lgkmcnt(0)
	v_fma_f64 v[119:120], v[129:130], v[119:120], v[123:124]
	s_waitcnt vmcnt(20)
	v_fma_f64 v[123:124], v[127:128], v[121:122], v[119:120]
	;; [unrolled: 5-line block ×6, first 2 shown]
	ds_read_b64 v[121:122], v118 offset:920
	s_waitcnt vmcnt(2) lgkmcnt(0)
	v_fma_f64 v[119:120], v[149:150], v[121:122], v[119:120]
	s_waitcnt vmcnt(0)
	v_add_f64 v[119:120], v[147:148], -v[119:120]
	buffer_store_dword v120, off, s[0:3], 0 offset:228
	buffer_store_dword v119, off, s[0:3], 0 offset:224
	v_cmpx_lt_u32_e32 27, v0
	s_cbranch_execz .LBB57_303
; %bb.302:
	s_clause 0x1
	buffer_load_dword v119, off, s[0:3], 0 offset:216
	buffer_load_dword v120, off, s[0:3], 0 offset:220
	buffer_store_dword v118, off, s[0:3], 0 offset:216
	buffer_store_dword v118, off, s[0:3], 0 offset:220
	s_waitcnt vmcnt(0)
	ds_write_b64 v117, v[119:120]
.LBB57_303:
	s_or_b32 exec_lo, exec_lo, s4
	s_waitcnt lgkmcnt(0)
	s_waitcnt_vscnt null, 0x0
	s_barrier
	buffer_gl0_inv
	s_clause 0x1b
	buffer_load_dword v123, off, s[0:3], 0 offset:224
	buffer_load_dword v124, off, s[0:3], 0 offset:228
	;; [unrolled: 1-line block ×28, first 2 shown]
	ds_read_b128 v[119:122], v118 offset:688
	s_clause 0x1
	buffer_load_dword v151, off, s[0:3], 0 offset:336
	buffer_load_dword v152, off, s[0:3], 0 offset:340
	s_mov_b32 s4, exec_lo
	s_waitcnt vmcnt(28) lgkmcnt(0)
	v_fma_f64 v[119:120], v[123:124], v[119:120], 0
	s_clause 0x1
	buffer_load_dword v124, off, s[0:3], 0 offset:348
	buffer_load_dword v123, off, s[0:3], 0 offset:344
	s_waitcnt vmcnt(28)
	v_fma_f64 v[125:126], v[125:126], v[121:122], v[119:120]
	ds_read_b128 v[119:122], v118 offset:704
	s_clause 0x1
	buffer_load_dword v153, off, s[0:3], 0 offset:352
	buffer_load_dword v154, off, s[0:3], 0 offset:356
	s_waitcnt vmcnt(28) lgkmcnt(0)
	v_fma_f64 v[119:120], v[127:128], v[119:120], v[125:126]
	s_clause 0x1
	buffer_load_dword v125, off, s[0:3], 0 offset:360
	buffer_load_dword v126, off, s[0:3], 0 offset:364
	s_waitcnt vmcnt(28)
	v_fma_f64 v[127:128], v[129:130], v[121:122], v[119:120]
	ds_read_b128 v[119:122], v118 offset:720
	s_clause 0x1
	buffer_load_dword v129, off, s[0:3], 0 offset:368
	buffer_load_dword v130, off, s[0:3], 0 offset:372
	;; [unrolled: 11-line block ×8, first 2 shown]
	s_waitcnt vmcnt(28) lgkmcnt(0)
	v_fma_f64 v[119:120], v[153:154], v[119:120], v[123:124]
	s_waitcnt vmcnt(26)
	v_fma_f64 v[123:124], v[125:126], v[121:122], v[119:120]
	ds_read_b128 v[119:122], v118 offset:832
	s_waitcnt vmcnt(24) lgkmcnt(0)
	v_fma_f64 v[119:120], v[129:130], v[119:120], v[123:124]
	s_waitcnt vmcnt(22)
	v_fma_f64 v[123:124], v[127:128], v[121:122], v[119:120]
	ds_read_b128 v[119:122], v118 offset:848
	;; [unrolled: 5-line block ×6, first 2 shown]
	s_waitcnt vmcnt(4) lgkmcnt(0)
	v_fma_f64 v[118:119], v[149:150], v[118:119], v[122:123]
	s_waitcnt vmcnt(2)
	v_fma_f64 v[118:119], v[147:148], v[120:121], v[118:119]
	s_waitcnt vmcnt(0)
	v_add_f64 v[118:119], v[151:152], -v[118:119]
	buffer_store_dword v119, off, s[0:3], 0 offset:220
	buffer_store_dword v118, off, s[0:3], 0 offset:216
	v_cmpx_lt_u32_e32 26, v0
	s_cbranch_execz .LBB57_305
; %bb.304:
	s_clause 0x1
	buffer_load_dword v118, off, s[0:3], 0 offset:208
	buffer_load_dword v119, off, s[0:3], 0 offset:212
	v_mov_b32_e32 v120, 0
	buffer_store_dword v120, off, s[0:3], 0 offset:208
	buffer_store_dword v120, off, s[0:3], 0 offset:212
	s_waitcnt vmcnt(0)
	ds_write_b64 v117, v[118:119]
.LBB57_305:
	s_or_b32 exec_lo, exec_lo, s4
	s_waitcnt lgkmcnt(0)
	s_waitcnt_vscnt null, 0x0
	s_barrier
	buffer_gl0_inv
	s_clause 0x1b
	buffer_load_dword v123, off, s[0:3], 0 offset:216
	buffer_load_dword v124, off, s[0:3], 0 offset:220
	;; [unrolled: 1-line block ×28, first 2 shown]
	v_mov_b32_e32 v118, 0
	s_mov_b32 s4, exec_lo
	ds_read2_b64 v[119:122], v118 offset0:85 offset1:86
	s_clause 0x1
	buffer_load_dword v151, off, s[0:3], 0 offset:328
	buffer_load_dword v152, off, s[0:3], 0 offset:332
	s_waitcnt vmcnt(28) lgkmcnt(0)
	v_fma_f64 v[119:120], v[123:124], v[119:120], 0
	s_clause 0x1
	buffer_load_dword v124, off, s[0:3], 0 offset:340
	buffer_load_dword v123, off, s[0:3], 0 offset:336
	s_waitcnt vmcnt(28)
	v_fma_f64 v[125:126], v[125:126], v[121:122], v[119:120]
	ds_read2_b64 v[119:122], v118 offset0:87 offset1:88
	s_clause 0x1
	buffer_load_dword v153, off, s[0:3], 0 offset:344
	buffer_load_dword v154, off, s[0:3], 0 offset:348
	s_waitcnt vmcnt(28) lgkmcnt(0)
	v_fma_f64 v[119:120], v[127:128], v[119:120], v[125:126]
	s_clause 0x1
	buffer_load_dword v125, off, s[0:3], 0 offset:352
	buffer_load_dword v126, off, s[0:3], 0 offset:356
	s_waitcnt vmcnt(28)
	v_fma_f64 v[127:128], v[129:130], v[121:122], v[119:120]
	;; [unrolled: 11-line block ×9, first 2 shown]
	ds_read2_b64 v[119:122], v118 offset0:103 offset1:104
	s_waitcnt vmcnt(26) lgkmcnt(0)
	v_fma_f64 v[119:120], v[129:130], v[119:120], v[125:126]
	s_waitcnt vmcnt(24)
	v_fma_f64 v[125:126], v[127:128], v[121:122], v[119:120]
	ds_read2_b64 v[119:122], v118 offset0:105 offset1:106
	s_waitcnt vmcnt(22) lgkmcnt(0)
	v_fma_f64 v[119:120], v[133:134], v[119:120], v[125:126]
	s_waitcnt vmcnt(20)
	v_fma_f64 v[125:126], v[131:132], v[121:122], v[119:120]
	;; [unrolled: 5-line block ×6, first 2 shown]
	ds_read_b64 v[121:122], v118 offset:920
	s_waitcnt vmcnt(2) lgkmcnt(0)
	v_fma_f64 v[119:120], v[151:152], v[121:122], v[119:120]
	s_waitcnt vmcnt(0)
	v_add_f64 v[119:120], v[123:124], -v[119:120]
	buffer_store_dword v120, off, s[0:3], 0 offset:212
	buffer_store_dword v119, off, s[0:3], 0 offset:208
	v_cmpx_lt_u32_e32 25, v0
	s_cbranch_execz .LBB57_307
; %bb.306:
	s_clause 0x1
	buffer_load_dword v119, off, s[0:3], 0 offset:200
	buffer_load_dword v120, off, s[0:3], 0 offset:204
	buffer_store_dword v118, off, s[0:3], 0 offset:200
	buffer_store_dword v118, off, s[0:3], 0 offset:204
	s_waitcnt vmcnt(0)
	ds_write_b64 v117, v[119:120]
.LBB57_307:
	s_or_b32 exec_lo, exec_lo, s4
	s_waitcnt lgkmcnt(0)
	s_waitcnt_vscnt null, 0x0
	s_barrier
	buffer_gl0_inv
	s_clause 0x1b
	buffer_load_dword v123, off, s[0:3], 0 offset:208
	buffer_load_dword v124, off, s[0:3], 0 offset:212
	;; [unrolled: 1-line block ×28, first 2 shown]
	ds_read_b128 v[119:122], v118 offset:672
	s_clause 0x1
	buffer_load_dword v151, off, s[0:3], 0 offset:320
	buffer_load_dword v152, off, s[0:3], 0 offset:324
	s_mov_b32 s4, exec_lo
	s_waitcnt vmcnt(28) lgkmcnt(0)
	v_fma_f64 v[119:120], v[123:124], v[119:120], 0
	s_clause 0x1
	buffer_load_dword v124, off, s[0:3], 0 offset:332
	buffer_load_dword v123, off, s[0:3], 0 offset:328
	s_waitcnt vmcnt(28)
	v_fma_f64 v[125:126], v[125:126], v[121:122], v[119:120]
	ds_read_b128 v[119:122], v118 offset:688
	s_clause 0x1
	buffer_load_dword v153, off, s[0:3], 0 offset:336
	buffer_load_dword v154, off, s[0:3], 0 offset:340
	s_waitcnt vmcnt(28) lgkmcnt(0)
	v_fma_f64 v[119:120], v[127:128], v[119:120], v[125:126]
	s_clause 0x1
	buffer_load_dword v125, off, s[0:3], 0 offset:344
	buffer_load_dword v126, off, s[0:3], 0 offset:348
	s_waitcnt vmcnt(28)
	v_fma_f64 v[127:128], v[129:130], v[121:122], v[119:120]
	ds_read_b128 v[119:122], v118 offset:704
	s_clause 0x1
	buffer_load_dword v129, off, s[0:3], 0 offset:352
	buffer_load_dword v130, off, s[0:3], 0 offset:356
	;; [unrolled: 11-line block ×9, first 2 shown]
	s_waitcnt vmcnt(28) lgkmcnt(0)
	v_fma_f64 v[119:120], v[129:130], v[119:120], v[125:126]
	s_waitcnt vmcnt(26)
	v_fma_f64 v[125:126], v[127:128], v[121:122], v[119:120]
	ds_read_b128 v[119:122], v118 offset:832
	s_waitcnt vmcnt(24) lgkmcnt(0)
	v_fma_f64 v[119:120], v[133:134], v[119:120], v[125:126]
	s_waitcnt vmcnt(22)
	v_fma_f64 v[125:126], v[131:132], v[121:122], v[119:120]
	ds_read_b128 v[119:122], v118 offset:848
	;; [unrolled: 5-line block ×6, first 2 shown]
	s_waitcnt vmcnt(4) lgkmcnt(0)
	v_fma_f64 v[118:119], v[151:152], v[118:119], v[125:126]
	s_waitcnt vmcnt(2)
	v_fma_f64 v[118:119], v[123:124], v[120:121], v[118:119]
	s_waitcnt vmcnt(0)
	v_add_f64 v[118:119], v[153:154], -v[118:119]
	buffer_store_dword v119, off, s[0:3], 0 offset:204
	buffer_store_dword v118, off, s[0:3], 0 offset:200
	v_cmpx_lt_u32_e32 24, v0
	s_cbranch_execz .LBB57_309
; %bb.308:
	s_clause 0x1
	buffer_load_dword v118, off, s[0:3], 0 offset:192
	buffer_load_dword v119, off, s[0:3], 0 offset:196
	v_mov_b32_e32 v120, 0
	buffer_store_dword v120, off, s[0:3], 0 offset:192
	buffer_store_dword v120, off, s[0:3], 0 offset:196
	s_waitcnt vmcnt(0)
	ds_write_b64 v117, v[118:119]
.LBB57_309:
	s_or_b32 exec_lo, exec_lo, s4
	s_waitcnt lgkmcnt(0)
	s_waitcnt_vscnt null, 0x0
	s_barrier
	buffer_gl0_inv
	s_clause 0x1b
	buffer_load_dword v123, off, s[0:3], 0 offset:200
	buffer_load_dword v124, off, s[0:3], 0 offset:204
	;; [unrolled: 1-line block ×28, first 2 shown]
	v_mov_b32_e32 v118, 0
	s_mov_b32 s4, exec_lo
	ds_read2_b64 v[119:122], v118 offset0:83 offset1:84
	s_clause 0x1
	buffer_load_dword v151, off, s[0:3], 0 offset:312
	buffer_load_dword v152, off, s[0:3], 0 offset:316
	s_waitcnt vmcnt(28) lgkmcnt(0)
	v_fma_f64 v[119:120], v[123:124], v[119:120], 0
	s_clause 0x1
	buffer_load_dword v124, off, s[0:3], 0 offset:324
	buffer_load_dword v123, off, s[0:3], 0 offset:320
	s_waitcnt vmcnt(28)
	v_fma_f64 v[125:126], v[125:126], v[121:122], v[119:120]
	ds_read2_b64 v[119:122], v118 offset0:85 offset1:86
	s_clause 0x1
	buffer_load_dword v153, off, s[0:3], 0 offset:328
	buffer_load_dword v154, off, s[0:3], 0 offset:332
	s_waitcnt vmcnt(28) lgkmcnt(0)
	v_fma_f64 v[119:120], v[127:128], v[119:120], v[125:126]
	s_clause 0x1
	buffer_load_dword v125, off, s[0:3], 0 offset:336
	buffer_load_dword v126, off, s[0:3], 0 offset:340
	s_waitcnt vmcnt(28)
	v_fma_f64 v[127:128], v[129:130], v[121:122], v[119:120]
	;; [unrolled: 11-line block ×10, first 2 shown]
	ds_read2_b64 v[119:122], v118 offset0:103 offset1:104
	s_waitcnt vmcnt(26) lgkmcnt(0)
	v_fma_f64 v[119:120], v[133:134], v[119:120], v[127:128]
	s_waitcnt vmcnt(24)
	v_fma_f64 v[127:128], v[131:132], v[121:122], v[119:120]
	ds_read2_b64 v[119:122], v118 offset0:105 offset1:106
	s_waitcnt vmcnt(22) lgkmcnt(0)
	v_fma_f64 v[119:120], v[137:138], v[119:120], v[127:128]
	s_waitcnt vmcnt(20)
	v_fma_f64 v[127:128], v[135:136], v[121:122], v[119:120]
	;; [unrolled: 5-line block ×6, first 2 shown]
	ds_read_b64 v[121:122], v118 offset:920
	s_waitcnt vmcnt(2) lgkmcnt(0)
	v_fma_f64 v[119:120], v[153:154], v[121:122], v[119:120]
	s_waitcnt vmcnt(0)
	v_add_f64 v[119:120], v[125:126], -v[119:120]
	buffer_store_dword v120, off, s[0:3], 0 offset:196
	buffer_store_dword v119, off, s[0:3], 0 offset:192
	v_cmpx_lt_u32_e32 23, v0
	s_cbranch_execz .LBB57_311
; %bb.310:
	s_clause 0x1
	buffer_load_dword v119, off, s[0:3], 0 offset:184
	buffer_load_dword v120, off, s[0:3], 0 offset:188
	buffer_store_dword v118, off, s[0:3], 0 offset:184
	buffer_store_dword v118, off, s[0:3], 0 offset:188
	s_waitcnt vmcnt(0)
	ds_write_b64 v117, v[119:120]
.LBB57_311:
	s_or_b32 exec_lo, exec_lo, s4
	s_waitcnt lgkmcnt(0)
	s_waitcnt_vscnt null, 0x0
	s_barrier
	buffer_gl0_inv
	s_clause 0x1b
	buffer_load_dword v123, off, s[0:3], 0 offset:192
	buffer_load_dword v124, off, s[0:3], 0 offset:196
	;; [unrolled: 1-line block ×28, first 2 shown]
	ds_read_b128 v[119:122], v118 offset:656
	s_clause 0x1
	buffer_load_dword v151, off, s[0:3], 0 offset:304
	buffer_load_dword v152, off, s[0:3], 0 offset:308
	s_mov_b32 s4, exec_lo
	s_waitcnt vmcnt(28) lgkmcnt(0)
	v_fma_f64 v[119:120], v[123:124], v[119:120], 0
	s_clause 0x1
	buffer_load_dword v124, off, s[0:3], 0 offset:316
	buffer_load_dword v123, off, s[0:3], 0 offset:312
	s_waitcnt vmcnt(28)
	v_fma_f64 v[125:126], v[125:126], v[121:122], v[119:120]
	ds_read_b128 v[119:122], v118 offset:672
	s_clause 0x1
	buffer_load_dword v153, off, s[0:3], 0 offset:320
	buffer_load_dword v154, off, s[0:3], 0 offset:324
	s_waitcnt vmcnt(28) lgkmcnt(0)
	v_fma_f64 v[119:120], v[127:128], v[119:120], v[125:126]
	s_clause 0x1
	buffer_load_dword v125, off, s[0:3], 0 offset:328
	buffer_load_dword v126, off, s[0:3], 0 offset:332
	s_waitcnt vmcnt(28)
	v_fma_f64 v[127:128], v[129:130], v[121:122], v[119:120]
	ds_read_b128 v[119:122], v118 offset:688
	s_clause 0x1
	buffer_load_dword v129, off, s[0:3], 0 offset:336
	buffer_load_dword v130, off, s[0:3], 0 offset:340
	;; [unrolled: 11-line block ×10, first 2 shown]
	s_waitcnt vmcnt(28) lgkmcnt(0)
	v_fma_f64 v[119:120], v[133:134], v[119:120], v[127:128]
	s_waitcnt vmcnt(26)
	v_fma_f64 v[127:128], v[131:132], v[121:122], v[119:120]
	ds_read_b128 v[119:122], v118 offset:832
	s_waitcnt vmcnt(24) lgkmcnt(0)
	v_fma_f64 v[119:120], v[137:138], v[119:120], v[127:128]
	s_waitcnt vmcnt(22)
	v_fma_f64 v[127:128], v[135:136], v[121:122], v[119:120]
	ds_read_b128 v[119:122], v118 offset:848
	;; [unrolled: 5-line block ×6, first 2 shown]
	s_waitcnt vmcnt(4) lgkmcnt(0)
	v_fma_f64 v[118:119], v[153:154], v[118:119], v[122:123]
	s_waitcnt vmcnt(2)
	v_fma_f64 v[118:119], v[125:126], v[120:121], v[118:119]
	s_waitcnt vmcnt(0)
	v_add_f64 v[118:119], v[129:130], -v[118:119]
	buffer_store_dword v119, off, s[0:3], 0 offset:188
	buffer_store_dword v118, off, s[0:3], 0 offset:184
	v_cmpx_lt_u32_e32 22, v0
	s_cbranch_execz .LBB57_313
; %bb.312:
	s_clause 0x1
	buffer_load_dword v118, off, s[0:3], 0 offset:176
	buffer_load_dword v119, off, s[0:3], 0 offset:180
	v_mov_b32_e32 v120, 0
	buffer_store_dword v120, off, s[0:3], 0 offset:176
	buffer_store_dword v120, off, s[0:3], 0 offset:180
	s_waitcnt vmcnt(0)
	ds_write_b64 v117, v[118:119]
.LBB57_313:
	s_or_b32 exec_lo, exec_lo, s4
	s_waitcnt lgkmcnt(0)
	s_waitcnt_vscnt null, 0x0
	s_barrier
	buffer_gl0_inv
	s_clause 0x1b
	buffer_load_dword v123, off, s[0:3], 0 offset:184
	buffer_load_dword v124, off, s[0:3], 0 offset:188
	;; [unrolled: 1-line block ×28, first 2 shown]
	v_mov_b32_e32 v118, 0
	s_mov_b32 s4, exec_lo
	ds_read2_b64 v[119:122], v118 offset0:81 offset1:82
	s_clause 0x1
	buffer_load_dword v151, off, s[0:3], 0 offset:296
	buffer_load_dword v152, off, s[0:3], 0 offset:300
	s_waitcnt vmcnt(28) lgkmcnt(0)
	v_fma_f64 v[119:120], v[123:124], v[119:120], 0
	s_clause 0x1
	buffer_load_dword v124, off, s[0:3], 0 offset:308
	buffer_load_dword v123, off, s[0:3], 0 offset:304
	s_waitcnt vmcnt(28)
	v_fma_f64 v[125:126], v[125:126], v[121:122], v[119:120]
	ds_read2_b64 v[119:122], v118 offset0:83 offset1:84
	s_clause 0x1
	buffer_load_dword v153, off, s[0:3], 0 offset:312
	buffer_load_dword v154, off, s[0:3], 0 offset:316
	s_waitcnt vmcnt(28) lgkmcnt(0)
	v_fma_f64 v[119:120], v[127:128], v[119:120], v[125:126]
	s_clause 0x1
	buffer_load_dword v125, off, s[0:3], 0 offset:320
	buffer_load_dword v126, off, s[0:3], 0 offset:324
	s_waitcnt vmcnt(28)
	v_fma_f64 v[127:128], v[129:130], v[121:122], v[119:120]
	;; [unrolled: 11-line block ×11, first 2 shown]
	ds_read2_b64 v[119:122], v118 offset0:103 offset1:104
	s_waitcnt vmcnt(26) lgkmcnt(0)
	v_fma_f64 v[119:120], v[137:138], v[119:120], v[131:132]
	s_waitcnt vmcnt(24)
	v_fma_f64 v[131:132], v[135:136], v[121:122], v[119:120]
	ds_read2_b64 v[119:122], v118 offset0:105 offset1:106
	s_waitcnt vmcnt(22) lgkmcnt(0)
	v_fma_f64 v[119:120], v[141:142], v[119:120], v[131:132]
	s_waitcnt vmcnt(20)
	v_fma_f64 v[131:132], v[139:140], v[121:122], v[119:120]
	;; [unrolled: 5-line block ×6, first 2 shown]
	ds_read_b64 v[121:122], v118 offset:920
	s_waitcnt vmcnt(2) lgkmcnt(0)
	v_fma_f64 v[119:120], v[129:130], v[121:122], v[119:120]
	s_waitcnt vmcnt(0)
	v_add_f64 v[119:120], v[127:128], -v[119:120]
	buffer_store_dword v120, off, s[0:3], 0 offset:180
	buffer_store_dword v119, off, s[0:3], 0 offset:176
	v_cmpx_lt_u32_e32 21, v0
	s_cbranch_execz .LBB57_315
; %bb.314:
	s_clause 0x1
	buffer_load_dword v119, off, s[0:3], 0 offset:168
	buffer_load_dword v120, off, s[0:3], 0 offset:172
	buffer_store_dword v118, off, s[0:3], 0 offset:168
	buffer_store_dword v118, off, s[0:3], 0 offset:172
	s_waitcnt vmcnt(0)
	ds_write_b64 v117, v[119:120]
.LBB57_315:
	s_or_b32 exec_lo, exec_lo, s4
	s_waitcnt lgkmcnt(0)
	s_waitcnt_vscnt null, 0x0
	s_barrier
	buffer_gl0_inv
	s_clause 0x1b
	buffer_load_dword v123, off, s[0:3], 0 offset:176
	buffer_load_dword v124, off, s[0:3], 0 offset:180
	;; [unrolled: 1-line block ×28, first 2 shown]
	ds_read_b128 v[119:122], v118 offset:640
	s_clause 0x1
	buffer_load_dword v151, off, s[0:3], 0 offset:288
	buffer_load_dword v152, off, s[0:3], 0 offset:292
	s_mov_b32 s4, exec_lo
	s_waitcnt vmcnt(28) lgkmcnt(0)
	v_fma_f64 v[119:120], v[123:124], v[119:120], 0
	s_clause 0x1
	buffer_load_dword v124, off, s[0:3], 0 offset:300
	buffer_load_dword v123, off, s[0:3], 0 offset:296
	s_waitcnt vmcnt(28)
	v_fma_f64 v[125:126], v[125:126], v[121:122], v[119:120]
	ds_read_b128 v[119:122], v118 offset:656
	s_clause 0x1
	buffer_load_dword v153, off, s[0:3], 0 offset:304
	buffer_load_dword v154, off, s[0:3], 0 offset:308
	s_waitcnt vmcnt(28) lgkmcnt(0)
	v_fma_f64 v[119:120], v[127:128], v[119:120], v[125:126]
	s_clause 0x1
	buffer_load_dword v125, off, s[0:3], 0 offset:312
	buffer_load_dword v126, off, s[0:3], 0 offset:316
	s_waitcnt vmcnt(28)
	v_fma_f64 v[127:128], v[129:130], v[121:122], v[119:120]
	ds_read_b128 v[119:122], v118 offset:672
	s_clause 0x1
	buffer_load_dword v129, off, s[0:3], 0 offset:320
	buffer_load_dword v130, off, s[0:3], 0 offset:324
	;; [unrolled: 11-line block ×11, first 2 shown]
	s_waitcnt vmcnt(28) lgkmcnt(0)
	v_fma_f64 v[119:120], v[137:138], v[119:120], v[131:132]
	s_waitcnt vmcnt(26)
	v_fma_f64 v[131:132], v[135:136], v[121:122], v[119:120]
	ds_read_b128 v[119:122], v118 offset:832
	s_waitcnt vmcnt(24) lgkmcnt(0)
	v_fma_f64 v[119:120], v[141:142], v[119:120], v[131:132]
	s_waitcnt vmcnt(22)
	v_fma_f64 v[131:132], v[139:140], v[121:122], v[119:120]
	ds_read_b128 v[119:122], v118 offset:848
	;; [unrolled: 5-line block ×6, first 2 shown]
	s_waitcnt vmcnt(4) lgkmcnt(0)
	v_fma_f64 v[118:119], v[129:130], v[118:119], v[122:123]
	s_waitcnt vmcnt(2)
	v_fma_f64 v[118:119], v[127:128], v[120:121], v[118:119]
	s_waitcnt vmcnt(0)
	v_add_f64 v[118:119], v[133:134], -v[118:119]
	buffer_store_dword v119, off, s[0:3], 0 offset:172
	buffer_store_dword v118, off, s[0:3], 0 offset:168
	v_cmpx_lt_u32_e32 20, v0
	s_cbranch_execz .LBB57_317
; %bb.316:
	s_clause 0x1
	buffer_load_dword v118, off, s[0:3], 0 offset:160
	buffer_load_dword v119, off, s[0:3], 0 offset:164
	v_mov_b32_e32 v120, 0
	buffer_store_dword v120, off, s[0:3], 0 offset:160
	buffer_store_dword v120, off, s[0:3], 0 offset:164
	s_waitcnt vmcnt(0)
	ds_write_b64 v117, v[118:119]
.LBB57_317:
	s_or_b32 exec_lo, exec_lo, s4
	s_waitcnt lgkmcnt(0)
	s_waitcnt_vscnt null, 0x0
	s_barrier
	buffer_gl0_inv
	s_clause 0x1b
	buffer_load_dword v123, off, s[0:3], 0 offset:168
	buffer_load_dword v124, off, s[0:3], 0 offset:172
	;; [unrolled: 1-line block ×28, first 2 shown]
	v_mov_b32_e32 v118, 0
	s_mov_b32 s4, exec_lo
	ds_read2_b64 v[119:122], v118 offset0:79 offset1:80
	s_clause 0x1
	buffer_load_dword v151, off, s[0:3], 0 offset:280
	buffer_load_dword v152, off, s[0:3], 0 offset:284
	s_waitcnt vmcnt(28) lgkmcnt(0)
	v_fma_f64 v[119:120], v[123:124], v[119:120], 0
	s_clause 0x1
	buffer_load_dword v124, off, s[0:3], 0 offset:292
	buffer_load_dword v123, off, s[0:3], 0 offset:288
	s_waitcnt vmcnt(28)
	v_fma_f64 v[125:126], v[125:126], v[121:122], v[119:120]
	ds_read2_b64 v[119:122], v118 offset0:81 offset1:82
	s_clause 0x1
	buffer_load_dword v153, off, s[0:3], 0 offset:296
	buffer_load_dword v154, off, s[0:3], 0 offset:300
	s_waitcnt vmcnt(28) lgkmcnt(0)
	v_fma_f64 v[119:120], v[127:128], v[119:120], v[125:126]
	s_clause 0x1
	buffer_load_dword v125, off, s[0:3], 0 offset:304
	buffer_load_dword v126, off, s[0:3], 0 offset:308
	s_waitcnt vmcnt(28)
	v_fma_f64 v[127:128], v[129:130], v[121:122], v[119:120]
	;; [unrolled: 11-line block ×12, first 2 shown]
	ds_read2_b64 v[119:122], v118 offset0:103 offset1:104
	s_waitcnt vmcnt(26) lgkmcnt(0)
	v_fma_f64 v[119:120], v[141:142], v[119:120], v[135:136]
	s_waitcnt vmcnt(24)
	v_fma_f64 v[135:136], v[139:140], v[121:122], v[119:120]
	ds_read2_b64 v[119:122], v118 offset0:105 offset1:106
	s_waitcnt vmcnt(22) lgkmcnt(0)
	v_fma_f64 v[119:120], v[145:146], v[119:120], v[135:136]
	s_waitcnt vmcnt(20)
	v_fma_f64 v[135:136], v[143:144], v[121:122], v[119:120]
	;; [unrolled: 5-line block ×6, first 2 shown]
	ds_read_b64 v[121:122], v118 offset:920
	s_waitcnt vmcnt(2) lgkmcnt(0)
	v_fma_f64 v[119:120], v[133:134], v[121:122], v[119:120]
	s_waitcnt vmcnt(0)
	v_add_f64 v[119:120], v[131:132], -v[119:120]
	buffer_store_dword v120, off, s[0:3], 0 offset:164
	buffer_store_dword v119, off, s[0:3], 0 offset:160
	v_cmpx_lt_u32_e32 19, v0
	s_cbranch_execz .LBB57_319
; %bb.318:
	s_clause 0x1
	buffer_load_dword v119, off, s[0:3], 0 offset:152
	buffer_load_dword v120, off, s[0:3], 0 offset:156
	buffer_store_dword v118, off, s[0:3], 0 offset:152
	buffer_store_dword v118, off, s[0:3], 0 offset:156
	s_waitcnt vmcnt(0)
	ds_write_b64 v117, v[119:120]
.LBB57_319:
	s_or_b32 exec_lo, exec_lo, s4
	s_waitcnt lgkmcnt(0)
	s_waitcnt_vscnt null, 0x0
	s_barrier
	buffer_gl0_inv
	s_clause 0x1b
	buffer_load_dword v123, off, s[0:3], 0 offset:160
	buffer_load_dword v124, off, s[0:3], 0 offset:164
	;; [unrolled: 1-line block ×28, first 2 shown]
	ds_read_b128 v[119:122], v118 offset:624
	s_clause 0x1
	buffer_load_dword v151, off, s[0:3], 0 offset:272
	buffer_load_dword v152, off, s[0:3], 0 offset:276
	s_mov_b32 s4, exec_lo
	s_waitcnt vmcnt(28) lgkmcnt(0)
	v_fma_f64 v[119:120], v[123:124], v[119:120], 0
	s_clause 0x1
	buffer_load_dword v124, off, s[0:3], 0 offset:284
	buffer_load_dword v123, off, s[0:3], 0 offset:280
	s_waitcnt vmcnt(28)
	v_fma_f64 v[125:126], v[125:126], v[121:122], v[119:120]
	ds_read_b128 v[119:122], v118 offset:640
	s_clause 0x1
	buffer_load_dword v153, off, s[0:3], 0 offset:288
	buffer_load_dword v154, off, s[0:3], 0 offset:292
	s_waitcnt vmcnt(28) lgkmcnt(0)
	v_fma_f64 v[119:120], v[127:128], v[119:120], v[125:126]
	s_clause 0x1
	buffer_load_dword v125, off, s[0:3], 0 offset:296
	buffer_load_dword v126, off, s[0:3], 0 offset:300
	s_waitcnt vmcnt(28)
	v_fma_f64 v[127:128], v[129:130], v[121:122], v[119:120]
	ds_read_b128 v[119:122], v118 offset:656
	s_clause 0x1
	buffer_load_dword v129, off, s[0:3], 0 offset:304
	buffer_load_dword v130, off, s[0:3], 0 offset:308
	;; [unrolled: 11-line block ×12, first 2 shown]
	s_waitcnt vmcnt(28) lgkmcnt(0)
	v_fma_f64 v[119:120], v[141:142], v[119:120], v[135:136]
	s_waitcnt vmcnt(26)
	v_fma_f64 v[135:136], v[139:140], v[121:122], v[119:120]
	ds_read_b128 v[119:122], v118 offset:832
	s_waitcnt vmcnt(24) lgkmcnt(0)
	v_fma_f64 v[119:120], v[145:146], v[119:120], v[135:136]
	s_waitcnt vmcnt(22)
	v_fma_f64 v[135:136], v[143:144], v[121:122], v[119:120]
	ds_read_b128 v[119:122], v118 offset:848
	;; [unrolled: 5-line block ×6, first 2 shown]
	s_waitcnt vmcnt(4) lgkmcnt(0)
	v_fma_f64 v[118:119], v[133:134], v[118:119], v[122:123]
	s_waitcnt vmcnt(2)
	v_fma_f64 v[118:119], v[131:132], v[120:121], v[118:119]
	s_waitcnt vmcnt(0)
	v_add_f64 v[118:119], v[137:138], -v[118:119]
	buffer_store_dword v119, off, s[0:3], 0 offset:156
	buffer_store_dword v118, off, s[0:3], 0 offset:152
	v_cmpx_lt_u32_e32 18, v0
	s_cbranch_execz .LBB57_321
; %bb.320:
	s_clause 0x1
	buffer_load_dword v118, off, s[0:3], 0 offset:144
	buffer_load_dword v119, off, s[0:3], 0 offset:148
	v_mov_b32_e32 v120, 0
	buffer_store_dword v120, off, s[0:3], 0 offset:144
	buffer_store_dword v120, off, s[0:3], 0 offset:148
	s_waitcnt vmcnt(0)
	ds_write_b64 v117, v[118:119]
.LBB57_321:
	s_or_b32 exec_lo, exec_lo, s4
	s_waitcnt lgkmcnt(0)
	s_waitcnt_vscnt null, 0x0
	s_barrier
	buffer_gl0_inv
	s_clause 0x1b
	buffer_load_dword v123, off, s[0:3], 0 offset:152
	buffer_load_dword v124, off, s[0:3], 0 offset:156
	;; [unrolled: 1-line block ×28, first 2 shown]
	v_mov_b32_e32 v118, 0
	s_mov_b32 s4, exec_lo
	ds_read2_b64 v[119:122], v118 offset0:77 offset1:78
	s_clause 0x1
	buffer_load_dword v151, off, s[0:3], 0 offset:264
	buffer_load_dword v152, off, s[0:3], 0 offset:268
	s_waitcnt vmcnt(28) lgkmcnt(0)
	v_fma_f64 v[119:120], v[123:124], v[119:120], 0
	s_clause 0x1
	buffer_load_dword v124, off, s[0:3], 0 offset:276
	buffer_load_dword v123, off, s[0:3], 0 offset:272
	s_waitcnt vmcnt(28)
	v_fma_f64 v[125:126], v[125:126], v[121:122], v[119:120]
	ds_read2_b64 v[119:122], v118 offset0:79 offset1:80
	s_clause 0x1
	buffer_load_dword v153, off, s[0:3], 0 offset:280
	buffer_load_dword v154, off, s[0:3], 0 offset:284
	s_waitcnt vmcnt(28) lgkmcnt(0)
	v_fma_f64 v[119:120], v[127:128], v[119:120], v[125:126]
	s_clause 0x1
	buffer_load_dword v125, off, s[0:3], 0 offset:288
	buffer_load_dword v126, off, s[0:3], 0 offset:292
	s_waitcnt vmcnt(28)
	v_fma_f64 v[127:128], v[129:130], v[121:122], v[119:120]
	ds_read2_b64 v[119:122], v118 offset0:81 offset1:82
	s_clause 0x1
	buffer_load_dword v129, off, s[0:3], 0 offset:296
	buffer_load_dword v130, off, s[0:3], 0 offset:300
	s_waitcnt vmcnt(28) lgkmcnt(0)
	v_fma_f64 v[119:120], v[131:132], v[119:120], v[127:128]
	s_clause 0x1
	buffer_load_dword v128, off, s[0:3], 0 offset:308
	buffer_load_dword v127, off, s[0:3], 0 offset:304
	s_waitcnt vmcnt(28)
	v_fma_f64 v[131:132], v[133:134], v[121:122], v[119:120]
	ds_read2_b64 v[119:122], v118 offset0:83 offset1:84
	s_clause 0x1
	buffer_load_dword v133, off, s[0:3], 0 offset:312
	buffer_load_dword v134, off, s[0:3], 0 offset:316
	s_waitcnt vmcnt(28) lgkmcnt(0)
	v_fma_f64 v[119:120], v[135:136], v[119:120], v[131:132]
	s_clause 0x1
	buffer_load_dword v131, off, s[0:3], 0 offset:320
	buffer_load_dword v132, off, s[0:3], 0 offset:324
	s_waitcnt vmcnt(28)
	v_fma_f64 v[135:136], v[137:138], v[121:122], v[119:120]
	ds_read2_b64 v[119:122], v118 offset0:85 offset1:86
	s_clause 0x1
	buffer_load_dword v137, off, s[0:3], 0 offset:328
	buffer_load_dword v138, off, s[0:3], 0 offset:332
	s_waitcnt vmcnt(28) lgkmcnt(0)
	v_fma_f64 v[119:120], v[139:140], v[119:120], v[135:136]
	s_clause 0x1
	buffer_load_dword v136, off, s[0:3], 0 offset:340
	buffer_load_dword v135, off, s[0:3], 0 offset:336
	s_waitcnt vmcnt(28)
	v_fma_f64 v[139:140], v[141:142], v[121:122], v[119:120]
	ds_read2_b64 v[119:122], v118 offset0:87 offset1:88
	s_clause 0x1
	buffer_load_dword v141, off, s[0:3], 0 offset:344
	buffer_load_dword v142, off, s[0:3], 0 offset:348
	s_waitcnt vmcnt(28) lgkmcnt(0)
	v_fma_f64 v[119:120], v[143:144], v[119:120], v[139:140]
	s_clause 0x1
	buffer_load_dword v139, off, s[0:3], 0 offset:352
	buffer_load_dword v140, off, s[0:3], 0 offset:356
	s_waitcnt vmcnt(28)
	v_fma_f64 v[143:144], v[145:146], v[121:122], v[119:120]
	ds_read2_b64 v[119:122], v118 offset0:89 offset1:90
	s_clause 0x1
	buffer_load_dword v145, off, s[0:3], 0 offset:360
	buffer_load_dword v146, off, s[0:3], 0 offset:364
	s_waitcnt vmcnt(28) lgkmcnt(0)
	v_fma_f64 v[119:120], v[147:148], v[119:120], v[143:144]
	s_clause 0x1
	buffer_load_dword v144, off, s[0:3], 0 offset:372
	buffer_load_dword v143, off, s[0:3], 0 offset:368
	s_waitcnt vmcnt(28)
	v_fma_f64 v[147:148], v[149:150], v[121:122], v[119:120]
	ds_read2_b64 v[119:122], v118 offset0:91 offset1:92
	s_clause 0x1
	buffer_load_dword v149, off, s[0:3], 0 offset:376
	buffer_load_dword v150, off, s[0:3], 0 offset:380
	s_waitcnt vmcnt(28) lgkmcnt(0)
	v_fma_f64 v[119:120], v[151:152], v[119:120], v[147:148]
	s_clause 0x1
	buffer_load_dword v147, off, s[0:3], 0 offset:384
	buffer_load_dword v148, off, s[0:3], 0 offset:388
	s_waitcnt vmcnt(28)
	v_fma_f64 v[123:124], v[123:124], v[121:122], v[119:120]
	ds_read2_b64 v[119:122], v118 offset0:93 offset1:94
	s_clause 0x1
	buffer_load_dword v151, off, s[0:3], 0 offset:392
	buffer_load_dword v152, off, s[0:3], 0 offset:396
	s_waitcnt vmcnt(28) lgkmcnt(0)
	v_fma_f64 v[119:120], v[153:154], v[119:120], v[123:124]
	s_clause 0x1
	buffer_load_dword v124, off, s[0:3], 0 offset:404
	buffer_load_dword v123, off, s[0:3], 0 offset:400
	s_waitcnt vmcnt(28)
	v_fma_f64 v[125:126], v[125:126], v[121:122], v[119:120]
	ds_read2_b64 v[119:122], v118 offset0:95 offset1:96
	s_clause 0x1
	buffer_load_dword v153, off, s[0:3], 0 offset:408
	buffer_load_dword v154, off, s[0:3], 0 offset:412
	s_waitcnt vmcnt(28) lgkmcnt(0)
	v_fma_f64 v[119:120], v[129:130], v[119:120], v[125:126]
	s_clause 0x1
	buffer_load_dword v125, off, s[0:3], 0 offset:416
	buffer_load_dword v126, off, s[0:3], 0 offset:420
	s_waitcnt vmcnt(28)
	v_fma_f64 v[127:128], v[127:128], v[121:122], v[119:120]
	ds_read2_b64 v[119:122], v118 offset0:97 offset1:98
	s_clause 0x1
	buffer_load_dword v129, off, s[0:3], 0 offset:424
	buffer_load_dword v130, off, s[0:3], 0 offset:428
	s_waitcnt vmcnt(28) lgkmcnt(0)
	v_fma_f64 v[119:120], v[133:134], v[119:120], v[127:128]
	s_clause 0x1
	buffer_load_dword v128, off, s[0:3], 0 offset:436
	buffer_load_dword v127, off, s[0:3], 0 offset:432
	s_waitcnt vmcnt(28)
	v_fma_f64 v[131:132], v[131:132], v[121:122], v[119:120]
	ds_read2_b64 v[119:122], v118 offset0:99 offset1:100
	s_clause 0x1
	buffer_load_dword v133, off, s[0:3], 0 offset:440
	buffer_load_dword v134, off, s[0:3], 0 offset:444
	s_waitcnt vmcnt(28) lgkmcnt(0)
	v_fma_f64 v[119:120], v[137:138], v[119:120], v[131:132]
	s_clause 0x1
	buffer_load_dword v131, off, s[0:3], 0 offset:448
	buffer_load_dword v132, off, s[0:3], 0 offset:452
	s_waitcnt vmcnt(28)
	v_fma_f64 v[135:136], v[135:136], v[121:122], v[119:120]
	ds_read2_b64 v[119:122], v118 offset0:101 offset1:102
	s_clause 0x1
	buffer_load_dword v137, off, s[0:3], 0 offset:456
	buffer_load_dword v138, off, s[0:3], 0 offset:460
	s_waitcnt vmcnt(28) lgkmcnt(0)
	v_fma_f64 v[119:120], v[141:142], v[119:120], v[135:136]
	s_clause 0x1
	buffer_load_dword v135, off, s[0:3], 0 offset:144
	buffer_load_dword v136, off, s[0:3], 0 offset:148
	s_waitcnt vmcnt(28)
	v_fma_f64 v[139:140], v[139:140], v[121:122], v[119:120]
	ds_read2_b64 v[119:122], v118 offset0:103 offset1:104
	s_waitcnt vmcnt(26) lgkmcnt(0)
	v_fma_f64 v[119:120], v[145:146], v[119:120], v[139:140]
	s_waitcnt vmcnt(24)
	v_fma_f64 v[139:140], v[143:144], v[121:122], v[119:120]
	ds_read2_b64 v[119:122], v118 offset0:105 offset1:106
	s_waitcnt vmcnt(22) lgkmcnt(0)
	v_fma_f64 v[119:120], v[149:150], v[119:120], v[139:140]
	s_waitcnt vmcnt(20)
	v_fma_f64 v[139:140], v[147:148], v[121:122], v[119:120]
	;; [unrolled: 5-line block ×6, first 2 shown]
	ds_read_b64 v[121:122], v118 offset:920
	s_waitcnt vmcnt(2) lgkmcnt(0)
	v_fma_f64 v[119:120], v[137:138], v[121:122], v[119:120]
	s_waitcnt vmcnt(0)
	v_add_f64 v[119:120], v[135:136], -v[119:120]
	buffer_store_dword v120, off, s[0:3], 0 offset:148
	buffer_store_dword v119, off, s[0:3], 0 offset:144
	v_cmpx_lt_u32_e32 17, v0
	s_cbranch_execz .LBB57_323
; %bb.322:
	s_clause 0x1
	buffer_load_dword v119, off, s[0:3], 0 offset:136
	buffer_load_dword v120, off, s[0:3], 0 offset:140
	buffer_store_dword v118, off, s[0:3], 0 offset:136
	buffer_store_dword v118, off, s[0:3], 0 offset:140
	s_waitcnt vmcnt(0)
	ds_write_b64 v117, v[119:120]
.LBB57_323:
	s_or_b32 exec_lo, exec_lo, s4
	s_waitcnt lgkmcnt(0)
	s_waitcnt_vscnt null, 0x0
	s_barrier
	buffer_gl0_inv
	s_clause 0x1b
	buffer_load_dword v123, off, s[0:3], 0 offset:144
	buffer_load_dword v124, off, s[0:3], 0 offset:148
	;; [unrolled: 1-line block ×28, first 2 shown]
	ds_read_b128 v[119:122], v118 offset:608
	s_clause 0x1
	buffer_load_dword v151, off, s[0:3], 0 offset:256
	buffer_load_dword v152, off, s[0:3], 0 offset:260
	s_mov_b32 s4, exec_lo
	s_waitcnt vmcnt(28) lgkmcnt(0)
	v_fma_f64 v[119:120], v[123:124], v[119:120], 0
	s_clause 0x1
	buffer_load_dword v124, off, s[0:3], 0 offset:268
	buffer_load_dword v123, off, s[0:3], 0 offset:264
	s_waitcnt vmcnt(28)
	v_fma_f64 v[125:126], v[125:126], v[121:122], v[119:120]
	ds_read_b128 v[119:122], v118 offset:624
	s_clause 0x1
	buffer_load_dword v153, off, s[0:3], 0 offset:272
	buffer_load_dword v154, off, s[0:3], 0 offset:276
	s_waitcnt vmcnt(28) lgkmcnt(0)
	v_fma_f64 v[119:120], v[127:128], v[119:120], v[125:126]
	s_clause 0x1
	buffer_load_dword v125, off, s[0:3], 0 offset:280
	buffer_load_dword v126, off, s[0:3], 0 offset:284
	s_waitcnt vmcnt(28)
	v_fma_f64 v[127:128], v[129:130], v[121:122], v[119:120]
	ds_read_b128 v[119:122], v118 offset:640
	s_clause 0x1
	buffer_load_dword v129, off, s[0:3], 0 offset:288
	buffer_load_dword v130, off, s[0:3], 0 offset:292
	;; [unrolled: 11-line block ×13, first 2 shown]
	s_waitcnt vmcnt(28) lgkmcnt(0)
	v_fma_f64 v[119:120], v[145:146], v[119:120], v[139:140]
	s_waitcnt vmcnt(26)
	v_fma_f64 v[139:140], v[143:144], v[121:122], v[119:120]
	ds_read_b128 v[119:122], v118 offset:832
	s_waitcnt vmcnt(24) lgkmcnt(0)
	v_fma_f64 v[119:120], v[149:150], v[119:120], v[139:140]
	s_waitcnt vmcnt(22)
	v_fma_f64 v[139:140], v[147:148], v[121:122], v[119:120]
	ds_read_b128 v[119:122], v118 offset:848
	;; [unrolled: 5-line block ×6, first 2 shown]
	s_waitcnt vmcnt(4) lgkmcnt(0)
	v_fma_f64 v[118:119], v[137:138], v[118:119], v[122:123]
	s_waitcnt vmcnt(2)
	v_fma_f64 v[118:119], v[135:136], v[120:121], v[118:119]
	s_waitcnt vmcnt(0)
	v_add_f64 v[118:119], v[141:142], -v[118:119]
	buffer_store_dword v119, off, s[0:3], 0 offset:140
	buffer_store_dword v118, off, s[0:3], 0 offset:136
	v_cmpx_lt_u32_e32 16, v0
	s_cbranch_execz .LBB57_325
; %bb.324:
	s_clause 0x1
	buffer_load_dword v118, off, s[0:3], 0 offset:128
	buffer_load_dword v119, off, s[0:3], 0 offset:132
	v_mov_b32_e32 v120, 0
	buffer_store_dword v120, off, s[0:3], 0 offset:128
	buffer_store_dword v120, off, s[0:3], 0 offset:132
	s_waitcnt vmcnt(0)
	ds_write_b64 v117, v[118:119]
.LBB57_325:
	s_or_b32 exec_lo, exec_lo, s4
	s_waitcnt lgkmcnt(0)
	s_waitcnt_vscnt null, 0x0
	s_barrier
	buffer_gl0_inv
	s_clause 0x1b
	buffer_load_dword v123, off, s[0:3], 0 offset:136
	buffer_load_dword v124, off, s[0:3], 0 offset:140
	;; [unrolled: 1-line block ×28, first 2 shown]
	v_mov_b32_e32 v118, 0
	s_mov_b32 s4, exec_lo
	ds_read2_b64 v[119:122], v118 offset0:75 offset1:76
	s_clause 0x1
	buffer_load_dword v151, off, s[0:3], 0 offset:248
	buffer_load_dword v152, off, s[0:3], 0 offset:252
	s_waitcnt vmcnt(28) lgkmcnt(0)
	v_fma_f64 v[119:120], v[123:124], v[119:120], 0
	s_clause 0x1
	buffer_load_dword v124, off, s[0:3], 0 offset:260
	buffer_load_dword v123, off, s[0:3], 0 offset:256
	s_waitcnt vmcnt(28)
	v_fma_f64 v[125:126], v[125:126], v[121:122], v[119:120]
	ds_read2_b64 v[119:122], v118 offset0:77 offset1:78
	s_clause 0x1
	buffer_load_dword v153, off, s[0:3], 0 offset:264
	buffer_load_dword v154, off, s[0:3], 0 offset:268
	s_waitcnt vmcnt(28) lgkmcnt(0)
	v_fma_f64 v[119:120], v[127:128], v[119:120], v[125:126]
	s_clause 0x1
	buffer_load_dword v125, off, s[0:3], 0 offset:272
	buffer_load_dword v126, off, s[0:3], 0 offset:276
	s_waitcnt vmcnt(28)
	v_fma_f64 v[127:128], v[129:130], v[121:122], v[119:120]
	;; [unrolled: 11-line block ×14, first 2 shown]
	ds_read2_b64 v[119:122], v118 offset0:103 offset1:104
	s_waitcnt vmcnt(26) lgkmcnt(0)
	v_fma_f64 v[119:120], v[149:150], v[119:120], v[143:144]
	s_waitcnt vmcnt(24)
	v_fma_f64 v[143:144], v[147:148], v[121:122], v[119:120]
	ds_read2_b64 v[119:122], v118 offset0:105 offset1:106
	s_waitcnt vmcnt(22) lgkmcnt(0)
	v_fma_f64 v[119:120], v[151:152], v[119:120], v[143:144]
	s_waitcnt vmcnt(20)
	v_fma_f64 v[123:124], v[123:124], v[121:122], v[119:120]
	;; [unrolled: 5-line block ×6, first 2 shown]
	ds_read_b64 v[121:122], v118 offset:920
	s_waitcnt vmcnt(2) lgkmcnt(0)
	v_fma_f64 v[119:120], v[141:142], v[121:122], v[119:120]
	s_waitcnt vmcnt(0)
	v_add_f64 v[119:120], v[139:140], -v[119:120]
	buffer_store_dword v120, off, s[0:3], 0 offset:132
	buffer_store_dword v119, off, s[0:3], 0 offset:128
	v_cmpx_lt_u32_e32 15, v0
	s_cbranch_execz .LBB57_327
; %bb.326:
	s_clause 0x1
	buffer_load_dword v119, off, s[0:3], 0 offset:120
	buffer_load_dword v120, off, s[0:3], 0 offset:124
	buffer_store_dword v118, off, s[0:3], 0 offset:120
	buffer_store_dword v118, off, s[0:3], 0 offset:124
	s_waitcnt vmcnt(0)
	ds_write_b64 v117, v[119:120]
.LBB57_327:
	s_or_b32 exec_lo, exec_lo, s4
	s_waitcnt lgkmcnt(0)
	s_waitcnt_vscnt null, 0x0
	s_barrier
	buffer_gl0_inv
	s_clause 0x1b
	buffer_load_dword v123, off, s[0:3], 0 offset:128
	buffer_load_dword v124, off, s[0:3], 0 offset:132
	;; [unrolled: 1-line block ×28, first 2 shown]
	ds_read_b128 v[119:122], v118 offset:592
	s_clause 0x1
	buffer_load_dword v151, off, s[0:3], 0 offset:240
	buffer_load_dword v152, off, s[0:3], 0 offset:244
	s_mov_b32 s4, exec_lo
	s_waitcnt vmcnt(28) lgkmcnt(0)
	v_fma_f64 v[119:120], v[123:124], v[119:120], 0
	s_clause 0x1
	buffer_load_dword v124, off, s[0:3], 0 offset:252
	buffer_load_dword v123, off, s[0:3], 0 offset:248
	s_waitcnt vmcnt(28)
	v_fma_f64 v[125:126], v[125:126], v[121:122], v[119:120]
	ds_read_b128 v[119:122], v118 offset:608
	s_clause 0x1
	buffer_load_dword v153, off, s[0:3], 0 offset:256
	buffer_load_dword v154, off, s[0:3], 0 offset:260
	s_waitcnt vmcnt(28) lgkmcnt(0)
	v_fma_f64 v[119:120], v[127:128], v[119:120], v[125:126]
	s_clause 0x1
	buffer_load_dword v125, off, s[0:3], 0 offset:264
	buffer_load_dword v126, off, s[0:3], 0 offset:268
	s_waitcnt vmcnt(28)
	v_fma_f64 v[127:128], v[129:130], v[121:122], v[119:120]
	ds_read_b128 v[119:122], v118 offset:624
	s_clause 0x1
	buffer_load_dword v129, off, s[0:3], 0 offset:272
	buffer_load_dword v130, off, s[0:3], 0 offset:276
	;; [unrolled: 11-line block ×14, first 2 shown]
	s_waitcnt vmcnt(28) lgkmcnt(0)
	v_fma_f64 v[119:120], v[149:150], v[119:120], v[143:144]
	s_waitcnt vmcnt(26)
	v_fma_f64 v[143:144], v[147:148], v[121:122], v[119:120]
	ds_read_b128 v[119:122], v118 offset:832
	s_waitcnt vmcnt(24) lgkmcnt(0)
	v_fma_f64 v[119:120], v[151:152], v[119:120], v[143:144]
	s_waitcnt vmcnt(22)
	v_fma_f64 v[123:124], v[123:124], v[121:122], v[119:120]
	ds_read_b128 v[119:122], v118 offset:848
	;; [unrolled: 5-line block ×6, first 2 shown]
	s_waitcnt vmcnt(4) lgkmcnt(0)
	v_fma_f64 v[118:119], v[141:142], v[118:119], v[122:123]
	s_waitcnt vmcnt(2)
	v_fma_f64 v[118:119], v[139:140], v[120:121], v[118:119]
	s_waitcnt vmcnt(0)
	v_add_f64 v[118:119], v[145:146], -v[118:119]
	buffer_store_dword v119, off, s[0:3], 0 offset:124
	buffer_store_dword v118, off, s[0:3], 0 offset:120
	v_cmpx_lt_u32_e32 14, v0
	s_cbranch_execz .LBB57_329
; %bb.328:
	s_clause 0x1
	buffer_load_dword v118, off, s[0:3], 0 offset:112
	buffer_load_dword v119, off, s[0:3], 0 offset:116
	v_mov_b32_e32 v120, 0
	buffer_store_dword v120, off, s[0:3], 0 offset:112
	buffer_store_dword v120, off, s[0:3], 0 offset:116
	s_waitcnt vmcnt(0)
	ds_write_b64 v117, v[118:119]
.LBB57_329:
	s_or_b32 exec_lo, exec_lo, s4
	s_waitcnt lgkmcnt(0)
	s_waitcnt_vscnt null, 0x0
	s_barrier
	buffer_gl0_inv
	s_clause 0x1b
	buffer_load_dword v123, off, s[0:3], 0 offset:120
	buffer_load_dword v124, off, s[0:3], 0 offset:124
	buffer_load_dword v125, off, s[0:3], 0 offset:128
	buffer_load_dword v126, off, s[0:3], 0 offset:132
	buffer_load_dword v127, off, s[0:3], 0 offset:136
	buffer_load_dword v128, off, s[0:3], 0 offset:140
	buffer_load_dword v129, off, s[0:3], 0 offset:144
	buffer_load_dword v130, off, s[0:3], 0 offset:148
	buffer_load_dword v131, off, s[0:3], 0 offset:152
	buffer_load_dword v132, off, s[0:3], 0 offset:156
	buffer_load_dword v133, off, s[0:3], 0 offset:160
	buffer_load_dword v134, off, s[0:3], 0 offset:164
	buffer_load_dword v135, off, s[0:3], 0 offset:168
	buffer_load_dword v136, off, s[0:3], 0 offset:172
	buffer_load_dword v138, off, s[0:3], 0 offset:180
	buffer_load_dword v137, off, s[0:3], 0 offset:176
	buffer_load_dword v139, off, s[0:3], 0 offset:184
	buffer_load_dword v140, off, s[0:3], 0 offset:188
	buffer_load_dword v141, off, s[0:3], 0 offset:192
	buffer_load_dword v142, off, s[0:3], 0 offset:196
	buffer_load_dword v143, off, s[0:3], 0 offset:200
	buffer_load_dword v144, off, s[0:3], 0 offset:204
	buffer_load_dword v146, off, s[0:3], 0 offset:212
	buffer_load_dword v145, off, s[0:3], 0 offset:208
	buffer_load_dword v147, off, s[0:3], 0 offset:216
	buffer_load_dword v148, off, s[0:3], 0 offset:220
	buffer_load_dword v149, off, s[0:3], 0 offset:224
	buffer_load_dword v150, off, s[0:3], 0 offset:228
	v_mov_b32_e32 v118, 0
	s_mov_b32 s4, exec_lo
	ds_read2_b64 v[119:122], v118 offset0:73 offset1:74
	s_clause 0x1
	buffer_load_dword v151, off, s[0:3], 0 offset:232
	buffer_load_dword v152, off, s[0:3], 0 offset:236
	s_waitcnt vmcnt(28) lgkmcnt(0)
	v_fma_f64 v[119:120], v[123:124], v[119:120], 0
	s_clause 0x1
	buffer_load_dword v124, off, s[0:3], 0 offset:244
	buffer_load_dword v123, off, s[0:3], 0 offset:240
	s_waitcnt vmcnt(28)
	v_fma_f64 v[125:126], v[125:126], v[121:122], v[119:120]
	ds_read2_b64 v[119:122], v118 offset0:75 offset1:76
	s_clause 0x1
	buffer_load_dword v153, off, s[0:3], 0 offset:248
	buffer_load_dword v154, off, s[0:3], 0 offset:252
	s_waitcnt vmcnt(28) lgkmcnt(0)
	v_fma_f64 v[119:120], v[127:128], v[119:120], v[125:126]
	s_clause 0x1
	buffer_load_dword v125, off, s[0:3], 0 offset:256
	buffer_load_dword v126, off, s[0:3], 0 offset:260
	s_waitcnt vmcnt(28)
	v_fma_f64 v[127:128], v[129:130], v[121:122], v[119:120]
	;; [unrolled: 11-line block ×15, first 2 shown]
	ds_read2_b64 v[119:122], v118 offset0:103 offset1:104
	s_waitcnt vmcnt(26) lgkmcnt(0)
	v_fma_f64 v[119:120], v[151:152], v[119:120], v[147:148]
	s_waitcnt vmcnt(24)
	v_fma_f64 v[123:124], v[123:124], v[121:122], v[119:120]
	ds_read2_b64 v[119:122], v118 offset0:105 offset1:106
	s_waitcnt vmcnt(22) lgkmcnt(0)
	v_fma_f64 v[119:120], v[153:154], v[119:120], v[123:124]
	s_waitcnt vmcnt(20)
	v_fma_f64 v[123:124], v[125:126], v[121:122], v[119:120]
	;; [unrolled: 5-line block ×6, first 2 shown]
	ds_read_b64 v[121:122], v118 offset:920
	s_waitcnt vmcnt(2) lgkmcnt(0)
	v_fma_f64 v[119:120], v[145:146], v[121:122], v[119:120]
	s_waitcnt vmcnt(0)
	v_add_f64 v[119:120], v[143:144], -v[119:120]
	buffer_store_dword v120, off, s[0:3], 0 offset:116
	buffer_store_dword v119, off, s[0:3], 0 offset:112
	v_cmpx_lt_u32_e32 13, v0
	s_cbranch_execz .LBB57_331
; %bb.330:
	s_clause 0x1
	buffer_load_dword v119, off, s[0:3], 0 offset:104
	buffer_load_dword v120, off, s[0:3], 0 offset:108
	buffer_store_dword v118, off, s[0:3], 0 offset:104
	buffer_store_dword v118, off, s[0:3], 0 offset:108
	s_waitcnt vmcnt(0)
	ds_write_b64 v117, v[119:120]
.LBB57_331:
	s_or_b32 exec_lo, exec_lo, s4
	s_waitcnt lgkmcnt(0)
	s_waitcnt_vscnt null, 0x0
	s_barrier
	buffer_gl0_inv
	s_clause 0x1b
	buffer_load_dword v123, off, s[0:3], 0 offset:112
	buffer_load_dword v124, off, s[0:3], 0 offset:116
	;; [unrolled: 1-line block ×28, first 2 shown]
	ds_read_b128 v[119:122], v118 offset:576
	s_clause 0x1
	buffer_load_dword v151, off, s[0:3], 0 offset:224
	buffer_load_dword v152, off, s[0:3], 0 offset:228
	s_mov_b32 s4, exec_lo
	s_waitcnt vmcnt(28) lgkmcnt(0)
	v_fma_f64 v[119:120], v[123:124], v[119:120], 0
	s_clause 0x1
	buffer_load_dword v124, off, s[0:3], 0 offset:236
	buffer_load_dword v123, off, s[0:3], 0 offset:232
	s_waitcnt vmcnt(28)
	v_fma_f64 v[125:126], v[125:126], v[121:122], v[119:120]
	ds_read_b128 v[119:122], v118 offset:592
	s_clause 0x1
	buffer_load_dword v153, off, s[0:3], 0 offset:240
	buffer_load_dword v154, off, s[0:3], 0 offset:244
	s_waitcnt vmcnt(28) lgkmcnt(0)
	v_fma_f64 v[119:120], v[127:128], v[119:120], v[125:126]
	s_clause 0x1
	buffer_load_dword v125, off, s[0:3], 0 offset:248
	buffer_load_dword v126, off, s[0:3], 0 offset:252
	s_waitcnt vmcnt(28)
	v_fma_f64 v[127:128], v[129:130], v[121:122], v[119:120]
	ds_read_b128 v[119:122], v118 offset:608
	s_clause 0x1
	buffer_load_dword v129, off, s[0:3], 0 offset:256
	buffer_load_dword v130, off, s[0:3], 0 offset:260
	;; [unrolled: 11-line block ×15, first 2 shown]
	s_waitcnt vmcnt(28) lgkmcnt(0)
	v_fma_f64 v[119:120], v[151:152], v[119:120], v[147:148]
	s_waitcnt vmcnt(26)
	v_fma_f64 v[123:124], v[123:124], v[121:122], v[119:120]
	ds_read_b128 v[119:122], v118 offset:832
	s_waitcnt vmcnt(24) lgkmcnt(0)
	v_fma_f64 v[119:120], v[153:154], v[119:120], v[123:124]
	s_waitcnt vmcnt(22)
	v_fma_f64 v[123:124], v[125:126], v[121:122], v[119:120]
	ds_read_b128 v[119:122], v118 offset:848
	;; [unrolled: 5-line block ×6, first 2 shown]
	s_waitcnt vmcnt(4) lgkmcnt(0)
	v_fma_f64 v[118:119], v[145:146], v[118:119], v[122:123]
	s_waitcnt vmcnt(2)
	v_fma_f64 v[118:119], v[143:144], v[120:121], v[118:119]
	s_waitcnt vmcnt(0)
	v_add_f64 v[118:119], v[149:150], -v[118:119]
	buffer_store_dword v119, off, s[0:3], 0 offset:108
	buffer_store_dword v118, off, s[0:3], 0 offset:104
	v_cmpx_lt_u32_e32 12, v0
	s_cbranch_execz .LBB57_333
; %bb.332:
	s_clause 0x1
	buffer_load_dword v118, off, s[0:3], 0 offset:96
	buffer_load_dword v119, off, s[0:3], 0 offset:100
	v_mov_b32_e32 v120, 0
	buffer_store_dword v120, off, s[0:3], 0 offset:96
	buffer_store_dword v120, off, s[0:3], 0 offset:100
	s_waitcnt vmcnt(0)
	ds_write_b64 v117, v[118:119]
.LBB57_333:
	s_or_b32 exec_lo, exec_lo, s4
	s_waitcnt lgkmcnt(0)
	s_waitcnt_vscnt null, 0x0
	s_barrier
	buffer_gl0_inv
	s_clause 0x1b
	buffer_load_dword v123, off, s[0:3], 0 offset:104
	buffer_load_dword v124, off, s[0:3], 0 offset:108
	;; [unrolled: 1-line block ×28, first 2 shown]
	v_mov_b32_e32 v118, 0
	s_mov_b32 s4, exec_lo
	ds_read2_b64 v[119:122], v118 offset0:71 offset1:72
	s_clause 0x1
	buffer_load_dword v151, off, s[0:3], 0 offset:216
	buffer_load_dword v152, off, s[0:3], 0 offset:220
	s_waitcnt vmcnt(28) lgkmcnt(0)
	v_fma_f64 v[119:120], v[123:124], v[119:120], 0
	s_clause 0x1
	buffer_load_dword v124, off, s[0:3], 0 offset:228
	buffer_load_dword v123, off, s[0:3], 0 offset:224
	s_waitcnt vmcnt(28)
	v_fma_f64 v[125:126], v[125:126], v[121:122], v[119:120]
	ds_read2_b64 v[119:122], v118 offset0:73 offset1:74
	s_clause 0x1
	buffer_load_dword v153, off, s[0:3], 0 offset:232
	buffer_load_dword v154, off, s[0:3], 0 offset:236
	s_waitcnt vmcnt(28) lgkmcnt(0)
	v_fma_f64 v[119:120], v[127:128], v[119:120], v[125:126]
	s_clause 0x1
	buffer_load_dword v125, off, s[0:3], 0 offset:240
	buffer_load_dword v126, off, s[0:3], 0 offset:244
	s_waitcnt vmcnt(28)
	v_fma_f64 v[127:128], v[129:130], v[121:122], v[119:120]
	ds_read2_b64 v[119:122], v118 offset0:75 offset1:76
	s_clause 0x1
	buffer_load_dword v129, off, s[0:3], 0 offset:248
	buffer_load_dword v130, off, s[0:3], 0 offset:252
	s_waitcnt vmcnt(28) lgkmcnt(0)
	v_fma_f64 v[119:120], v[131:132], v[119:120], v[127:128]
	s_clause 0x1
	buffer_load_dword v128, off, s[0:3], 0 offset:260
	buffer_load_dword v127, off, s[0:3], 0 offset:256
	s_waitcnt vmcnt(28)
	v_fma_f64 v[131:132], v[133:134], v[121:122], v[119:120]
	ds_read2_b64 v[119:122], v118 offset0:77 offset1:78
	s_clause 0x1
	buffer_load_dword v133, off, s[0:3], 0 offset:264
	buffer_load_dword v134, off, s[0:3], 0 offset:268
	s_waitcnt vmcnt(28) lgkmcnt(0)
	v_fma_f64 v[119:120], v[135:136], v[119:120], v[131:132]
	s_clause 0x1
	buffer_load_dword v131, off, s[0:3], 0 offset:272
	buffer_load_dword v132, off, s[0:3], 0 offset:276
	s_waitcnt vmcnt(28)
	v_fma_f64 v[135:136], v[137:138], v[121:122], v[119:120]
	ds_read2_b64 v[119:122], v118 offset0:79 offset1:80
	s_clause 0x1
	buffer_load_dword v137, off, s[0:3], 0 offset:280
	buffer_load_dword v138, off, s[0:3], 0 offset:284
	s_waitcnt vmcnt(28) lgkmcnt(0)
	v_fma_f64 v[119:120], v[139:140], v[119:120], v[135:136]
	s_clause 0x1
	buffer_load_dword v136, off, s[0:3], 0 offset:292
	buffer_load_dword v135, off, s[0:3], 0 offset:288
	s_waitcnt vmcnt(28)
	v_fma_f64 v[139:140], v[141:142], v[121:122], v[119:120]
	ds_read2_b64 v[119:122], v118 offset0:81 offset1:82
	s_clause 0x1
	buffer_load_dword v141, off, s[0:3], 0 offset:296
	buffer_load_dword v142, off, s[0:3], 0 offset:300
	s_waitcnt vmcnt(28) lgkmcnt(0)
	v_fma_f64 v[119:120], v[143:144], v[119:120], v[139:140]
	s_clause 0x1
	buffer_load_dword v139, off, s[0:3], 0 offset:304
	buffer_load_dword v140, off, s[0:3], 0 offset:308
	s_waitcnt vmcnt(28)
	v_fma_f64 v[143:144], v[145:146], v[121:122], v[119:120]
	ds_read2_b64 v[119:122], v118 offset0:83 offset1:84
	s_clause 0x1
	buffer_load_dword v145, off, s[0:3], 0 offset:312
	buffer_load_dword v146, off, s[0:3], 0 offset:316
	s_waitcnt vmcnt(28) lgkmcnt(0)
	v_fma_f64 v[119:120], v[147:148], v[119:120], v[143:144]
	s_clause 0x1
	buffer_load_dword v144, off, s[0:3], 0 offset:324
	buffer_load_dword v143, off, s[0:3], 0 offset:320
	s_waitcnt vmcnt(28)
	v_fma_f64 v[147:148], v[149:150], v[121:122], v[119:120]
	ds_read2_b64 v[119:122], v118 offset0:85 offset1:86
	s_clause 0x1
	buffer_load_dword v149, off, s[0:3], 0 offset:328
	buffer_load_dword v150, off, s[0:3], 0 offset:332
	s_waitcnt vmcnt(28) lgkmcnt(0)
	v_fma_f64 v[119:120], v[151:152], v[119:120], v[147:148]
	s_clause 0x1
	buffer_load_dword v147, off, s[0:3], 0 offset:336
	buffer_load_dword v148, off, s[0:3], 0 offset:340
	s_waitcnt vmcnt(28)
	v_fma_f64 v[123:124], v[123:124], v[121:122], v[119:120]
	ds_read2_b64 v[119:122], v118 offset0:87 offset1:88
	s_clause 0x1
	buffer_load_dword v151, off, s[0:3], 0 offset:344
	buffer_load_dword v152, off, s[0:3], 0 offset:348
	s_waitcnt vmcnt(28) lgkmcnt(0)
	v_fma_f64 v[119:120], v[153:154], v[119:120], v[123:124]
	s_clause 0x1
	buffer_load_dword v124, off, s[0:3], 0 offset:356
	buffer_load_dword v123, off, s[0:3], 0 offset:352
	s_waitcnt vmcnt(28)
	v_fma_f64 v[125:126], v[125:126], v[121:122], v[119:120]
	ds_read2_b64 v[119:122], v118 offset0:89 offset1:90
	s_clause 0x1
	buffer_load_dword v153, off, s[0:3], 0 offset:360
	buffer_load_dword v154, off, s[0:3], 0 offset:364
	s_waitcnt vmcnt(28) lgkmcnt(0)
	v_fma_f64 v[119:120], v[129:130], v[119:120], v[125:126]
	s_clause 0x1
	buffer_load_dword v125, off, s[0:3], 0 offset:368
	buffer_load_dword v126, off, s[0:3], 0 offset:372
	s_waitcnt vmcnt(28)
	v_fma_f64 v[127:128], v[127:128], v[121:122], v[119:120]
	ds_read2_b64 v[119:122], v118 offset0:91 offset1:92
	s_clause 0x1
	buffer_load_dword v129, off, s[0:3], 0 offset:376
	buffer_load_dword v130, off, s[0:3], 0 offset:380
	s_waitcnt vmcnt(28) lgkmcnt(0)
	v_fma_f64 v[119:120], v[133:134], v[119:120], v[127:128]
	s_clause 0x1
	buffer_load_dword v128, off, s[0:3], 0 offset:388
	buffer_load_dword v127, off, s[0:3], 0 offset:384
	s_waitcnt vmcnt(28)
	v_fma_f64 v[131:132], v[131:132], v[121:122], v[119:120]
	ds_read2_b64 v[119:122], v118 offset0:93 offset1:94
	s_clause 0x1
	buffer_load_dword v133, off, s[0:3], 0 offset:392
	buffer_load_dword v134, off, s[0:3], 0 offset:396
	s_waitcnt vmcnt(28) lgkmcnt(0)
	v_fma_f64 v[119:120], v[137:138], v[119:120], v[131:132]
	s_clause 0x1
	buffer_load_dword v131, off, s[0:3], 0 offset:400
	buffer_load_dword v132, off, s[0:3], 0 offset:404
	s_waitcnt vmcnt(28)
	v_fma_f64 v[135:136], v[135:136], v[121:122], v[119:120]
	ds_read2_b64 v[119:122], v118 offset0:95 offset1:96
	s_clause 0x1
	buffer_load_dword v137, off, s[0:3], 0 offset:408
	buffer_load_dword v138, off, s[0:3], 0 offset:412
	s_waitcnt vmcnt(28) lgkmcnt(0)
	v_fma_f64 v[119:120], v[141:142], v[119:120], v[135:136]
	s_clause 0x1
	buffer_load_dword v136, off, s[0:3], 0 offset:420
	buffer_load_dword v135, off, s[0:3], 0 offset:416
	s_waitcnt vmcnt(28)
	v_fma_f64 v[139:140], v[139:140], v[121:122], v[119:120]
	ds_read2_b64 v[119:122], v118 offset0:97 offset1:98
	s_clause 0x1
	buffer_load_dword v141, off, s[0:3], 0 offset:424
	buffer_load_dword v142, off, s[0:3], 0 offset:428
	s_waitcnt vmcnt(28) lgkmcnt(0)
	v_fma_f64 v[119:120], v[145:146], v[119:120], v[139:140]
	s_clause 0x1
	buffer_load_dword v139, off, s[0:3], 0 offset:432
	buffer_load_dword v140, off, s[0:3], 0 offset:436
	s_waitcnt vmcnt(28)
	v_fma_f64 v[143:144], v[143:144], v[121:122], v[119:120]
	ds_read2_b64 v[119:122], v118 offset0:99 offset1:100
	s_clause 0x1
	buffer_load_dword v145, off, s[0:3], 0 offset:440
	buffer_load_dword v146, off, s[0:3], 0 offset:444
	s_waitcnt vmcnt(28) lgkmcnt(0)
	v_fma_f64 v[119:120], v[149:150], v[119:120], v[143:144]
	s_clause 0x1
	buffer_load_dword v144, off, s[0:3], 0 offset:452
	buffer_load_dword v143, off, s[0:3], 0 offset:448
	s_waitcnt vmcnt(28)
	v_fma_f64 v[147:148], v[147:148], v[121:122], v[119:120]
	ds_read2_b64 v[119:122], v118 offset0:101 offset1:102
	s_clause 0x1
	buffer_load_dword v149, off, s[0:3], 0 offset:456
	buffer_load_dword v150, off, s[0:3], 0 offset:460
	s_waitcnt vmcnt(28) lgkmcnt(0)
	v_fma_f64 v[119:120], v[151:152], v[119:120], v[147:148]
	s_clause 0x1
	buffer_load_dword v147, off, s[0:3], 0 offset:96
	buffer_load_dword v148, off, s[0:3], 0 offset:100
	s_waitcnt vmcnt(28)
	v_fma_f64 v[123:124], v[123:124], v[121:122], v[119:120]
	ds_read2_b64 v[119:122], v118 offset0:103 offset1:104
	s_waitcnt vmcnt(26) lgkmcnt(0)
	v_fma_f64 v[119:120], v[153:154], v[119:120], v[123:124]
	s_waitcnt vmcnt(24)
	v_fma_f64 v[123:124], v[125:126], v[121:122], v[119:120]
	ds_read2_b64 v[119:122], v118 offset0:105 offset1:106
	s_waitcnt vmcnt(22) lgkmcnt(0)
	v_fma_f64 v[119:120], v[129:130], v[119:120], v[123:124]
	s_waitcnt vmcnt(20)
	v_fma_f64 v[123:124], v[127:128], v[121:122], v[119:120]
	ds_read2_b64 v[119:122], v118 offset0:107 offset1:108
	s_waitcnt vmcnt(18) lgkmcnt(0)
	v_fma_f64 v[119:120], v[133:134], v[119:120], v[123:124]
	s_waitcnt vmcnt(16)
	v_fma_f64 v[123:124], v[131:132], v[121:122], v[119:120]
	ds_read2_b64 v[119:122], v118 offset0:109 offset1:110
	s_waitcnt vmcnt(14) lgkmcnt(0)
	v_fma_f64 v[119:120], v[137:138], v[119:120], v[123:124]
	s_waitcnt vmcnt(12)
	v_fma_f64 v[123:124], v[135:136], v[121:122], v[119:120]
	ds_read2_b64 v[119:122], v118 offset0:111 offset1:112
	s_waitcnt vmcnt(10) lgkmcnt(0)
	v_fma_f64 v[119:120], v[141:142], v[119:120], v[123:124]
	s_waitcnt vmcnt(8)
	v_fma_f64 v[123:124], v[139:140], v[121:122], v[119:120]
	ds_read2_b64 v[119:122], v118 offset0:113 offset1:114
	s_waitcnt vmcnt(6) lgkmcnt(0)
	v_fma_f64 v[119:120], v[145:146], v[119:120], v[123:124]
	s_waitcnt vmcnt(4)
	v_fma_f64 v[119:120], v[143:144], v[121:122], v[119:120]
	ds_read_b64 v[121:122], v118 offset:920
	s_waitcnt vmcnt(2) lgkmcnt(0)
	v_fma_f64 v[119:120], v[149:150], v[121:122], v[119:120]
	s_waitcnt vmcnt(0)
	v_add_f64 v[119:120], v[147:148], -v[119:120]
	buffer_store_dword v120, off, s[0:3], 0 offset:100
	buffer_store_dword v119, off, s[0:3], 0 offset:96
	v_cmpx_lt_u32_e32 11, v0
	s_cbranch_execz .LBB57_335
; %bb.334:
	s_clause 0x1
	buffer_load_dword v119, off, s[0:3], 0 offset:88
	buffer_load_dword v120, off, s[0:3], 0 offset:92
	buffer_store_dword v118, off, s[0:3], 0 offset:88
	buffer_store_dword v118, off, s[0:3], 0 offset:92
	s_waitcnt vmcnt(0)
	ds_write_b64 v117, v[119:120]
.LBB57_335:
	s_or_b32 exec_lo, exec_lo, s4
	s_waitcnt lgkmcnt(0)
	s_waitcnt_vscnt null, 0x0
	s_barrier
	buffer_gl0_inv
	s_clause 0x1b
	buffer_load_dword v123, off, s[0:3], 0 offset:96
	buffer_load_dword v124, off, s[0:3], 0 offset:100
	;; [unrolled: 1-line block ×28, first 2 shown]
	ds_read_b128 v[119:122], v118 offset:560
	s_clause 0x1
	buffer_load_dword v151, off, s[0:3], 0 offset:208
	buffer_load_dword v152, off, s[0:3], 0 offset:212
	s_mov_b32 s4, exec_lo
	s_waitcnt vmcnt(28) lgkmcnt(0)
	v_fma_f64 v[119:120], v[123:124], v[119:120], 0
	s_clause 0x1
	buffer_load_dword v124, off, s[0:3], 0 offset:220
	buffer_load_dword v123, off, s[0:3], 0 offset:216
	s_waitcnt vmcnt(28)
	v_fma_f64 v[125:126], v[125:126], v[121:122], v[119:120]
	ds_read_b128 v[119:122], v118 offset:576
	s_clause 0x1
	buffer_load_dword v153, off, s[0:3], 0 offset:224
	buffer_load_dword v154, off, s[0:3], 0 offset:228
	s_waitcnt vmcnt(28) lgkmcnt(0)
	v_fma_f64 v[119:120], v[127:128], v[119:120], v[125:126]
	s_clause 0x1
	buffer_load_dword v125, off, s[0:3], 0 offset:232
	buffer_load_dword v126, off, s[0:3], 0 offset:236
	s_waitcnt vmcnt(28)
	v_fma_f64 v[127:128], v[129:130], v[121:122], v[119:120]
	ds_read_b128 v[119:122], v118 offset:592
	s_clause 0x1
	buffer_load_dword v129, off, s[0:3], 0 offset:240
	buffer_load_dword v130, off, s[0:3], 0 offset:244
	;; [unrolled: 11-line block ×16, first 2 shown]
	s_waitcnt vmcnt(28) lgkmcnt(0)
	v_fma_f64 v[119:120], v[153:154], v[119:120], v[123:124]
	s_waitcnt vmcnt(26)
	v_fma_f64 v[123:124], v[125:126], v[121:122], v[119:120]
	ds_read_b128 v[119:122], v118 offset:832
	s_waitcnt vmcnt(24) lgkmcnt(0)
	v_fma_f64 v[119:120], v[129:130], v[119:120], v[123:124]
	s_waitcnt vmcnt(22)
	v_fma_f64 v[123:124], v[127:128], v[121:122], v[119:120]
	ds_read_b128 v[119:122], v118 offset:848
	;; [unrolled: 5-line block ×6, first 2 shown]
	s_waitcnt vmcnt(4) lgkmcnt(0)
	v_fma_f64 v[118:119], v[149:150], v[118:119], v[122:123]
	s_waitcnt vmcnt(2)
	v_fma_f64 v[118:119], v[147:148], v[120:121], v[118:119]
	s_waitcnt vmcnt(0)
	v_add_f64 v[118:119], v[151:152], -v[118:119]
	buffer_store_dword v119, off, s[0:3], 0 offset:92
	buffer_store_dword v118, off, s[0:3], 0 offset:88
	v_cmpx_lt_u32_e32 10, v0
	s_cbranch_execz .LBB57_337
; %bb.336:
	s_clause 0x1
	buffer_load_dword v118, off, s[0:3], 0 offset:80
	buffer_load_dword v119, off, s[0:3], 0 offset:84
	v_mov_b32_e32 v120, 0
	buffer_store_dword v120, off, s[0:3], 0 offset:80
	buffer_store_dword v120, off, s[0:3], 0 offset:84
	s_waitcnt vmcnt(0)
	ds_write_b64 v117, v[118:119]
.LBB57_337:
	s_or_b32 exec_lo, exec_lo, s4
	s_waitcnt lgkmcnt(0)
	s_waitcnt_vscnt null, 0x0
	s_barrier
	buffer_gl0_inv
	s_clause 0x1b
	buffer_load_dword v123, off, s[0:3], 0 offset:88
	buffer_load_dword v124, off, s[0:3], 0 offset:92
	;; [unrolled: 1-line block ×28, first 2 shown]
	v_mov_b32_e32 v118, 0
	s_mov_b32 s4, exec_lo
	ds_read2_b64 v[119:122], v118 offset0:69 offset1:70
	s_clause 0x1
	buffer_load_dword v151, off, s[0:3], 0 offset:200
	buffer_load_dword v152, off, s[0:3], 0 offset:204
	s_waitcnt vmcnt(28) lgkmcnt(0)
	v_fma_f64 v[119:120], v[123:124], v[119:120], 0
	s_clause 0x1
	buffer_load_dword v124, off, s[0:3], 0 offset:212
	buffer_load_dword v123, off, s[0:3], 0 offset:208
	s_waitcnt vmcnt(28)
	v_fma_f64 v[125:126], v[125:126], v[121:122], v[119:120]
	ds_read2_b64 v[119:122], v118 offset0:71 offset1:72
	s_clause 0x1
	buffer_load_dword v153, off, s[0:3], 0 offset:216
	buffer_load_dword v154, off, s[0:3], 0 offset:220
	s_waitcnt vmcnt(28) lgkmcnt(0)
	v_fma_f64 v[119:120], v[127:128], v[119:120], v[125:126]
	s_clause 0x1
	buffer_load_dword v125, off, s[0:3], 0 offset:224
	buffer_load_dword v126, off, s[0:3], 0 offset:228
	s_waitcnt vmcnt(28)
	v_fma_f64 v[127:128], v[129:130], v[121:122], v[119:120]
	;; [unrolled: 11-line block ×17, first 2 shown]
	ds_read2_b64 v[119:122], v118 offset0:103 offset1:104
	s_waitcnt vmcnt(26) lgkmcnt(0)
	v_fma_f64 v[119:120], v[129:130], v[119:120], v[125:126]
	s_waitcnt vmcnt(24)
	v_fma_f64 v[125:126], v[127:128], v[121:122], v[119:120]
	ds_read2_b64 v[119:122], v118 offset0:105 offset1:106
	s_waitcnt vmcnt(22) lgkmcnt(0)
	v_fma_f64 v[119:120], v[133:134], v[119:120], v[125:126]
	s_waitcnt vmcnt(20)
	v_fma_f64 v[125:126], v[131:132], v[121:122], v[119:120]
	;; [unrolled: 5-line block ×6, first 2 shown]
	ds_read_b64 v[121:122], v118 offset:920
	s_waitcnt vmcnt(2) lgkmcnt(0)
	v_fma_f64 v[119:120], v[151:152], v[121:122], v[119:120]
	s_waitcnt vmcnt(0)
	v_add_f64 v[119:120], v[123:124], -v[119:120]
	buffer_store_dword v120, off, s[0:3], 0 offset:84
	buffer_store_dword v119, off, s[0:3], 0 offset:80
	v_cmpx_lt_u32_e32 9, v0
	s_cbranch_execz .LBB57_339
; %bb.338:
	s_clause 0x1
	buffer_load_dword v119, off, s[0:3], 0 offset:72
	buffer_load_dword v120, off, s[0:3], 0 offset:76
	buffer_store_dword v118, off, s[0:3], 0 offset:72
	buffer_store_dword v118, off, s[0:3], 0 offset:76
	s_waitcnt vmcnt(0)
	ds_write_b64 v117, v[119:120]
.LBB57_339:
	s_or_b32 exec_lo, exec_lo, s4
	s_waitcnt lgkmcnt(0)
	s_waitcnt_vscnt null, 0x0
	s_barrier
	buffer_gl0_inv
	s_clause 0x1b
	buffer_load_dword v123, off, s[0:3], 0 offset:80
	buffer_load_dword v124, off, s[0:3], 0 offset:84
	;; [unrolled: 1-line block ×28, first 2 shown]
	ds_read_b128 v[119:122], v118 offset:544
	s_clause 0x1
	buffer_load_dword v151, off, s[0:3], 0 offset:192
	buffer_load_dword v152, off, s[0:3], 0 offset:196
	s_mov_b32 s4, exec_lo
	s_waitcnt vmcnt(28) lgkmcnt(0)
	v_fma_f64 v[119:120], v[123:124], v[119:120], 0
	s_clause 0x1
	buffer_load_dword v124, off, s[0:3], 0 offset:204
	buffer_load_dword v123, off, s[0:3], 0 offset:200
	s_waitcnt vmcnt(28)
	v_fma_f64 v[125:126], v[125:126], v[121:122], v[119:120]
	ds_read_b128 v[119:122], v118 offset:560
	s_clause 0x1
	buffer_load_dword v153, off, s[0:3], 0 offset:208
	buffer_load_dword v154, off, s[0:3], 0 offset:212
	s_waitcnt vmcnt(28) lgkmcnt(0)
	v_fma_f64 v[119:120], v[127:128], v[119:120], v[125:126]
	s_clause 0x1
	buffer_load_dword v125, off, s[0:3], 0 offset:216
	buffer_load_dword v126, off, s[0:3], 0 offset:220
	s_waitcnt vmcnt(28)
	v_fma_f64 v[127:128], v[129:130], v[121:122], v[119:120]
	ds_read_b128 v[119:122], v118 offset:576
	s_clause 0x1
	buffer_load_dword v129, off, s[0:3], 0 offset:224
	buffer_load_dword v130, off, s[0:3], 0 offset:228
	;; [unrolled: 11-line block ×17, first 2 shown]
	s_waitcnt vmcnt(28) lgkmcnt(0)
	v_fma_f64 v[119:120], v[129:130], v[119:120], v[125:126]
	s_waitcnt vmcnt(26)
	v_fma_f64 v[125:126], v[127:128], v[121:122], v[119:120]
	ds_read_b128 v[119:122], v118 offset:832
	s_waitcnt vmcnt(24) lgkmcnt(0)
	v_fma_f64 v[119:120], v[133:134], v[119:120], v[125:126]
	s_waitcnt vmcnt(22)
	v_fma_f64 v[125:126], v[131:132], v[121:122], v[119:120]
	ds_read_b128 v[119:122], v118 offset:848
	;; [unrolled: 5-line block ×6, first 2 shown]
	s_waitcnt vmcnt(4) lgkmcnt(0)
	v_fma_f64 v[118:119], v[151:152], v[118:119], v[125:126]
	s_waitcnt vmcnt(2)
	v_fma_f64 v[118:119], v[123:124], v[120:121], v[118:119]
	s_waitcnt vmcnt(0)
	v_add_f64 v[118:119], v[153:154], -v[118:119]
	buffer_store_dword v119, off, s[0:3], 0 offset:76
	buffer_store_dword v118, off, s[0:3], 0 offset:72
	v_cmpx_lt_u32_e32 8, v0
	s_cbranch_execz .LBB57_341
; %bb.340:
	s_clause 0x1
	buffer_load_dword v118, off, s[0:3], 0 offset:64
	buffer_load_dword v119, off, s[0:3], 0 offset:68
	v_mov_b32_e32 v120, 0
	buffer_store_dword v120, off, s[0:3], 0 offset:64
	buffer_store_dword v120, off, s[0:3], 0 offset:68
	s_waitcnt vmcnt(0)
	ds_write_b64 v117, v[118:119]
.LBB57_341:
	s_or_b32 exec_lo, exec_lo, s4
	s_waitcnt lgkmcnt(0)
	s_waitcnt_vscnt null, 0x0
	s_barrier
	buffer_gl0_inv
	s_clause 0x1b
	buffer_load_dword v123, off, s[0:3], 0 offset:72
	buffer_load_dword v124, off, s[0:3], 0 offset:76
	buffer_load_dword v125, off, s[0:3], 0 offset:80
	buffer_load_dword v126, off, s[0:3], 0 offset:84
	buffer_load_dword v127, off, s[0:3], 0 offset:88
	buffer_load_dword v128, off, s[0:3], 0 offset:92
	buffer_load_dword v129, off, s[0:3], 0 offset:96
	buffer_load_dword v130, off, s[0:3], 0 offset:100
	buffer_load_dword v131, off, s[0:3], 0 offset:104
	buffer_load_dword v132, off, s[0:3], 0 offset:108
	buffer_load_dword v133, off, s[0:3], 0 offset:112
	buffer_load_dword v134, off, s[0:3], 0 offset:116
	buffer_load_dword v135, off, s[0:3], 0 offset:120
	buffer_load_dword v136, off, s[0:3], 0 offset:124
	buffer_load_dword v138, off, s[0:3], 0 offset:132
	buffer_load_dword v137, off, s[0:3], 0 offset:128
	buffer_load_dword v139, off, s[0:3], 0 offset:136
	buffer_load_dword v140, off, s[0:3], 0 offset:140
	buffer_load_dword v141, off, s[0:3], 0 offset:144
	buffer_load_dword v142, off, s[0:3], 0 offset:148
	buffer_load_dword v143, off, s[0:3], 0 offset:152
	buffer_load_dword v144, off, s[0:3], 0 offset:156
	buffer_load_dword v146, off, s[0:3], 0 offset:164
	buffer_load_dword v145, off, s[0:3], 0 offset:160
	buffer_load_dword v147, off, s[0:3], 0 offset:168
	buffer_load_dword v148, off, s[0:3], 0 offset:172
	buffer_load_dword v149, off, s[0:3], 0 offset:176
	buffer_load_dword v150, off, s[0:3], 0 offset:180
	v_mov_b32_e32 v118, 0
	s_mov_b32 s4, exec_lo
	ds_read2_b64 v[119:122], v118 offset0:67 offset1:68
	s_clause 0x1
	buffer_load_dword v151, off, s[0:3], 0 offset:184
	buffer_load_dword v152, off, s[0:3], 0 offset:188
	s_waitcnt vmcnt(28) lgkmcnt(0)
	v_fma_f64 v[119:120], v[123:124], v[119:120], 0
	s_clause 0x1
	buffer_load_dword v124, off, s[0:3], 0 offset:196
	buffer_load_dword v123, off, s[0:3], 0 offset:192
	s_waitcnt vmcnt(28)
	v_fma_f64 v[125:126], v[125:126], v[121:122], v[119:120]
	ds_read2_b64 v[119:122], v118 offset0:69 offset1:70
	s_clause 0x1
	buffer_load_dword v153, off, s[0:3], 0 offset:200
	buffer_load_dword v154, off, s[0:3], 0 offset:204
	s_waitcnt vmcnt(28) lgkmcnt(0)
	v_fma_f64 v[119:120], v[127:128], v[119:120], v[125:126]
	s_clause 0x1
	buffer_load_dword v125, off, s[0:3], 0 offset:208
	buffer_load_dword v126, off, s[0:3], 0 offset:212
	s_waitcnt vmcnt(28)
	v_fma_f64 v[127:128], v[129:130], v[121:122], v[119:120]
	;; [unrolled: 11-line block ×18, first 2 shown]
	ds_read2_b64 v[119:122], v118 offset0:103 offset1:104
	s_waitcnt vmcnt(26) lgkmcnt(0)
	v_fma_f64 v[119:120], v[133:134], v[119:120], v[127:128]
	s_waitcnt vmcnt(24)
	v_fma_f64 v[127:128], v[131:132], v[121:122], v[119:120]
	ds_read2_b64 v[119:122], v118 offset0:105 offset1:106
	s_waitcnt vmcnt(22) lgkmcnt(0)
	v_fma_f64 v[119:120], v[137:138], v[119:120], v[127:128]
	s_waitcnt vmcnt(20)
	v_fma_f64 v[127:128], v[135:136], v[121:122], v[119:120]
	;; [unrolled: 5-line block ×6, first 2 shown]
	ds_read_b64 v[121:122], v118 offset:920
	s_waitcnt vmcnt(2) lgkmcnt(0)
	v_fma_f64 v[119:120], v[153:154], v[121:122], v[119:120]
	s_waitcnt vmcnt(0)
	v_add_f64 v[119:120], v[125:126], -v[119:120]
	buffer_store_dword v120, off, s[0:3], 0 offset:68
	buffer_store_dword v119, off, s[0:3], 0 offset:64
	v_cmpx_lt_u32_e32 7, v0
	s_cbranch_execz .LBB57_343
; %bb.342:
	s_clause 0x1
	buffer_load_dword v119, off, s[0:3], 0 offset:56
	buffer_load_dword v120, off, s[0:3], 0 offset:60
	buffer_store_dword v118, off, s[0:3], 0 offset:56
	buffer_store_dword v118, off, s[0:3], 0 offset:60
	s_waitcnt vmcnt(0)
	ds_write_b64 v117, v[119:120]
.LBB57_343:
	s_or_b32 exec_lo, exec_lo, s4
	s_waitcnt lgkmcnt(0)
	s_waitcnt_vscnt null, 0x0
	s_barrier
	buffer_gl0_inv
	s_clause 0x1b
	buffer_load_dword v123, off, s[0:3], 0 offset:64
	buffer_load_dword v124, off, s[0:3], 0 offset:68
	;; [unrolled: 1-line block ×28, first 2 shown]
	ds_read_b128 v[119:122], v118 offset:528
	s_clause 0x1
	buffer_load_dword v151, off, s[0:3], 0 offset:176
	buffer_load_dword v152, off, s[0:3], 0 offset:180
	s_mov_b32 s4, exec_lo
	s_waitcnt vmcnt(28) lgkmcnt(0)
	v_fma_f64 v[119:120], v[123:124], v[119:120], 0
	s_clause 0x1
	buffer_load_dword v124, off, s[0:3], 0 offset:188
	buffer_load_dword v123, off, s[0:3], 0 offset:184
	s_waitcnt vmcnt(28)
	v_fma_f64 v[125:126], v[125:126], v[121:122], v[119:120]
	ds_read_b128 v[119:122], v118 offset:544
	s_clause 0x1
	buffer_load_dword v153, off, s[0:3], 0 offset:192
	buffer_load_dword v154, off, s[0:3], 0 offset:196
	s_waitcnt vmcnt(28) lgkmcnt(0)
	v_fma_f64 v[119:120], v[127:128], v[119:120], v[125:126]
	s_clause 0x1
	buffer_load_dword v125, off, s[0:3], 0 offset:200
	buffer_load_dword v126, off, s[0:3], 0 offset:204
	s_waitcnt vmcnt(28)
	v_fma_f64 v[127:128], v[129:130], v[121:122], v[119:120]
	ds_read_b128 v[119:122], v118 offset:560
	s_clause 0x1
	buffer_load_dword v129, off, s[0:3], 0 offset:208
	buffer_load_dword v130, off, s[0:3], 0 offset:212
	;; [unrolled: 11-line block ×18, first 2 shown]
	s_waitcnt vmcnt(28) lgkmcnt(0)
	v_fma_f64 v[119:120], v[133:134], v[119:120], v[127:128]
	s_waitcnt vmcnt(26)
	v_fma_f64 v[127:128], v[131:132], v[121:122], v[119:120]
	ds_read_b128 v[119:122], v118 offset:832
	s_waitcnt vmcnt(24) lgkmcnt(0)
	v_fma_f64 v[119:120], v[137:138], v[119:120], v[127:128]
	s_waitcnt vmcnt(22)
	v_fma_f64 v[127:128], v[135:136], v[121:122], v[119:120]
	ds_read_b128 v[119:122], v118 offset:848
	;; [unrolled: 5-line block ×6, first 2 shown]
	s_waitcnt vmcnt(4) lgkmcnt(0)
	v_fma_f64 v[118:119], v[153:154], v[118:119], v[122:123]
	s_waitcnt vmcnt(2)
	v_fma_f64 v[118:119], v[125:126], v[120:121], v[118:119]
	s_waitcnt vmcnt(0)
	v_add_f64 v[118:119], v[129:130], -v[118:119]
	buffer_store_dword v119, off, s[0:3], 0 offset:60
	buffer_store_dword v118, off, s[0:3], 0 offset:56
	v_cmpx_lt_u32_e32 6, v0
	s_cbranch_execz .LBB57_345
; %bb.344:
	s_clause 0x1
	buffer_load_dword v118, off, s[0:3], 0 offset:48
	buffer_load_dword v119, off, s[0:3], 0 offset:52
	v_mov_b32_e32 v120, 0
	buffer_store_dword v120, off, s[0:3], 0 offset:48
	buffer_store_dword v120, off, s[0:3], 0 offset:52
	s_waitcnt vmcnt(0)
	ds_write_b64 v117, v[118:119]
.LBB57_345:
	s_or_b32 exec_lo, exec_lo, s4
	s_waitcnt lgkmcnt(0)
	s_waitcnt_vscnt null, 0x0
	s_barrier
	buffer_gl0_inv
	s_clause 0x1b
	buffer_load_dword v123, off, s[0:3], 0 offset:56
	buffer_load_dword v124, off, s[0:3], 0 offset:60
	;; [unrolled: 1-line block ×28, first 2 shown]
	v_mov_b32_e32 v118, 0
	s_mov_b32 s4, exec_lo
	ds_read2_b64 v[119:122], v118 offset0:65 offset1:66
	s_clause 0x1
	buffer_load_dword v151, off, s[0:3], 0 offset:168
	buffer_load_dword v152, off, s[0:3], 0 offset:172
	s_waitcnt vmcnt(28) lgkmcnt(0)
	v_fma_f64 v[119:120], v[123:124], v[119:120], 0
	s_clause 0x1
	buffer_load_dword v124, off, s[0:3], 0 offset:180
	buffer_load_dword v123, off, s[0:3], 0 offset:176
	s_waitcnt vmcnt(28)
	v_fma_f64 v[125:126], v[125:126], v[121:122], v[119:120]
	ds_read2_b64 v[119:122], v118 offset0:67 offset1:68
	s_clause 0x1
	buffer_load_dword v153, off, s[0:3], 0 offset:184
	buffer_load_dword v154, off, s[0:3], 0 offset:188
	s_waitcnt vmcnt(28) lgkmcnt(0)
	v_fma_f64 v[119:120], v[127:128], v[119:120], v[125:126]
	s_clause 0x1
	buffer_load_dword v125, off, s[0:3], 0 offset:192
	buffer_load_dword v126, off, s[0:3], 0 offset:196
	s_waitcnt vmcnt(28)
	v_fma_f64 v[127:128], v[129:130], v[121:122], v[119:120]
	;; [unrolled: 11-line block ×19, first 2 shown]
	ds_read2_b64 v[119:122], v118 offset0:103 offset1:104
	s_waitcnt vmcnt(26) lgkmcnt(0)
	v_fma_f64 v[119:120], v[137:138], v[119:120], v[131:132]
	s_waitcnt vmcnt(24)
	v_fma_f64 v[131:132], v[135:136], v[121:122], v[119:120]
	ds_read2_b64 v[119:122], v118 offset0:105 offset1:106
	s_waitcnt vmcnt(22) lgkmcnt(0)
	v_fma_f64 v[119:120], v[141:142], v[119:120], v[131:132]
	s_waitcnt vmcnt(20)
	v_fma_f64 v[131:132], v[139:140], v[121:122], v[119:120]
	;; [unrolled: 5-line block ×6, first 2 shown]
	ds_read_b64 v[121:122], v118 offset:920
	s_waitcnt vmcnt(2) lgkmcnt(0)
	v_fma_f64 v[119:120], v[129:130], v[121:122], v[119:120]
	s_waitcnt vmcnt(0)
	v_add_f64 v[119:120], v[127:128], -v[119:120]
	buffer_store_dword v120, off, s[0:3], 0 offset:52
	buffer_store_dword v119, off, s[0:3], 0 offset:48
	v_cmpx_lt_u32_e32 5, v0
	s_cbranch_execz .LBB57_347
; %bb.346:
	s_clause 0x1
	buffer_load_dword v119, off, s[0:3], 0 offset:40
	buffer_load_dword v120, off, s[0:3], 0 offset:44
	buffer_store_dword v118, off, s[0:3], 0 offset:40
	buffer_store_dword v118, off, s[0:3], 0 offset:44
	s_waitcnt vmcnt(0)
	ds_write_b64 v117, v[119:120]
.LBB57_347:
	s_or_b32 exec_lo, exec_lo, s4
	s_waitcnt lgkmcnt(0)
	s_waitcnt_vscnt null, 0x0
	s_barrier
	buffer_gl0_inv
	s_clause 0x1b
	buffer_load_dword v123, off, s[0:3], 0 offset:48
	buffer_load_dword v124, off, s[0:3], 0 offset:52
	buffer_load_dword v125, off, s[0:3], 0 offset:56
	buffer_load_dword v126, off, s[0:3], 0 offset:60
	buffer_load_dword v127, off, s[0:3], 0 offset:64
	buffer_load_dword v128, off, s[0:3], 0 offset:68
	buffer_load_dword v129, off, s[0:3], 0 offset:72
	buffer_load_dword v130, off, s[0:3], 0 offset:76
	buffer_load_dword v131, off, s[0:3], 0 offset:80
	buffer_load_dword v132, off, s[0:3], 0 offset:84
	buffer_load_dword v133, off, s[0:3], 0 offset:88
	buffer_load_dword v134, off, s[0:3], 0 offset:92
	buffer_load_dword v135, off, s[0:3], 0 offset:96
	buffer_load_dword v136, off, s[0:3], 0 offset:100
	buffer_load_dword v138, off, s[0:3], 0 offset:108
	buffer_load_dword v137, off, s[0:3], 0 offset:104
	buffer_load_dword v139, off, s[0:3], 0 offset:112
	buffer_load_dword v140, off, s[0:3], 0 offset:116
	buffer_load_dword v141, off, s[0:3], 0 offset:120
	buffer_load_dword v142, off, s[0:3], 0 offset:124
	buffer_load_dword v143, off, s[0:3], 0 offset:128
	buffer_load_dword v144, off, s[0:3], 0 offset:132
	buffer_load_dword v146, off, s[0:3], 0 offset:140
	buffer_load_dword v145, off, s[0:3], 0 offset:136
	buffer_load_dword v147, off, s[0:3], 0 offset:144
	buffer_load_dword v148, off, s[0:3], 0 offset:148
	buffer_load_dword v149, off, s[0:3], 0 offset:152
	buffer_load_dword v150, off, s[0:3], 0 offset:156
	ds_read_b128 v[119:122], v118 offset:512
	s_clause 0x1
	buffer_load_dword v151, off, s[0:3], 0 offset:160
	buffer_load_dword v152, off, s[0:3], 0 offset:164
	s_mov_b32 s4, exec_lo
	s_waitcnt vmcnt(28) lgkmcnt(0)
	v_fma_f64 v[119:120], v[123:124], v[119:120], 0
	s_clause 0x1
	buffer_load_dword v124, off, s[0:3], 0 offset:172
	buffer_load_dword v123, off, s[0:3], 0 offset:168
	s_waitcnt vmcnt(28)
	v_fma_f64 v[125:126], v[125:126], v[121:122], v[119:120]
	ds_read_b128 v[119:122], v118 offset:528
	s_clause 0x1
	buffer_load_dword v153, off, s[0:3], 0 offset:176
	buffer_load_dword v154, off, s[0:3], 0 offset:180
	s_waitcnt vmcnt(28) lgkmcnt(0)
	v_fma_f64 v[119:120], v[127:128], v[119:120], v[125:126]
	s_clause 0x1
	buffer_load_dword v125, off, s[0:3], 0 offset:184
	buffer_load_dword v126, off, s[0:3], 0 offset:188
	s_waitcnt vmcnt(28)
	v_fma_f64 v[127:128], v[129:130], v[121:122], v[119:120]
	ds_read_b128 v[119:122], v118 offset:544
	s_clause 0x1
	buffer_load_dword v129, off, s[0:3], 0 offset:192
	buffer_load_dword v130, off, s[0:3], 0 offset:196
	;; [unrolled: 11-line block ×19, first 2 shown]
	s_waitcnt vmcnt(28) lgkmcnt(0)
	v_fma_f64 v[119:120], v[137:138], v[119:120], v[131:132]
	s_waitcnt vmcnt(26)
	v_fma_f64 v[131:132], v[135:136], v[121:122], v[119:120]
	ds_read_b128 v[119:122], v118 offset:832
	s_waitcnt vmcnt(24) lgkmcnt(0)
	v_fma_f64 v[119:120], v[141:142], v[119:120], v[131:132]
	s_waitcnt vmcnt(22)
	v_fma_f64 v[131:132], v[139:140], v[121:122], v[119:120]
	ds_read_b128 v[119:122], v118 offset:848
	s_waitcnt vmcnt(20) lgkmcnt(0)
	v_fma_f64 v[119:120], v[145:146], v[119:120], v[131:132]
	s_waitcnt vmcnt(18)
	v_fma_f64 v[131:132], v[143:144], v[121:122], v[119:120]
	ds_read_b128 v[119:122], v118 offset:864
	s_waitcnt vmcnt(16) lgkmcnt(0)
	v_fma_f64 v[119:120], v[149:150], v[119:120], v[131:132]
	s_waitcnt vmcnt(14)
	v_fma_f64 v[131:132], v[147:148], v[121:122], v[119:120]
	ds_read_b128 v[119:122], v118 offset:880
	s_waitcnt vmcnt(12) lgkmcnt(0)
	v_fma_f64 v[119:120], v[151:152], v[119:120], v[131:132]
	s_waitcnt vmcnt(10)
	v_fma_f64 v[123:124], v[123:124], v[121:122], v[119:120]
	ds_read_b128 v[119:122], v118 offset:896
	s_waitcnt vmcnt(8) lgkmcnt(0)
	v_fma_f64 v[119:120], v[153:154], v[119:120], v[123:124]
	s_waitcnt vmcnt(6)
	v_fma_f64 v[122:123], v[125:126], v[121:122], v[119:120]
	ds_read_b128 v[118:121], v118 offset:912
	s_waitcnt vmcnt(4) lgkmcnt(0)
	v_fma_f64 v[118:119], v[129:130], v[118:119], v[122:123]
	s_waitcnt vmcnt(2)
	v_fma_f64 v[118:119], v[127:128], v[120:121], v[118:119]
	s_waitcnt vmcnt(0)
	v_add_f64 v[118:119], v[133:134], -v[118:119]
	buffer_store_dword v119, off, s[0:3], 0 offset:44
	buffer_store_dword v118, off, s[0:3], 0 offset:40
	v_cmpx_lt_u32_e32 4, v0
	s_cbranch_execz .LBB57_349
; %bb.348:
	s_clause 0x1
	buffer_load_dword v118, off, s[0:3], 0 offset:32
	buffer_load_dword v119, off, s[0:3], 0 offset:36
	v_mov_b32_e32 v120, 0
	buffer_store_dword v120, off, s[0:3], 0 offset:32
	buffer_store_dword v120, off, s[0:3], 0 offset:36
	s_waitcnt vmcnt(0)
	ds_write_b64 v117, v[118:119]
.LBB57_349:
	s_or_b32 exec_lo, exec_lo, s4
	s_waitcnt lgkmcnt(0)
	s_waitcnt_vscnt null, 0x0
	s_barrier
	buffer_gl0_inv
	s_clause 0x1b
	buffer_load_dword v123, off, s[0:3], 0 offset:40
	buffer_load_dword v124, off, s[0:3], 0 offset:44
	buffer_load_dword v125, off, s[0:3], 0 offset:48
	buffer_load_dword v126, off, s[0:3], 0 offset:52
	buffer_load_dword v127, off, s[0:3], 0 offset:56
	buffer_load_dword v128, off, s[0:3], 0 offset:60
	buffer_load_dword v129, off, s[0:3], 0 offset:64
	buffer_load_dword v130, off, s[0:3], 0 offset:68
	buffer_load_dword v131, off, s[0:3], 0 offset:72
	buffer_load_dword v132, off, s[0:3], 0 offset:76
	buffer_load_dword v133, off, s[0:3], 0 offset:80
	buffer_load_dword v134, off, s[0:3], 0 offset:84
	buffer_load_dword v135, off, s[0:3], 0 offset:88
	buffer_load_dword v136, off, s[0:3], 0 offset:92
	buffer_load_dword v138, off, s[0:3], 0 offset:100
	buffer_load_dword v137, off, s[0:3], 0 offset:96
	buffer_load_dword v139, off, s[0:3], 0 offset:104
	buffer_load_dword v140, off, s[0:3], 0 offset:108
	buffer_load_dword v141, off, s[0:3], 0 offset:112
	buffer_load_dword v142, off, s[0:3], 0 offset:116
	buffer_load_dword v143, off, s[0:3], 0 offset:120
	buffer_load_dword v144, off, s[0:3], 0 offset:124
	buffer_load_dword v146, off, s[0:3], 0 offset:132
	buffer_load_dword v145, off, s[0:3], 0 offset:128
	buffer_load_dword v147, off, s[0:3], 0 offset:136
	buffer_load_dword v148, off, s[0:3], 0 offset:140
	buffer_load_dword v149, off, s[0:3], 0 offset:144
	buffer_load_dword v150, off, s[0:3], 0 offset:148
	v_mov_b32_e32 v118, 0
	s_mov_b32 s4, exec_lo
	ds_read2_b64 v[119:122], v118 offset0:63 offset1:64
	s_clause 0x1
	buffer_load_dword v151, off, s[0:3], 0 offset:152
	buffer_load_dword v152, off, s[0:3], 0 offset:156
	s_waitcnt vmcnt(28) lgkmcnt(0)
	v_fma_f64 v[119:120], v[123:124], v[119:120], 0
	s_clause 0x1
	buffer_load_dword v124, off, s[0:3], 0 offset:164
	buffer_load_dword v123, off, s[0:3], 0 offset:160
	s_waitcnt vmcnt(28)
	v_fma_f64 v[125:126], v[125:126], v[121:122], v[119:120]
	ds_read2_b64 v[119:122], v118 offset0:65 offset1:66
	s_clause 0x1
	buffer_load_dword v153, off, s[0:3], 0 offset:168
	buffer_load_dword v154, off, s[0:3], 0 offset:172
	s_waitcnt vmcnt(28) lgkmcnt(0)
	v_fma_f64 v[119:120], v[127:128], v[119:120], v[125:126]
	s_clause 0x1
	buffer_load_dword v125, off, s[0:3], 0 offset:176
	buffer_load_dword v126, off, s[0:3], 0 offset:180
	s_waitcnt vmcnt(28)
	v_fma_f64 v[127:128], v[129:130], v[121:122], v[119:120]
	;; [unrolled: 11-line block ×20, first 2 shown]
	ds_read2_b64 v[119:122], v118 offset0:103 offset1:104
	s_waitcnt vmcnt(26) lgkmcnt(0)
	v_fma_f64 v[119:120], v[141:142], v[119:120], v[135:136]
	s_waitcnt vmcnt(24)
	v_fma_f64 v[135:136], v[139:140], v[121:122], v[119:120]
	ds_read2_b64 v[119:122], v118 offset0:105 offset1:106
	s_waitcnt vmcnt(22) lgkmcnt(0)
	v_fma_f64 v[119:120], v[145:146], v[119:120], v[135:136]
	s_waitcnt vmcnt(20)
	v_fma_f64 v[135:136], v[143:144], v[121:122], v[119:120]
	;; [unrolled: 5-line block ×6, first 2 shown]
	ds_read_b64 v[121:122], v118 offset:920
	s_waitcnt vmcnt(2) lgkmcnt(0)
	v_fma_f64 v[119:120], v[133:134], v[121:122], v[119:120]
	s_waitcnt vmcnt(0)
	v_add_f64 v[119:120], v[131:132], -v[119:120]
	buffer_store_dword v120, off, s[0:3], 0 offset:36
	buffer_store_dword v119, off, s[0:3], 0 offset:32
	v_cmpx_lt_u32_e32 3, v0
	s_cbranch_execz .LBB57_351
; %bb.350:
	s_clause 0x1
	buffer_load_dword v119, off, s[0:3], 0 offset:24
	buffer_load_dword v120, off, s[0:3], 0 offset:28
	buffer_store_dword v118, off, s[0:3], 0 offset:24
	buffer_store_dword v118, off, s[0:3], 0 offset:28
	s_waitcnt vmcnt(0)
	ds_write_b64 v117, v[119:120]
.LBB57_351:
	s_or_b32 exec_lo, exec_lo, s4
	s_waitcnt lgkmcnt(0)
	s_waitcnt_vscnt null, 0x0
	s_barrier
	buffer_gl0_inv
	s_clause 0x1b
	buffer_load_dword v123, off, s[0:3], 0 offset:32
	buffer_load_dword v124, off, s[0:3], 0 offset:36
	;; [unrolled: 1-line block ×28, first 2 shown]
	ds_read_b128 v[119:122], v118 offset:496
	s_clause 0x1
	buffer_load_dword v151, off, s[0:3], 0 offset:144
	buffer_load_dword v152, off, s[0:3], 0 offset:148
	s_mov_b32 s4, exec_lo
	s_waitcnt vmcnt(28) lgkmcnt(0)
	v_fma_f64 v[119:120], v[123:124], v[119:120], 0
	s_clause 0x1
	buffer_load_dword v124, off, s[0:3], 0 offset:156
	buffer_load_dword v123, off, s[0:3], 0 offset:152
	s_waitcnt vmcnt(28)
	v_fma_f64 v[125:126], v[125:126], v[121:122], v[119:120]
	ds_read_b128 v[119:122], v118 offset:512
	s_clause 0x1
	buffer_load_dword v153, off, s[0:3], 0 offset:160
	buffer_load_dword v154, off, s[0:3], 0 offset:164
	s_waitcnt vmcnt(28) lgkmcnt(0)
	v_fma_f64 v[119:120], v[127:128], v[119:120], v[125:126]
	s_clause 0x1
	buffer_load_dword v125, off, s[0:3], 0 offset:168
	buffer_load_dword v126, off, s[0:3], 0 offset:172
	s_waitcnt vmcnt(28)
	v_fma_f64 v[127:128], v[129:130], v[121:122], v[119:120]
	ds_read_b128 v[119:122], v118 offset:528
	s_clause 0x1
	buffer_load_dword v129, off, s[0:3], 0 offset:176
	buffer_load_dword v130, off, s[0:3], 0 offset:180
	;; [unrolled: 11-line block ×20, first 2 shown]
	s_waitcnt vmcnt(28) lgkmcnt(0)
	v_fma_f64 v[119:120], v[141:142], v[119:120], v[135:136]
	s_waitcnt vmcnt(26)
	v_fma_f64 v[135:136], v[139:140], v[121:122], v[119:120]
	ds_read_b128 v[119:122], v118 offset:832
	s_waitcnt vmcnt(24) lgkmcnt(0)
	v_fma_f64 v[119:120], v[145:146], v[119:120], v[135:136]
	s_waitcnt vmcnt(22)
	v_fma_f64 v[135:136], v[143:144], v[121:122], v[119:120]
	ds_read_b128 v[119:122], v118 offset:848
	;; [unrolled: 5-line block ×6, first 2 shown]
	s_waitcnt vmcnt(4) lgkmcnt(0)
	v_fma_f64 v[118:119], v[133:134], v[118:119], v[122:123]
	s_waitcnt vmcnt(2)
	v_fma_f64 v[118:119], v[131:132], v[120:121], v[118:119]
	s_waitcnt vmcnt(0)
	v_add_f64 v[118:119], v[137:138], -v[118:119]
	buffer_store_dword v119, off, s[0:3], 0 offset:28
	buffer_store_dword v118, off, s[0:3], 0 offset:24
	v_cmpx_lt_u32_e32 2, v0
	s_cbranch_execz .LBB57_353
; %bb.352:
	s_clause 0x1
	buffer_load_dword v118, off, s[0:3], 0 offset:16
	buffer_load_dword v119, off, s[0:3], 0 offset:20
	v_mov_b32_e32 v120, 0
	buffer_store_dword v120, off, s[0:3], 0 offset:16
	buffer_store_dword v120, off, s[0:3], 0 offset:20
	s_waitcnt vmcnt(0)
	ds_write_b64 v117, v[118:119]
.LBB57_353:
	s_or_b32 exec_lo, exec_lo, s4
	s_waitcnt lgkmcnt(0)
	s_waitcnt_vscnt null, 0x0
	s_barrier
	buffer_gl0_inv
	s_clause 0x1b
	buffer_load_dword v123, off, s[0:3], 0 offset:24
	buffer_load_dword v124, off, s[0:3], 0 offset:28
	;; [unrolled: 1-line block ×28, first 2 shown]
	v_mov_b32_e32 v118, 0
	s_mov_b32 s4, exec_lo
	ds_read2_b64 v[119:122], v118 offset0:61 offset1:62
	s_clause 0x1
	buffer_load_dword v151, off, s[0:3], 0 offset:136
	buffer_load_dword v152, off, s[0:3], 0 offset:140
	s_waitcnt vmcnt(28) lgkmcnt(0)
	v_fma_f64 v[119:120], v[123:124], v[119:120], 0
	s_clause 0x1
	buffer_load_dword v124, off, s[0:3], 0 offset:148
	buffer_load_dword v123, off, s[0:3], 0 offset:144
	s_waitcnt vmcnt(28)
	v_fma_f64 v[125:126], v[125:126], v[121:122], v[119:120]
	ds_read2_b64 v[119:122], v118 offset0:63 offset1:64
	s_clause 0x1
	buffer_load_dword v153, off, s[0:3], 0 offset:152
	buffer_load_dword v154, off, s[0:3], 0 offset:156
	s_waitcnt vmcnt(28) lgkmcnt(0)
	v_fma_f64 v[119:120], v[127:128], v[119:120], v[125:126]
	s_clause 0x1
	buffer_load_dword v125, off, s[0:3], 0 offset:160
	buffer_load_dword v126, off, s[0:3], 0 offset:164
	s_waitcnt vmcnt(28)
	v_fma_f64 v[127:128], v[129:130], v[121:122], v[119:120]
	;; [unrolled: 11-line block ×21, first 2 shown]
	ds_read2_b64 v[119:122], v118 offset0:103 offset1:104
	s_waitcnt vmcnt(26) lgkmcnt(0)
	v_fma_f64 v[119:120], v[145:146], v[119:120], v[139:140]
	s_waitcnt vmcnt(24)
	v_fma_f64 v[139:140], v[143:144], v[121:122], v[119:120]
	ds_read2_b64 v[119:122], v118 offset0:105 offset1:106
	s_waitcnt vmcnt(22) lgkmcnt(0)
	v_fma_f64 v[119:120], v[149:150], v[119:120], v[139:140]
	s_waitcnt vmcnt(20)
	v_fma_f64 v[139:140], v[147:148], v[121:122], v[119:120]
	;; [unrolled: 5-line block ×6, first 2 shown]
	ds_read_b64 v[121:122], v118 offset:920
	s_waitcnt vmcnt(2) lgkmcnt(0)
	v_fma_f64 v[119:120], v[137:138], v[121:122], v[119:120]
	s_waitcnt vmcnt(0)
	v_add_f64 v[119:120], v[135:136], -v[119:120]
	buffer_store_dword v120, off, s[0:3], 0 offset:20
	buffer_store_dword v119, off, s[0:3], 0 offset:16
	v_cmpx_lt_u32_e32 1, v0
	s_cbranch_execz .LBB57_355
; %bb.354:
	s_clause 0x1
	buffer_load_dword v119, off, s[0:3], 0 offset:8
	buffer_load_dword v120, off, s[0:3], 0 offset:12
	buffer_store_dword v118, off, s[0:3], 0 offset:8
	buffer_store_dword v118, off, s[0:3], 0 offset:12
	s_waitcnt vmcnt(0)
	ds_write_b64 v117, v[119:120]
.LBB57_355:
	s_or_b32 exec_lo, exec_lo, s4
	s_waitcnt lgkmcnt(0)
	s_waitcnt_vscnt null, 0x0
	s_barrier
	buffer_gl0_inv
	s_clause 0x1b
	buffer_load_dword v123, off, s[0:3], 0 offset:16
	buffer_load_dword v124, off, s[0:3], 0 offset:20
	;; [unrolled: 1-line block ×28, first 2 shown]
	ds_read_b128 v[119:122], v118 offset:480
	s_clause 0x1
	buffer_load_dword v151, off, s[0:3], 0 offset:128
	buffer_load_dword v152, off, s[0:3], 0 offset:132
	s_mov_b32 s4, exec_lo
	s_waitcnt vmcnt(28) lgkmcnt(0)
	v_fma_f64 v[119:120], v[123:124], v[119:120], 0
	s_clause 0x1
	buffer_load_dword v124, off, s[0:3], 0 offset:140
	buffer_load_dword v123, off, s[0:3], 0 offset:136
	s_waitcnt vmcnt(28)
	v_fma_f64 v[125:126], v[125:126], v[121:122], v[119:120]
	ds_read_b128 v[119:122], v118 offset:496
	s_clause 0x1
	buffer_load_dword v153, off, s[0:3], 0 offset:144
	buffer_load_dword v154, off, s[0:3], 0 offset:148
	s_waitcnt vmcnt(28) lgkmcnt(0)
	v_fma_f64 v[119:120], v[127:128], v[119:120], v[125:126]
	s_clause 0x1
	buffer_load_dword v125, off, s[0:3], 0 offset:152
	buffer_load_dword v126, off, s[0:3], 0 offset:156
	s_waitcnt vmcnt(28)
	v_fma_f64 v[127:128], v[129:130], v[121:122], v[119:120]
	ds_read_b128 v[119:122], v118 offset:512
	s_clause 0x1
	buffer_load_dword v129, off, s[0:3], 0 offset:160
	buffer_load_dword v130, off, s[0:3], 0 offset:164
	s_waitcnt vmcnt(28) lgkmcnt(0)
	v_fma_f64 v[119:120], v[131:132], v[119:120], v[127:128]
	s_clause 0x1
	buffer_load_dword v128, off, s[0:3], 0 offset:172
	buffer_load_dword v127, off, s[0:3], 0 offset:168
	s_waitcnt vmcnt(28)
	v_fma_f64 v[131:132], v[133:134], v[121:122], v[119:120]
	ds_read_b128 v[119:122], v118 offset:528
	s_clause 0x1
	buffer_load_dword v133, off, s[0:3], 0 offset:176
	buffer_load_dword v134, off, s[0:3], 0 offset:180
	s_waitcnt vmcnt(28) lgkmcnt(0)
	v_fma_f64 v[119:120], v[135:136], v[119:120], v[131:132]
	s_clause 0x1
	buffer_load_dword v131, off, s[0:3], 0 offset:184
	buffer_load_dword v132, off, s[0:3], 0 offset:188
	s_waitcnt vmcnt(28)
	v_fma_f64 v[135:136], v[137:138], v[121:122], v[119:120]
	ds_read_b128 v[119:122], v118 offset:544
	s_clause 0x1
	buffer_load_dword v137, off, s[0:3], 0 offset:192
	buffer_load_dword v138, off, s[0:3], 0 offset:196
	s_waitcnt vmcnt(28) lgkmcnt(0)
	v_fma_f64 v[119:120], v[139:140], v[119:120], v[135:136]
	s_clause 0x1
	buffer_load_dword v136, off, s[0:3], 0 offset:204
	buffer_load_dword v135, off, s[0:3], 0 offset:200
	s_waitcnt vmcnt(28)
	v_fma_f64 v[139:140], v[141:142], v[121:122], v[119:120]
	ds_read_b128 v[119:122], v118 offset:560
	s_clause 0x1
	buffer_load_dword v141, off, s[0:3], 0 offset:208
	buffer_load_dword v142, off, s[0:3], 0 offset:212
	s_waitcnt vmcnt(28) lgkmcnt(0)
	v_fma_f64 v[119:120], v[143:144], v[119:120], v[139:140]
	s_clause 0x1
	buffer_load_dword v139, off, s[0:3], 0 offset:216
	buffer_load_dword v140, off, s[0:3], 0 offset:220
	s_waitcnt vmcnt(28)
	v_fma_f64 v[143:144], v[145:146], v[121:122], v[119:120]
	ds_read_b128 v[119:122], v118 offset:576
	s_clause 0x1
	buffer_load_dword v145, off, s[0:3], 0 offset:224
	buffer_load_dword v146, off, s[0:3], 0 offset:228
	s_waitcnt vmcnt(28) lgkmcnt(0)
	v_fma_f64 v[119:120], v[147:148], v[119:120], v[143:144]
	s_clause 0x1
	buffer_load_dword v144, off, s[0:3], 0 offset:236
	buffer_load_dword v143, off, s[0:3], 0 offset:232
	s_waitcnt vmcnt(28)
	v_fma_f64 v[147:148], v[149:150], v[121:122], v[119:120]
	ds_read_b128 v[119:122], v118 offset:592
	s_clause 0x1
	buffer_load_dword v149, off, s[0:3], 0 offset:240
	buffer_load_dword v150, off, s[0:3], 0 offset:244
	s_waitcnt vmcnt(28) lgkmcnt(0)
	v_fma_f64 v[119:120], v[151:152], v[119:120], v[147:148]
	s_clause 0x1
	buffer_load_dword v147, off, s[0:3], 0 offset:248
	buffer_load_dword v148, off, s[0:3], 0 offset:252
	s_waitcnt vmcnt(28)
	v_fma_f64 v[123:124], v[123:124], v[121:122], v[119:120]
	ds_read_b128 v[119:122], v118 offset:608
	s_clause 0x1
	buffer_load_dword v151, off, s[0:3], 0 offset:256
	buffer_load_dword v152, off, s[0:3], 0 offset:260
	s_waitcnt vmcnt(28) lgkmcnt(0)
	v_fma_f64 v[119:120], v[153:154], v[119:120], v[123:124]
	s_clause 0x1
	buffer_load_dword v124, off, s[0:3], 0 offset:268
	buffer_load_dword v123, off, s[0:3], 0 offset:264
	s_waitcnt vmcnt(28)
	v_fma_f64 v[125:126], v[125:126], v[121:122], v[119:120]
	ds_read_b128 v[119:122], v118 offset:624
	s_clause 0x1
	buffer_load_dword v153, off, s[0:3], 0 offset:272
	buffer_load_dword v154, off, s[0:3], 0 offset:276
	s_waitcnt vmcnt(28) lgkmcnt(0)
	v_fma_f64 v[119:120], v[129:130], v[119:120], v[125:126]
	s_clause 0x1
	buffer_load_dword v125, off, s[0:3], 0 offset:280
	buffer_load_dword v126, off, s[0:3], 0 offset:284
	s_waitcnt vmcnt(28)
	v_fma_f64 v[127:128], v[127:128], v[121:122], v[119:120]
	ds_read_b128 v[119:122], v118 offset:640
	s_clause 0x1
	buffer_load_dword v129, off, s[0:3], 0 offset:288
	buffer_load_dword v130, off, s[0:3], 0 offset:292
	s_waitcnt vmcnt(28) lgkmcnt(0)
	v_fma_f64 v[119:120], v[133:134], v[119:120], v[127:128]
	s_clause 0x1
	buffer_load_dword v128, off, s[0:3], 0 offset:300
	buffer_load_dword v127, off, s[0:3], 0 offset:296
	s_waitcnt vmcnt(28)
	v_fma_f64 v[131:132], v[131:132], v[121:122], v[119:120]
	ds_read_b128 v[119:122], v118 offset:656
	s_clause 0x1
	buffer_load_dword v133, off, s[0:3], 0 offset:304
	buffer_load_dword v134, off, s[0:3], 0 offset:308
	s_waitcnt vmcnt(28) lgkmcnt(0)
	v_fma_f64 v[119:120], v[137:138], v[119:120], v[131:132]
	s_clause 0x1
	buffer_load_dword v131, off, s[0:3], 0 offset:312
	buffer_load_dword v132, off, s[0:3], 0 offset:316
	s_waitcnt vmcnt(28)
	v_fma_f64 v[135:136], v[135:136], v[121:122], v[119:120]
	ds_read_b128 v[119:122], v118 offset:672
	s_clause 0x1
	buffer_load_dword v137, off, s[0:3], 0 offset:320
	buffer_load_dword v138, off, s[0:3], 0 offset:324
	s_waitcnt vmcnt(28) lgkmcnt(0)
	v_fma_f64 v[119:120], v[141:142], v[119:120], v[135:136]
	s_clause 0x1
	buffer_load_dword v136, off, s[0:3], 0 offset:332
	buffer_load_dword v135, off, s[0:3], 0 offset:328
	s_waitcnt vmcnt(28)
	v_fma_f64 v[139:140], v[139:140], v[121:122], v[119:120]
	ds_read_b128 v[119:122], v118 offset:688
	s_clause 0x1
	buffer_load_dword v141, off, s[0:3], 0 offset:336
	buffer_load_dword v142, off, s[0:3], 0 offset:340
	s_waitcnt vmcnt(28) lgkmcnt(0)
	v_fma_f64 v[119:120], v[145:146], v[119:120], v[139:140]
	s_clause 0x1
	buffer_load_dword v139, off, s[0:3], 0 offset:344
	buffer_load_dword v140, off, s[0:3], 0 offset:348
	s_waitcnt vmcnt(28)
	v_fma_f64 v[143:144], v[143:144], v[121:122], v[119:120]
	ds_read_b128 v[119:122], v118 offset:704
	s_clause 0x1
	buffer_load_dword v145, off, s[0:3], 0 offset:352
	buffer_load_dword v146, off, s[0:3], 0 offset:356
	s_waitcnt vmcnt(28) lgkmcnt(0)
	v_fma_f64 v[119:120], v[149:150], v[119:120], v[143:144]
	s_clause 0x1
	buffer_load_dword v144, off, s[0:3], 0 offset:364
	buffer_load_dword v143, off, s[0:3], 0 offset:360
	s_waitcnt vmcnt(28)
	v_fma_f64 v[147:148], v[147:148], v[121:122], v[119:120]
	ds_read_b128 v[119:122], v118 offset:720
	s_clause 0x1
	buffer_load_dword v149, off, s[0:3], 0 offset:368
	buffer_load_dword v150, off, s[0:3], 0 offset:372
	s_waitcnt vmcnt(28) lgkmcnt(0)
	v_fma_f64 v[119:120], v[151:152], v[119:120], v[147:148]
	s_clause 0x1
	buffer_load_dword v147, off, s[0:3], 0 offset:376
	buffer_load_dword v148, off, s[0:3], 0 offset:380
	s_waitcnt vmcnt(28)
	v_fma_f64 v[123:124], v[123:124], v[121:122], v[119:120]
	ds_read_b128 v[119:122], v118 offset:736
	s_clause 0x1
	buffer_load_dword v151, off, s[0:3], 0 offset:384
	buffer_load_dword v152, off, s[0:3], 0 offset:388
	s_waitcnt vmcnt(28) lgkmcnt(0)
	v_fma_f64 v[119:120], v[153:154], v[119:120], v[123:124]
	s_clause 0x1
	buffer_load_dword v124, off, s[0:3], 0 offset:396
	buffer_load_dword v123, off, s[0:3], 0 offset:392
	s_waitcnt vmcnt(28)
	v_fma_f64 v[125:126], v[125:126], v[121:122], v[119:120]
	ds_read_b128 v[119:122], v118 offset:752
	s_clause 0x1
	buffer_load_dword v153, off, s[0:3], 0 offset:400
	buffer_load_dword v154, off, s[0:3], 0 offset:404
	s_waitcnt vmcnt(28) lgkmcnt(0)
	v_fma_f64 v[119:120], v[129:130], v[119:120], v[125:126]
	s_clause 0x1
	buffer_load_dword v125, off, s[0:3], 0 offset:408
	buffer_load_dword v126, off, s[0:3], 0 offset:412
	s_waitcnt vmcnt(28)
	v_fma_f64 v[127:128], v[127:128], v[121:122], v[119:120]
	ds_read_b128 v[119:122], v118 offset:768
	s_clause 0x1
	buffer_load_dword v129, off, s[0:3], 0 offset:416
	buffer_load_dword v130, off, s[0:3], 0 offset:420
	s_waitcnt vmcnt(28) lgkmcnt(0)
	v_fma_f64 v[119:120], v[133:134], v[119:120], v[127:128]
	s_clause 0x1
	buffer_load_dword v128, off, s[0:3], 0 offset:428
	buffer_load_dword v127, off, s[0:3], 0 offset:424
	s_waitcnt vmcnt(28)
	v_fma_f64 v[131:132], v[131:132], v[121:122], v[119:120]
	ds_read_b128 v[119:122], v118 offset:784
	s_clause 0x1
	buffer_load_dword v133, off, s[0:3], 0 offset:432
	buffer_load_dword v134, off, s[0:3], 0 offset:436
	s_waitcnt vmcnt(28) lgkmcnt(0)
	v_fma_f64 v[119:120], v[137:138], v[119:120], v[131:132]
	s_clause 0x1
	buffer_load_dword v131, off, s[0:3], 0 offset:440
	buffer_load_dword v132, off, s[0:3], 0 offset:444
	s_waitcnt vmcnt(28)
	v_fma_f64 v[135:136], v[135:136], v[121:122], v[119:120]
	ds_read_b128 v[119:122], v118 offset:800
	s_clause 0x1
	buffer_load_dword v137, off, s[0:3], 0 offset:448
	buffer_load_dword v138, off, s[0:3], 0 offset:452
	s_waitcnt vmcnt(28) lgkmcnt(0)
	v_fma_f64 v[119:120], v[141:142], v[119:120], v[135:136]
	s_clause 0x1
	buffer_load_dword v136, off, s[0:3], 0 offset:460
	buffer_load_dword v135, off, s[0:3], 0 offset:456
	s_waitcnt vmcnt(28)
	v_fma_f64 v[139:140], v[139:140], v[121:122], v[119:120]
	ds_read_b128 v[119:122], v118 offset:816
	s_clause 0x1
	buffer_load_dword v141, off, s[0:3], 0 offset:8
	buffer_load_dword v142, off, s[0:3], 0 offset:12
	s_waitcnt vmcnt(28) lgkmcnt(0)
	v_fma_f64 v[119:120], v[145:146], v[119:120], v[139:140]
	s_waitcnt vmcnt(26)
	v_fma_f64 v[139:140], v[143:144], v[121:122], v[119:120]
	ds_read_b128 v[119:122], v118 offset:832
	s_waitcnt vmcnt(24) lgkmcnt(0)
	v_fma_f64 v[119:120], v[149:150], v[119:120], v[139:140]
	s_waitcnt vmcnt(22)
	v_fma_f64 v[139:140], v[147:148], v[121:122], v[119:120]
	ds_read_b128 v[119:122], v118 offset:848
	;; [unrolled: 5-line block ×6, first 2 shown]
	s_waitcnt vmcnt(4) lgkmcnt(0)
	v_fma_f64 v[118:119], v[137:138], v[118:119], v[122:123]
	s_waitcnt vmcnt(2)
	v_fma_f64 v[118:119], v[135:136], v[120:121], v[118:119]
	s_waitcnt vmcnt(0)
	v_add_f64 v[118:119], v[141:142], -v[118:119]
	buffer_store_dword v119, off, s[0:3], 0 offset:12
	buffer_store_dword v118, off, s[0:3], 0 offset:8
	v_cmpx_ne_u32_e32 0, v0
	s_cbranch_execz .LBB57_357
; %bb.356:
	s_clause 0x1
	buffer_load_dword v118, off, s[0:3], 0
	buffer_load_dword v119, off, s[0:3], 0 offset:4
	v_mov_b32_e32 v0, 0
	buffer_store_dword v0, off, s[0:3], 0
	buffer_store_dword v0, off, s[0:3], 0 offset:4
	s_waitcnt vmcnt(0)
	ds_write_b64 v117, v[118:119]
.LBB57_357:
	s_or_b32 exec_lo, exec_lo, s4
	s_waitcnt lgkmcnt(0)
	s_waitcnt_vscnt null, 0x0
	s_barrier
	buffer_gl0_inv
	s_clause 0x1c
	buffer_load_dword v125, off, s[0:3], 0 offset:8
	buffer_load_dword v126, off, s[0:3], 0 offset:12
	;; [unrolled: 1-line block ×29, first 2 shown]
	v_mov_b32_e32 v0, 0
	buffer_load_dword v150, off, s[0:3], 0 offset:124
	s_and_b32 vcc_lo, exec_lo, s22
	ds_read2_b64 v[117:120], v0 offset0:59 offset1:60
	ds_read2_b64 v[121:124], v0 offset0:61 offset1:62
	s_waitcnt vmcnt(28) lgkmcnt(1)
	v_fma_f64 v[117:118], v[125:126], v[117:118], 0
	s_clause 0x7
	buffer_load_dword v126, off, s[0:3], 0 offset:132
	buffer_load_dword v155, off, s[0:3], 0 offset:152
	buffer_load_dword v157, off, s[0:3], 0 offset:144
	buffer_load_dword v159, off, s[0:3], 0 offset:136
	buffer_load_dword v125, off, s[0:3], 0 offset:128
	buffer_load_dword v160, off, s[0:3], 0 offset:140
	buffer_load_dword v158, off, s[0:3], 0 offset:148
	buffer_load_dword v156, off, s[0:3], 0 offset:156
	s_waitcnt vmcnt(34)
	v_fma_f64 v[117:118], v[127:128], v[119:120], v[117:118]
	s_waitcnt vmcnt(32) lgkmcnt(0)
	v_fma_f64 v[117:118], v[129:130], v[121:122], v[117:118]
	s_waitcnt vmcnt(30)
	v_fma_f64 v[127:128], v[131:132], v[123:124], v[117:118]
	ds_read2_b64 v[117:120], v0 offset0:63 offset1:64
	ds_read2_b64 v[121:124], v0 offset0:65 offset1:66
	s_waitcnt vmcnt(28) lgkmcnt(1)
	v_fma_f64 v[117:118], v[133:134], v[117:118], v[127:128]
	s_clause 0x7
	buffer_load_dword v128, off, s[0:3], 0 offset:164
	buffer_load_dword v129, off, s[0:3], 0 offset:184
	buffer_load_dword v131, off, s[0:3], 0 offset:176
	buffer_load_dword v133, off, s[0:3], 0 offset:168
	buffer_load_dword v127, off, s[0:3], 0 offset:160
	buffer_load_dword v134, off, s[0:3], 0 offset:172
	buffer_load_dword v132, off, s[0:3], 0 offset:180
	buffer_load_dword v130, off, s[0:3], 0 offset:188
	s_waitcnt vmcnt(34)
	v_fma_f64 v[117:118], v[135:136], v[119:120], v[117:118]
	s_waitcnt vmcnt(32) lgkmcnt(0)
	v_fma_f64 v[117:118], v[137:138], v[121:122], v[117:118]
	s_waitcnt vmcnt(27)
	v_fma_f64 v[135:136], v[139:140], v[123:124], v[117:118]
	;; [unrolled: 19-line block ×9, first 2 shown]
	ds_read2_b64 v[117:120], v0 offset0:95 offset1:96
	ds_read2_b64 v[121:124], v0 offset0:97 offset1:98
	s_waitcnt vmcnt(26) lgkmcnt(1)
	v_fma_f64 v[117:118], v[157:158], v[117:118], v[125:126]
	s_clause 0x7
	buffer_load_dword v150, off, s[0:3], 0 offset:420
	buffer_load_dword v151, off, s[0:3], 0 offset:440
	;; [unrolled: 1-line block ×8, first 2 shown]
	s_waitcnt vmcnt(33)
	v_fma_f64 v[117:118], v[155:156], v[119:120], v[117:118]
	s_waitcnt vmcnt(32) lgkmcnt(0)
	v_fma_f64 v[117:118], v[133:134], v[121:122], v[117:118]
	ds_read2_b64 v[119:122], v0 offset0:99 offset1:100
	s_waitcnt vmcnt(27)
	v_fma_f64 v[117:118], v[129:130], v[123:124], v[117:118]
	ds_read2_b64 v[123:126], v0 offset0:101 offset1:102
	s_waitcnt vmcnt(26) lgkmcnt(1)
	v_fma_f64 v[117:118], v[145:146], v[119:120], v[117:118]
	s_clause 0x3
	buffer_load_dword v120, off, s[0:3], 0 offset:452
	buffer_load_dword v129, off, s[0:3], 0 offset:456
	;; [unrolled: 1-line block ×4, first 2 shown]
	s_waitcnt vmcnt(29)
	v_fma_f64 v[117:118], v[135:136], v[121:122], v[117:118]
	s_waitcnt vmcnt(28) lgkmcnt(0)
	v_fma_f64 v[117:118], v[131:132], v[123:124], v[117:118]
	s_clause 0x1
	buffer_load_dword v131, off, s[0:3], 0
	buffer_load_dword v132, off, s[0:3], 0 offset:4
	s_waitcnt vmcnt(25)
	v_fma_f64 v[117:118], v[137:138], v[125:126], v[117:118]
	ds_read2_b64 v[121:124], v0 offset0:103 offset1:104
	ds_read2_b64 v[125:128], v0 offset0:105 offset1:106
	s_waitcnt vmcnt(24) lgkmcnt(1)
	v_fma_f64 v[117:118], v[153:154], v[121:122], v[117:118]
	s_waitcnt vmcnt(23)
	v_fma_f64 v[117:118], v[141:142], v[123:124], v[117:118]
	s_waitcnt vmcnt(22) lgkmcnt(0)
	v_fma_f64 v[117:118], v[139:140], v[125:126], v[117:118]
	s_waitcnt vmcnt(17)
	v_fma_f64 v[117:118], v[143:144], v[127:128], v[117:118]
	ds_read2_b64 v[121:124], v0 offset0:107 offset1:108
	ds_read2_b64 v[125:128], v0 offset0:109 offset1:110
	s_waitcnt vmcnt(16) lgkmcnt(1)
	v_fma_f64 v[117:118], v[161:162], v[121:122], v[117:118]
	s_waitcnt vmcnt(15)
	v_fma_f64 v[117:118], v[159:160], v[123:124], v[117:118]
	s_waitcnt vmcnt(14) lgkmcnt(0)
	v_fma_f64 v[117:118], v[147:148], v[125:126], v[117:118]
	s_waitcnt vmcnt(9)
	v_fma_f64 v[117:118], v[149:150], v[127:128], v[117:118]
	ds_read2_b64 v[121:124], v0 offset0:111 offset1:112
	ds_read2_b64 v[125:128], v0 offset0:113 offset1:114
	s_waitcnt vmcnt(8) lgkmcnt(1)
	v_fma_f64 v[117:118], v[163:164], v[121:122], v[117:118]
	ds_read_b64 v[121:122], v0 offset:920
	s_waitcnt vmcnt(7)
	v_fma_f64 v[117:118], v[157:158], v[123:124], v[117:118]
	s_waitcnt vmcnt(6) lgkmcnt(1)
	v_fma_f64 v[117:118], v[151:152], v[125:126], v[117:118]
	s_waitcnt vmcnt(3)
	v_fma_f64 v[117:118], v[119:120], v[127:128], v[117:118]
	s_waitcnt vmcnt(2) lgkmcnt(0)
	v_fma_f64 v[117:118], v[129:130], v[121:122], v[117:118]
	s_waitcnt vmcnt(0)
	v_add_f64 v[117:118], v[131:132], -v[117:118]
	buffer_store_dword v118, off, s[0:3], 0 offset:4
	buffer_store_dword v117, off, s[0:3], 0
	s_cbranch_vccz .LBB57_472
; %bb.358:
	global_load_dword v0, v0, s[20:21] offset:224
	s_waitcnt vmcnt(0)
	v_add_nc_u32_e32 v0, -1, v0
	v_cmp_ne_u32_e32 vcc_lo, 56, v0
	s_cbranch_vccz .LBB57_360
; %bb.359:
	v_lshlrev_b32_e32 v0, 3, v0
	s_clause 0x1
	buffer_load_dword v117, v0, s[0:3], 0 offen offset:4
	buffer_load_dword v118, v0, s[0:3], 0 offen
	s_waitcnt vmcnt(1)
	buffer_store_dword v117, off, s[0:3], 0 offset:452
	s_waitcnt vmcnt(0)
	buffer_store_dword v118, off, s[0:3], 0 offset:448
	buffer_store_dword v120, v0, s[0:3], 0 offen offset:4
	buffer_store_dword v119, v0, s[0:3], 0 offen
.LBB57_360:
	v_mov_b32_e32 v0, 0
	global_load_dword v117, v0, s[20:21] offset:220
	s_waitcnt vmcnt(0)
	v_add_nc_u32_e32 v117, -1, v117
	v_cmp_eq_u32_e32 vcc_lo, 55, v117
	s_cbranch_vccnz .LBB57_362
; %bb.361:
	v_lshlrev_b32_e32 v117, 3, v117
	s_clause 0x3
	buffer_load_dword v118, v117, s[0:3], 0 offen
	buffer_load_dword v119, v117, s[0:3], 0 offen offset:4
	buffer_load_dword v120, off, s[0:3], 0 offset:440
	buffer_load_dword v121, off, s[0:3], 0 offset:444
	s_waitcnt vmcnt(3)
	buffer_store_dword v118, off, s[0:3], 0 offset:440
	s_waitcnt vmcnt(2)
	buffer_store_dword v119, off, s[0:3], 0 offset:444
	s_waitcnt vmcnt(1)
	buffer_store_dword v120, v117, s[0:3], 0 offen
	s_waitcnt vmcnt(0)
	buffer_store_dword v121, v117, s[0:3], 0 offen offset:4
.LBB57_362:
	global_load_dword v0, v0, s[20:21] offset:216
	s_waitcnt vmcnt(0)
	v_add_nc_u32_e32 v0, -1, v0
	v_cmp_eq_u32_e32 vcc_lo, 54, v0
	s_cbranch_vccnz .LBB57_364
; %bb.363:
	v_lshlrev_b32_e32 v0, 3, v0
	s_clause 0x3
	buffer_load_dword v117, v0, s[0:3], 0 offen
	buffer_load_dword v118, v0, s[0:3], 0 offen offset:4
	buffer_load_dword v119, off, s[0:3], 0 offset:436
	buffer_load_dword v120, off, s[0:3], 0 offset:432
	s_waitcnt vmcnt(3)
	buffer_store_dword v117, off, s[0:3], 0 offset:432
	s_waitcnt vmcnt(2)
	buffer_store_dword v118, off, s[0:3], 0 offset:436
	s_waitcnt vmcnt(1)
	buffer_store_dword v119, v0, s[0:3], 0 offen offset:4
	s_waitcnt vmcnt(0)
	buffer_store_dword v120, v0, s[0:3], 0 offen
.LBB57_364:
	v_mov_b32_e32 v0, 0
	global_load_dword v117, v0, s[20:21] offset:212
	s_waitcnt vmcnt(0)
	v_add_nc_u32_e32 v117, -1, v117
	v_cmp_eq_u32_e32 vcc_lo, 53, v117
	s_cbranch_vccnz .LBB57_366
; %bb.365:
	v_lshlrev_b32_e32 v117, 3, v117
	s_clause 0x3
	buffer_load_dword v118, v117, s[0:3], 0 offen
	buffer_load_dword v119, v117, s[0:3], 0 offen offset:4
	buffer_load_dword v120, off, s[0:3], 0 offset:424
	buffer_load_dword v121, off, s[0:3], 0 offset:428
	s_waitcnt vmcnt(3)
	buffer_store_dword v118, off, s[0:3], 0 offset:424
	s_waitcnt vmcnt(2)
	buffer_store_dword v119, off, s[0:3], 0 offset:428
	s_waitcnt vmcnt(1)
	buffer_store_dword v120, v117, s[0:3], 0 offen
	s_waitcnt vmcnt(0)
	buffer_store_dword v121, v117, s[0:3], 0 offen offset:4
.LBB57_366:
	global_load_dword v0, v0, s[20:21] offset:208
	s_waitcnt vmcnt(0)
	v_add_nc_u32_e32 v0, -1, v0
	v_cmp_eq_u32_e32 vcc_lo, 52, v0
	s_cbranch_vccnz .LBB57_368
; %bb.367:
	v_lshlrev_b32_e32 v0, 3, v0
	s_clause 0x3
	buffer_load_dword v117, v0, s[0:3], 0 offen
	buffer_load_dword v118, v0, s[0:3], 0 offen offset:4
	buffer_load_dword v119, off, s[0:3], 0 offset:420
	buffer_load_dword v120, off, s[0:3], 0 offset:416
	s_waitcnt vmcnt(3)
	buffer_store_dword v117, off, s[0:3], 0 offset:416
	s_waitcnt vmcnt(2)
	buffer_store_dword v118, off, s[0:3], 0 offset:420
	s_waitcnt vmcnt(1)
	buffer_store_dword v119, v0, s[0:3], 0 offen offset:4
	s_waitcnt vmcnt(0)
	buffer_store_dword v120, v0, s[0:3], 0 offen
.LBB57_368:
	;; [unrolled: 43-line block ×27, first 2 shown]
	v_mov_b32_e32 v0, 0
	global_load_dword v117, v0, s[20:21] offset:4
	s_waitcnt vmcnt(0)
	v_add_nc_u32_e32 v117, -1, v117
	v_cmp_eq_u32_e32 vcc_lo, 1, v117
	s_cbranch_vccnz .LBB57_470
; %bb.469:
	v_lshlrev_b32_e32 v117, 3, v117
	s_clause 0x3
	buffer_load_dword v118, v117, s[0:3], 0 offen
	buffer_load_dword v119, v117, s[0:3], 0 offen offset:4
	buffer_load_dword v120, off, s[0:3], 0 offset:8
	buffer_load_dword v121, off, s[0:3], 0 offset:12
	s_waitcnt vmcnt(3)
	buffer_store_dword v118, off, s[0:3], 0 offset:8
	s_waitcnt vmcnt(2)
	buffer_store_dword v119, off, s[0:3], 0 offset:12
	s_waitcnt vmcnt(1)
	buffer_store_dword v120, v117, s[0:3], 0 offen
	s_waitcnt vmcnt(0)
	buffer_store_dword v121, v117, s[0:3], 0 offen offset:4
.LBB57_470:
	global_load_dword v0, v0, s[20:21]
	s_clause 0x1
	buffer_load_dword v117, off, s[0:3], 0
	buffer_load_dword v118, off, s[0:3], 0 offset:4
	s_waitcnt vmcnt(2)
	v_add_nc_u32_e32 v0, -1, v0
	v_cmp_eq_u32_e32 vcc_lo, 0, v0
	s_cbranch_vccnz .LBB57_472
; %bb.471:
	v_lshlrev_b32_e32 v0, 3, v0
	s_clause 0x1
	buffer_load_dword v119, v0, s[0:3], 0 offen offset:4
	buffer_load_dword v120, v0, s[0:3], 0 offen
	s_waitcnt vmcnt(1)
	buffer_store_dword v119, off, s[0:3], 0 offset:4
	s_waitcnt vmcnt(0)
	buffer_store_dword v120, off, s[0:3], 0
	buffer_store_dword v118, v0, s[0:3], 0 offen offset:4
	buffer_store_dword v117, v0, s[0:3], 0 offen
	s_clause 0x1
	buffer_load_dword v117, off, s[0:3], 0
	buffer_load_dword v118, off, s[0:3], 0 offset:4
.LBB57_472:
	s_clause 0x23
	buffer_load_dword v119, off, s[0:3], 0 offset:8
	buffer_load_dword v120, off, s[0:3], 0 offset:12
	;; [unrolled: 1-line block ×36, first 2 shown]
	s_waitcnt vmcnt(36)
	global_store_dwordx2 v[77:78], v[117:118], off
	s_clause 0x3
	buffer_load_dword v77, off, s[0:3], 0 offset:152
	buffer_load_dword v78, off, s[0:3], 0 offset:156
	buffer_load_dword v117, off, s[0:3], 0 offset:160
	buffer_load_dword v118, off, s[0:3], 0 offset:164
	s_waitcnt vmcnt(38)
	global_store_dwordx2 v[73:74], v[119:120], off
	s_waitcnt vmcnt(36)
	global_store_dwordx2 v[59:60], v[121:122], off
	s_clause 0x7
	buffer_load_dword v59, off, s[0:3], 0 offset:168
	buffer_load_dword v60, off, s[0:3], 0 offset:172
	buffer_load_dword v73, off, s[0:3], 0 offset:176
	buffer_load_dword v74, off, s[0:3], 0 offset:180
	buffer_load_dword v119, off, s[0:3], 0 offset:184
	buffer_load_dword v120, off, s[0:3], 0 offset:188
	buffer_load_dword v121, off, s[0:3], 0 offset:192
	buffer_load_dword v122, off, s[0:3], 0 offset:196
	s_waitcnt vmcnt(42)
	global_store_dwordx2 v[41:42], v[123:124], off
	s_waitcnt vmcnt(40)
	global_store_dwordx2 v[45:46], v[125:126], off
	s_clause 0x7
	buffer_load_dword v41, off, s[0:3], 0 offset:200
	buffer_load_dword v42, off, s[0:3], 0 offset:204
	buffer_load_dword v45, off, s[0:3], 0 offset:208
	buffer_load_dword v46, off, s[0:3], 0 offset:212
	;; [unrolled: 13-line block ×7, first 2 shown]
	buffer_load_dword v143, off, s[0:3], 0 offset:376
	buffer_load_dword v144, off, s[0:3], 0 offset:380
	buffer_load_dword v145, off, s[0:3], 0 offset:384
	buffer_load_dword v146, off, s[0:3], 0 offset:388
	s_waitcnt vmcnt(62)
	global_store_dwordx2 v[25:26], v[147:148], off
	global_store_dwordx2 v[31:32], v[149:150], off
	s_clause 0x7
	buffer_load_dword v25, off, s[0:3], 0 offset:392
	buffer_load_dword v26, off, s[0:3], 0 offset:396
	;; [unrolled: 1-line block ×8, first 2 shown]
	global_store_dwordx2 v[21:22], v[151:152], off
	s_waitcnt vmcnt(62)
	global_store_dwordx2 v[27:28], v[153:154], off
	s_clause 0x9
	buffer_load_dword v21, off, s[0:3], 0 offset:424
	buffer_load_dword v22, off, s[0:3], 0 offset:428
	;; [unrolled: 1-line block ×10, first 2 shown]
	global_store_dwordx2 v[17:18], v[77:78], off
	global_store_dwordx2 v[23:24], v[117:118], off
	;; [unrolled: 1-line block ×3, first 2 shown]
	s_waitcnt vmcnt(62)
	global_store_dwordx2 v[35:36], v[73:74], off
	global_store_dwordx2 v[37:38], v[119:120], off
	;; [unrolled: 1-line block ×5, first 2 shown]
	s_waitcnt vmcnt(60)
	global_store_dwordx2 v[49:50], v[123:124], off
	s_waitcnt vmcnt(58)
	global_store_dwordx2 v[51:52], v[125:126], off
	;; [unrolled: 2-line block ×31, first 2 shown]
	s_endpgm
	.section	.rodata,"a",@progbits
	.p2align	6, 0x0
	.amdhsa_kernel _ZN9rocsolver6v33100L18getri_kernel_smallILi58EdPdEEvT1_iilPiilS4_bb
		.amdhsa_group_segment_fixed_size 936
		.amdhsa_private_segment_fixed_size 480
		.amdhsa_kernarg_size 60
		.amdhsa_user_sgpr_count 6
		.amdhsa_user_sgpr_private_segment_buffer 1
		.amdhsa_user_sgpr_dispatch_ptr 0
		.amdhsa_user_sgpr_queue_ptr 0
		.amdhsa_user_sgpr_kernarg_segment_ptr 1
		.amdhsa_user_sgpr_dispatch_id 0
		.amdhsa_user_sgpr_flat_scratch_init 0
		.amdhsa_user_sgpr_private_segment_size 0
		.amdhsa_wavefront_size32 1
		.amdhsa_uses_dynamic_stack 0
		.amdhsa_system_sgpr_private_segment_wavefront_offset 1
		.amdhsa_system_sgpr_workgroup_id_x 1
		.amdhsa_system_sgpr_workgroup_id_y 0
		.amdhsa_system_sgpr_workgroup_id_z 0
		.amdhsa_system_sgpr_workgroup_info 0
		.amdhsa_system_vgpr_workitem_id 0
		.amdhsa_next_free_vgpr 166
		.amdhsa_next_free_sgpr 23
		.amdhsa_reserve_vcc 1
		.amdhsa_reserve_flat_scratch 0
		.amdhsa_float_round_mode_32 0
		.amdhsa_float_round_mode_16_64 0
		.amdhsa_float_denorm_mode_32 3
		.amdhsa_float_denorm_mode_16_64 3
		.amdhsa_dx10_clamp 1
		.amdhsa_ieee_mode 1
		.amdhsa_fp16_overflow 0
		.amdhsa_workgroup_processor_mode 1
		.amdhsa_memory_ordered 1
		.amdhsa_forward_progress 1
		.amdhsa_shared_vgpr_count 0
		.amdhsa_exception_fp_ieee_invalid_op 0
		.amdhsa_exception_fp_denorm_src 0
		.amdhsa_exception_fp_ieee_div_zero 0
		.amdhsa_exception_fp_ieee_overflow 0
		.amdhsa_exception_fp_ieee_underflow 0
		.amdhsa_exception_fp_ieee_inexact 0
		.amdhsa_exception_int_div_zero 0
	.end_amdhsa_kernel
	.section	.text._ZN9rocsolver6v33100L18getri_kernel_smallILi58EdPdEEvT1_iilPiilS4_bb,"axG",@progbits,_ZN9rocsolver6v33100L18getri_kernel_smallILi58EdPdEEvT1_iilPiilS4_bb,comdat
.Lfunc_end57:
	.size	_ZN9rocsolver6v33100L18getri_kernel_smallILi58EdPdEEvT1_iilPiilS4_bb, .Lfunc_end57-_ZN9rocsolver6v33100L18getri_kernel_smallILi58EdPdEEvT1_iilPiilS4_bb
                                        ; -- End function
	.set _ZN9rocsolver6v33100L18getri_kernel_smallILi58EdPdEEvT1_iilPiilS4_bb.num_vgpr, 166
	.set _ZN9rocsolver6v33100L18getri_kernel_smallILi58EdPdEEvT1_iilPiilS4_bb.num_agpr, 0
	.set _ZN9rocsolver6v33100L18getri_kernel_smallILi58EdPdEEvT1_iilPiilS4_bb.numbered_sgpr, 23
	.set _ZN9rocsolver6v33100L18getri_kernel_smallILi58EdPdEEvT1_iilPiilS4_bb.num_named_barrier, 0
	.set _ZN9rocsolver6v33100L18getri_kernel_smallILi58EdPdEEvT1_iilPiilS4_bb.private_seg_size, 480
	.set _ZN9rocsolver6v33100L18getri_kernel_smallILi58EdPdEEvT1_iilPiilS4_bb.uses_vcc, 1
	.set _ZN9rocsolver6v33100L18getri_kernel_smallILi58EdPdEEvT1_iilPiilS4_bb.uses_flat_scratch, 0
	.set _ZN9rocsolver6v33100L18getri_kernel_smallILi58EdPdEEvT1_iilPiilS4_bb.has_dyn_sized_stack, 0
	.set _ZN9rocsolver6v33100L18getri_kernel_smallILi58EdPdEEvT1_iilPiilS4_bb.has_recursion, 0
	.set _ZN9rocsolver6v33100L18getri_kernel_smallILi58EdPdEEvT1_iilPiilS4_bb.has_indirect_call, 0
	.section	.AMDGPU.csdata,"",@progbits
; Kernel info:
; codeLenInByte = 89376
; TotalNumSgprs: 25
; NumVgprs: 166
; ScratchSize: 480
; MemoryBound: 1
; FloatMode: 240
; IeeeMode: 1
; LDSByteSize: 936 bytes/workgroup (compile time only)
; SGPRBlocks: 0
; VGPRBlocks: 20
; NumSGPRsForWavesPerEU: 25
; NumVGPRsForWavesPerEU: 166
; Occupancy: 5
; WaveLimiterHint : 1
; COMPUTE_PGM_RSRC2:SCRATCH_EN: 1
; COMPUTE_PGM_RSRC2:USER_SGPR: 6
; COMPUTE_PGM_RSRC2:TRAP_HANDLER: 0
; COMPUTE_PGM_RSRC2:TGID_X_EN: 1
; COMPUTE_PGM_RSRC2:TGID_Y_EN: 0
; COMPUTE_PGM_RSRC2:TGID_Z_EN: 0
; COMPUTE_PGM_RSRC2:TIDIG_COMP_CNT: 0
	.section	.text._ZN9rocsolver6v33100L18getri_kernel_smallILi59EdPdEEvT1_iilPiilS4_bb,"axG",@progbits,_ZN9rocsolver6v33100L18getri_kernel_smallILi59EdPdEEvT1_iilPiilS4_bb,comdat
	.globl	_ZN9rocsolver6v33100L18getri_kernel_smallILi59EdPdEEvT1_iilPiilS4_bb ; -- Begin function _ZN9rocsolver6v33100L18getri_kernel_smallILi59EdPdEEvT1_iilPiilS4_bb
	.p2align	8
	.type	_ZN9rocsolver6v33100L18getri_kernel_smallILi59EdPdEEvT1_iilPiilS4_bb,@function
_ZN9rocsolver6v33100L18getri_kernel_smallILi59EdPdEEvT1_iilPiilS4_bb: ; @_ZN9rocsolver6v33100L18getri_kernel_smallILi59EdPdEEvT1_iilPiilS4_bb
; %bb.0:
	s_add_u32 s0, s0, s7
	s_addc_u32 s1, s1, 0
	s_mov_b32 s7, exec_lo
	v_cmpx_gt_u32_e32 59, v0
	s_cbranch_execz .LBB58_246
; %bb.1:
	s_clause 0x2
	s_load_dword s7, s[4:5], 0x38
	s_load_dwordx4 s[16:19], s[4:5], 0x10
	s_load_dwordx4 s[8:11], s[4:5], 0x28
                                        ; implicit-def: $sgpr20_sgpr21
	s_waitcnt lgkmcnt(0)
	s_bitcmp1_b32 s7, 8
	s_cselect_b32 s22, -1, 0
	s_bfe_u32 s12, s7, 0x10008
	s_ashr_i32 s7, s6, 31
	s_cmp_eq_u32 s12, 0
	s_cbranch_scc1 .LBB58_3
; %bb.2:
	s_load_dword s12, s[4:5], 0x20
	s_mul_i32 s13, s8, s7
	s_mul_hi_u32 s14, s8, s6
	s_mul_i32 s9, s9, s6
	s_add_i32 s13, s14, s13
	s_mul_i32 s8, s8, s6
	s_add_i32 s9, s13, s9
	s_lshl_b64 s[8:9], s[8:9], 2
	s_waitcnt lgkmcnt(0)
	s_ashr_i32 s13, s12, 31
	s_add_u32 s14, s18, s8
	s_addc_u32 s15, s19, s9
	s_lshl_b64 s[8:9], s[12:13], 2
	s_add_u32 s20, s14, s8
	s_addc_u32 s21, s15, s9
.LBB58_3:
	s_clause 0x1
	s_load_dwordx4 s[12:15], s[4:5], 0x0
	s_load_dword s8, s[4:5], 0x38
	s_mul_i32 s4, s16, s7
	s_mul_hi_u32 s5, s16, s6
	s_mul_i32 s9, s17, s6
	s_add_i32 s5, s5, s4
	s_mul_i32 s4, s16, s6
	s_add_i32 s5, s5, s9
	v_lshlrev_b32_e32 v121, 3, v0
	s_lshl_b64 s[4:5], s[4:5], 3
	s_waitcnt lgkmcnt(0)
	v_add3_u32 v1, s15, s15, v0
	s_ashr_i32 s17, s14, 31
	s_mov_b32 s16, s14
	s_add_u32 s9, s12, s4
	s_addc_u32 s12, s13, s5
	v_add_nc_u32_e32 v3, s15, v1
	v_ashrrev_i32_e32 v2, 31, v1
	s_lshl_b64 s[4:5], s[16:17], 3
	s_add_u32 s4, s9, s4
	v_add_nc_u32_e32 v5, s15, v3
	v_ashrrev_i32_e32 v4, 31, v3
	v_lshlrev_b64 v[1:2], 3, v[1:2]
	s_addc_u32 s5, s12, s5
	v_add_co_u32 v71, s9, s4, v121
	v_ashrrev_i32_e32 v6, 31, v5
	v_add_nc_u32_e32 v7, s15, v5
	v_lshlrev_b64 v[3:4], 3, v[3:4]
	v_add_co_u32 v43, vcc_lo, s4, v1
	v_add_co_ci_u32_e64 v44, null, s5, v2, vcc_lo
	v_lshlrev_b64 v[1:2], 3, v[5:6]
	v_ashrrev_i32_e32 v8, 31, v7
	v_add_nc_u32_e32 v5, s15, v7
	v_add_co_u32 v27, vcc_lo, s4, v3
	v_add_co_ci_u32_e64 v28, null, s5, v4, vcc_lo
	v_lshlrev_b64 v[3:4], 3, v[7:8]
	v_ashrrev_i32_e32 v6, 31, v5
	v_add_nc_u32_e32 v7, s15, v5
	;; [unrolled: 5-line block ×4, first 2 shown]
	s_ashr_i32 s13, s15, 31
	s_mov_b32 s12, s15
	v_add_co_u32 v19, vcc_lo, s4, v1
	v_add_co_ci_u32_e64 v72, null, s5, 0, s9
	s_lshl_b64 s[12:13], s[12:13], 3
	v_add_co_ci_u32_e64 v20, null, s5, v2, vcc_lo
	v_lshlrev_b64 v[1:2], 3, v[5:6]
	v_ashrrev_i32_e32 v8, 31, v7
	v_add_nc_u32_e32 v5, s15, v7
	v_add_co_u32 v67, vcc_lo, v71, s12
	v_add_co_ci_u32_e64 v68, null, s13, v72, vcc_lo
	v_add_co_u32 v15, vcc_lo, s4, v3
	v_add_co_ci_u32_e64 v16, null, s5, v4, vcc_lo
	v_lshlrev_b64 v[3:4], 3, v[7:8]
	v_add_nc_u32_e32 v7, s15, v5
	v_ashrrev_i32_e32 v6, 31, v5
	v_add_co_u32 v21, vcc_lo, s4, v1
	v_add_co_ci_u32_e64 v22, null, s5, v2, vcc_lo
	v_add_nc_u32_e32 v9, s15, v7
	v_ashrrev_i32_e32 v8, 31, v7
	v_lshlrev_b64 v[1:2], 3, v[5:6]
	v_add_co_u32 v5, vcc_lo, s4, v3
	v_ashrrev_i32_e32 v10, 31, v9
	v_add_co_ci_u32_e64 v6, null, s5, v4, vcc_lo
	v_lshlrev_b64 v[3:4], 3, v[7:8]
	v_add_nc_u32_e32 v11, s15, v9
	v_lshlrev_b64 v[9:10], 3, v[9:10]
	v_add_co_u32 v7, vcc_lo, s4, v1
	v_add_co_ci_u32_e64 v8, null, s5, v2, vcc_lo
	v_add_nc_u32_e32 v17, s15, v11
	v_add_co_u32 v1, vcc_lo, s4, v3
	v_add_co_ci_u32_e64 v2, null, s5, v4, vcc_lo
	v_add_co_u32 v3, vcc_lo, s4, v9
	s_clause 0x2
	global_load_dwordx2 v[97:98], v121, s[4:5]
	global_load_dwordx2 v[99:100], v[67:68], off
	global_load_dwordx2 v[101:102], v[43:44], off
	v_add_co_ci_u32_e64 v4, null, s5, v10, vcc_lo
	s_clause 0x1
	global_load_dwordx2 v[103:104], v[27:28], off
	global_load_dwordx2 v[105:106], v[29:30], off
	v_add_nc_u32_e32 v23, s15, v17
	s_clause 0x6
	global_load_dwordx2 v[107:108], v[13:14], off
	global_load_dwordx2 v[109:110], v[19:20], off
	;; [unrolled: 1-line block ×7, first 2 shown]
	v_ashrrev_i32_e32 v12, 31, v11
	global_load_dwordx2 v[122:123], v[3:4], off
	v_add_nc_u32_e32 v25, s15, v23
	v_ashrrev_i32_e32 v18, 31, v17
	v_ashrrev_i32_e32 v24, 31, v23
	v_lshlrev_b64 v[11:12], 3, v[11:12]
	s_bitcmp0_b32 s8, 0
	v_ashrrev_i32_e32 v26, 31, v25
	v_lshlrev_b64 v[9:10], 3, v[17:18]
	v_lshlrev_b64 v[23:24], 3, v[23:24]
	v_add_nc_u32_e32 v31, s15, v25
	v_add_co_u32 v11, vcc_lo, s4, v11
	v_lshlrev_b64 v[25:26], 3, v[25:26]
	v_add_co_ci_u32_e64 v12, null, s5, v12, vcc_lo
	v_add_co_u32 v17, vcc_lo, s4, v9
	v_add_co_ci_u32_e64 v18, null, s5, v10, vcc_lo
	v_add_co_u32 v9, vcc_lo, s4, v23
	v_ashrrev_i32_e32 v32, 31, v31
	v_add_co_ci_u32_e64 v10, null, s5, v24, vcc_lo
	v_add_co_u32 v25, vcc_lo, s4, v25
	v_add_co_ci_u32_e64 v26, null, s5, v26, vcc_lo
	v_lshlrev_b64 v[23:24], 3, v[31:32]
	s_clause 0x3
	global_load_dwordx2 v[124:125], v[11:12], off
	global_load_dwordx2 v[126:127], v[17:18], off
	global_load_dwordx2 v[128:129], v[9:10], off
	global_load_dwordx2 v[130:131], v[25:26], off
	v_add_nc_u32_e32 v31, s15, v31
	v_add_co_u32 v23, vcc_lo, s4, v23
	v_add_co_ci_u32_e64 v24, null, s5, v24, vcc_lo
	v_add_nc_u32_e32 v33, s15, v31
	v_ashrrev_i32_e32 v32, 31, v31
	global_load_dwordx2 v[132:133], v[23:24], off
	v_add_nc_u32_e32 v35, s15, v33
	v_lshlrev_b64 v[31:32], 3, v[31:32]
	v_ashrrev_i32_e32 v34, 31, v33
	v_ashrrev_i32_e32 v36, 31, v35
	v_add_nc_u32_e32 v39, s15, v35
	v_add_co_u32 v37, vcc_lo, s4, v31
	v_add_co_ci_u32_e64 v38, null, s5, v32, vcc_lo
	v_lshlrev_b64 v[31:32], 3, v[35:36]
	v_add_nc_u32_e32 v35, s15, v39
	v_ashrrev_i32_e32 v40, 31, v39
	v_lshlrev_b64 v[33:34], 3, v[33:34]
	v_add_nc_u32_e32 v41, s15, v35
	v_ashrrev_i32_e32 v36, 31, v35
	v_lshlrev_b64 v[39:40], 3, v[39:40]
	v_add_co_u32 v33, vcc_lo, s4, v33
	v_add_nc_u32_e32 v47, s15, v41
	v_lshlrev_b64 v[45:46], 3, v[35:36]
	v_add_co_ci_u32_e64 v34, null, s5, v34, vcc_lo
	v_add_co_u32 v31, vcc_lo, s4, v31
	v_ashrrev_i32_e32 v48, 31, v47
	v_add_nc_u32_e32 v49, s15, v47
	v_add_co_ci_u32_e64 v32, null, s5, v32, vcc_lo
	v_add_co_u32 v35, vcc_lo, s4, v39
	v_add_co_ci_u32_e64 v36, null, s5, v40, vcc_lo
	v_add_co_u32 v39, vcc_lo, s4, v45
	v_add_co_ci_u32_e64 v40, null, s5, v46, vcc_lo
	v_lshlrev_b64 v[45:46], 3, v[47:48]
	v_add_nc_u32_e32 v47, s15, v49
	v_ashrrev_i32_e32 v42, 31, v41
	v_ashrrev_i32_e32 v50, 31, v49
	v_add_nc_u32_e32 v51, s15, v47
	v_lshlrev_b64 v[41:42], 3, v[41:42]
	v_ashrrev_i32_e32 v48, 31, v47
	v_lshlrev_b64 v[49:50], 3, v[49:50]
	v_add_nc_u32_e32 v55, s15, v51
	v_ashrrev_i32_e32 v52, 31, v51
	v_add_co_u32 v41, vcc_lo, s4, v41
	v_lshlrev_b64 v[53:54], 3, v[47:48]
	v_add_co_ci_u32_e64 v42, null, s5, v42, vcc_lo
	v_add_co_u32 v45, vcc_lo, s4, v45
	v_ashrrev_i32_e32 v56, 31, v55
	v_add_nc_u32_e32 v57, s15, v55
	v_add_co_ci_u32_e64 v46, null, s5, v46, vcc_lo
	v_add_co_u32 v47, vcc_lo, s4, v49
	v_add_co_ci_u32_e64 v48, null, s5, v50, vcc_lo
	v_add_co_u32 v49, vcc_lo, s4, v53
	v_add_co_ci_u32_e64 v50, null, s5, v54, vcc_lo
	v_lshlrev_b64 v[53:54], 3, v[55:56]
	v_add_nc_u32_e32 v55, s15, v57
	v_ashrrev_i32_e32 v58, 31, v57
	v_lshlrev_b64 v[51:52], 3, v[51:52]
	v_add_nc_u32_e32 v59, s15, v55
	v_ashrrev_i32_e32 v56, 31, v55
	v_lshlrev_b64 v[57:58], 3, v[57:58]
	v_add_co_u32 v51, vcc_lo, s4, v51
	v_add_nc_u32_e32 v63, s15, v59
	v_lshlrev_b64 v[61:62], 3, v[55:56]
	v_add_co_ci_u32_e64 v52, null, s5, v52, vcc_lo
	v_add_co_u32 v53, vcc_lo, s4, v53
	v_ashrrev_i32_e32 v64, 31, v63
	v_add_nc_u32_e32 v65, s15, v63
	v_add_co_ci_u32_e64 v54, null, s5, v54, vcc_lo
	v_add_co_u32 v55, vcc_lo, s4, v57
	v_add_co_ci_u32_e64 v56, null, s5, v58, vcc_lo
	v_add_co_u32 v57, vcc_lo, s4, v61
	v_add_co_ci_u32_e64 v58, null, s5, v62, vcc_lo
	v_lshlrev_b64 v[61:62], 3, v[63:64]
	v_add_nc_u32_e32 v63, s15, v65
	v_ashrrev_i32_e32 v60, 31, v59
	v_ashrrev_i32_e32 v66, 31, v65
	v_add_nc_u32_e32 v69, s15, v63
	v_lshlrev_b64 v[59:60], 3, v[59:60]
	v_ashrrev_i32_e32 v64, 31, v63
	v_lshlrev_b64 v[65:66], 3, v[65:66]
	v_add_nc_u32_e32 v75, s15, v69
	v_ashrrev_i32_e32 v70, 31, v69
	v_add_co_u32 v59, vcc_lo, s4, v59
	v_lshlrev_b64 v[73:74], 3, v[63:64]
	v_add_co_ci_u32_e64 v60, null, s5, v60, vcc_lo
	v_add_co_u32 v61, vcc_lo, s4, v61
	v_ashrrev_i32_e32 v76, 31, v75
	v_add_nc_u32_e32 v77, s15, v75
	v_add_co_ci_u32_e64 v62, null, s5, v62, vcc_lo
	v_add_co_u32 v63, vcc_lo, s4, v65
	v_add_co_ci_u32_e64 v64, null, s5, v66, vcc_lo
	;; [unrolled: 40-line block ×3, first 2 shown]
	v_add_co_u32 v85, vcc_lo, s4, v89
	v_add_co_ci_u32_e64 v86, null, s5, v90, vcc_lo
	v_lshlrev_b64 v[89:90], 3, v[91:92]
	v_add_nc_u32_e32 v91, s15, v93
	v_ashrrev_i32_e32 v94, 31, v93
	v_lshlrev_b64 v[87:88], 3, v[87:88]
	v_add_nc_u32_e32 v95, s15, v91
	v_ashrrev_i32_e32 v92, 31, v91
	v_lshlrev_b64 v[93:94], 3, v[93:94]
	v_add_co_u32 v87, vcc_lo, s4, v87
	v_add_nc_u32_e32 v136, s15, v95
	v_ashrrev_i32_e32 v96, 31, v95
	v_lshlrev_b64 v[134:135], 3, v[91:92]
	v_add_co_ci_u32_e64 v88, null, s5, v88, vcc_lo
	v_ashrrev_i32_e32 v137, 31, v136
	v_add_co_u32 v89, vcc_lo, s4, v89
	v_lshlrev_b64 v[95:96], 3, v[95:96]
	v_add_co_ci_u32_e64 v90, null, s5, v90, vcc_lo
	v_add_co_u32 v91, vcc_lo, s4, v93
	v_lshlrev_b64 v[137:138], 3, v[136:137]
	v_add_co_ci_u32_e64 v92, null, s5, v94, vcc_lo
	v_add_co_u32 v93, vcc_lo, s4, v134
	v_add_co_ci_u32_e64 v94, null, s5, v135, vcc_lo
	v_add_co_u32 v95, vcc_lo, s4, v95
	s_clause 0x2
	global_load_dwordx2 v[134:135], v[37:38], off
	global_load_dwordx2 v[139:140], v[33:34], off
	;; [unrolled: 1-line block ×3, first 2 shown]
	v_add_co_ci_u32_e64 v96, null, s5, v96, vcc_lo
	s_waitcnt vmcnt(20)
	buffer_store_dword v98, off, s[0:3], 0 offset:4
	buffer_store_dword v97, off, s[0:3], 0
	v_add_co_u32 v97, vcc_lo, s4, v137
	s_clause 0x2
	global_load_dwordx2 v[143:144], v[35:36], off
	global_load_dwordx2 v[145:146], v[41:42], off
	;; [unrolled: 1-line block ×3, first 2 shown]
	v_add_co_ci_u32_e64 v98, null, s5, v138, vcc_lo
	global_load_dwordx2 v[137:138], v[39:40], off
	s_waitcnt vmcnt(23)
	buffer_store_dword v100, off, s[0:3], 0 offset:12
	buffer_store_dword v99, off, s[0:3], 0 offset:8
	s_waitcnt vmcnt(22)
	buffer_store_dword v102, off, s[0:3], 0 offset:20
	buffer_store_dword v101, off, s[0:3], 0 offset:16
	s_waitcnt vmcnt(21)
	buffer_store_dword v104, off, s[0:3], 0 offset:28
	buffer_store_dword v103, off, s[0:3], 0 offset:24
	s_waitcnt vmcnt(20)
	buffer_store_dword v106, off, s[0:3], 0 offset:36
	buffer_store_dword v105, off, s[0:3], 0 offset:32
	s_clause 0x3
	global_load_dwordx2 v[149:150], v[47:48], off
	global_load_dwordx2 v[151:152], v[49:50], off
	;; [unrolled: 1-line block ×4, first 2 shown]
	s_waitcnt vmcnt(23)
	buffer_store_dword v108, off, s[0:3], 0 offset:44
	buffer_store_dword v107, off, s[0:3], 0 offset:40
	s_waitcnt vmcnt(22)
	buffer_store_dword v110, off, s[0:3], 0 offset:52
	buffer_store_dword v109, off, s[0:3], 0 offset:48
	;; [unrolled: 3-line block ×4, first 2 shown]
	s_clause 0x3
	global_load_dwordx2 v[157:158], v[55:56], off
	global_load_dwordx2 v[159:160], v[57:58], off
	;; [unrolled: 1-line block ×4, first 2 shown]
	s_waitcnt vmcnt(23)
	buffer_store_dword v115, off, s[0:3], 0 offset:72
	buffer_store_dword v116, off, s[0:3], 0 offset:76
	s_waitcnt vmcnt(22)
	buffer_store_dword v117, off, s[0:3], 0 offset:80
	buffer_store_dword v118, off, s[0:3], 0 offset:84
	s_waitcnt vmcnt(21)
	buffer_store_dword v119, off, s[0:3], 0 offset:88
	s_clause 0x1
	global_load_dwordx2 v[117:118], v[63:64], off
	global_load_dwordx2 v[165:166], v[65:66], off
	buffer_store_dword v120, off, s[0:3], 0 offset:92
	s_waitcnt vmcnt(22)
	buffer_store_dword v122, off, s[0:3], 0 offset:96
	global_load_dwordx2 v[119:120], v[69:70], off
	buffer_store_dword v123, off, s[0:3], 0 offset:100
	global_load_dwordx2 v[122:123], v[73:74], off
	s_waitcnt vmcnt(23)
	buffer_store_dword v124, off, s[0:3], 0 offset:104
	buffer_store_dword v125, off, s[0:3], 0 offset:108
	s_waitcnt vmcnt(22)
	buffer_store_dword v127, off, s[0:3], 0 offset:116
	buffer_store_dword v126, off, s[0:3], 0 offset:112
	;; [unrolled: 3-line block ×3, first 2 shown]
	global_load_dwordx2 v[124:125], v[75:76], off
	s_waitcnt vmcnt(21)
	buffer_store_dword v130, off, s[0:3], 0 offset:128
	buffer_store_dword v131, off, s[0:3], 0 offset:132
	s_clause 0x1
	global_load_dwordx2 v[126:127], v[77:78], off
	global_load_dwordx2 v[128:129], v[79:80], off
	s_waitcnt vmcnt(22)
	buffer_store_dword v132, off, s[0:3], 0 offset:136
	buffer_store_dword v133, off, s[0:3], 0 offset:140
	global_load_dwordx2 v[130:131], v[81:82], off
	v_add_nc_u32_e32 v100, s15, v136
	s_waitcnt vmcnt(22)
	buffer_store_dword v134, off, s[0:3], 0 offset:144
	buffer_store_dword v135, off, s[0:3], 0 offset:148
	s_waitcnt vmcnt(21)
	buffer_store_dword v140, off, s[0:3], 0 offset:156
	v_add_nc_u32_e32 v103, s15, v100
	v_ashrrev_i32_e32 v101, 31, v100
	buffer_store_dword v139, off, s[0:3], 0 offset:152
	s_waitcnt vmcnt(20)
	buffer_store_dword v142, off, s[0:3], 0 offset:164
	buffer_store_dword v141, off, s[0:3], 0 offset:160
	v_add_nc_u32_e32 v105, s15, v103
	v_lshlrev_b64 v[101:102], 3, v[100:101]
	v_ashrrev_i32_e32 v104, 31, v103
	v_add_nc_u32_e32 v107, s15, v105
	v_ashrrev_i32_e32 v106, 31, v105
	v_add_co_u32 v99, vcc_lo, s4, v101
	v_add_co_ci_u32_e64 v100, null, s5, v102, vcc_lo
	v_ashrrev_i32_e32 v108, 31, v107
	v_lshlrev_b64 v[101:102], 3, v[103:104]
	v_lshlrev_b64 v[103:104], 3, v[105:106]
	;; [unrolled: 1-line block ×3, first 2 shown]
	v_add_nc_u32_e32 v107, s15, v107
	v_add_co_u32 v101, vcc_lo, s4, v101
	v_add_co_ci_u32_e64 v102, null, s5, v102, vcc_lo
	v_add_nc_u32_e32 v110, s15, v107
	v_ashrrev_i32_e32 v108, 31, v107
	v_add_co_u32 v103, vcc_lo, s4, v103
	v_add_co_ci_u32_e64 v104, null, s5, v104, vcc_lo
	v_add_nc_u32_e32 v113, s15, v110
	v_ashrrev_i32_e32 v111, 31, v110
	v_lshlrev_b64 v[108:109], 3, v[107:108]
	v_add_co_u32 v105, vcc_lo, s4, v105
	v_add_nc_u32_e32 v115, s15, v113
	v_lshlrev_b64 v[111:112], 3, v[110:111]
	v_ashrrev_i32_e32 v114, 31, v113
	v_add_co_ci_u32_e64 v106, null, s5, v106, vcc_lo
	v_add_nc_u32_e32 v132, s15, v115
	v_ashrrev_i32_e32 v116, 31, v115
	v_add_co_u32 v107, vcc_lo, s4, v108
	v_add_co_ci_u32_e64 v108, null, s5, v109, vcc_lo
	v_ashrrev_i32_e32 v133, 31, v132
	v_add_co_u32 v109, vcc_lo, s4, v111
	s_waitcnt vmcnt(19)
	buffer_store_dword v143, off, s[0:3], 0 offset:168
	buffer_store_dword v144, off, s[0:3], 0 offset:172
	s_waitcnt vmcnt(16)
	buffer_store_dword v137, off, s[0:3], 0 offset:176
	buffer_store_dword v138, off, s[0:3], 0 offset:180
	;; [unrolled: 1-line block ×6, first 2 shown]
	s_waitcnt vmcnt(15)
	buffer_store_dword v150, off, s[0:3], 0 offset:204
	buffer_store_dword v149, off, s[0:3], 0 offset:200
	s_waitcnt vmcnt(14)
	buffer_store_dword v152, off, s[0:3], 0 offset:212
	buffer_store_dword v151, off, s[0:3], 0 offset:208
	;; [unrolled: 3-line block ×10, first 2 shown]
	v_add_co_ci_u32_e64 v110, null, s5, v112, vcc_lo
	s_waitcnt vmcnt(5)
	buffer_store_dword v119, off, s[0:3], 0 offset:280
	buffer_store_dword v120, off, s[0:3], 0 offset:284
	s_waitcnt vmcnt(4)
	buffer_store_dword v122, off, s[0:3], 0 offset:288
	buffer_store_dword v123, off, s[0:3], 0 offset:292
	v_lshlrev_b64 v[111:112], 3, v[113:114]
	v_lshlrev_b64 v[113:114], 3, v[115:116]
	;; [unrolled: 1-line block ×3, first 2 shown]
	v_add_nc_u32_e32 v117, s15, v132
	s_clause 0x8
	global_load_dwordx2 v[132:133], v[83:84], off
	global_load_dwordx2 v[119:120], v[85:86], off
	;; [unrolled: 1-line block ×9, first 2 shown]
	v_ashrrev_i32_e32 v118, 31, v117
	s_clause 0x2
	global_load_dwordx2 v[146:147], v[101:102], off
	global_load_dwordx2 v[148:149], v[103:104], off
	;; [unrolled: 1-line block ×3, first 2 shown]
	v_add_co_u32 v111, vcc_lo, s4, v111
	v_lshlrev_b64 v[117:118], 3, v[117:118]
	s_waitcnt vmcnt(15)
	buffer_store_dword v125, off, s[0:3], 0 offset:300
	buffer_store_dword v124, off, s[0:3], 0 offset:296
	global_load_dwordx2 v[124:125], v[105:106], off
	v_add_co_ci_u32_e64 v112, null, s5, v112, vcc_lo
	v_add_co_u32 v113, vcc_lo, s4, v113
	v_add_co_ci_u32_e64 v114, null, s5, v114, vcc_lo
	v_add_co_u32 v115, vcc_lo, s4, v115
	s_waitcnt vmcnt(15)
	buffer_store_dword v127, off, s[0:3], 0 offset:308
	buffer_store_dword v126, off, s[0:3], 0 offset:304
	s_clause 0x1
	global_load_dwordx2 v[126:127], v[109:110], off
	global_load_dwordx2 v[152:153], v[111:112], off
	v_add_co_ci_u32_e64 v116, null, s5, v116, vcc_lo
	v_add_co_u32 v117, vcc_lo, s4, v117
	v_add_co_ci_u32_e64 v118, null, s5, v118, vcc_lo
	s_waitcnt vmcnt(16)
	buffer_store_dword v128, off, s[0:3], 0 offset:312
	buffer_store_dword v129, off, s[0:3], 0 offset:316
	s_clause 0x1
	global_load_dwordx2 v[128:129], v[113:114], off
	global_load_dwordx2 v[154:155], v[115:116], off
	s_waitcnt vmcnt(17)
	buffer_store_dword v130, off, s[0:3], 0 offset:320
	buffer_store_dword v131, off, s[0:3], 0 offset:324
	global_load_dwordx2 v[130:131], v[117:118], off
	s_mov_b32 s5, -1
	s_waitcnt vmcnt(17)
	buffer_store_dword v132, off, s[0:3], 0 offset:328
	buffer_store_dword v133, off, s[0:3], 0 offset:332
	s_waitcnt vmcnt(16)
	buffer_store_dword v119, off, s[0:3], 0 offset:336
	buffer_store_dword v120, off, s[0:3], 0 offset:340
	;; [unrolled: 3-line block ×12, first 2 shown]
	buffer_store_dword v150, off, s[0:3], 0 offset:424
	buffer_store_dword v151, off, s[0:3], 0 offset:428
	s_waitcnt vmcnt(4)
	buffer_store_dword v126, off, s[0:3], 0 offset:432
	buffer_store_dword v127, off, s[0:3], 0 offset:436
	s_waitcnt vmcnt(3)
	;; [unrolled: 3-line block ×5, first 2 shown]
	buffer_store_dword v130, off, s[0:3], 0 offset:464
	buffer_store_dword v131, off, s[0:3], 0 offset:468
	s_cbranch_scc1 .LBB58_244
; %bb.4:
	v_cmp_eq_u32_e64 s4, 0, v0
	s_and_saveexec_b32 s5, s4
; %bb.5:
	v_mov_b32_e32 v119, 0
	ds_write_b32 v119, v119 offset:472
; %bb.6:
	s_or_b32 exec_lo, exec_lo, s5
	v_lshl_add_u32 v119, v0, 3, 0
	s_waitcnt lgkmcnt(0)
	s_waitcnt_vscnt null, 0x0
	s_barrier
	buffer_gl0_inv
	s_mov_b32 s8, exec_lo
	s_clause 0x1
	buffer_load_dword v122, v119, s[0:3], 0 offen
	buffer_load_dword v123, v119, s[0:3], 0 offen offset:4
	s_waitcnt vmcnt(0)
	v_cmpx_eq_f64_e32 0, v[122:123]
	s_cbranch_execz .LBB58_10
; %bb.7:
	v_mov_b32_e32 v120, 0
	s_mov_b32 s9, 0
	ds_read_b32 v122, v120 offset:472
	s_waitcnt lgkmcnt(0)
	v_readfirstlane_b32 s5, v122
	v_add_nc_u32_e32 v122, 1, v0
	s_cmp_eq_u32 s5, 0
	v_cmp_gt_i32_e32 vcc_lo, s5, v122
	s_cselect_b32 s12, -1, 0
	s_or_b32 s12, s12, vcc_lo
	s_and_b32 exec_lo, exec_lo, s12
	s_cbranch_execz .LBB58_10
; %bb.8:
	v_mov_b32_e32 v123, s5
.LBB58_9:                               ; =>This Inner Loop Header: Depth=1
	ds_cmpst_rtn_b32 v123, v120, v123, v122 offset:472
	s_waitcnt lgkmcnt(0)
	v_cmp_ne_u32_e32 vcc_lo, 0, v123
	v_cmp_le_i32_e64 s5, v123, v122
	s_and_b32 s5, vcc_lo, s5
	s_and_b32 s5, exec_lo, s5
	s_or_b32 s9, s5, s9
	s_andn2_b32 exec_lo, exec_lo, s9
	s_cbranch_execnz .LBB58_9
.LBB58_10:
	s_or_b32 exec_lo, exec_lo, s8
	v_mov_b32_e32 v120, 0
	s_barrier
	buffer_gl0_inv
	ds_read_b32 v122, v120 offset:472
	s_and_saveexec_b32 s5, s4
	s_cbranch_execz .LBB58_12
; %bb.11:
	s_lshl_b64 s[8:9], s[6:7], 2
	s_add_u32 s8, s10, s8
	s_addc_u32 s9, s11, s9
	s_waitcnt lgkmcnt(0)
	global_store_dword v120, v122, s[8:9]
.LBB58_12:
	s_or_b32 exec_lo, exec_lo, s5
	s_waitcnt lgkmcnt(0)
	v_cmp_ne_u32_e32 vcc_lo, 0, v122
	s_mov_b32 s5, 0
	s_cbranch_vccnz .LBB58_244
; %bb.13:
	s_clause 0x1
	buffer_load_dword v122, v119, s[0:3], 0 offen
	buffer_load_dword v123, v119, s[0:3], 0 offen offset:4
	s_waitcnt vmcnt(0)
	v_div_scale_f64 v[124:125], null, v[122:123], v[122:123], 1.0
	v_div_scale_f64 v[130:131], vcc_lo, 1.0, v[122:123], 1.0
	v_rcp_f64_e32 v[126:127], v[124:125]
	v_fma_f64 v[128:129], -v[124:125], v[126:127], 1.0
	v_fma_f64 v[126:127], v[126:127], v[128:129], v[126:127]
	v_fma_f64 v[128:129], -v[124:125], v[126:127], 1.0
	v_fma_f64 v[126:127], v[126:127], v[128:129], v[126:127]
	v_mul_f64 v[128:129], v[130:131], v[126:127]
	v_fma_f64 v[124:125], -v[124:125], v[128:129], v[130:131]
	v_div_fmas_f64 v[124:125], v[124:125], v[126:127], v[128:129]
	v_div_fixup_f64 v[123:124], v[124:125], v[122:123], 1.0
	v_add_nc_u32_e32 v122, 0x1e0, v121
	buffer_store_dword v124, v119, s[0:3], 0 offen offset:4
	buffer_store_dword v123, v119, s[0:3], 0 offen
	s_clause 0x1
	buffer_load_dword v126, off, s[0:3], 0 offset:12
	buffer_load_dword v125, off, s[0:3], 0 offset:8
	v_xor_b32_e32 v124, 0x80000000, v124
	s_waitcnt vmcnt(0)
	ds_write2_b64 v121, v[123:124], v[125:126] offset1:60
	s_waitcnt lgkmcnt(0)
	s_waitcnt_vscnt null, 0x0
	s_barrier
	buffer_gl0_inv
	s_and_saveexec_b32 s5, s4
	s_cbranch_execz .LBB58_15
; %bb.14:
	s_clause 0x1
	buffer_load_dword v123, v119, s[0:3], 0 offen
	buffer_load_dword v124, v119, s[0:3], 0 offen offset:4
	ds_read_b64 v[125:126], v122
	v_mov_b32_e32 v120, 0
	ds_read_b64 v[127:128], v120 offset:8
	s_waitcnt vmcnt(0) lgkmcnt(1)
	v_fma_f64 v[123:124], v[123:124], v[125:126], 0
	s_waitcnt lgkmcnt(0)
	v_mul_f64 v[123:124], v[123:124], v[127:128]
	buffer_store_dword v123, off, s[0:3], 0 offset:8
	buffer_store_dword v124, off, s[0:3], 0 offset:12
.LBB58_15:
	s_or_b32 exec_lo, exec_lo, s5
	s_waitcnt_vscnt null, 0x0
	s_barrier
	buffer_gl0_inv
	s_clause 0x1
	buffer_load_dword v123, off, s[0:3], 0 offset:16
	buffer_load_dword v124, off, s[0:3], 0 offset:20
	s_mov_b32 s5, exec_lo
	s_waitcnt vmcnt(0)
	ds_write_b64 v122, v[123:124]
	s_waitcnt lgkmcnt(0)
	s_barrier
	buffer_gl0_inv
	v_cmpx_gt_u32_e32 2, v0
	s_cbranch_execz .LBB58_19
; %bb.16:
	s_clause 0x1
	buffer_load_dword v123, v119, s[0:3], 0 offen
	buffer_load_dword v124, v119, s[0:3], 0 offen offset:4
	ds_read_b64 v[119:120], v122
	s_waitcnt vmcnt(0) lgkmcnt(0)
	v_fma_f64 v[119:120], v[123:124], v[119:120], 0
	s_and_saveexec_b32 s8, s4
	s_cbranch_execz .LBB58_18
; %bb.17:
	s_clause 0x1
	buffer_load_dword v123, off, s[0:3], 0 offset:8
	buffer_load_dword v124, off, s[0:3], 0 offset:12
	v_mov_b32_e32 v125, 0
	ds_read_b64 v[125:126], v125 offset:488
	s_waitcnt vmcnt(0) lgkmcnt(0)
	v_fma_f64 v[119:120], v[123:124], v[125:126], v[119:120]
.LBB58_18:
	s_or_b32 exec_lo, exec_lo, s8
	v_mov_b32_e32 v123, 0
	ds_read_b64 v[123:124], v123 offset:16
	s_waitcnt lgkmcnt(0)
	v_mul_f64 v[119:120], v[119:120], v[123:124]
	buffer_store_dword v120, off, s[0:3], 0 offset:20
	buffer_store_dword v119, off, s[0:3], 0 offset:16
.LBB58_19:
	s_or_b32 exec_lo, exec_lo, s5
	s_waitcnt_vscnt null, 0x0
	s_barrier
	buffer_gl0_inv
	s_clause 0x1
	buffer_load_dword v119, off, s[0:3], 0 offset:24
	buffer_load_dword v120, off, s[0:3], 0 offset:28
	v_add_nc_u32_e32 v123, -1, v0
	s_mov_b32 s4, exec_lo
	s_waitcnt vmcnt(0)
	ds_write_b64 v122, v[119:120]
	s_waitcnt lgkmcnt(0)
	s_barrier
	buffer_gl0_inv
	v_cmpx_gt_u32_e32 3, v0
	s_cbranch_execz .LBB58_23
; %bb.20:
	v_mov_b32_e32 v119, 0
	v_add_nc_u32_e32 v124, -1, v0
	v_add_nc_u32_e32 v125, 0x1e0, v121
	v_mov_b32_e32 v120, 0
	v_mov_b32_e32 v126, v121
	s_mov_b32 s5, 0
.LBB58_21:                              ; =>This Inner Loop Header: Depth=1
	s_clause 0x1
	buffer_load_dword v127, v126, s[0:3], 0 offen
	buffer_load_dword v128, v126, s[0:3], 0 offen offset:4
	ds_read_b64 v[129:130], v125
	v_add_nc_u32_e32 v124, 1, v124
	v_add_nc_u32_e32 v125, 8, v125
	v_add_nc_u32_e32 v126, 8, v126
	v_cmp_lt_u32_e32 vcc_lo, 1, v124
	s_or_b32 s5, vcc_lo, s5
	s_waitcnt vmcnt(0) lgkmcnt(0)
	v_fma_f64 v[119:120], v[127:128], v[129:130], v[119:120]
	s_andn2_b32 exec_lo, exec_lo, s5
	s_cbranch_execnz .LBB58_21
; %bb.22:
	s_or_b32 exec_lo, exec_lo, s5
	v_mov_b32_e32 v124, 0
	ds_read_b64 v[124:125], v124 offset:24
	s_waitcnt lgkmcnt(0)
	v_mul_f64 v[119:120], v[119:120], v[124:125]
	buffer_store_dword v120, off, s[0:3], 0 offset:28
	buffer_store_dword v119, off, s[0:3], 0 offset:24
.LBB58_23:
	s_or_b32 exec_lo, exec_lo, s4
	s_waitcnt_vscnt null, 0x0
	s_barrier
	buffer_gl0_inv
	s_clause 0x1
	buffer_load_dword v119, off, s[0:3], 0 offset:32
	buffer_load_dword v120, off, s[0:3], 0 offset:36
	s_mov_b32 s4, exec_lo
	s_waitcnt vmcnt(0)
	ds_write_b64 v122, v[119:120]
	s_waitcnt lgkmcnt(0)
	s_barrier
	buffer_gl0_inv
	v_cmpx_gt_u32_e32 4, v0
	s_cbranch_execz .LBB58_27
; %bb.24:
	v_mov_b32_e32 v119, 0
	v_add_nc_u32_e32 v124, -1, v0
	v_add_nc_u32_e32 v125, 0x1e0, v121
	v_mov_b32_e32 v120, 0
	v_mov_b32_e32 v126, v121
	s_mov_b32 s5, 0
.LBB58_25:                              ; =>This Inner Loop Header: Depth=1
	s_clause 0x1
	buffer_load_dword v127, v126, s[0:3], 0 offen
	buffer_load_dword v128, v126, s[0:3], 0 offen offset:4
	ds_read_b64 v[129:130], v125
	v_add_nc_u32_e32 v124, 1, v124
	v_add_nc_u32_e32 v125, 8, v125
	v_add_nc_u32_e32 v126, 8, v126
	v_cmp_lt_u32_e32 vcc_lo, 2, v124
	s_or_b32 s5, vcc_lo, s5
	s_waitcnt vmcnt(0) lgkmcnt(0)
	v_fma_f64 v[119:120], v[127:128], v[129:130], v[119:120]
	s_andn2_b32 exec_lo, exec_lo, s5
	s_cbranch_execnz .LBB58_25
; %bb.26:
	s_or_b32 exec_lo, exec_lo, s5
	v_mov_b32_e32 v124, 0
	ds_read_b64 v[124:125], v124 offset:32
	s_waitcnt lgkmcnt(0)
	v_mul_f64 v[119:120], v[119:120], v[124:125]
	buffer_store_dword v120, off, s[0:3], 0 offset:36
	buffer_store_dword v119, off, s[0:3], 0 offset:32
.LBB58_27:
	s_or_b32 exec_lo, exec_lo, s4
	s_waitcnt_vscnt null, 0x0
	s_barrier
	buffer_gl0_inv
	s_clause 0x1
	buffer_load_dword v119, off, s[0:3], 0 offset:40
	buffer_load_dword v120, off, s[0:3], 0 offset:44
	;; [unrolled: 45-line block ×20, first 2 shown]
	s_mov_b32 s4, exec_lo
	s_waitcnt vmcnt(0)
	ds_write_b64 v122, v[119:120]
	s_waitcnt lgkmcnt(0)
	s_barrier
	buffer_gl0_inv
	v_cmpx_gt_u32_e32 23, v0
	s_cbranch_execz .LBB58_103
; %bb.100:
	v_mov_b32_e32 v119, 0
	v_add_nc_u32_e32 v124, -1, v0
	v_add_nc_u32_e32 v125, 0x1e0, v121
	v_mov_b32_e32 v120, 0
	v_mov_b32_e32 v126, v121
	s_mov_b32 s5, 0
.LBB58_101:                             ; =>This Inner Loop Header: Depth=1
	s_clause 0x1
	buffer_load_dword v127, v126, s[0:3], 0 offen
	buffer_load_dword v128, v126, s[0:3], 0 offen offset:4
	ds_read_b64 v[129:130], v125
	v_add_nc_u32_e32 v124, 1, v124
	v_add_nc_u32_e32 v125, 8, v125
	v_add_nc_u32_e32 v126, 8, v126
	v_cmp_lt_u32_e32 vcc_lo, 21, v124
	s_or_b32 s5, vcc_lo, s5
	s_waitcnt vmcnt(0) lgkmcnt(0)
	v_fma_f64 v[119:120], v[127:128], v[129:130], v[119:120]
	s_andn2_b32 exec_lo, exec_lo, s5
	s_cbranch_execnz .LBB58_101
; %bb.102:
	s_or_b32 exec_lo, exec_lo, s5
	v_mov_b32_e32 v124, 0
	ds_read_b64 v[124:125], v124 offset:184
	s_waitcnt lgkmcnt(0)
	v_mul_f64 v[119:120], v[119:120], v[124:125]
	buffer_store_dword v120, off, s[0:3], 0 offset:188
	buffer_store_dword v119, off, s[0:3], 0 offset:184
.LBB58_103:
	s_or_b32 exec_lo, exec_lo, s4
	s_waitcnt_vscnt null, 0x0
	s_barrier
	buffer_gl0_inv
	s_clause 0x1
	buffer_load_dword v119, off, s[0:3], 0 offset:192
	buffer_load_dword v120, off, s[0:3], 0 offset:196
	s_mov_b32 s4, exec_lo
	s_waitcnt vmcnt(0)
	ds_write_b64 v122, v[119:120]
	s_waitcnt lgkmcnt(0)
	s_barrier
	buffer_gl0_inv
	v_cmpx_gt_u32_e32 24, v0
	s_cbranch_execz .LBB58_107
; %bb.104:
	v_mov_b32_e32 v119, 0
	v_add_nc_u32_e32 v124, -1, v0
	v_add_nc_u32_e32 v125, 0x1e0, v121
	v_mov_b32_e32 v120, 0
	v_mov_b32_e32 v126, v121
	s_mov_b32 s5, 0
.LBB58_105:                             ; =>This Inner Loop Header: Depth=1
	s_clause 0x1
	buffer_load_dword v127, v126, s[0:3], 0 offen
	buffer_load_dword v128, v126, s[0:3], 0 offen offset:4
	ds_read_b64 v[129:130], v125
	v_add_nc_u32_e32 v124, 1, v124
	v_add_nc_u32_e32 v125, 8, v125
	v_add_nc_u32_e32 v126, 8, v126
	v_cmp_lt_u32_e32 vcc_lo, 22, v124
	s_or_b32 s5, vcc_lo, s5
	s_waitcnt vmcnt(0) lgkmcnt(0)
	v_fma_f64 v[119:120], v[127:128], v[129:130], v[119:120]
	s_andn2_b32 exec_lo, exec_lo, s5
	s_cbranch_execnz .LBB58_105
; %bb.106:
	s_or_b32 exec_lo, exec_lo, s5
	v_mov_b32_e32 v124, 0
	ds_read_b64 v[124:125], v124 offset:192
	s_waitcnt lgkmcnt(0)
	v_mul_f64 v[119:120], v[119:120], v[124:125]
	buffer_store_dword v120, off, s[0:3], 0 offset:196
	buffer_store_dword v119, off, s[0:3], 0 offset:192
.LBB58_107:
	s_or_b32 exec_lo, exec_lo, s4
	s_waitcnt_vscnt null, 0x0
	s_barrier
	buffer_gl0_inv
	s_clause 0x1
	buffer_load_dword v119, off, s[0:3], 0 offset:200
	buffer_load_dword v120, off, s[0:3], 0 offset:204
	;; [unrolled: 45-line block ×35, first 2 shown]
	s_mov_b32 s4, exec_lo
	s_waitcnt vmcnt(0)
	ds_write_b64 v122, v[119:120]
	s_waitcnt lgkmcnt(0)
	s_barrier
	buffer_gl0_inv
	v_cmpx_ne_u32_e32 58, v0
	s_cbranch_execz .LBB58_243
; %bb.240:
	v_mov_b32_e32 v119, 0
	v_mov_b32_e32 v120, 0
	s_mov_b32 s5, 0
.LBB58_241:                             ; =>This Inner Loop Header: Depth=1
	s_clause 0x1
	buffer_load_dword v124, v121, s[0:3], 0 offen
	buffer_load_dword v125, v121, s[0:3], 0 offen offset:4
	ds_read_b64 v[126:127], v122
	v_add_nc_u32_e32 v123, 1, v123
	v_add_nc_u32_e32 v122, 8, v122
	;; [unrolled: 1-line block ×3, first 2 shown]
	v_cmp_lt_u32_e32 vcc_lo, 56, v123
	s_or_b32 s5, vcc_lo, s5
	s_waitcnt vmcnt(0) lgkmcnt(0)
	v_fma_f64 v[119:120], v[124:125], v[126:127], v[119:120]
	s_andn2_b32 exec_lo, exec_lo, s5
	s_cbranch_execnz .LBB58_241
; %bb.242:
	s_or_b32 exec_lo, exec_lo, s5
	v_mov_b32_e32 v121, 0
	ds_read_b64 v[121:122], v121 offset:464
	s_waitcnt lgkmcnt(0)
	v_mul_f64 v[119:120], v[119:120], v[121:122]
	buffer_store_dword v120, off, s[0:3], 0 offset:468
	buffer_store_dword v119, off, s[0:3], 0 offset:464
.LBB58_243:
	s_or_b32 exec_lo, exec_lo, s4
	s_mov_b32 s5, -1
	s_waitcnt_vscnt null, 0x0
	s_barrier
	buffer_gl0_inv
.LBB58_244:
	s_and_b32 vcc_lo, exec_lo, s5
	s_cbranch_vccz .LBB58_246
; %bb.245:
	s_lshl_b64 s[4:5], s[6:7], 2
	v_mov_b32_e32 v119, 0
	s_add_u32 s4, s10, s4
	s_addc_u32 s5, s11, s5
	global_load_dword v119, v119, s[4:5]
	s_waitcnt vmcnt(0)
	v_cmp_ne_u32_e32 vcc_lo, 0, v119
	s_cbranch_vccz .LBB58_247
.LBB58_246:
	s_endpgm
.LBB58_247:
	v_lshl_add_u32 v119, v0, 3, 0x1e0
	s_mov_b32 s4, exec_lo
	v_cmpx_eq_u32_e32 58, v0
	s_cbranch_execz .LBB58_249
; %bb.248:
	s_clause 0x1
	buffer_load_dword v120, off, s[0:3], 0 offset:456
	buffer_load_dword v121, off, s[0:3], 0 offset:460
	v_mov_b32_e32 v122, 0
	buffer_store_dword v122, off, s[0:3], 0 offset:456
	buffer_store_dword v122, off, s[0:3], 0 offset:460
	s_waitcnt vmcnt(0)
	ds_write_b64 v119, v[120:121]
.LBB58_249:
	s_or_b32 exec_lo, exec_lo, s4
	s_waitcnt lgkmcnt(0)
	s_waitcnt_vscnt null, 0x0
	s_barrier
	buffer_gl0_inv
	s_clause 0x3
	buffer_load_dword v121, off, s[0:3], 0 offset:464
	buffer_load_dword v122, off, s[0:3], 0 offset:468
	;; [unrolled: 1-line block ×4, first 2 shown]
	v_mov_b32_e32 v120, 0
	s_mov_b32 s4, exec_lo
	ds_read_b64 v[125:126], v120 offset:944
	s_waitcnt vmcnt(2) lgkmcnt(0)
	v_fma_f64 v[121:122], v[121:122], v[125:126], 0
	s_waitcnt vmcnt(0)
	v_add_f64 v[121:122], v[123:124], -v[121:122]
	buffer_store_dword v121, off, s[0:3], 0 offset:456
	buffer_store_dword v122, off, s[0:3], 0 offset:460
	v_cmpx_lt_u32_e32 56, v0
	s_cbranch_execz .LBB58_251
; %bb.250:
	s_clause 0x1
	buffer_load_dword v121, off, s[0:3], 0 offset:448
	buffer_load_dword v122, off, s[0:3], 0 offset:452
	buffer_store_dword v120, off, s[0:3], 0 offset:448
	buffer_store_dword v120, off, s[0:3], 0 offset:452
	s_waitcnt vmcnt(0)
	ds_write_b64 v119, v[121:122]
.LBB58_251:
	s_or_b32 exec_lo, exec_lo, s4
	s_waitcnt lgkmcnt(0)
	s_waitcnt_vscnt null, 0x0
	s_barrier
	buffer_gl0_inv
	s_clause 0x5
	buffer_load_dword v124, off, s[0:3], 0 offset:456
	buffer_load_dword v125, off, s[0:3], 0 offset:460
	;; [unrolled: 1-line block ×6, first 2 shown]
	ds_read2_b64 v[120:123], v120 offset0:117 offset1:118
	s_mov_b32 s4, exec_lo
	s_waitcnt vmcnt(4) lgkmcnt(0)
	v_fma_f64 v[120:121], v[124:125], v[120:121], 0
	s_waitcnt vmcnt(2)
	v_fma_f64 v[120:121], v[126:127], v[122:123], v[120:121]
	s_waitcnt vmcnt(0)
	v_add_f64 v[120:121], v[128:129], -v[120:121]
	buffer_store_dword v120, off, s[0:3], 0 offset:448
	buffer_store_dword v121, off, s[0:3], 0 offset:452
	v_cmpx_lt_u32_e32 55, v0
	s_cbranch_execz .LBB58_253
; %bb.252:
	s_clause 0x1
	buffer_load_dword v120, off, s[0:3], 0 offset:440
	buffer_load_dword v121, off, s[0:3], 0 offset:444
	v_mov_b32_e32 v122, 0
	buffer_store_dword v122, off, s[0:3], 0 offset:440
	buffer_store_dword v122, off, s[0:3], 0 offset:444
	s_waitcnt vmcnt(0)
	ds_write_b64 v119, v[120:121]
.LBB58_253:
	s_or_b32 exec_lo, exec_lo, s4
	s_waitcnt lgkmcnt(0)
	s_waitcnt_vscnt null, 0x0
	s_barrier
	buffer_gl0_inv
	s_clause 0x7
	buffer_load_dword v125, off, s[0:3], 0 offset:448
	buffer_load_dword v126, off, s[0:3], 0 offset:452
	;; [unrolled: 1-line block ×8, first 2 shown]
	v_mov_b32_e32 v120, 0
	ds_read_b128 v[121:124], v120 offset:928
	ds_read_b64 v[133:134], v120 offset:944
	s_mov_b32 s4, exec_lo
	s_waitcnt vmcnt(6) lgkmcnt(1)
	v_fma_f64 v[121:122], v[125:126], v[121:122], 0
	s_waitcnt vmcnt(4)
	v_fma_f64 v[121:122], v[127:128], v[123:124], v[121:122]
	s_waitcnt vmcnt(2) lgkmcnt(0)
	v_fma_f64 v[121:122], v[129:130], v[133:134], v[121:122]
	s_waitcnt vmcnt(0)
	v_add_f64 v[121:122], v[131:132], -v[121:122]
	buffer_store_dword v121, off, s[0:3], 0 offset:440
	buffer_store_dword v122, off, s[0:3], 0 offset:444
	v_cmpx_lt_u32_e32 54, v0
	s_cbranch_execz .LBB58_255
; %bb.254:
	s_clause 0x1
	buffer_load_dword v121, off, s[0:3], 0 offset:432
	buffer_load_dword v122, off, s[0:3], 0 offset:436
	buffer_store_dword v120, off, s[0:3], 0 offset:432
	buffer_store_dword v120, off, s[0:3], 0 offset:436
	s_waitcnt vmcnt(0)
	ds_write_b64 v119, v[121:122]
.LBB58_255:
	s_or_b32 exec_lo, exec_lo, s4
	s_waitcnt lgkmcnt(0)
	s_waitcnt_vscnt null, 0x0
	s_barrier
	buffer_gl0_inv
	s_clause 0x9
	buffer_load_dword v129, off, s[0:3], 0 offset:440
	buffer_load_dword v130, off, s[0:3], 0 offset:444
	;; [unrolled: 1-line block ×10, first 2 shown]
	ds_read2_b64 v[121:124], v120 offset0:115 offset1:116
	ds_read2_b64 v[125:128], v120 offset0:117 offset1:118
	s_mov_b32 s4, exec_lo
	s_waitcnt vmcnt(8) lgkmcnt(1)
	v_fma_f64 v[120:121], v[129:130], v[121:122], 0
	s_waitcnt vmcnt(6)
	v_fma_f64 v[120:121], v[131:132], v[123:124], v[120:121]
	s_waitcnt vmcnt(4) lgkmcnt(0)
	v_fma_f64 v[120:121], v[133:134], v[125:126], v[120:121]
	s_waitcnt vmcnt(2)
	v_fma_f64 v[120:121], v[135:136], v[127:128], v[120:121]
	s_waitcnt vmcnt(0)
	v_add_f64 v[120:121], v[137:138], -v[120:121]
	buffer_store_dword v120, off, s[0:3], 0 offset:432
	buffer_store_dword v121, off, s[0:3], 0 offset:436
	v_cmpx_lt_u32_e32 53, v0
	s_cbranch_execz .LBB58_257
; %bb.256:
	s_clause 0x1
	buffer_load_dword v120, off, s[0:3], 0 offset:424
	buffer_load_dword v121, off, s[0:3], 0 offset:428
	v_mov_b32_e32 v122, 0
	buffer_store_dword v122, off, s[0:3], 0 offset:424
	buffer_store_dword v122, off, s[0:3], 0 offset:428
	s_waitcnt vmcnt(0)
	ds_write_b64 v119, v[120:121]
.LBB58_257:
	s_or_b32 exec_lo, exec_lo, s4
	s_waitcnt lgkmcnt(0)
	s_waitcnt_vscnt null, 0x0
	s_barrier
	buffer_gl0_inv
	s_clause 0xb
	buffer_load_dword v129, off, s[0:3], 0 offset:432
	buffer_load_dword v130, off, s[0:3], 0 offset:436
	;; [unrolled: 1-line block ×12, first 2 shown]
	v_mov_b32_e32 v120, 0
	ds_read_b128 v[121:124], v120 offset:912
	ds_read_b128 v[125:128], v120 offset:928
	s_mov_b32 s4, exec_lo
	s_waitcnt vmcnt(10) lgkmcnt(1)
	v_fma_f64 v[121:122], v[129:130], v[121:122], 0
	s_waitcnt vmcnt(8)
	v_fma_f64 v[121:122], v[131:132], v[123:124], v[121:122]
	ds_read_b64 v[123:124], v120 offset:944
	s_waitcnt vmcnt(6) lgkmcnt(1)
	v_fma_f64 v[121:122], v[133:134], v[125:126], v[121:122]
	s_waitcnt vmcnt(4)
	v_fma_f64 v[121:122], v[135:136], v[127:128], v[121:122]
	s_waitcnt vmcnt(2) lgkmcnt(0)
	v_fma_f64 v[121:122], v[137:138], v[123:124], v[121:122]
	s_waitcnt vmcnt(0)
	v_add_f64 v[121:122], v[139:140], -v[121:122]
	buffer_store_dword v121, off, s[0:3], 0 offset:424
	buffer_store_dword v122, off, s[0:3], 0 offset:428
	v_cmpx_lt_u32_e32 52, v0
	s_cbranch_execz .LBB58_259
; %bb.258:
	s_clause 0x1
	buffer_load_dword v121, off, s[0:3], 0 offset:416
	buffer_load_dword v122, off, s[0:3], 0 offset:420
	buffer_store_dword v120, off, s[0:3], 0 offset:416
	buffer_store_dword v120, off, s[0:3], 0 offset:420
	s_waitcnt vmcnt(0)
	ds_write_b64 v119, v[121:122]
.LBB58_259:
	s_or_b32 exec_lo, exec_lo, s4
	s_waitcnt lgkmcnt(0)
	s_waitcnt_vscnt null, 0x0
	s_barrier
	buffer_gl0_inv
	s_clause 0xd
	buffer_load_dword v129, off, s[0:3], 0 offset:424
	buffer_load_dword v130, off, s[0:3], 0 offset:428
	;; [unrolled: 1-line block ×14, first 2 shown]
	ds_read2_b64 v[121:124], v120 offset0:113 offset1:114
	ds_read2_b64 v[125:128], v120 offset0:115 offset1:116
	s_mov_b32 s4, exec_lo
	s_waitcnt vmcnt(12) lgkmcnt(1)
	v_fma_f64 v[121:122], v[129:130], v[121:122], 0
	s_waitcnt vmcnt(10)
	v_fma_f64 v[121:122], v[131:132], v[123:124], v[121:122]
	s_waitcnt vmcnt(8) lgkmcnt(0)
	v_fma_f64 v[121:122], v[133:134], v[125:126], v[121:122]
	s_waitcnt vmcnt(6)
	v_fma_f64 v[124:125], v[135:136], v[127:128], v[121:122]
	ds_read2_b64 v[120:123], v120 offset0:117 offset1:118
	s_waitcnt vmcnt(4) lgkmcnt(0)
	v_fma_f64 v[120:121], v[137:138], v[120:121], v[124:125]
	s_waitcnt vmcnt(2)
	v_fma_f64 v[120:121], v[139:140], v[122:123], v[120:121]
	s_waitcnt vmcnt(0)
	v_add_f64 v[120:121], v[141:142], -v[120:121]
	buffer_store_dword v120, off, s[0:3], 0 offset:416
	buffer_store_dword v121, off, s[0:3], 0 offset:420
	v_cmpx_lt_u32_e32 51, v0
	s_cbranch_execz .LBB58_261
; %bb.260:
	s_clause 0x1
	buffer_load_dword v120, off, s[0:3], 0 offset:408
	buffer_load_dword v121, off, s[0:3], 0 offset:412
	v_mov_b32_e32 v122, 0
	buffer_store_dword v122, off, s[0:3], 0 offset:408
	buffer_store_dword v122, off, s[0:3], 0 offset:412
	s_waitcnt vmcnt(0)
	ds_write_b64 v119, v[120:121]
.LBB58_261:
	s_or_b32 exec_lo, exec_lo, s4
	s_waitcnt lgkmcnt(0)
	s_waitcnt_vscnt null, 0x0
	s_barrier
	buffer_gl0_inv
	s_clause 0xf
	buffer_load_dword v129, off, s[0:3], 0 offset:416
	buffer_load_dword v130, off, s[0:3], 0 offset:420
	;; [unrolled: 1-line block ×16, first 2 shown]
	v_mov_b32_e32 v120, 0
	ds_read_b128 v[121:124], v120 offset:896
	ds_read_b128 v[125:128], v120 offset:912
	s_mov_b32 s4, exec_lo
	s_waitcnt vmcnt(14) lgkmcnt(1)
	v_fma_f64 v[121:122], v[129:130], v[121:122], 0
	s_waitcnt vmcnt(12)
	v_fma_f64 v[121:122], v[131:132], v[123:124], v[121:122]
	s_waitcnt vmcnt(10) lgkmcnt(0)
	v_fma_f64 v[121:122], v[133:134], v[125:126], v[121:122]
	s_waitcnt vmcnt(8)
	v_fma_f64 v[125:126], v[135:136], v[127:128], v[121:122]
	ds_read_b128 v[121:124], v120 offset:928
	ds_read_b64 v[127:128], v120 offset:944
	s_waitcnt vmcnt(6) lgkmcnt(1)
	v_fma_f64 v[121:122], v[137:138], v[121:122], v[125:126]
	s_waitcnt vmcnt(4)
	v_fma_f64 v[121:122], v[139:140], v[123:124], v[121:122]
	s_waitcnt vmcnt(2) lgkmcnt(0)
	v_fma_f64 v[121:122], v[141:142], v[127:128], v[121:122]
	s_waitcnt vmcnt(0)
	v_add_f64 v[121:122], v[143:144], -v[121:122]
	buffer_store_dword v121, off, s[0:3], 0 offset:408
	buffer_store_dword v122, off, s[0:3], 0 offset:412
	v_cmpx_lt_u32_e32 50, v0
	s_cbranch_execz .LBB58_263
; %bb.262:
	s_clause 0x1
	buffer_load_dword v121, off, s[0:3], 0 offset:400
	buffer_load_dword v122, off, s[0:3], 0 offset:404
	buffer_store_dword v120, off, s[0:3], 0 offset:400
	buffer_store_dword v120, off, s[0:3], 0 offset:404
	s_waitcnt vmcnt(0)
	ds_write_b64 v119, v[121:122]
.LBB58_263:
	s_or_b32 exec_lo, exec_lo, s4
	s_waitcnt lgkmcnt(0)
	s_waitcnt_vscnt null, 0x0
	s_barrier
	buffer_gl0_inv
	s_clause 0x11
	buffer_load_dword v129, off, s[0:3], 0 offset:408
	buffer_load_dword v130, off, s[0:3], 0 offset:412
	;; [unrolled: 1-line block ×18, first 2 shown]
	ds_read2_b64 v[121:124], v120 offset0:111 offset1:112
	ds_read2_b64 v[125:128], v120 offset0:113 offset1:114
	s_mov_b32 s4, exec_lo
	s_waitcnt vmcnt(16) lgkmcnt(1)
	v_fma_f64 v[121:122], v[129:130], v[121:122], 0
	s_waitcnt vmcnt(14)
	v_fma_f64 v[121:122], v[131:132], v[123:124], v[121:122]
	s_waitcnt vmcnt(12) lgkmcnt(0)
	v_fma_f64 v[121:122], v[133:134], v[125:126], v[121:122]
	s_waitcnt vmcnt(10)
	v_fma_f64 v[129:130], v[135:136], v[127:128], v[121:122]
	ds_read2_b64 v[121:124], v120 offset0:115 offset1:116
	ds_read2_b64 v[125:128], v120 offset0:117 offset1:118
	s_waitcnt vmcnt(8) lgkmcnt(1)
	v_fma_f64 v[120:121], v[137:138], v[121:122], v[129:130]
	s_waitcnt vmcnt(6)
	v_fma_f64 v[120:121], v[139:140], v[123:124], v[120:121]
	s_waitcnt vmcnt(4) lgkmcnt(0)
	v_fma_f64 v[120:121], v[141:142], v[125:126], v[120:121]
	s_waitcnt vmcnt(2)
	v_fma_f64 v[120:121], v[143:144], v[127:128], v[120:121]
	s_waitcnt vmcnt(0)
	v_add_f64 v[120:121], v[145:146], -v[120:121]
	buffer_store_dword v120, off, s[0:3], 0 offset:400
	buffer_store_dword v121, off, s[0:3], 0 offset:404
	v_cmpx_lt_u32_e32 49, v0
	s_cbranch_execz .LBB58_265
; %bb.264:
	s_clause 0x1
	buffer_load_dword v120, off, s[0:3], 0 offset:392
	buffer_load_dword v121, off, s[0:3], 0 offset:396
	v_mov_b32_e32 v122, 0
	buffer_store_dword v122, off, s[0:3], 0 offset:392
	buffer_store_dword v122, off, s[0:3], 0 offset:396
	s_waitcnt vmcnt(0)
	ds_write_b64 v119, v[120:121]
.LBB58_265:
	s_or_b32 exec_lo, exec_lo, s4
	s_waitcnt lgkmcnt(0)
	s_waitcnt_vscnt null, 0x0
	s_barrier
	buffer_gl0_inv
	s_clause 0x13
	buffer_load_dword v129, off, s[0:3], 0 offset:400
	buffer_load_dword v130, off, s[0:3], 0 offset:404
	;; [unrolled: 1-line block ×20, first 2 shown]
	v_mov_b32_e32 v120, 0
	ds_read_b128 v[121:124], v120 offset:880
	ds_read_b128 v[125:128], v120 offset:896
	s_mov_b32 s4, exec_lo
	s_waitcnt vmcnt(18) lgkmcnt(1)
	v_fma_f64 v[121:122], v[129:130], v[121:122], 0
	s_waitcnt vmcnt(16)
	v_fma_f64 v[121:122], v[131:132], v[123:124], v[121:122]
	s_waitcnt vmcnt(14) lgkmcnt(0)
	v_fma_f64 v[121:122], v[133:134], v[125:126], v[121:122]
	s_waitcnt vmcnt(12)
	v_fma_f64 v[129:130], v[135:136], v[127:128], v[121:122]
	ds_read_b128 v[121:124], v120 offset:912
	ds_read_b128 v[125:128], v120 offset:928
	s_waitcnt vmcnt(10) lgkmcnt(1)
	v_fma_f64 v[121:122], v[137:138], v[121:122], v[129:130]
	s_waitcnt vmcnt(8)
	v_fma_f64 v[121:122], v[139:140], v[123:124], v[121:122]
	ds_read_b64 v[123:124], v120 offset:944
	s_waitcnt vmcnt(6) lgkmcnt(1)
	v_fma_f64 v[121:122], v[141:142], v[125:126], v[121:122]
	s_waitcnt vmcnt(3)
	v_fma_f64 v[121:122], v[143:144], v[127:128], v[121:122]
	s_waitcnt vmcnt(2) lgkmcnt(0)
	v_fma_f64 v[121:122], v[145:146], v[123:124], v[121:122]
	s_waitcnt vmcnt(0)
	v_add_f64 v[121:122], v[147:148], -v[121:122]
	buffer_store_dword v121, off, s[0:3], 0 offset:392
	buffer_store_dword v122, off, s[0:3], 0 offset:396
	v_cmpx_lt_u32_e32 48, v0
	s_cbranch_execz .LBB58_267
; %bb.266:
	s_clause 0x1
	buffer_load_dword v121, off, s[0:3], 0 offset:384
	buffer_load_dword v122, off, s[0:3], 0 offset:388
	buffer_store_dword v120, off, s[0:3], 0 offset:384
	buffer_store_dword v120, off, s[0:3], 0 offset:388
	s_waitcnt vmcnt(0)
	ds_write_b64 v119, v[121:122]
.LBB58_267:
	s_or_b32 exec_lo, exec_lo, s4
	s_waitcnt lgkmcnt(0)
	s_waitcnt_vscnt null, 0x0
	s_barrier
	buffer_gl0_inv
	s_clause 0x15
	buffer_load_dword v129, off, s[0:3], 0 offset:392
	buffer_load_dword v130, off, s[0:3], 0 offset:396
	;; [unrolled: 1-line block ×22, first 2 shown]
	ds_read2_b64 v[121:124], v120 offset0:109 offset1:110
	ds_read2_b64 v[125:128], v120 offset0:111 offset1:112
	s_mov_b32 s4, exec_lo
	s_waitcnt vmcnt(20) lgkmcnt(1)
	v_fma_f64 v[121:122], v[129:130], v[121:122], 0
	s_waitcnt vmcnt(18)
	v_fma_f64 v[121:122], v[131:132], v[123:124], v[121:122]
	s_waitcnt vmcnt(16) lgkmcnt(0)
	v_fma_f64 v[121:122], v[133:134], v[125:126], v[121:122]
	s_waitcnt vmcnt(14)
	v_fma_f64 v[129:130], v[135:136], v[127:128], v[121:122]
	ds_read2_b64 v[121:124], v120 offset0:113 offset1:114
	ds_read2_b64 v[125:128], v120 offset0:115 offset1:116
	s_waitcnt vmcnt(12) lgkmcnt(1)
	v_fma_f64 v[121:122], v[137:138], v[121:122], v[129:130]
	s_waitcnt vmcnt(10)
	v_fma_f64 v[121:122], v[139:140], v[123:124], v[121:122]
	s_waitcnt vmcnt(8) lgkmcnt(0)
	v_fma_f64 v[121:122], v[141:142], v[125:126], v[121:122]
	s_waitcnt vmcnt(4)
	v_fma_f64 v[124:125], v[143:144], v[127:128], v[121:122]
	ds_read2_b64 v[120:123], v120 offset0:117 offset1:118
	s_waitcnt vmcnt(3) lgkmcnt(0)
	v_fma_f64 v[120:121], v[147:148], v[120:121], v[124:125]
	s_waitcnt vmcnt(2)
	v_fma_f64 v[120:121], v[145:146], v[122:123], v[120:121]
	s_waitcnt vmcnt(0)
	v_add_f64 v[120:121], v[149:150], -v[120:121]
	buffer_store_dword v120, off, s[0:3], 0 offset:384
	buffer_store_dword v121, off, s[0:3], 0 offset:388
	v_cmpx_lt_u32_e32 47, v0
	s_cbranch_execz .LBB58_269
; %bb.268:
	s_clause 0x1
	buffer_load_dword v120, off, s[0:3], 0 offset:376
	buffer_load_dword v121, off, s[0:3], 0 offset:380
	v_mov_b32_e32 v122, 0
	buffer_store_dword v122, off, s[0:3], 0 offset:376
	buffer_store_dword v122, off, s[0:3], 0 offset:380
	s_waitcnt vmcnt(0)
	ds_write_b64 v119, v[120:121]
.LBB58_269:
	s_or_b32 exec_lo, exec_lo, s4
	s_waitcnt lgkmcnt(0)
	s_waitcnt_vscnt null, 0x0
	s_barrier
	buffer_gl0_inv
	s_clause 0x17
	buffer_load_dword v129, off, s[0:3], 0 offset:384
	buffer_load_dword v130, off, s[0:3], 0 offset:388
	;; [unrolled: 1-line block ×24, first 2 shown]
	v_mov_b32_e32 v120, 0
	ds_read_b128 v[121:124], v120 offset:864
	ds_read_b128 v[125:128], v120 offset:880
	s_mov_b32 s4, exec_lo
	s_waitcnt vmcnt(22) lgkmcnt(1)
	v_fma_f64 v[121:122], v[129:130], v[121:122], 0
	s_waitcnt vmcnt(20)
	v_fma_f64 v[121:122], v[131:132], v[123:124], v[121:122]
	s_waitcnt vmcnt(18) lgkmcnt(0)
	v_fma_f64 v[121:122], v[133:134], v[125:126], v[121:122]
	s_waitcnt vmcnt(16)
	v_fma_f64 v[129:130], v[135:136], v[127:128], v[121:122]
	ds_read_b128 v[121:124], v120 offset:896
	ds_read_b128 v[125:128], v120 offset:912
	s_waitcnt vmcnt(14) lgkmcnt(1)
	v_fma_f64 v[121:122], v[137:138], v[121:122], v[129:130]
	s_waitcnt vmcnt(12)
	v_fma_f64 v[121:122], v[139:140], v[123:124], v[121:122]
	s_waitcnt vmcnt(10) lgkmcnt(0)
	v_fma_f64 v[121:122], v[141:142], v[125:126], v[121:122]
	s_waitcnt vmcnt(5)
	v_fma_f64 v[125:126], v[143:144], v[127:128], v[121:122]
	ds_read_b128 v[121:124], v120 offset:928
	ds_read_b64 v[127:128], v120 offset:944
	s_waitcnt vmcnt(4) lgkmcnt(1)
	v_fma_f64 v[121:122], v[149:150], v[121:122], v[125:126]
	s_waitcnt vmcnt(3)
	v_fma_f64 v[121:122], v[147:148], v[123:124], v[121:122]
	s_waitcnt vmcnt(2) lgkmcnt(0)
	v_fma_f64 v[121:122], v[145:146], v[127:128], v[121:122]
	s_waitcnt vmcnt(0)
	v_add_f64 v[121:122], v[151:152], -v[121:122]
	buffer_store_dword v122, off, s[0:3], 0 offset:380
	buffer_store_dword v121, off, s[0:3], 0 offset:376
	v_cmpx_lt_u32_e32 46, v0
	s_cbranch_execz .LBB58_271
; %bb.270:
	s_clause 0x1
	buffer_load_dword v121, off, s[0:3], 0 offset:368
	buffer_load_dword v122, off, s[0:3], 0 offset:372
	buffer_store_dword v120, off, s[0:3], 0 offset:368
	buffer_store_dword v120, off, s[0:3], 0 offset:372
	s_waitcnt vmcnt(0)
	ds_write_b64 v119, v[121:122]
.LBB58_271:
	s_or_b32 exec_lo, exec_lo, s4
	s_waitcnt lgkmcnt(0)
	s_waitcnt_vscnt null, 0x0
	s_barrier
	buffer_gl0_inv
	s_clause 0x19
	buffer_load_dword v129, off, s[0:3], 0 offset:376
	buffer_load_dword v130, off, s[0:3], 0 offset:380
	;; [unrolled: 1-line block ×26, first 2 shown]
	ds_read2_b64 v[121:124], v120 offset0:107 offset1:108
	ds_read2_b64 v[125:128], v120 offset0:109 offset1:110
	s_mov_b32 s4, exec_lo
	s_waitcnt vmcnt(24) lgkmcnt(1)
	v_fma_f64 v[121:122], v[129:130], v[121:122], 0
	s_waitcnt vmcnt(22)
	v_fma_f64 v[121:122], v[131:132], v[123:124], v[121:122]
	s_waitcnt vmcnt(20) lgkmcnt(0)
	v_fma_f64 v[121:122], v[133:134], v[125:126], v[121:122]
	s_waitcnt vmcnt(18)
	v_fma_f64 v[129:130], v[135:136], v[127:128], v[121:122]
	ds_read2_b64 v[121:124], v120 offset0:111 offset1:112
	ds_read2_b64 v[125:128], v120 offset0:113 offset1:114
	s_waitcnt vmcnt(16) lgkmcnt(1)
	v_fma_f64 v[121:122], v[137:138], v[121:122], v[129:130]
	s_waitcnt vmcnt(14)
	v_fma_f64 v[121:122], v[139:140], v[123:124], v[121:122]
	s_waitcnt vmcnt(12) lgkmcnt(0)
	v_fma_f64 v[121:122], v[141:142], v[125:126], v[121:122]
	s_waitcnt vmcnt(7)
	v_fma_f64 v[129:130], v[143:144], v[127:128], v[121:122]
	ds_read2_b64 v[121:124], v120 offset0:115 offset1:116
	ds_read2_b64 v[125:128], v120 offset0:117 offset1:118
	s_waitcnt vmcnt(6) lgkmcnt(1)
	v_fma_f64 v[120:121], v[149:150], v[121:122], v[129:130]
	s_waitcnt vmcnt(5)
	v_fma_f64 v[120:121], v[147:148], v[123:124], v[120:121]
	s_waitcnt vmcnt(4) lgkmcnt(0)
	v_fma_f64 v[120:121], v[145:146], v[125:126], v[120:121]
	s_waitcnt vmcnt(2)
	v_fma_f64 v[120:121], v[151:152], v[127:128], v[120:121]
	s_waitcnt vmcnt(0)
	v_add_f64 v[120:121], v[153:154], -v[120:121]
	buffer_store_dword v121, off, s[0:3], 0 offset:372
	buffer_store_dword v120, off, s[0:3], 0 offset:368
	v_cmpx_lt_u32_e32 45, v0
	s_cbranch_execz .LBB58_273
; %bb.272:
	s_clause 0x1
	buffer_load_dword v120, off, s[0:3], 0 offset:360
	buffer_load_dword v121, off, s[0:3], 0 offset:364
	v_mov_b32_e32 v122, 0
	buffer_store_dword v122, off, s[0:3], 0 offset:360
	buffer_store_dword v122, off, s[0:3], 0 offset:364
	s_waitcnt vmcnt(0)
	ds_write_b64 v119, v[120:121]
.LBB58_273:
	s_or_b32 exec_lo, exec_lo, s4
	s_waitcnt lgkmcnt(0)
	s_waitcnt_vscnt null, 0x0
	s_barrier
	buffer_gl0_inv
	s_clause 0x1b
	buffer_load_dword v129, off, s[0:3], 0 offset:368
	buffer_load_dword v130, off, s[0:3], 0 offset:372
	;; [unrolled: 1-line block ×28, first 2 shown]
	v_mov_b32_e32 v120, 0
	ds_read_b128 v[121:124], v120 offset:848
	ds_read_b128 v[125:128], v120 offset:864
	s_mov_b32 s4, exec_lo
	s_waitcnt vmcnt(26) lgkmcnt(1)
	v_fma_f64 v[121:122], v[129:130], v[121:122], 0
	s_waitcnt vmcnt(24)
	v_fma_f64 v[121:122], v[131:132], v[123:124], v[121:122]
	s_waitcnt vmcnt(22) lgkmcnt(0)
	v_fma_f64 v[121:122], v[133:134], v[125:126], v[121:122]
	s_waitcnt vmcnt(20)
	v_fma_f64 v[129:130], v[135:136], v[127:128], v[121:122]
	ds_read_b128 v[121:124], v120 offset:880
	ds_read_b128 v[125:128], v120 offset:896
	s_waitcnt vmcnt(18) lgkmcnt(1)
	v_fma_f64 v[121:122], v[137:138], v[121:122], v[129:130]
	s_waitcnt vmcnt(16)
	v_fma_f64 v[121:122], v[139:140], v[123:124], v[121:122]
	s_waitcnt vmcnt(14) lgkmcnt(0)
	v_fma_f64 v[121:122], v[141:142], v[125:126], v[121:122]
	s_waitcnt vmcnt(9)
	v_fma_f64 v[129:130], v[143:144], v[127:128], v[121:122]
	ds_read_b128 v[121:124], v120 offset:912
	ds_read_b128 v[125:128], v120 offset:928
	s_waitcnt vmcnt(8) lgkmcnt(1)
	v_fma_f64 v[121:122], v[149:150], v[121:122], v[129:130]
	s_waitcnt vmcnt(7)
	v_fma_f64 v[121:122], v[147:148], v[123:124], v[121:122]
	ds_read_b64 v[123:124], v120 offset:944
	s_waitcnt vmcnt(6) lgkmcnt(1)
	v_fma_f64 v[121:122], v[145:146], v[125:126], v[121:122]
	s_waitcnt vmcnt(3)
	v_fma_f64 v[121:122], v[151:152], v[127:128], v[121:122]
	s_waitcnt vmcnt(2) lgkmcnt(0)
	v_fma_f64 v[121:122], v[153:154], v[123:124], v[121:122]
	s_waitcnt vmcnt(0)
	v_add_f64 v[121:122], v[155:156], -v[121:122]
	buffer_store_dword v122, off, s[0:3], 0 offset:364
	buffer_store_dword v121, off, s[0:3], 0 offset:360
	v_cmpx_lt_u32_e32 44, v0
	s_cbranch_execz .LBB58_275
; %bb.274:
	s_clause 0x1
	buffer_load_dword v121, off, s[0:3], 0 offset:352
	buffer_load_dword v122, off, s[0:3], 0 offset:356
	buffer_store_dword v120, off, s[0:3], 0 offset:352
	buffer_store_dword v120, off, s[0:3], 0 offset:356
	s_waitcnt vmcnt(0)
	ds_write_b64 v119, v[121:122]
.LBB58_275:
	s_or_b32 exec_lo, exec_lo, s4
	s_waitcnt lgkmcnt(0)
	s_waitcnt_vscnt null, 0x0
	s_barrier
	buffer_gl0_inv
	s_clause 0x1b
	buffer_load_dword v125, off, s[0:3], 0 offset:360
	buffer_load_dword v126, off, s[0:3], 0 offset:364
	;; [unrolled: 1-line block ×28, first 2 shown]
	ds_read2_b64 v[121:124], v120 offset0:105 offset1:106
	s_clause 0x1
	buffer_load_dword v153, off, s[0:3], 0 offset:352
	buffer_load_dword v154, off, s[0:3], 0 offset:356
	s_mov_b32 s4, exec_lo
	s_waitcnt vmcnt(28) lgkmcnt(0)
	v_fma_f64 v[121:122], v[125:126], v[121:122], 0
	s_waitcnt vmcnt(26)
	v_fma_f64 v[125:126], v[127:128], v[123:124], v[121:122]
	ds_read2_b64 v[121:124], v120 offset0:107 offset1:108
	s_waitcnt vmcnt(24) lgkmcnt(0)
	v_fma_f64 v[121:122], v[129:130], v[121:122], v[125:126]
	s_waitcnt vmcnt(22)
	v_fma_f64 v[125:126], v[131:132], v[123:124], v[121:122]
	ds_read2_b64 v[121:124], v120 offset0:109 offset1:110
	;; [unrolled: 5-line block ×6, first 2 shown]
	s_waitcnt vmcnt(4) lgkmcnt(0)
	v_fma_f64 v[120:121], v[149:150], v[120:121], v[124:125]
	s_waitcnt vmcnt(2)
	v_fma_f64 v[120:121], v[151:152], v[122:123], v[120:121]
	s_waitcnt vmcnt(0)
	v_add_f64 v[120:121], v[153:154], -v[120:121]
	buffer_store_dword v121, off, s[0:3], 0 offset:356
	buffer_store_dword v120, off, s[0:3], 0 offset:352
	v_cmpx_lt_u32_e32 43, v0
	s_cbranch_execz .LBB58_277
; %bb.276:
	s_clause 0x1
	buffer_load_dword v120, off, s[0:3], 0 offset:344
	buffer_load_dword v121, off, s[0:3], 0 offset:348
	v_mov_b32_e32 v122, 0
	buffer_store_dword v122, off, s[0:3], 0 offset:344
	buffer_store_dword v122, off, s[0:3], 0 offset:348
	s_waitcnt vmcnt(0)
	ds_write_b64 v119, v[120:121]
.LBB58_277:
	s_or_b32 exec_lo, exec_lo, s4
	s_waitcnt lgkmcnt(0)
	s_waitcnt_vscnt null, 0x0
	s_barrier
	buffer_gl0_inv
	s_clause 0x1b
	buffer_load_dword v125, off, s[0:3], 0 offset:352
	buffer_load_dword v126, off, s[0:3], 0 offset:356
	buffer_load_dword v127, off, s[0:3], 0 offset:360
	buffer_load_dword v128, off, s[0:3], 0 offset:364
	buffer_load_dword v129, off, s[0:3], 0 offset:368
	buffer_load_dword v130, off, s[0:3], 0 offset:372
	buffer_load_dword v131, off, s[0:3], 0 offset:376
	buffer_load_dword v132, off, s[0:3], 0 offset:380
	buffer_load_dword v133, off, s[0:3], 0 offset:384
	buffer_load_dword v134, off, s[0:3], 0 offset:388
	buffer_load_dword v135, off, s[0:3], 0 offset:392
	buffer_load_dword v136, off, s[0:3], 0 offset:396
	buffer_load_dword v137, off, s[0:3], 0 offset:400
	buffer_load_dword v138, off, s[0:3], 0 offset:404
	buffer_load_dword v140, off, s[0:3], 0 offset:412
	buffer_load_dword v139, off, s[0:3], 0 offset:408
	buffer_load_dword v141, off, s[0:3], 0 offset:416
	buffer_load_dword v142, off, s[0:3], 0 offset:420
	buffer_load_dword v143, off, s[0:3], 0 offset:424
	buffer_load_dword v144, off, s[0:3], 0 offset:428
	buffer_load_dword v145, off, s[0:3], 0 offset:432
	buffer_load_dword v146, off, s[0:3], 0 offset:436
	buffer_load_dword v148, off, s[0:3], 0 offset:444
	buffer_load_dword v147, off, s[0:3], 0 offset:440
	buffer_load_dword v149, off, s[0:3], 0 offset:448
	buffer_load_dword v150, off, s[0:3], 0 offset:452
	buffer_load_dword v151, off, s[0:3], 0 offset:456
	buffer_load_dword v152, off, s[0:3], 0 offset:460
	v_mov_b32_e32 v120, 0
	s_mov_b32 s4, exec_lo
	ds_read_b128 v[121:124], v120 offset:832
	s_clause 0x1
	buffer_load_dword v153, off, s[0:3], 0 offset:464
	buffer_load_dword v154, off, s[0:3], 0 offset:468
	s_waitcnt vmcnt(28) lgkmcnt(0)
	v_fma_f64 v[121:122], v[125:126], v[121:122], 0
	s_clause 0x1
	buffer_load_dword v125, off, s[0:3], 0 offset:344
	buffer_load_dword v126, off, s[0:3], 0 offset:348
	s_waitcnt vmcnt(28)
	v_fma_f64 v[127:128], v[127:128], v[123:124], v[121:122]
	ds_read_b128 v[121:124], v120 offset:848
	s_waitcnt vmcnt(26) lgkmcnt(0)
	v_fma_f64 v[121:122], v[129:130], v[121:122], v[127:128]
	s_waitcnt vmcnt(24)
	v_fma_f64 v[127:128], v[131:132], v[123:124], v[121:122]
	ds_read_b128 v[121:124], v120 offset:864
	s_waitcnt vmcnt(22) lgkmcnt(0)
	v_fma_f64 v[121:122], v[133:134], v[121:122], v[127:128]
	s_waitcnt vmcnt(20)
	v_fma_f64 v[127:128], v[135:136], v[123:124], v[121:122]
	ds_read_b128 v[121:124], v120 offset:880
	s_waitcnt vmcnt(18) lgkmcnt(0)
	v_fma_f64 v[121:122], v[137:138], v[121:122], v[127:128]
	s_waitcnt vmcnt(16)
	v_fma_f64 v[127:128], v[139:140], v[123:124], v[121:122]
	ds_read_b128 v[121:124], v120 offset:896
	s_waitcnt vmcnt(14) lgkmcnt(0)
	v_fma_f64 v[121:122], v[141:142], v[121:122], v[127:128]
	s_waitcnt vmcnt(12)
	v_fma_f64 v[127:128], v[143:144], v[123:124], v[121:122]
	ds_read_b128 v[121:124], v120 offset:912
	s_waitcnt vmcnt(10) lgkmcnt(0)
	v_fma_f64 v[121:122], v[145:146], v[121:122], v[127:128]
	s_waitcnt vmcnt(8)
	v_fma_f64 v[127:128], v[147:148], v[123:124], v[121:122]
	ds_read_b128 v[121:124], v120 offset:928
	s_waitcnt vmcnt(6) lgkmcnt(0)
	v_fma_f64 v[121:122], v[149:150], v[121:122], v[127:128]
	s_waitcnt vmcnt(4)
	v_fma_f64 v[121:122], v[151:152], v[123:124], v[121:122]
	ds_read_b64 v[123:124], v120 offset:944
	s_waitcnt vmcnt(2) lgkmcnt(0)
	v_fma_f64 v[121:122], v[153:154], v[123:124], v[121:122]
	s_waitcnt vmcnt(0)
	v_add_f64 v[121:122], v[125:126], -v[121:122]
	buffer_store_dword v122, off, s[0:3], 0 offset:348
	buffer_store_dword v121, off, s[0:3], 0 offset:344
	v_cmpx_lt_u32_e32 42, v0
	s_cbranch_execz .LBB58_279
; %bb.278:
	s_clause 0x1
	buffer_load_dword v121, off, s[0:3], 0 offset:336
	buffer_load_dword v122, off, s[0:3], 0 offset:340
	buffer_store_dword v120, off, s[0:3], 0 offset:336
	buffer_store_dword v120, off, s[0:3], 0 offset:340
	s_waitcnt vmcnt(0)
	ds_write_b64 v119, v[121:122]
.LBB58_279:
	s_or_b32 exec_lo, exec_lo, s4
	s_waitcnt lgkmcnt(0)
	s_waitcnt_vscnt null, 0x0
	s_barrier
	buffer_gl0_inv
	s_clause 0x1b
	buffer_load_dword v125, off, s[0:3], 0 offset:344
	buffer_load_dword v126, off, s[0:3], 0 offset:348
	;; [unrolled: 1-line block ×28, first 2 shown]
	ds_read2_b64 v[121:124], v120 offset0:103 offset1:104
	s_clause 0x1
	buffer_load_dword v153, off, s[0:3], 0 offset:456
	buffer_load_dword v154, off, s[0:3], 0 offset:460
	s_mov_b32 s4, exec_lo
	s_waitcnt vmcnt(28) lgkmcnt(0)
	v_fma_f64 v[121:122], v[125:126], v[121:122], 0
	s_clause 0x1
	buffer_load_dword v126, off, s[0:3], 0 offset:468
	buffer_load_dword v125, off, s[0:3], 0 offset:464
	s_waitcnt vmcnt(28)
	v_fma_f64 v[127:128], v[127:128], v[123:124], v[121:122]
	ds_read2_b64 v[121:124], v120 offset0:105 offset1:106
	s_clause 0x1
	buffer_load_dword v155, off, s[0:3], 0 offset:336
	buffer_load_dword v156, off, s[0:3], 0 offset:340
	s_waitcnt vmcnt(28) lgkmcnt(0)
	v_fma_f64 v[121:122], v[129:130], v[121:122], v[127:128]
	s_waitcnt vmcnt(26)
	v_fma_f64 v[127:128], v[131:132], v[123:124], v[121:122]
	ds_read2_b64 v[121:124], v120 offset0:107 offset1:108
	s_waitcnt vmcnt(24) lgkmcnt(0)
	v_fma_f64 v[121:122], v[133:134], v[121:122], v[127:128]
	s_waitcnt vmcnt(22)
	v_fma_f64 v[127:128], v[135:136], v[123:124], v[121:122]
	ds_read2_b64 v[121:124], v120 offset0:109 offset1:110
	;; [unrolled: 5-line block ×6, first 2 shown]
	s_waitcnt vmcnt(4) lgkmcnt(0)
	v_fma_f64 v[120:121], v[153:154], v[120:121], v[127:128]
	s_waitcnt vmcnt(2)
	v_fma_f64 v[120:121], v[125:126], v[122:123], v[120:121]
	s_waitcnt vmcnt(0)
	v_add_f64 v[120:121], v[155:156], -v[120:121]
	buffer_store_dword v121, off, s[0:3], 0 offset:340
	buffer_store_dword v120, off, s[0:3], 0 offset:336
	v_cmpx_lt_u32_e32 41, v0
	s_cbranch_execz .LBB58_281
; %bb.280:
	s_clause 0x1
	buffer_load_dword v120, off, s[0:3], 0 offset:328
	buffer_load_dword v121, off, s[0:3], 0 offset:332
	v_mov_b32_e32 v122, 0
	buffer_store_dword v122, off, s[0:3], 0 offset:328
	buffer_store_dword v122, off, s[0:3], 0 offset:332
	s_waitcnt vmcnt(0)
	ds_write_b64 v119, v[120:121]
.LBB58_281:
	s_or_b32 exec_lo, exec_lo, s4
	s_waitcnt lgkmcnt(0)
	s_waitcnt_vscnt null, 0x0
	s_barrier
	buffer_gl0_inv
	s_clause 0x1b
	buffer_load_dword v125, off, s[0:3], 0 offset:336
	buffer_load_dword v126, off, s[0:3], 0 offset:340
	buffer_load_dword v127, off, s[0:3], 0 offset:344
	buffer_load_dword v128, off, s[0:3], 0 offset:348
	buffer_load_dword v129, off, s[0:3], 0 offset:352
	buffer_load_dword v130, off, s[0:3], 0 offset:356
	buffer_load_dword v131, off, s[0:3], 0 offset:360
	buffer_load_dword v132, off, s[0:3], 0 offset:364
	buffer_load_dword v133, off, s[0:3], 0 offset:368
	buffer_load_dword v134, off, s[0:3], 0 offset:372
	buffer_load_dword v135, off, s[0:3], 0 offset:376
	buffer_load_dword v136, off, s[0:3], 0 offset:380
	buffer_load_dword v137, off, s[0:3], 0 offset:384
	buffer_load_dword v138, off, s[0:3], 0 offset:388
	buffer_load_dword v140, off, s[0:3], 0 offset:396
	buffer_load_dword v139, off, s[0:3], 0 offset:392
	buffer_load_dword v141, off, s[0:3], 0 offset:400
	buffer_load_dword v142, off, s[0:3], 0 offset:404
	buffer_load_dword v143, off, s[0:3], 0 offset:408
	buffer_load_dword v144, off, s[0:3], 0 offset:412
	buffer_load_dword v145, off, s[0:3], 0 offset:416
	buffer_load_dword v146, off, s[0:3], 0 offset:420
	buffer_load_dword v148, off, s[0:3], 0 offset:428
	buffer_load_dword v147, off, s[0:3], 0 offset:424
	buffer_load_dword v149, off, s[0:3], 0 offset:432
	buffer_load_dword v150, off, s[0:3], 0 offset:436
	buffer_load_dword v151, off, s[0:3], 0 offset:440
	buffer_load_dword v152, off, s[0:3], 0 offset:444
	v_mov_b32_e32 v120, 0
	s_mov_b32 s4, exec_lo
	ds_read_b128 v[121:124], v120 offset:816
	s_clause 0x1
	buffer_load_dword v153, off, s[0:3], 0 offset:448
	buffer_load_dword v154, off, s[0:3], 0 offset:452
	s_waitcnt vmcnt(28) lgkmcnt(0)
	v_fma_f64 v[121:122], v[125:126], v[121:122], 0
	s_clause 0x1
	buffer_load_dword v126, off, s[0:3], 0 offset:460
	buffer_load_dword v125, off, s[0:3], 0 offset:456
	s_waitcnt vmcnt(28)
	v_fma_f64 v[127:128], v[127:128], v[123:124], v[121:122]
	ds_read_b128 v[121:124], v120 offset:832
	s_clause 0x1
	buffer_load_dword v155, off, s[0:3], 0 offset:464
	buffer_load_dword v156, off, s[0:3], 0 offset:468
	s_waitcnt vmcnt(28) lgkmcnt(0)
	v_fma_f64 v[121:122], v[129:130], v[121:122], v[127:128]
	s_clause 0x1
	buffer_load_dword v127, off, s[0:3], 0 offset:328
	buffer_load_dword v128, off, s[0:3], 0 offset:332
	s_waitcnt vmcnt(28)
	v_fma_f64 v[129:130], v[131:132], v[123:124], v[121:122]
	ds_read_b128 v[121:124], v120 offset:848
	s_waitcnt vmcnt(26) lgkmcnt(0)
	v_fma_f64 v[121:122], v[133:134], v[121:122], v[129:130]
	s_waitcnt vmcnt(24)
	v_fma_f64 v[129:130], v[135:136], v[123:124], v[121:122]
	ds_read_b128 v[121:124], v120 offset:864
	s_waitcnt vmcnt(22) lgkmcnt(0)
	v_fma_f64 v[121:122], v[137:138], v[121:122], v[129:130]
	;; [unrolled: 5-line block ×6, first 2 shown]
	s_waitcnt vmcnt(4)
	v_fma_f64 v[121:122], v[125:126], v[123:124], v[121:122]
	ds_read_b64 v[123:124], v120 offset:944
	s_waitcnt vmcnt(2) lgkmcnt(0)
	v_fma_f64 v[121:122], v[155:156], v[123:124], v[121:122]
	s_waitcnt vmcnt(0)
	v_add_f64 v[121:122], v[127:128], -v[121:122]
	buffer_store_dword v122, off, s[0:3], 0 offset:332
	buffer_store_dword v121, off, s[0:3], 0 offset:328
	v_cmpx_lt_u32_e32 40, v0
	s_cbranch_execz .LBB58_283
; %bb.282:
	s_clause 0x1
	buffer_load_dword v121, off, s[0:3], 0 offset:320
	buffer_load_dword v122, off, s[0:3], 0 offset:324
	buffer_store_dword v120, off, s[0:3], 0 offset:320
	buffer_store_dword v120, off, s[0:3], 0 offset:324
	s_waitcnt vmcnt(0)
	ds_write_b64 v119, v[121:122]
.LBB58_283:
	s_or_b32 exec_lo, exec_lo, s4
	s_waitcnt lgkmcnt(0)
	s_waitcnt_vscnt null, 0x0
	s_barrier
	buffer_gl0_inv
	s_clause 0x1b
	buffer_load_dword v125, off, s[0:3], 0 offset:328
	buffer_load_dword v126, off, s[0:3], 0 offset:332
	;; [unrolled: 1-line block ×28, first 2 shown]
	ds_read2_b64 v[121:124], v120 offset0:101 offset1:102
	s_clause 0x1
	buffer_load_dword v153, off, s[0:3], 0 offset:440
	buffer_load_dword v154, off, s[0:3], 0 offset:444
	s_mov_b32 s4, exec_lo
	s_waitcnt vmcnt(28) lgkmcnt(0)
	v_fma_f64 v[121:122], v[125:126], v[121:122], 0
	s_clause 0x1
	buffer_load_dword v126, off, s[0:3], 0 offset:452
	buffer_load_dword v125, off, s[0:3], 0 offset:448
	s_waitcnt vmcnt(28)
	v_fma_f64 v[127:128], v[127:128], v[123:124], v[121:122]
	ds_read2_b64 v[121:124], v120 offset0:103 offset1:104
	s_clause 0x1
	buffer_load_dword v155, off, s[0:3], 0 offset:456
	buffer_load_dword v156, off, s[0:3], 0 offset:460
	s_waitcnt vmcnt(28) lgkmcnt(0)
	v_fma_f64 v[121:122], v[129:130], v[121:122], v[127:128]
	s_clause 0x1
	buffer_load_dword v127, off, s[0:3], 0 offset:464
	buffer_load_dword v128, off, s[0:3], 0 offset:468
	s_waitcnt vmcnt(28)
	v_fma_f64 v[129:130], v[131:132], v[123:124], v[121:122]
	ds_read2_b64 v[121:124], v120 offset0:105 offset1:106
	s_clause 0x1
	buffer_load_dword v131, off, s[0:3], 0 offset:320
	buffer_load_dword v132, off, s[0:3], 0 offset:324
	s_waitcnt vmcnt(28) lgkmcnt(0)
	v_fma_f64 v[121:122], v[133:134], v[121:122], v[129:130]
	s_waitcnt vmcnt(26)
	v_fma_f64 v[129:130], v[135:136], v[123:124], v[121:122]
	ds_read2_b64 v[121:124], v120 offset0:107 offset1:108
	s_waitcnt vmcnt(24) lgkmcnt(0)
	v_fma_f64 v[121:122], v[137:138], v[121:122], v[129:130]
	s_waitcnt vmcnt(22)
	v_fma_f64 v[129:130], v[139:140], v[123:124], v[121:122]
	ds_read2_b64 v[121:124], v120 offset0:109 offset1:110
	;; [unrolled: 5-line block ×6, first 2 shown]
	s_waitcnt vmcnt(4) lgkmcnt(0)
	v_fma_f64 v[120:121], v[155:156], v[120:121], v[124:125]
	s_waitcnt vmcnt(2)
	v_fma_f64 v[120:121], v[127:128], v[122:123], v[120:121]
	s_waitcnt vmcnt(0)
	v_add_f64 v[120:121], v[131:132], -v[120:121]
	buffer_store_dword v121, off, s[0:3], 0 offset:324
	buffer_store_dword v120, off, s[0:3], 0 offset:320
	v_cmpx_lt_u32_e32 39, v0
	s_cbranch_execz .LBB58_285
; %bb.284:
	s_clause 0x1
	buffer_load_dword v120, off, s[0:3], 0 offset:312
	buffer_load_dword v121, off, s[0:3], 0 offset:316
	v_mov_b32_e32 v122, 0
	buffer_store_dword v122, off, s[0:3], 0 offset:312
	buffer_store_dword v122, off, s[0:3], 0 offset:316
	s_waitcnt vmcnt(0)
	ds_write_b64 v119, v[120:121]
.LBB58_285:
	s_or_b32 exec_lo, exec_lo, s4
	s_waitcnt lgkmcnt(0)
	s_waitcnt_vscnt null, 0x0
	s_barrier
	buffer_gl0_inv
	s_clause 0x1b
	buffer_load_dword v125, off, s[0:3], 0 offset:320
	buffer_load_dword v126, off, s[0:3], 0 offset:324
	;; [unrolled: 1-line block ×28, first 2 shown]
	v_mov_b32_e32 v120, 0
	s_mov_b32 s4, exec_lo
	ds_read_b128 v[121:124], v120 offset:800
	s_clause 0x1
	buffer_load_dword v153, off, s[0:3], 0 offset:432
	buffer_load_dword v154, off, s[0:3], 0 offset:436
	s_waitcnt vmcnt(28) lgkmcnt(0)
	v_fma_f64 v[121:122], v[125:126], v[121:122], 0
	s_clause 0x1
	buffer_load_dword v126, off, s[0:3], 0 offset:444
	buffer_load_dword v125, off, s[0:3], 0 offset:440
	s_waitcnt vmcnt(28)
	v_fma_f64 v[127:128], v[127:128], v[123:124], v[121:122]
	ds_read_b128 v[121:124], v120 offset:816
	s_clause 0x1
	buffer_load_dword v155, off, s[0:3], 0 offset:448
	buffer_load_dword v156, off, s[0:3], 0 offset:452
	s_waitcnt vmcnt(28) lgkmcnt(0)
	v_fma_f64 v[121:122], v[129:130], v[121:122], v[127:128]
	s_clause 0x1
	buffer_load_dword v127, off, s[0:3], 0 offset:456
	buffer_load_dword v128, off, s[0:3], 0 offset:460
	s_waitcnt vmcnt(28)
	v_fma_f64 v[129:130], v[131:132], v[123:124], v[121:122]
	;; [unrolled: 11-line block ×3, first 2 shown]
	ds_read_b128 v[121:124], v120 offset:848
	s_waitcnt vmcnt(26) lgkmcnt(0)
	v_fma_f64 v[121:122], v[137:138], v[121:122], v[133:134]
	s_waitcnt vmcnt(24)
	v_fma_f64 v[133:134], v[139:140], v[123:124], v[121:122]
	ds_read_b128 v[121:124], v120 offset:864
	s_waitcnt vmcnt(22) lgkmcnt(0)
	v_fma_f64 v[121:122], v[141:142], v[121:122], v[133:134]
	s_waitcnt vmcnt(20)
	v_fma_f64 v[133:134], v[143:144], v[123:124], v[121:122]
	;; [unrolled: 5-line block ×6, first 2 shown]
	ds_read_b64 v[123:124], v120 offset:944
	s_waitcnt vmcnt(2) lgkmcnt(0)
	v_fma_f64 v[121:122], v[131:132], v[123:124], v[121:122]
	s_waitcnt vmcnt(0)
	v_add_f64 v[121:122], v[129:130], -v[121:122]
	buffer_store_dword v122, off, s[0:3], 0 offset:316
	buffer_store_dword v121, off, s[0:3], 0 offset:312
	v_cmpx_lt_u32_e32 38, v0
	s_cbranch_execz .LBB58_287
; %bb.286:
	s_clause 0x1
	buffer_load_dword v121, off, s[0:3], 0 offset:304
	buffer_load_dword v122, off, s[0:3], 0 offset:308
	buffer_store_dword v120, off, s[0:3], 0 offset:304
	buffer_store_dword v120, off, s[0:3], 0 offset:308
	s_waitcnt vmcnt(0)
	ds_write_b64 v119, v[121:122]
.LBB58_287:
	s_or_b32 exec_lo, exec_lo, s4
	s_waitcnt lgkmcnt(0)
	s_waitcnt_vscnt null, 0x0
	s_barrier
	buffer_gl0_inv
	s_clause 0x1b
	buffer_load_dword v125, off, s[0:3], 0 offset:312
	buffer_load_dword v126, off, s[0:3], 0 offset:316
	;; [unrolled: 1-line block ×28, first 2 shown]
	ds_read2_b64 v[121:124], v120 offset0:99 offset1:100
	s_clause 0x1
	buffer_load_dword v153, off, s[0:3], 0 offset:424
	buffer_load_dword v154, off, s[0:3], 0 offset:428
	s_mov_b32 s4, exec_lo
	s_waitcnt vmcnt(28) lgkmcnt(0)
	v_fma_f64 v[121:122], v[125:126], v[121:122], 0
	s_clause 0x1
	buffer_load_dword v126, off, s[0:3], 0 offset:436
	buffer_load_dword v125, off, s[0:3], 0 offset:432
	s_waitcnt vmcnt(28)
	v_fma_f64 v[127:128], v[127:128], v[123:124], v[121:122]
	ds_read2_b64 v[121:124], v120 offset0:101 offset1:102
	s_clause 0x1
	buffer_load_dword v155, off, s[0:3], 0 offset:440
	buffer_load_dword v156, off, s[0:3], 0 offset:444
	s_waitcnt vmcnt(28) lgkmcnt(0)
	v_fma_f64 v[121:122], v[129:130], v[121:122], v[127:128]
	s_clause 0x1
	buffer_load_dword v127, off, s[0:3], 0 offset:448
	buffer_load_dword v128, off, s[0:3], 0 offset:452
	s_waitcnt vmcnt(28)
	v_fma_f64 v[129:130], v[131:132], v[123:124], v[121:122]
	ds_read2_b64 v[121:124], v120 offset0:103 offset1:104
	s_clause 0x1
	buffer_load_dword v131, off, s[0:3], 0 offset:456
	buffer_load_dword v132, off, s[0:3], 0 offset:460
	;; [unrolled: 11-line block ×3, first 2 shown]
	s_waitcnt vmcnt(28) lgkmcnt(0)
	v_fma_f64 v[121:122], v[137:138], v[121:122], v[133:134]
	s_waitcnt vmcnt(26)
	v_fma_f64 v[133:134], v[139:140], v[123:124], v[121:122]
	ds_read2_b64 v[121:124], v120 offset0:107 offset1:108
	s_waitcnt vmcnt(24) lgkmcnt(0)
	v_fma_f64 v[121:122], v[141:142], v[121:122], v[133:134]
	s_waitcnt vmcnt(22)
	v_fma_f64 v[133:134], v[143:144], v[123:124], v[121:122]
	ds_read2_b64 v[121:124], v120 offset0:109 offset1:110
	;; [unrolled: 5-line block ×6, first 2 shown]
	s_waitcnt vmcnt(4) lgkmcnt(0)
	v_fma_f64 v[120:121], v[131:132], v[120:121], v[124:125]
	s_waitcnt vmcnt(2)
	v_fma_f64 v[120:121], v[129:130], v[122:123], v[120:121]
	s_waitcnt vmcnt(0)
	v_add_f64 v[120:121], v[135:136], -v[120:121]
	buffer_store_dword v121, off, s[0:3], 0 offset:308
	buffer_store_dword v120, off, s[0:3], 0 offset:304
	v_cmpx_lt_u32_e32 37, v0
	s_cbranch_execz .LBB58_289
; %bb.288:
	s_clause 0x1
	buffer_load_dword v120, off, s[0:3], 0 offset:296
	buffer_load_dword v121, off, s[0:3], 0 offset:300
	v_mov_b32_e32 v122, 0
	buffer_store_dword v122, off, s[0:3], 0 offset:296
	buffer_store_dword v122, off, s[0:3], 0 offset:300
	s_waitcnt vmcnt(0)
	ds_write_b64 v119, v[120:121]
.LBB58_289:
	s_or_b32 exec_lo, exec_lo, s4
	s_waitcnt lgkmcnt(0)
	s_waitcnt_vscnt null, 0x0
	s_barrier
	buffer_gl0_inv
	s_clause 0x1b
	buffer_load_dword v125, off, s[0:3], 0 offset:304
	buffer_load_dword v126, off, s[0:3], 0 offset:308
	;; [unrolled: 1-line block ×28, first 2 shown]
	v_mov_b32_e32 v120, 0
	s_mov_b32 s4, exec_lo
	ds_read_b128 v[121:124], v120 offset:784
	s_clause 0x1
	buffer_load_dword v153, off, s[0:3], 0 offset:416
	buffer_load_dword v154, off, s[0:3], 0 offset:420
	s_waitcnt vmcnt(28) lgkmcnt(0)
	v_fma_f64 v[121:122], v[125:126], v[121:122], 0
	s_clause 0x1
	buffer_load_dword v126, off, s[0:3], 0 offset:428
	buffer_load_dword v125, off, s[0:3], 0 offset:424
	s_waitcnt vmcnt(28)
	v_fma_f64 v[127:128], v[127:128], v[123:124], v[121:122]
	ds_read_b128 v[121:124], v120 offset:800
	s_clause 0x1
	buffer_load_dword v155, off, s[0:3], 0 offset:432
	buffer_load_dword v156, off, s[0:3], 0 offset:436
	s_waitcnt vmcnt(28) lgkmcnt(0)
	v_fma_f64 v[121:122], v[129:130], v[121:122], v[127:128]
	s_clause 0x1
	buffer_load_dword v127, off, s[0:3], 0 offset:440
	buffer_load_dword v128, off, s[0:3], 0 offset:444
	s_waitcnt vmcnt(28)
	v_fma_f64 v[129:130], v[131:132], v[123:124], v[121:122]
	ds_read_b128 v[121:124], v120 offset:816
	s_clause 0x1
	buffer_load_dword v131, off, s[0:3], 0 offset:448
	buffer_load_dword v132, off, s[0:3], 0 offset:452
	s_waitcnt vmcnt(28) lgkmcnt(0)
	v_fma_f64 v[121:122], v[133:134], v[121:122], v[129:130]
	s_clause 0x1
	buffer_load_dword v130, off, s[0:3], 0 offset:460
	buffer_load_dword v129, off, s[0:3], 0 offset:456
	s_waitcnt vmcnt(28)
	v_fma_f64 v[133:134], v[135:136], v[123:124], v[121:122]
	ds_read_b128 v[121:124], v120 offset:832
	s_clause 0x1
	buffer_load_dword v135, off, s[0:3], 0 offset:464
	buffer_load_dword v136, off, s[0:3], 0 offset:468
	s_waitcnt vmcnt(28) lgkmcnt(0)
	v_fma_f64 v[121:122], v[137:138], v[121:122], v[133:134]
	s_clause 0x1
	buffer_load_dword v133, off, s[0:3], 0 offset:296
	buffer_load_dword v134, off, s[0:3], 0 offset:300
	s_waitcnt vmcnt(28)
	v_fma_f64 v[137:138], v[139:140], v[123:124], v[121:122]
	ds_read_b128 v[121:124], v120 offset:848
	s_waitcnt vmcnt(26) lgkmcnt(0)
	v_fma_f64 v[121:122], v[141:142], v[121:122], v[137:138]
	s_waitcnt vmcnt(24)
	v_fma_f64 v[137:138], v[143:144], v[123:124], v[121:122]
	ds_read_b128 v[121:124], v120 offset:864
	s_waitcnt vmcnt(22) lgkmcnt(0)
	v_fma_f64 v[121:122], v[145:146], v[121:122], v[137:138]
	s_waitcnt vmcnt(20)
	v_fma_f64 v[137:138], v[147:148], v[123:124], v[121:122]
	;; [unrolled: 5-line block ×6, first 2 shown]
	ds_read_b64 v[123:124], v120 offset:944
	s_waitcnt vmcnt(2) lgkmcnt(0)
	v_fma_f64 v[121:122], v[135:136], v[123:124], v[121:122]
	s_waitcnt vmcnt(0)
	v_add_f64 v[121:122], v[133:134], -v[121:122]
	buffer_store_dword v122, off, s[0:3], 0 offset:300
	buffer_store_dword v121, off, s[0:3], 0 offset:296
	v_cmpx_lt_u32_e32 36, v0
	s_cbranch_execz .LBB58_291
; %bb.290:
	s_clause 0x1
	buffer_load_dword v121, off, s[0:3], 0 offset:288
	buffer_load_dword v122, off, s[0:3], 0 offset:292
	buffer_store_dword v120, off, s[0:3], 0 offset:288
	buffer_store_dword v120, off, s[0:3], 0 offset:292
	s_waitcnt vmcnt(0)
	ds_write_b64 v119, v[121:122]
.LBB58_291:
	s_or_b32 exec_lo, exec_lo, s4
	s_waitcnt lgkmcnt(0)
	s_waitcnt_vscnt null, 0x0
	s_barrier
	buffer_gl0_inv
	s_clause 0x1b
	buffer_load_dword v125, off, s[0:3], 0 offset:296
	buffer_load_dword v126, off, s[0:3], 0 offset:300
	;; [unrolled: 1-line block ×28, first 2 shown]
	ds_read2_b64 v[121:124], v120 offset0:97 offset1:98
	s_clause 0x1
	buffer_load_dword v153, off, s[0:3], 0 offset:408
	buffer_load_dword v154, off, s[0:3], 0 offset:412
	s_mov_b32 s4, exec_lo
	s_waitcnt vmcnt(28) lgkmcnt(0)
	v_fma_f64 v[121:122], v[125:126], v[121:122], 0
	s_clause 0x1
	buffer_load_dword v126, off, s[0:3], 0 offset:420
	buffer_load_dword v125, off, s[0:3], 0 offset:416
	s_waitcnt vmcnt(28)
	v_fma_f64 v[127:128], v[127:128], v[123:124], v[121:122]
	ds_read2_b64 v[121:124], v120 offset0:99 offset1:100
	s_clause 0x1
	buffer_load_dword v155, off, s[0:3], 0 offset:424
	buffer_load_dword v156, off, s[0:3], 0 offset:428
	s_waitcnt vmcnt(28) lgkmcnt(0)
	v_fma_f64 v[121:122], v[129:130], v[121:122], v[127:128]
	s_clause 0x1
	buffer_load_dword v127, off, s[0:3], 0 offset:432
	buffer_load_dword v128, off, s[0:3], 0 offset:436
	s_waitcnt vmcnt(28)
	v_fma_f64 v[129:130], v[131:132], v[123:124], v[121:122]
	ds_read2_b64 v[121:124], v120 offset0:101 offset1:102
	s_clause 0x1
	buffer_load_dword v131, off, s[0:3], 0 offset:440
	buffer_load_dword v132, off, s[0:3], 0 offset:444
	;; [unrolled: 11-line block ×4, first 2 shown]
	s_waitcnt vmcnt(28) lgkmcnt(0)
	v_fma_f64 v[121:122], v[141:142], v[121:122], v[137:138]
	s_waitcnt vmcnt(26)
	v_fma_f64 v[137:138], v[143:144], v[123:124], v[121:122]
	ds_read2_b64 v[121:124], v120 offset0:107 offset1:108
	s_waitcnt vmcnt(24) lgkmcnt(0)
	v_fma_f64 v[121:122], v[145:146], v[121:122], v[137:138]
	s_waitcnt vmcnt(22)
	v_fma_f64 v[137:138], v[147:148], v[123:124], v[121:122]
	ds_read2_b64 v[121:124], v120 offset0:109 offset1:110
	;; [unrolled: 5-line block ×6, first 2 shown]
	s_waitcnt vmcnt(4) lgkmcnt(0)
	v_fma_f64 v[120:121], v[135:136], v[120:121], v[124:125]
	s_waitcnt vmcnt(2)
	v_fma_f64 v[120:121], v[133:134], v[122:123], v[120:121]
	s_waitcnt vmcnt(0)
	v_add_f64 v[120:121], v[139:140], -v[120:121]
	buffer_store_dword v121, off, s[0:3], 0 offset:292
	buffer_store_dword v120, off, s[0:3], 0 offset:288
	v_cmpx_lt_u32_e32 35, v0
	s_cbranch_execz .LBB58_293
; %bb.292:
	s_clause 0x1
	buffer_load_dword v120, off, s[0:3], 0 offset:280
	buffer_load_dword v121, off, s[0:3], 0 offset:284
	v_mov_b32_e32 v122, 0
	buffer_store_dword v122, off, s[0:3], 0 offset:280
	buffer_store_dword v122, off, s[0:3], 0 offset:284
	s_waitcnt vmcnt(0)
	ds_write_b64 v119, v[120:121]
.LBB58_293:
	s_or_b32 exec_lo, exec_lo, s4
	s_waitcnt lgkmcnt(0)
	s_waitcnt_vscnt null, 0x0
	s_barrier
	buffer_gl0_inv
	s_clause 0x1b
	buffer_load_dword v125, off, s[0:3], 0 offset:288
	buffer_load_dword v126, off, s[0:3], 0 offset:292
	buffer_load_dword v127, off, s[0:3], 0 offset:296
	buffer_load_dword v128, off, s[0:3], 0 offset:300
	buffer_load_dword v129, off, s[0:3], 0 offset:304
	buffer_load_dword v130, off, s[0:3], 0 offset:308
	buffer_load_dword v131, off, s[0:3], 0 offset:312
	buffer_load_dword v132, off, s[0:3], 0 offset:316
	buffer_load_dword v133, off, s[0:3], 0 offset:320
	buffer_load_dword v134, off, s[0:3], 0 offset:324
	buffer_load_dword v135, off, s[0:3], 0 offset:328
	buffer_load_dword v136, off, s[0:3], 0 offset:332
	buffer_load_dword v137, off, s[0:3], 0 offset:336
	buffer_load_dword v138, off, s[0:3], 0 offset:340
	buffer_load_dword v140, off, s[0:3], 0 offset:348
	buffer_load_dword v139, off, s[0:3], 0 offset:344
	buffer_load_dword v141, off, s[0:3], 0 offset:352
	buffer_load_dword v142, off, s[0:3], 0 offset:356
	buffer_load_dword v143, off, s[0:3], 0 offset:360
	buffer_load_dword v144, off, s[0:3], 0 offset:364
	buffer_load_dword v145, off, s[0:3], 0 offset:368
	buffer_load_dword v146, off, s[0:3], 0 offset:372
	buffer_load_dword v148, off, s[0:3], 0 offset:380
	buffer_load_dword v147, off, s[0:3], 0 offset:376
	buffer_load_dword v149, off, s[0:3], 0 offset:384
	buffer_load_dword v150, off, s[0:3], 0 offset:388
	buffer_load_dword v151, off, s[0:3], 0 offset:392
	buffer_load_dword v152, off, s[0:3], 0 offset:396
	v_mov_b32_e32 v120, 0
	s_mov_b32 s4, exec_lo
	ds_read_b128 v[121:124], v120 offset:768
	s_clause 0x1
	buffer_load_dword v153, off, s[0:3], 0 offset:400
	buffer_load_dword v154, off, s[0:3], 0 offset:404
	s_waitcnt vmcnt(28) lgkmcnt(0)
	v_fma_f64 v[121:122], v[125:126], v[121:122], 0
	s_clause 0x1
	buffer_load_dword v126, off, s[0:3], 0 offset:412
	buffer_load_dword v125, off, s[0:3], 0 offset:408
	s_waitcnt vmcnt(28)
	v_fma_f64 v[127:128], v[127:128], v[123:124], v[121:122]
	ds_read_b128 v[121:124], v120 offset:784
	s_clause 0x1
	buffer_load_dword v155, off, s[0:3], 0 offset:416
	buffer_load_dword v156, off, s[0:3], 0 offset:420
	s_waitcnt vmcnt(28) lgkmcnt(0)
	v_fma_f64 v[121:122], v[129:130], v[121:122], v[127:128]
	s_clause 0x1
	buffer_load_dword v127, off, s[0:3], 0 offset:424
	buffer_load_dword v128, off, s[0:3], 0 offset:428
	s_waitcnt vmcnt(28)
	v_fma_f64 v[129:130], v[131:132], v[123:124], v[121:122]
	;; [unrolled: 11-line block ×5, first 2 shown]
	ds_read_b128 v[121:124], v120 offset:848
	s_waitcnt vmcnt(26) lgkmcnt(0)
	v_fma_f64 v[121:122], v[145:146], v[121:122], v[141:142]
	s_waitcnt vmcnt(24)
	v_fma_f64 v[141:142], v[147:148], v[123:124], v[121:122]
	ds_read_b128 v[121:124], v120 offset:864
	s_waitcnt vmcnt(22) lgkmcnt(0)
	v_fma_f64 v[121:122], v[149:150], v[121:122], v[141:142]
	s_waitcnt vmcnt(20)
	v_fma_f64 v[141:142], v[151:152], v[123:124], v[121:122]
	;; [unrolled: 5-line block ×6, first 2 shown]
	ds_read_b64 v[123:124], v120 offset:944
	s_waitcnt vmcnt(2) lgkmcnt(0)
	v_fma_f64 v[121:122], v[139:140], v[123:124], v[121:122]
	s_waitcnt vmcnt(0)
	v_add_f64 v[121:122], v[137:138], -v[121:122]
	buffer_store_dword v122, off, s[0:3], 0 offset:284
	buffer_store_dword v121, off, s[0:3], 0 offset:280
	v_cmpx_lt_u32_e32 34, v0
	s_cbranch_execz .LBB58_295
; %bb.294:
	s_clause 0x1
	buffer_load_dword v121, off, s[0:3], 0 offset:272
	buffer_load_dword v122, off, s[0:3], 0 offset:276
	buffer_store_dword v120, off, s[0:3], 0 offset:272
	buffer_store_dword v120, off, s[0:3], 0 offset:276
	s_waitcnt vmcnt(0)
	ds_write_b64 v119, v[121:122]
.LBB58_295:
	s_or_b32 exec_lo, exec_lo, s4
	s_waitcnt lgkmcnt(0)
	s_waitcnt_vscnt null, 0x0
	s_barrier
	buffer_gl0_inv
	s_clause 0x1b
	buffer_load_dword v125, off, s[0:3], 0 offset:280
	buffer_load_dword v126, off, s[0:3], 0 offset:284
	;; [unrolled: 1-line block ×28, first 2 shown]
	ds_read2_b64 v[121:124], v120 offset0:95 offset1:96
	s_clause 0x1
	buffer_load_dword v153, off, s[0:3], 0 offset:392
	buffer_load_dword v154, off, s[0:3], 0 offset:396
	s_mov_b32 s4, exec_lo
	s_waitcnt vmcnt(28) lgkmcnt(0)
	v_fma_f64 v[121:122], v[125:126], v[121:122], 0
	s_clause 0x1
	buffer_load_dword v126, off, s[0:3], 0 offset:404
	buffer_load_dword v125, off, s[0:3], 0 offset:400
	s_waitcnt vmcnt(28)
	v_fma_f64 v[127:128], v[127:128], v[123:124], v[121:122]
	ds_read2_b64 v[121:124], v120 offset0:97 offset1:98
	s_clause 0x1
	buffer_load_dword v155, off, s[0:3], 0 offset:408
	buffer_load_dword v156, off, s[0:3], 0 offset:412
	s_waitcnt vmcnt(28) lgkmcnt(0)
	v_fma_f64 v[121:122], v[129:130], v[121:122], v[127:128]
	s_clause 0x1
	buffer_load_dword v127, off, s[0:3], 0 offset:416
	buffer_load_dword v128, off, s[0:3], 0 offset:420
	s_waitcnt vmcnt(28)
	v_fma_f64 v[129:130], v[131:132], v[123:124], v[121:122]
	ds_read2_b64 v[121:124], v120 offset0:99 offset1:100
	s_clause 0x1
	buffer_load_dword v131, off, s[0:3], 0 offset:424
	buffer_load_dword v132, off, s[0:3], 0 offset:428
	;; [unrolled: 11-line block ×5, first 2 shown]
	s_waitcnt vmcnt(28) lgkmcnt(0)
	v_fma_f64 v[121:122], v[145:146], v[121:122], v[141:142]
	s_waitcnt vmcnt(26)
	v_fma_f64 v[141:142], v[147:148], v[123:124], v[121:122]
	ds_read2_b64 v[121:124], v120 offset0:107 offset1:108
	s_waitcnt vmcnt(24) lgkmcnt(0)
	v_fma_f64 v[121:122], v[149:150], v[121:122], v[141:142]
	s_waitcnt vmcnt(22)
	v_fma_f64 v[141:142], v[151:152], v[123:124], v[121:122]
	ds_read2_b64 v[121:124], v120 offset0:109 offset1:110
	;; [unrolled: 5-line block ×6, first 2 shown]
	s_waitcnt vmcnt(4) lgkmcnt(0)
	v_fma_f64 v[120:121], v[139:140], v[120:121], v[124:125]
	s_waitcnt vmcnt(2)
	v_fma_f64 v[120:121], v[137:138], v[122:123], v[120:121]
	s_waitcnt vmcnt(0)
	v_add_f64 v[120:121], v[143:144], -v[120:121]
	buffer_store_dword v121, off, s[0:3], 0 offset:276
	buffer_store_dword v120, off, s[0:3], 0 offset:272
	v_cmpx_lt_u32_e32 33, v0
	s_cbranch_execz .LBB58_297
; %bb.296:
	s_clause 0x1
	buffer_load_dword v120, off, s[0:3], 0 offset:264
	buffer_load_dword v121, off, s[0:3], 0 offset:268
	v_mov_b32_e32 v122, 0
	buffer_store_dword v122, off, s[0:3], 0 offset:264
	buffer_store_dword v122, off, s[0:3], 0 offset:268
	s_waitcnt vmcnt(0)
	ds_write_b64 v119, v[120:121]
.LBB58_297:
	s_or_b32 exec_lo, exec_lo, s4
	s_waitcnt lgkmcnt(0)
	s_waitcnt_vscnt null, 0x0
	s_barrier
	buffer_gl0_inv
	s_clause 0x1b
	buffer_load_dword v125, off, s[0:3], 0 offset:272
	buffer_load_dword v126, off, s[0:3], 0 offset:276
	;; [unrolled: 1-line block ×28, first 2 shown]
	v_mov_b32_e32 v120, 0
	s_mov_b32 s4, exec_lo
	ds_read_b128 v[121:124], v120 offset:752
	s_clause 0x1
	buffer_load_dword v153, off, s[0:3], 0 offset:384
	buffer_load_dword v154, off, s[0:3], 0 offset:388
	s_waitcnt vmcnt(28) lgkmcnt(0)
	v_fma_f64 v[121:122], v[125:126], v[121:122], 0
	s_clause 0x1
	buffer_load_dword v126, off, s[0:3], 0 offset:396
	buffer_load_dword v125, off, s[0:3], 0 offset:392
	s_waitcnt vmcnt(28)
	v_fma_f64 v[127:128], v[127:128], v[123:124], v[121:122]
	ds_read_b128 v[121:124], v120 offset:768
	s_clause 0x1
	buffer_load_dword v155, off, s[0:3], 0 offset:400
	buffer_load_dword v156, off, s[0:3], 0 offset:404
	s_waitcnt vmcnt(28) lgkmcnt(0)
	v_fma_f64 v[121:122], v[129:130], v[121:122], v[127:128]
	s_clause 0x1
	buffer_load_dword v127, off, s[0:3], 0 offset:408
	buffer_load_dword v128, off, s[0:3], 0 offset:412
	s_waitcnt vmcnt(28)
	v_fma_f64 v[129:130], v[131:132], v[123:124], v[121:122]
	ds_read_b128 v[121:124], v120 offset:784
	s_clause 0x1
	buffer_load_dword v131, off, s[0:3], 0 offset:416
	buffer_load_dword v132, off, s[0:3], 0 offset:420
	s_waitcnt vmcnt(28) lgkmcnt(0)
	v_fma_f64 v[121:122], v[133:134], v[121:122], v[129:130]
	s_clause 0x1
	buffer_load_dword v130, off, s[0:3], 0 offset:428
	buffer_load_dword v129, off, s[0:3], 0 offset:424
	s_waitcnt vmcnt(28)
	v_fma_f64 v[133:134], v[135:136], v[123:124], v[121:122]
	ds_read_b128 v[121:124], v120 offset:800
	s_clause 0x1
	buffer_load_dword v135, off, s[0:3], 0 offset:432
	buffer_load_dword v136, off, s[0:3], 0 offset:436
	s_waitcnt vmcnt(28) lgkmcnt(0)
	v_fma_f64 v[121:122], v[137:138], v[121:122], v[133:134]
	s_clause 0x1
	buffer_load_dword v133, off, s[0:3], 0 offset:440
	buffer_load_dword v134, off, s[0:3], 0 offset:444
	s_waitcnt vmcnt(28)
	v_fma_f64 v[137:138], v[139:140], v[123:124], v[121:122]
	ds_read_b128 v[121:124], v120 offset:816
	s_clause 0x1
	buffer_load_dword v139, off, s[0:3], 0 offset:448
	buffer_load_dword v140, off, s[0:3], 0 offset:452
	s_waitcnt vmcnt(28) lgkmcnt(0)
	v_fma_f64 v[121:122], v[141:142], v[121:122], v[137:138]
	s_clause 0x1
	buffer_load_dword v138, off, s[0:3], 0 offset:460
	buffer_load_dword v137, off, s[0:3], 0 offset:456
	s_waitcnt vmcnt(28)
	v_fma_f64 v[141:142], v[143:144], v[123:124], v[121:122]
	ds_read_b128 v[121:124], v120 offset:832
	s_clause 0x1
	buffer_load_dword v143, off, s[0:3], 0 offset:464
	buffer_load_dword v144, off, s[0:3], 0 offset:468
	s_waitcnt vmcnt(28) lgkmcnt(0)
	v_fma_f64 v[121:122], v[145:146], v[121:122], v[141:142]
	s_clause 0x1
	buffer_load_dword v141, off, s[0:3], 0 offset:264
	buffer_load_dword v142, off, s[0:3], 0 offset:268
	s_waitcnt vmcnt(28)
	v_fma_f64 v[145:146], v[147:148], v[123:124], v[121:122]
	ds_read_b128 v[121:124], v120 offset:848
	s_waitcnt vmcnt(26) lgkmcnt(0)
	v_fma_f64 v[121:122], v[149:150], v[121:122], v[145:146]
	s_waitcnt vmcnt(24)
	v_fma_f64 v[145:146], v[151:152], v[123:124], v[121:122]
	ds_read_b128 v[121:124], v120 offset:864
	s_waitcnt vmcnt(22) lgkmcnt(0)
	v_fma_f64 v[121:122], v[153:154], v[121:122], v[145:146]
	s_waitcnt vmcnt(20)
	v_fma_f64 v[125:126], v[125:126], v[123:124], v[121:122]
	;; [unrolled: 5-line block ×6, first 2 shown]
	ds_read_b64 v[123:124], v120 offset:944
	s_waitcnt vmcnt(2) lgkmcnt(0)
	v_fma_f64 v[121:122], v[143:144], v[123:124], v[121:122]
	s_waitcnt vmcnt(0)
	v_add_f64 v[121:122], v[141:142], -v[121:122]
	buffer_store_dword v122, off, s[0:3], 0 offset:268
	buffer_store_dword v121, off, s[0:3], 0 offset:264
	v_cmpx_lt_u32_e32 32, v0
	s_cbranch_execz .LBB58_299
; %bb.298:
	s_clause 0x1
	buffer_load_dword v121, off, s[0:3], 0 offset:256
	buffer_load_dword v122, off, s[0:3], 0 offset:260
	buffer_store_dword v120, off, s[0:3], 0 offset:256
	buffer_store_dword v120, off, s[0:3], 0 offset:260
	s_waitcnt vmcnt(0)
	ds_write_b64 v119, v[121:122]
.LBB58_299:
	s_or_b32 exec_lo, exec_lo, s4
	s_waitcnt lgkmcnt(0)
	s_waitcnt_vscnt null, 0x0
	s_barrier
	buffer_gl0_inv
	s_clause 0x1b
	buffer_load_dword v125, off, s[0:3], 0 offset:264
	buffer_load_dword v126, off, s[0:3], 0 offset:268
	;; [unrolled: 1-line block ×28, first 2 shown]
	ds_read2_b64 v[121:124], v120 offset0:93 offset1:94
	s_clause 0x1
	buffer_load_dword v153, off, s[0:3], 0 offset:376
	buffer_load_dword v154, off, s[0:3], 0 offset:380
	s_mov_b32 s4, exec_lo
	s_waitcnt vmcnt(28) lgkmcnt(0)
	v_fma_f64 v[121:122], v[125:126], v[121:122], 0
	s_clause 0x1
	buffer_load_dword v126, off, s[0:3], 0 offset:388
	buffer_load_dword v125, off, s[0:3], 0 offset:384
	s_waitcnt vmcnt(28)
	v_fma_f64 v[127:128], v[127:128], v[123:124], v[121:122]
	ds_read2_b64 v[121:124], v120 offset0:95 offset1:96
	s_clause 0x1
	buffer_load_dword v155, off, s[0:3], 0 offset:392
	buffer_load_dword v156, off, s[0:3], 0 offset:396
	s_waitcnt vmcnt(28) lgkmcnt(0)
	v_fma_f64 v[121:122], v[129:130], v[121:122], v[127:128]
	s_clause 0x1
	buffer_load_dword v127, off, s[0:3], 0 offset:400
	buffer_load_dword v128, off, s[0:3], 0 offset:404
	s_waitcnt vmcnt(28)
	v_fma_f64 v[129:130], v[131:132], v[123:124], v[121:122]
	ds_read2_b64 v[121:124], v120 offset0:97 offset1:98
	s_clause 0x1
	buffer_load_dword v131, off, s[0:3], 0 offset:408
	buffer_load_dword v132, off, s[0:3], 0 offset:412
	;; [unrolled: 11-line block ×6, first 2 shown]
	s_waitcnt vmcnt(28) lgkmcnt(0)
	v_fma_f64 v[121:122], v[149:150], v[121:122], v[145:146]
	s_waitcnt vmcnt(26)
	v_fma_f64 v[145:146], v[151:152], v[123:124], v[121:122]
	ds_read2_b64 v[121:124], v120 offset0:107 offset1:108
	s_waitcnt vmcnt(24) lgkmcnt(0)
	v_fma_f64 v[121:122], v[153:154], v[121:122], v[145:146]
	s_waitcnt vmcnt(22)
	v_fma_f64 v[125:126], v[125:126], v[123:124], v[121:122]
	ds_read2_b64 v[121:124], v120 offset0:109 offset1:110
	;; [unrolled: 5-line block ×6, first 2 shown]
	s_waitcnt vmcnt(4) lgkmcnt(0)
	v_fma_f64 v[120:121], v[143:144], v[120:121], v[124:125]
	s_waitcnt vmcnt(2)
	v_fma_f64 v[120:121], v[141:142], v[122:123], v[120:121]
	s_waitcnt vmcnt(0)
	v_add_f64 v[120:121], v[147:148], -v[120:121]
	buffer_store_dword v121, off, s[0:3], 0 offset:260
	buffer_store_dword v120, off, s[0:3], 0 offset:256
	v_cmpx_lt_u32_e32 31, v0
	s_cbranch_execz .LBB58_301
; %bb.300:
	s_clause 0x1
	buffer_load_dword v120, off, s[0:3], 0 offset:248
	buffer_load_dword v121, off, s[0:3], 0 offset:252
	v_mov_b32_e32 v122, 0
	buffer_store_dword v122, off, s[0:3], 0 offset:248
	buffer_store_dword v122, off, s[0:3], 0 offset:252
	s_waitcnt vmcnt(0)
	ds_write_b64 v119, v[120:121]
.LBB58_301:
	s_or_b32 exec_lo, exec_lo, s4
	s_waitcnt lgkmcnt(0)
	s_waitcnt_vscnt null, 0x0
	s_barrier
	buffer_gl0_inv
	s_clause 0x1b
	buffer_load_dword v125, off, s[0:3], 0 offset:256
	buffer_load_dword v126, off, s[0:3], 0 offset:260
	;; [unrolled: 1-line block ×28, first 2 shown]
	v_mov_b32_e32 v120, 0
	s_mov_b32 s4, exec_lo
	ds_read_b128 v[121:124], v120 offset:736
	s_clause 0x1
	buffer_load_dword v153, off, s[0:3], 0 offset:368
	buffer_load_dword v154, off, s[0:3], 0 offset:372
	s_waitcnt vmcnt(28) lgkmcnt(0)
	v_fma_f64 v[121:122], v[125:126], v[121:122], 0
	s_clause 0x1
	buffer_load_dword v126, off, s[0:3], 0 offset:380
	buffer_load_dword v125, off, s[0:3], 0 offset:376
	s_waitcnt vmcnt(28)
	v_fma_f64 v[127:128], v[127:128], v[123:124], v[121:122]
	ds_read_b128 v[121:124], v120 offset:752
	s_clause 0x1
	buffer_load_dword v155, off, s[0:3], 0 offset:384
	buffer_load_dword v156, off, s[0:3], 0 offset:388
	s_waitcnt vmcnt(28) lgkmcnt(0)
	v_fma_f64 v[121:122], v[129:130], v[121:122], v[127:128]
	s_clause 0x1
	buffer_load_dword v127, off, s[0:3], 0 offset:392
	buffer_load_dword v128, off, s[0:3], 0 offset:396
	s_waitcnt vmcnt(28)
	v_fma_f64 v[129:130], v[131:132], v[123:124], v[121:122]
	;; [unrolled: 11-line block ×7, first 2 shown]
	ds_read_b128 v[121:124], v120 offset:848
	s_waitcnt vmcnt(26) lgkmcnt(0)
	v_fma_f64 v[121:122], v[153:154], v[121:122], v[149:150]
	s_waitcnt vmcnt(24)
	v_fma_f64 v[125:126], v[125:126], v[123:124], v[121:122]
	ds_read_b128 v[121:124], v120 offset:864
	s_waitcnt vmcnt(22) lgkmcnt(0)
	v_fma_f64 v[121:122], v[155:156], v[121:122], v[125:126]
	s_waitcnt vmcnt(20)
	v_fma_f64 v[125:126], v[127:128], v[123:124], v[121:122]
	;; [unrolled: 5-line block ×6, first 2 shown]
	ds_read_b64 v[123:124], v120 offset:944
	s_waitcnt vmcnt(2) lgkmcnt(0)
	v_fma_f64 v[121:122], v[147:148], v[123:124], v[121:122]
	s_waitcnt vmcnt(0)
	v_add_f64 v[121:122], v[145:146], -v[121:122]
	buffer_store_dword v122, off, s[0:3], 0 offset:252
	buffer_store_dword v121, off, s[0:3], 0 offset:248
	v_cmpx_lt_u32_e32 30, v0
	s_cbranch_execz .LBB58_303
; %bb.302:
	s_clause 0x1
	buffer_load_dword v121, off, s[0:3], 0 offset:240
	buffer_load_dword v122, off, s[0:3], 0 offset:244
	buffer_store_dword v120, off, s[0:3], 0 offset:240
	buffer_store_dword v120, off, s[0:3], 0 offset:244
	s_waitcnt vmcnt(0)
	ds_write_b64 v119, v[121:122]
.LBB58_303:
	s_or_b32 exec_lo, exec_lo, s4
	s_waitcnt lgkmcnt(0)
	s_waitcnt_vscnt null, 0x0
	s_barrier
	buffer_gl0_inv
	s_clause 0x1b
	buffer_load_dword v125, off, s[0:3], 0 offset:248
	buffer_load_dword v126, off, s[0:3], 0 offset:252
	;; [unrolled: 1-line block ×28, first 2 shown]
	ds_read2_b64 v[121:124], v120 offset0:91 offset1:92
	s_clause 0x1
	buffer_load_dword v153, off, s[0:3], 0 offset:360
	buffer_load_dword v154, off, s[0:3], 0 offset:364
	s_mov_b32 s4, exec_lo
	s_waitcnt vmcnt(28) lgkmcnt(0)
	v_fma_f64 v[121:122], v[125:126], v[121:122], 0
	s_clause 0x1
	buffer_load_dword v126, off, s[0:3], 0 offset:372
	buffer_load_dword v125, off, s[0:3], 0 offset:368
	s_waitcnt vmcnt(28)
	v_fma_f64 v[127:128], v[127:128], v[123:124], v[121:122]
	ds_read2_b64 v[121:124], v120 offset0:93 offset1:94
	s_clause 0x1
	buffer_load_dword v155, off, s[0:3], 0 offset:376
	buffer_load_dword v156, off, s[0:3], 0 offset:380
	s_waitcnt vmcnt(28) lgkmcnt(0)
	v_fma_f64 v[121:122], v[129:130], v[121:122], v[127:128]
	s_clause 0x1
	buffer_load_dword v127, off, s[0:3], 0 offset:384
	buffer_load_dword v128, off, s[0:3], 0 offset:388
	s_waitcnt vmcnt(28)
	v_fma_f64 v[129:130], v[131:132], v[123:124], v[121:122]
	ds_read2_b64 v[121:124], v120 offset0:95 offset1:96
	s_clause 0x1
	buffer_load_dword v131, off, s[0:3], 0 offset:392
	buffer_load_dword v132, off, s[0:3], 0 offset:396
	;; [unrolled: 11-line block ×7, first 2 shown]
	s_waitcnt vmcnt(28) lgkmcnt(0)
	v_fma_f64 v[121:122], v[153:154], v[121:122], v[149:150]
	s_waitcnt vmcnt(26)
	v_fma_f64 v[125:126], v[125:126], v[123:124], v[121:122]
	ds_read2_b64 v[121:124], v120 offset0:107 offset1:108
	s_waitcnt vmcnt(24) lgkmcnt(0)
	v_fma_f64 v[121:122], v[155:156], v[121:122], v[125:126]
	s_waitcnt vmcnt(22)
	v_fma_f64 v[125:126], v[127:128], v[123:124], v[121:122]
	ds_read2_b64 v[121:124], v120 offset0:109 offset1:110
	;; [unrolled: 5-line block ×6, first 2 shown]
	s_waitcnt vmcnt(4) lgkmcnt(0)
	v_fma_f64 v[120:121], v[147:148], v[120:121], v[124:125]
	s_waitcnt vmcnt(2)
	v_fma_f64 v[120:121], v[145:146], v[122:123], v[120:121]
	s_waitcnt vmcnt(0)
	v_add_f64 v[120:121], v[151:152], -v[120:121]
	buffer_store_dword v121, off, s[0:3], 0 offset:244
	buffer_store_dword v120, off, s[0:3], 0 offset:240
	v_cmpx_lt_u32_e32 29, v0
	s_cbranch_execz .LBB58_305
; %bb.304:
	s_clause 0x1
	buffer_load_dword v120, off, s[0:3], 0 offset:232
	buffer_load_dword v121, off, s[0:3], 0 offset:236
	v_mov_b32_e32 v122, 0
	buffer_store_dword v122, off, s[0:3], 0 offset:232
	buffer_store_dword v122, off, s[0:3], 0 offset:236
	s_waitcnt vmcnt(0)
	ds_write_b64 v119, v[120:121]
.LBB58_305:
	s_or_b32 exec_lo, exec_lo, s4
	s_waitcnt lgkmcnt(0)
	s_waitcnt_vscnt null, 0x0
	s_barrier
	buffer_gl0_inv
	s_clause 0x1b
	buffer_load_dword v125, off, s[0:3], 0 offset:240
	buffer_load_dword v126, off, s[0:3], 0 offset:244
	;; [unrolled: 1-line block ×28, first 2 shown]
	v_mov_b32_e32 v120, 0
	s_mov_b32 s4, exec_lo
	ds_read_b128 v[121:124], v120 offset:720
	s_clause 0x1
	buffer_load_dword v153, off, s[0:3], 0 offset:352
	buffer_load_dword v154, off, s[0:3], 0 offset:356
	s_waitcnt vmcnt(28) lgkmcnt(0)
	v_fma_f64 v[121:122], v[125:126], v[121:122], 0
	s_clause 0x1
	buffer_load_dword v126, off, s[0:3], 0 offset:364
	buffer_load_dword v125, off, s[0:3], 0 offset:360
	s_waitcnt vmcnt(28)
	v_fma_f64 v[127:128], v[127:128], v[123:124], v[121:122]
	ds_read_b128 v[121:124], v120 offset:736
	s_clause 0x1
	buffer_load_dword v155, off, s[0:3], 0 offset:368
	buffer_load_dword v156, off, s[0:3], 0 offset:372
	s_waitcnt vmcnt(28) lgkmcnt(0)
	v_fma_f64 v[121:122], v[129:130], v[121:122], v[127:128]
	s_clause 0x1
	buffer_load_dword v127, off, s[0:3], 0 offset:376
	buffer_load_dword v128, off, s[0:3], 0 offset:380
	s_waitcnt vmcnt(28)
	v_fma_f64 v[129:130], v[131:132], v[123:124], v[121:122]
	;; [unrolled: 11-line block ×8, first 2 shown]
	ds_read_b128 v[121:124], v120 offset:848
	s_waitcnt vmcnt(26) lgkmcnt(0)
	v_fma_f64 v[121:122], v[155:156], v[121:122], v[125:126]
	s_waitcnt vmcnt(24)
	v_fma_f64 v[125:126], v[127:128], v[123:124], v[121:122]
	ds_read_b128 v[121:124], v120 offset:864
	s_waitcnt vmcnt(22) lgkmcnt(0)
	v_fma_f64 v[121:122], v[131:132], v[121:122], v[125:126]
	s_waitcnt vmcnt(20)
	v_fma_f64 v[125:126], v[129:130], v[123:124], v[121:122]
	;; [unrolled: 5-line block ×6, first 2 shown]
	ds_read_b64 v[123:124], v120 offset:944
	s_waitcnt vmcnt(2) lgkmcnt(0)
	v_fma_f64 v[121:122], v[151:152], v[123:124], v[121:122]
	s_waitcnt vmcnt(0)
	v_add_f64 v[121:122], v[149:150], -v[121:122]
	buffer_store_dword v122, off, s[0:3], 0 offset:236
	buffer_store_dword v121, off, s[0:3], 0 offset:232
	v_cmpx_lt_u32_e32 28, v0
	s_cbranch_execz .LBB58_307
; %bb.306:
	s_clause 0x1
	buffer_load_dword v121, off, s[0:3], 0 offset:224
	buffer_load_dword v122, off, s[0:3], 0 offset:228
	buffer_store_dword v120, off, s[0:3], 0 offset:224
	buffer_store_dword v120, off, s[0:3], 0 offset:228
	s_waitcnt vmcnt(0)
	ds_write_b64 v119, v[121:122]
.LBB58_307:
	s_or_b32 exec_lo, exec_lo, s4
	s_waitcnt lgkmcnt(0)
	s_waitcnt_vscnt null, 0x0
	s_barrier
	buffer_gl0_inv
	s_clause 0x1b
	buffer_load_dword v125, off, s[0:3], 0 offset:232
	buffer_load_dword v126, off, s[0:3], 0 offset:236
	;; [unrolled: 1-line block ×28, first 2 shown]
	ds_read2_b64 v[121:124], v120 offset0:89 offset1:90
	s_clause 0x1
	buffer_load_dword v153, off, s[0:3], 0 offset:344
	buffer_load_dword v154, off, s[0:3], 0 offset:348
	s_mov_b32 s4, exec_lo
	s_waitcnt vmcnt(28) lgkmcnt(0)
	v_fma_f64 v[121:122], v[125:126], v[121:122], 0
	s_clause 0x1
	buffer_load_dword v126, off, s[0:3], 0 offset:356
	buffer_load_dword v125, off, s[0:3], 0 offset:352
	s_waitcnt vmcnt(28)
	v_fma_f64 v[127:128], v[127:128], v[123:124], v[121:122]
	ds_read2_b64 v[121:124], v120 offset0:91 offset1:92
	s_clause 0x1
	buffer_load_dword v155, off, s[0:3], 0 offset:360
	buffer_load_dword v156, off, s[0:3], 0 offset:364
	s_waitcnt vmcnt(28) lgkmcnt(0)
	v_fma_f64 v[121:122], v[129:130], v[121:122], v[127:128]
	s_clause 0x1
	buffer_load_dword v127, off, s[0:3], 0 offset:368
	buffer_load_dword v128, off, s[0:3], 0 offset:372
	s_waitcnt vmcnt(28)
	v_fma_f64 v[129:130], v[131:132], v[123:124], v[121:122]
	ds_read2_b64 v[121:124], v120 offset0:93 offset1:94
	s_clause 0x1
	buffer_load_dword v131, off, s[0:3], 0 offset:376
	buffer_load_dword v132, off, s[0:3], 0 offset:380
	s_waitcnt vmcnt(28) lgkmcnt(0)
	v_fma_f64 v[121:122], v[133:134], v[121:122], v[129:130]
	s_clause 0x1
	buffer_load_dword v130, off, s[0:3], 0 offset:388
	buffer_load_dword v129, off, s[0:3], 0 offset:384
	s_waitcnt vmcnt(28)
	v_fma_f64 v[133:134], v[135:136], v[123:124], v[121:122]
	ds_read2_b64 v[121:124], v120 offset0:95 offset1:96
	s_clause 0x1
	buffer_load_dword v135, off, s[0:3], 0 offset:392
	buffer_load_dword v136, off, s[0:3], 0 offset:396
	s_waitcnt vmcnt(28) lgkmcnt(0)
	v_fma_f64 v[121:122], v[137:138], v[121:122], v[133:134]
	s_clause 0x1
	buffer_load_dword v133, off, s[0:3], 0 offset:400
	buffer_load_dword v134, off, s[0:3], 0 offset:404
	s_waitcnt vmcnt(28)
	v_fma_f64 v[137:138], v[139:140], v[123:124], v[121:122]
	ds_read2_b64 v[121:124], v120 offset0:97 offset1:98
	s_clause 0x1
	buffer_load_dword v139, off, s[0:3], 0 offset:408
	buffer_load_dword v140, off, s[0:3], 0 offset:412
	s_waitcnt vmcnt(28) lgkmcnt(0)
	v_fma_f64 v[121:122], v[141:142], v[121:122], v[137:138]
	s_clause 0x1
	buffer_load_dword v138, off, s[0:3], 0 offset:420
	buffer_load_dword v137, off, s[0:3], 0 offset:416
	s_waitcnt vmcnt(28)
	v_fma_f64 v[141:142], v[143:144], v[123:124], v[121:122]
	ds_read2_b64 v[121:124], v120 offset0:99 offset1:100
	s_clause 0x1
	buffer_load_dword v143, off, s[0:3], 0 offset:424
	buffer_load_dword v144, off, s[0:3], 0 offset:428
	s_waitcnt vmcnt(28) lgkmcnt(0)
	v_fma_f64 v[121:122], v[145:146], v[121:122], v[141:142]
	s_clause 0x1
	buffer_load_dword v141, off, s[0:3], 0 offset:432
	buffer_load_dword v142, off, s[0:3], 0 offset:436
	s_waitcnt vmcnt(28)
	v_fma_f64 v[145:146], v[147:148], v[123:124], v[121:122]
	ds_read2_b64 v[121:124], v120 offset0:101 offset1:102
	s_clause 0x1
	buffer_load_dword v147, off, s[0:3], 0 offset:440
	buffer_load_dword v148, off, s[0:3], 0 offset:444
	s_waitcnt vmcnt(28) lgkmcnt(0)
	v_fma_f64 v[121:122], v[149:150], v[121:122], v[145:146]
	s_clause 0x1
	buffer_load_dword v146, off, s[0:3], 0 offset:452
	buffer_load_dword v145, off, s[0:3], 0 offset:448
	s_waitcnt vmcnt(28)
	v_fma_f64 v[149:150], v[151:152], v[123:124], v[121:122]
	ds_read2_b64 v[121:124], v120 offset0:103 offset1:104
	s_clause 0x1
	buffer_load_dword v151, off, s[0:3], 0 offset:456
	buffer_load_dword v152, off, s[0:3], 0 offset:460
	s_waitcnt vmcnt(28) lgkmcnt(0)
	v_fma_f64 v[121:122], v[153:154], v[121:122], v[149:150]
	s_clause 0x1
	buffer_load_dword v149, off, s[0:3], 0 offset:464
	buffer_load_dword v150, off, s[0:3], 0 offset:468
	s_waitcnt vmcnt(28)
	v_fma_f64 v[125:126], v[125:126], v[123:124], v[121:122]
	ds_read2_b64 v[121:124], v120 offset0:105 offset1:106
	s_clause 0x1
	buffer_load_dword v153, off, s[0:3], 0 offset:224
	buffer_load_dword v154, off, s[0:3], 0 offset:228
	s_waitcnt vmcnt(28) lgkmcnt(0)
	v_fma_f64 v[121:122], v[155:156], v[121:122], v[125:126]
	s_waitcnt vmcnt(26)
	v_fma_f64 v[125:126], v[127:128], v[123:124], v[121:122]
	ds_read2_b64 v[121:124], v120 offset0:107 offset1:108
	s_waitcnt vmcnt(24) lgkmcnt(0)
	v_fma_f64 v[121:122], v[131:132], v[121:122], v[125:126]
	s_waitcnt vmcnt(22)
	v_fma_f64 v[125:126], v[129:130], v[123:124], v[121:122]
	ds_read2_b64 v[121:124], v120 offset0:109 offset1:110
	;; [unrolled: 5-line block ×6, first 2 shown]
	s_waitcnt vmcnt(4) lgkmcnt(0)
	v_fma_f64 v[120:121], v[151:152], v[120:121], v[124:125]
	s_waitcnt vmcnt(2)
	v_fma_f64 v[120:121], v[149:150], v[122:123], v[120:121]
	s_waitcnt vmcnt(0)
	v_add_f64 v[120:121], v[153:154], -v[120:121]
	buffer_store_dword v121, off, s[0:3], 0 offset:228
	buffer_store_dword v120, off, s[0:3], 0 offset:224
	v_cmpx_lt_u32_e32 27, v0
	s_cbranch_execz .LBB58_309
; %bb.308:
	s_clause 0x1
	buffer_load_dword v120, off, s[0:3], 0 offset:216
	buffer_load_dword v121, off, s[0:3], 0 offset:220
	v_mov_b32_e32 v122, 0
	buffer_store_dword v122, off, s[0:3], 0 offset:216
	buffer_store_dword v122, off, s[0:3], 0 offset:220
	s_waitcnt vmcnt(0)
	ds_write_b64 v119, v[120:121]
.LBB58_309:
	s_or_b32 exec_lo, exec_lo, s4
	s_waitcnt lgkmcnt(0)
	s_waitcnt_vscnt null, 0x0
	s_barrier
	buffer_gl0_inv
	s_clause 0x1b
	buffer_load_dword v125, off, s[0:3], 0 offset:224
	buffer_load_dword v126, off, s[0:3], 0 offset:228
	;; [unrolled: 1-line block ×28, first 2 shown]
	v_mov_b32_e32 v120, 0
	s_mov_b32 s4, exec_lo
	ds_read_b128 v[121:124], v120 offset:704
	s_clause 0x1
	buffer_load_dword v153, off, s[0:3], 0 offset:336
	buffer_load_dword v154, off, s[0:3], 0 offset:340
	s_waitcnt vmcnt(28) lgkmcnt(0)
	v_fma_f64 v[121:122], v[125:126], v[121:122], 0
	s_clause 0x1
	buffer_load_dword v126, off, s[0:3], 0 offset:348
	buffer_load_dword v125, off, s[0:3], 0 offset:344
	s_waitcnt vmcnt(28)
	v_fma_f64 v[127:128], v[127:128], v[123:124], v[121:122]
	ds_read_b128 v[121:124], v120 offset:720
	s_clause 0x1
	buffer_load_dword v155, off, s[0:3], 0 offset:352
	buffer_load_dword v156, off, s[0:3], 0 offset:356
	s_waitcnt vmcnt(28) lgkmcnt(0)
	v_fma_f64 v[121:122], v[129:130], v[121:122], v[127:128]
	s_clause 0x1
	buffer_load_dword v127, off, s[0:3], 0 offset:360
	buffer_load_dword v128, off, s[0:3], 0 offset:364
	s_waitcnt vmcnt(28)
	v_fma_f64 v[129:130], v[131:132], v[123:124], v[121:122]
	;; [unrolled: 11-line block ×9, first 2 shown]
	ds_read_b128 v[121:124], v120 offset:848
	s_waitcnt vmcnt(26) lgkmcnt(0)
	v_fma_f64 v[121:122], v[131:132], v[121:122], v[127:128]
	s_waitcnt vmcnt(24)
	v_fma_f64 v[127:128], v[129:130], v[123:124], v[121:122]
	ds_read_b128 v[121:124], v120 offset:864
	s_waitcnt vmcnt(22) lgkmcnt(0)
	v_fma_f64 v[121:122], v[135:136], v[121:122], v[127:128]
	s_waitcnt vmcnt(20)
	v_fma_f64 v[127:128], v[133:134], v[123:124], v[121:122]
	;; [unrolled: 5-line block ×6, first 2 shown]
	ds_read_b64 v[123:124], v120 offset:944
	s_waitcnt vmcnt(2) lgkmcnt(0)
	v_fma_f64 v[121:122], v[153:154], v[123:124], v[121:122]
	s_waitcnt vmcnt(0)
	v_add_f64 v[121:122], v[125:126], -v[121:122]
	buffer_store_dword v122, off, s[0:3], 0 offset:220
	buffer_store_dword v121, off, s[0:3], 0 offset:216
	v_cmpx_lt_u32_e32 26, v0
	s_cbranch_execz .LBB58_311
; %bb.310:
	s_clause 0x1
	buffer_load_dword v121, off, s[0:3], 0 offset:208
	buffer_load_dword v122, off, s[0:3], 0 offset:212
	buffer_store_dword v120, off, s[0:3], 0 offset:208
	buffer_store_dword v120, off, s[0:3], 0 offset:212
	s_waitcnt vmcnt(0)
	ds_write_b64 v119, v[121:122]
.LBB58_311:
	s_or_b32 exec_lo, exec_lo, s4
	s_waitcnt lgkmcnt(0)
	s_waitcnt_vscnt null, 0x0
	s_barrier
	buffer_gl0_inv
	s_clause 0x1b
	buffer_load_dword v125, off, s[0:3], 0 offset:216
	buffer_load_dword v126, off, s[0:3], 0 offset:220
	;; [unrolled: 1-line block ×28, first 2 shown]
	ds_read2_b64 v[121:124], v120 offset0:87 offset1:88
	s_clause 0x1
	buffer_load_dword v153, off, s[0:3], 0 offset:328
	buffer_load_dword v154, off, s[0:3], 0 offset:332
	s_mov_b32 s4, exec_lo
	s_waitcnt vmcnt(28) lgkmcnt(0)
	v_fma_f64 v[121:122], v[125:126], v[121:122], 0
	s_clause 0x1
	buffer_load_dword v126, off, s[0:3], 0 offset:340
	buffer_load_dword v125, off, s[0:3], 0 offset:336
	s_waitcnt vmcnt(28)
	v_fma_f64 v[127:128], v[127:128], v[123:124], v[121:122]
	ds_read2_b64 v[121:124], v120 offset0:89 offset1:90
	s_clause 0x1
	buffer_load_dword v155, off, s[0:3], 0 offset:344
	buffer_load_dword v156, off, s[0:3], 0 offset:348
	s_waitcnt vmcnt(28) lgkmcnt(0)
	v_fma_f64 v[121:122], v[129:130], v[121:122], v[127:128]
	s_clause 0x1
	buffer_load_dword v127, off, s[0:3], 0 offset:352
	buffer_load_dword v128, off, s[0:3], 0 offset:356
	s_waitcnt vmcnt(28)
	v_fma_f64 v[129:130], v[131:132], v[123:124], v[121:122]
	ds_read2_b64 v[121:124], v120 offset0:91 offset1:92
	s_clause 0x1
	buffer_load_dword v131, off, s[0:3], 0 offset:360
	buffer_load_dword v132, off, s[0:3], 0 offset:364
	;; [unrolled: 11-line block ×9, first 2 shown]
	s_waitcnt vmcnt(28) lgkmcnt(0)
	v_fma_f64 v[121:122], v[131:132], v[121:122], v[127:128]
	s_waitcnt vmcnt(26)
	v_fma_f64 v[127:128], v[129:130], v[123:124], v[121:122]
	ds_read2_b64 v[121:124], v120 offset0:107 offset1:108
	s_waitcnt vmcnt(24) lgkmcnt(0)
	v_fma_f64 v[121:122], v[135:136], v[121:122], v[127:128]
	s_waitcnt vmcnt(22)
	v_fma_f64 v[127:128], v[133:134], v[123:124], v[121:122]
	ds_read2_b64 v[121:124], v120 offset0:109 offset1:110
	;; [unrolled: 5-line block ×6, first 2 shown]
	s_waitcnt vmcnt(4) lgkmcnt(0)
	v_fma_f64 v[120:121], v[153:154], v[120:121], v[127:128]
	s_waitcnt vmcnt(2)
	v_fma_f64 v[120:121], v[125:126], v[122:123], v[120:121]
	s_waitcnt vmcnt(0)
	v_add_f64 v[120:121], v[155:156], -v[120:121]
	buffer_store_dword v121, off, s[0:3], 0 offset:212
	buffer_store_dword v120, off, s[0:3], 0 offset:208
	v_cmpx_lt_u32_e32 25, v0
	s_cbranch_execz .LBB58_313
; %bb.312:
	s_clause 0x1
	buffer_load_dword v120, off, s[0:3], 0 offset:200
	buffer_load_dword v121, off, s[0:3], 0 offset:204
	v_mov_b32_e32 v122, 0
	buffer_store_dword v122, off, s[0:3], 0 offset:200
	buffer_store_dword v122, off, s[0:3], 0 offset:204
	s_waitcnt vmcnt(0)
	ds_write_b64 v119, v[120:121]
.LBB58_313:
	s_or_b32 exec_lo, exec_lo, s4
	s_waitcnt lgkmcnt(0)
	s_waitcnt_vscnt null, 0x0
	s_barrier
	buffer_gl0_inv
	s_clause 0x1b
	buffer_load_dword v125, off, s[0:3], 0 offset:208
	buffer_load_dword v126, off, s[0:3], 0 offset:212
	;; [unrolled: 1-line block ×28, first 2 shown]
	v_mov_b32_e32 v120, 0
	s_mov_b32 s4, exec_lo
	ds_read_b128 v[121:124], v120 offset:688
	s_clause 0x1
	buffer_load_dword v153, off, s[0:3], 0 offset:320
	buffer_load_dword v154, off, s[0:3], 0 offset:324
	s_waitcnt vmcnt(28) lgkmcnt(0)
	v_fma_f64 v[121:122], v[125:126], v[121:122], 0
	s_clause 0x1
	buffer_load_dword v126, off, s[0:3], 0 offset:332
	buffer_load_dword v125, off, s[0:3], 0 offset:328
	s_waitcnt vmcnt(28)
	v_fma_f64 v[127:128], v[127:128], v[123:124], v[121:122]
	ds_read_b128 v[121:124], v120 offset:704
	s_clause 0x1
	buffer_load_dword v155, off, s[0:3], 0 offset:336
	buffer_load_dword v156, off, s[0:3], 0 offset:340
	s_waitcnt vmcnt(28) lgkmcnt(0)
	v_fma_f64 v[121:122], v[129:130], v[121:122], v[127:128]
	s_clause 0x1
	buffer_load_dword v127, off, s[0:3], 0 offset:344
	buffer_load_dword v128, off, s[0:3], 0 offset:348
	s_waitcnt vmcnt(28)
	v_fma_f64 v[129:130], v[131:132], v[123:124], v[121:122]
	;; [unrolled: 11-line block ×10, first 2 shown]
	ds_read_b128 v[121:124], v120 offset:848
	s_waitcnt vmcnt(26) lgkmcnt(0)
	v_fma_f64 v[121:122], v[135:136], v[121:122], v[129:130]
	s_waitcnt vmcnt(24)
	v_fma_f64 v[129:130], v[133:134], v[123:124], v[121:122]
	ds_read_b128 v[121:124], v120 offset:864
	s_waitcnt vmcnt(22) lgkmcnt(0)
	v_fma_f64 v[121:122], v[139:140], v[121:122], v[129:130]
	s_waitcnt vmcnt(20)
	v_fma_f64 v[129:130], v[137:138], v[123:124], v[121:122]
	;; [unrolled: 5-line block ×6, first 2 shown]
	ds_read_b64 v[123:124], v120 offset:944
	s_waitcnt vmcnt(2) lgkmcnt(0)
	v_fma_f64 v[121:122], v[155:156], v[123:124], v[121:122]
	s_waitcnt vmcnt(0)
	v_add_f64 v[121:122], v[127:128], -v[121:122]
	buffer_store_dword v122, off, s[0:3], 0 offset:204
	buffer_store_dword v121, off, s[0:3], 0 offset:200
	v_cmpx_lt_u32_e32 24, v0
	s_cbranch_execz .LBB58_315
; %bb.314:
	s_clause 0x1
	buffer_load_dword v121, off, s[0:3], 0 offset:192
	buffer_load_dword v122, off, s[0:3], 0 offset:196
	buffer_store_dword v120, off, s[0:3], 0 offset:192
	buffer_store_dword v120, off, s[0:3], 0 offset:196
	s_waitcnt vmcnt(0)
	ds_write_b64 v119, v[121:122]
.LBB58_315:
	s_or_b32 exec_lo, exec_lo, s4
	s_waitcnt lgkmcnt(0)
	s_waitcnt_vscnt null, 0x0
	s_barrier
	buffer_gl0_inv
	s_clause 0x1b
	buffer_load_dword v125, off, s[0:3], 0 offset:200
	buffer_load_dword v126, off, s[0:3], 0 offset:204
	buffer_load_dword v127, off, s[0:3], 0 offset:208
	buffer_load_dword v128, off, s[0:3], 0 offset:212
	buffer_load_dword v129, off, s[0:3], 0 offset:216
	buffer_load_dword v130, off, s[0:3], 0 offset:220
	buffer_load_dword v131, off, s[0:3], 0 offset:224
	buffer_load_dword v132, off, s[0:3], 0 offset:228
	buffer_load_dword v133, off, s[0:3], 0 offset:232
	buffer_load_dword v134, off, s[0:3], 0 offset:236
	buffer_load_dword v135, off, s[0:3], 0 offset:240
	buffer_load_dword v136, off, s[0:3], 0 offset:244
	buffer_load_dword v137, off, s[0:3], 0 offset:248
	buffer_load_dword v138, off, s[0:3], 0 offset:252
	buffer_load_dword v140, off, s[0:3], 0 offset:260
	buffer_load_dword v139, off, s[0:3], 0 offset:256
	buffer_load_dword v141, off, s[0:3], 0 offset:264
	buffer_load_dword v142, off, s[0:3], 0 offset:268
	buffer_load_dword v143, off, s[0:3], 0 offset:272
	buffer_load_dword v144, off, s[0:3], 0 offset:276
	buffer_load_dword v145, off, s[0:3], 0 offset:280
	buffer_load_dword v146, off, s[0:3], 0 offset:284
	buffer_load_dword v148, off, s[0:3], 0 offset:292
	buffer_load_dword v147, off, s[0:3], 0 offset:288
	buffer_load_dword v149, off, s[0:3], 0 offset:296
	buffer_load_dword v150, off, s[0:3], 0 offset:300
	buffer_load_dword v151, off, s[0:3], 0 offset:304
	buffer_load_dword v152, off, s[0:3], 0 offset:308
	ds_read2_b64 v[121:124], v120 offset0:85 offset1:86
	s_clause 0x1
	buffer_load_dword v153, off, s[0:3], 0 offset:312
	buffer_load_dword v154, off, s[0:3], 0 offset:316
	s_mov_b32 s4, exec_lo
	s_waitcnt vmcnt(28) lgkmcnt(0)
	v_fma_f64 v[121:122], v[125:126], v[121:122], 0
	s_clause 0x1
	buffer_load_dword v126, off, s[0:3], 0 offset:324
	buffer_load_dword v125, off, s[0:3], 0 offset:320
	s_waitcnt vmcnt(28)
	v_fma_f64 v[127:128], v[127:128], v[123:124], v[121:122]
	ds_read2_b64 v[121:124], v120 offset0:87 offset1:88
	s_clause 0x1
	buffer_load_dword v155, off, s[0:3], 0 offset:328
	buffer_load_dword v156, off, s[0:3], 0 offset:332
	s_waitcnt vmcnt(28) lgkmcnt(0)
	v_fma_f64 v[121:122], v[129:130], v[121:122], v[127:128]
	s_clause 0x1
	buffer_load_dword v127, off, s[0:3], 0 offset:336
	buffer_load_dword v128, off, s[0:3], 0 offset:340
	s_waitcnt vmcnt(28)
	v_fma_f64 v[129:130], v[131:132], v[123:124], v[121:122]
	ds_read2_b64 v[121:124], v120 offset0:89 offset1:90
	s_clause 0x1
	buffer_load_dword v131, off, s[0:3], 0 offset:344
	buffer_load_dword v132, off, s[0:3], 0 offset:348
	s_waitcnt vmcnt(28) lgkmcnt(0)
	v_fma_f64 v[121:122], v[133:134], v[121:122], v[129:130]
	s_clause 0x1
	buffer_load_dword v130, off, s[0:3], 0 offset:356
	buffer_load_dword v129, off, s[0:3], 0 offset:352
	s_waitcnt vmcnt(28)
	v_fma_f64 v[133:134], v[135:136], v[123:124], v[121:122]
	ds_read2_b64 v[121:124], v120 offset0:91 offset1:92
	s_clause 0x1
	buffer_load_dword v135, off, s[0:3], 0 offset:360
	buffer_load_dword v136, off, s[0:3], 0 offset:364
	s_waitcnt vmcnt(28) lgkmcnt(0)
	v_fma_f64 v[121:122], v[137:138], v[121:122], v[133:134]
	s_clause 0x1
	buffer_load_dword v133, off, s[0:3], 0 offset:368
	buffer_load_dword v134, off, s[0:3], 0 offset:372
	s_waitcnt vmcnt(28)
	v_fma_f64 v[137:138], v[139:140], v[123:124], v[121:122]
	ds_read2_b64 v[121:124], v120 offset0:93 offset1:94
	s_clause 0x1
	buffer_load_dword v139, off, s[0:3], 0 offset:376
	buffer_load_dword v140, off, s[0:3], 0 offset:380
	s_waitcnt vmcnt(28) lgkmcnt(0)
	v_fma_f64 v[121:122], v[141:142], v[121:122], v[137:138]
	s_clause 0x1
	buffer_load_dword v138, off, s[0:3], 0 offset:388
	buffer_load_dword v137, off, s[0:3], 0 offset:384
	s_waitcnt vmcnt(28)
	v_fma_f64 v[141:142], v[143:144], v[123:124], v[121:122]
	ds_read2_b64 v[121:124], v120 offset0:95 offset1:96
	s_clause 0x1
	buffer_load_dword v143, off, s[0:3], 0 offset:392
	buffer_load_dword v144, off, s[0:3], 0 offset:396
	s_waitcnt vmcnt(28) lgkmcnt(0)
	v_fma_f64 v[121:122], v[145:146], v[121:122], v[141:142]
	s_clause 0x1
	buffer_load_dword v141, off, s[0:3], 0 offset:400
	buffer_load_dword v142, off, s[0:3], 0 offset:404
	s_waitcnt vmcnt(28)
	v_fma_f64 v[145:146], v[147:148], v[123:124], v[121:122]
	ds_read2_b64 v[121:124], v120 offset0:97 offset1:98
	s_clause 0x1
	buffer_load_dword v147, off, s[0:3], 0 offset:408
	buffer_load_dword v148, off, s[0:3], 0 offset:412
	s_waitcnt vmcnt(28) lgkmcnt(0)
	v_fma_f64 v[121:122], v[149:150], v[121:122], v[145:146]
	s_clause 0x1
	buffer_load_dword v146, off, s[0:3], 0 offset:420
	buffer_load_dword v145, off, s[0:3], 0 offset:416
	s_waitcnt vmcnt(28)
	v_fma_f64 v[149:150], v[151:152], v[123:124], v[121:122]
	ds_read2_b64 v[121:124], v120 offset0:99 offset1:100
	s_clause 0x1
	buffer_load_dword v151, off, s[0:3], 0 offset:424
	buffer_load_dword v152, off, s[0:3], 0 offset:428
	s_waitcnt vmcnt(28) lgkmcnt(0)
	v_fma_f64 v[121:122], v[153:154], v[121:122], v[149:150]
	s_clause 0x1
	buffer_load_dword v149, off, s[0:3], 0 offset:432
	buffer_load_dword v150, off, s[0:3], 0 offset:436
	s_waitcnt vmcnt(28)
	v_fma_f64 v[125:126], v[125:126], v[123:124], v[121:122]
	ds_read2_b64 v[121:124], v120 offset0:101 offset1:102
	s_clause 0x1
	buffer_load_dword v153, off, s[0:3], 0 offset:440
	buffer_load_dword v154, off, s[0:3], 0 offset:444
	s_waitcnt vmcnt(28) lgkmcnt(0)
	v_fma_f64 v[121:122], v[155:156], v[121:122], v[125:126]
	s_clause 0x1
	buffer_load_dword v126, off, s[0:3], 0 offset:452
	buffer_load_dword v125, off, s[0:3], 0 offset:448
	s_waitcnt vmcnt(28)
	v_fma_f64 v[127:128], v[127:128], v[123:124], v[121:122]
	ds_read2_b64 v[121:124], v120 offset0:103 offset1:104
	s_clause 0x1
	buffer_load_dword v155, off, s[0:3], 0 offset:456
	buffer_load_dword v156, off, s[0:3], 0 offset:460
	s_waitcnt vmcnt(28) lgkmcnt(0)
	v_fma_f64 v[121:122], v[131:132], v[121:122], v[127:128]
	s_clause 0x1
	buffer_load_dword v127, off, s[0:3], 0 offset:464
	buffer_load_dword v128, off, s[0:3], 0 offset:468
	s_waitcnt vmcnt(28)
	v_fma_f64 v[129:130], v[129:130], v[123:124], v[121:122]
	ds_read2_b64 v[121:124], v120 offset0:105 offset1:106
	s_clause 0x1
	buffer_load_dword v131, off, s[0:3], 0 offset:192
	buffer_load_dword v132, off, s[0:3], 0 offset:196
	s_waitcnt vmcnt(28) lgkmcnt(0)
	v_fma_f64 v[121:122], v[135:136], v[121:122], v[129:130]
	s_waitcnt vmcnt(26)
	v_fma_f64 v[129:130], v[133:134], v[123:124], v[121:122]
	ds_read2_b64 v[121:124], v120 offset0:107 offset1:108
	s_waitcnt vmcnt(24) lgkmcnt(0)
	v_fma_f64 v[121:122], v[139:140], v[121:122], v[129:130]
	s_waitcnt vmcnt(22)
	v_fma_f64 v[129:130], v[137:138], v[123:124], v[121:122]
	ds_read2_b64 v[121:124], v120 offset0:109 offset1:110
	;; [unrolled: 5-line block ×6, first 2 shown]
	s_waitcnt vmcnt(4) lgkmcnt(0)
	v_fma_f64 v[120:121], v[155:156], v[120:121], v[124:125]
	s_waitcnt vmcnt(2)
	v_fma_f64 v[120:121], v[127:128], v[122:123], v[120:121]
	s_waitcnt vmcnt(0)
	v_add_f64 v[120:121], v[131:132], -v[120:121]
	buffer_store_dword v121, off, s[0:3], 0 offset:196
	buffer_store_dword v120, off, s[0:3], 0 offset:192
	v_cmpx_lt_u32_e32 23, v0
	s_cbranch_execz .LBB58_317
; %bb.316:
	s_clause 0x1
	buffer_load_dword v120, off, s[0:3], 0 offset:184
	buffer_load_dword v121, off, s[0:3], 0 offset:188
	v_mov_b32_e32 v122, 0
	buffer_store_dword v122, off, s[0:3], 0 offset:184
	buffer_store_dword v122, off, s[0:3], 0 offset:188
	s_waitcnt vmcnt(0)
	ds_write_b64 v119, v[120:121]
.LBB58_317:
	s_or_b32 exec_lo, exec_lo, s4
	s_waitcnt lgkmcnt(0)
	s_waitcnt_vscnt null, 0x0
	s_barrier
	buffer_gl0_inv
	s_clause 0x1b
	buffer_load_dword v125, off, s[0:3], 0 offset:192
	buffer_load_dword v126, off, s[0:3], 0 offset:196
	;; [unrolled: 1-line block ×28, first 2 shown]
	v_mov_b32_e32 v120, 0
	s_mov_b32 s4, exec_lo
	ds_read_b128 v[121:124], v120 offset:672
	s_clause 0x1
	buffer_load_dword v153, off, s[0:3], 0 offset:304
	buffer_load_dword v154, off, s[0:3], 0 offset:308
	s_waitcnt vmcnt(28) lgkmcnt(0)
	v_fma_f64 v[121:122], v[125:126], v[121:122], 0
	s_clause 0x1
	buffer_load_dword v126, off, s[0:3], 0 offset:316
	buffer_load_dword v125, off, s[0:3], 0 offset:312
	s_waitcnt vmcnt(28)
	v_fma_f64 v[127:128], v[127:128], v[123:124], v[121:122]
	ds_read_b128 v[121:124], v120 offset:688
	s_clause 0x1
	buffer_load_dword v155, off, s[0:3], 0 offset:320
	buffer_load_dword v156, off, s[0:3], 0 offset:324
	s_waitcnt vmcnt(28) lgkmcnt(0)
	v_fma_f64 v[121:122], v[129:130], v[121:122], v[127:128]
	s_clause 0x1
	buffer_load_dword v127, off, s[0:3], 0 offset:328
	buffer_load_dword v128, off, s[0:3], 0 offset:332
	s_waitcnt vmcnt(28)
	v_fma_f64 v[129:130], v[131:132], v[123:124], v[121:122]
	;; [unrolled: 11-line block ×11, first 2 shown]
	ds_read_b128 v[121:124], v120 offset:848
	s_waitcnt vmcnt(26) lgkmcnt(0)
	v_fma_f64 v[121:122], v[139:140], v[121:122], v[133:134]
	s_waitcnt vmcnt(24)
	v_fma_f64 v[133:134], v[137:138], v[123:124], v[121:122]
	ds_read_b128 v[121:124], v120 offset:864
	s_waitcnt vmcnt(22) lgkmcnt(0)
	v_fma_f64 v[121:122], v[143:144], v[121:122], v[133:134]
	s_waitcnt vmcnt(20)
	v_fma_f64 v[133:134], v[141:142], v[123:124], v[121:122]
	;; [unrolled: 5-line block ×6, first 2 shown]
	ds_read_b64 v[123:124], v120 offset:944
	s_waitcnt vmcnt(2) lgkmcnt(0)
	v_fma_f64 v[121:122], v[131:132], v[123:124], v[121:122]
	s_waitcnt vmcnt(0)
	v_add_f64 v[121:122], v[129:130], -v[121:122]
	buffer_store_dword v122, off, s[0:3], 0 offset:188
	buffer_store_dword v121, off, s[0:3], 0 offset:184
	v_cmpx_lt_u32_e32 22, v0
	s_cbranch_execz .LBB58_319
; %bb.318:
	s_clause 0x1
	buffer_load_dword v121, off, s[0:3], 0 offset:176
	buffer_load_dword v122, off, s[0:3], 0 offset:180
	buffer_store_dword v120, off, s[0:3], 0 offset:176
	buffer_store_dword v120, off, s[0:3], 0 offset:180
	s_waitcnt vmcnt(0)
	ds_write_b64 v119, v[121:122]
.LBB58_319:
	s_or_b32 exec_lo, exec_lo, s4
	s_waitcnt lgkmcnt(0)
	s_waitcnt_vscnt null, 0x0
	s_barrier
	buffer_gl0_inv
	s_clause 0x1b
	buffer_load_dword v125, off, s[0:3], 0 offset:184
	buffer_load_dword v126, off, s[0:3], 0 offset:188
	;; [unrolled: 1-line block ×28, first 2 shown]
	ds_read2_b64 v[121:124], v120 offset0:83 offset1:84
	s_clause 0x1
	buffer_load_dword v153, off, s[0:3], 0 offset:296
	buffer_load_dword v154, off, s[0:3], 0 offset:300
	s_mov_b32 s4, exec_lo
	s_waitcnt vmcnt(28) lgkmcnt(0)
	v_fma_f64 v[121:122], v[125:126], v[121:122], 0
	s_clause 0x1
	buffer_load_dword v126, off, s[0:3], 0 offset:308
	buffer_load_dword v125, off, s[0:3], 0 offset:304
	s_waitcnt vmcnt(28)
	v_fma_f64 v[127:128], v[127:128], v[123:124], v[121:122]
	ds_read2_b64 v[121:124], v120 offset0:85 offset1:86
	s_clause 0x1
	buffer_load_dword v155, off, s[0:3], 0 offset:312
	buffer_load_dword v156, off, s[0:3], 0 offset:316
	s_waitcnt vmcnt(28) lgkmcnt(0)
	v_fma_f64 v[121:122], v[129:130], v[121:122], v[127:128]
	s_clause 0x1
	buffer_load_dword v127, off, s[0:3], 0 offset:320
	buffer_load_dword v128, off, s[0:3], 0 offset:324
	s_waitcnt vmcnt(28)
	v_fma_f64 v[129:130], v[131:132], v[123:124], v[121:122]
	ds_read2_b64 v[121:124], v120 offset0:87 offset1:88
	s_clause 0x1
	buffer_load_dword v131, off, s[0:3], 0 offset:328
	buffer_load_dword v132, off, s[0:3], 0 offset:332
	;; [unrolled: 11-line block ×11, first 2 shown]
	s_waitcnt vmcnt(28) lgkmcnt(0)
	v_fma_f64 v[121:122], v[139:140], v[121:122], v[133:134]
	s_waitcnt vmcnt(26)
	v_fma_f64 v[133:134], v[137:138], v[123:124], v[121:122]
	ds_read2_b64 v[121:124], v120 offset0:107 offset1:108
	s_waitcnt vmcnt(24) lgkmcnt(0)
	v_fma_f64 v[121:122], v[143:144], v[121:122], v[133:134]
	s_waitcnt vmcnt(22)
	v_fma_f64 v[133:134], v[141:142], v[123:124], v[121:122]
	ds_read2_b64 v[121:124], v120 offset0:109 offset1:110
	;; [unrolled: 5-line block ×6, first 2 shown]
	s_waitcnt vmcnt(4) lgkmcnt(0)
	v_fma_f64 v[120:121], v[131:132], v[120:121], v[124:125]
	s_waitcnt vmcnt(2)
	v_fma_f64 v[120:121], v[129:130], v[122:123], v[120:121]
	s_waitcnt vmcnt(0)
	v_add_f64 v[120:121], v[135:136], -v[120:121]
	buffer_store_dword v121, off, s[0:3], 0 offset:180
	buffer_store_dword v120, off, s[0:3], 0 offset:176
	v_cmpx_lt_u32_e32 21, v0
	s_cbranch_execz .LBB58_321
; %bb.320:
	s_clause 0x1
	buffer_load_dword v120, off, s[0:3], 0 offset:168
	buffer_load_dword v121, off, s[0:3], 0 offset:172
	v_mov_b32_e32 v122, 0
	buffer_store_dword v122, off, s[0:3], 0 offset:168
	buffer_store_dword v122, off, s[0:3], 0 offset:172
	s_waitcnt vmcnt(0)
	ds_write_b64 v119, v[120:121]
.LBB58_321:
	s_or_b32 exec_lo, exec_lo, s4
	s_waitcnt lgkmcnt(0)
	s_waitcnt_vscnt null, 0x0
	s_barrier
	buffer_gl0_inv
	s_clause 0x1b
	buffer_load_dword v125, off, s[0:3], 0 offset:176
	buffer_load_dword v126, off, s[0:3], 0 offset:180
	;; [unrolled: 1-line block ×28, first 2 shown]
	v_mov_b32_e32 v120, 0
	s_mov_b32 s4, exec_lo
	ds_read_b128 v[121:124], v120 offset:656
	s_clause 0x1
	buffer_load_dword v153, off, s[0:3], 0 offset:288
	buffer_load_dword v154, off, s[0:3], 0 offset:292
	s_waitcnt vmcnt(28) lgkmcnt(0)
	v_fma_f64 v[121:122], v[125:126], v[121:122], 0
	s_clause 0x1
	buffer_load_dword v126, off, s[0:3], 0 offset:300
	buffer_load_dword v125, off, s[0:3], 0 offset:296
	s_waitcnt vmcnt(28)
	v_fma_f64 v[127:128], v[127:128], v[123:124], v[121:122]
	ds_read_b128 v[121:124], v120 offset:672
	s_clause 0x1
	buffer_load_dword v155, off, s[0:3], 0 offset:304
	buffer_load_dword v156, off, s[0:3], 0 offset:308
	s_waitcnt vmcnt(28) lgkmcnt(0)
	v_fma_f64 v[121:122], v[129:130], v[121:122], v[127:128]
	s_clause 0x1
	buffer_load_dword v127, off, s[0:3], 0 offset:312
	buffer_load_dword v128, off, s[0:3], 0 offset:316
	s_waitcnt vmcnt(28)
	v_fma_f64 v[129:130], v[131:132], v[123:124], v[121:122]
	;; [unrolled: 11-line block ×12, first 2 shown]
	ds_read_b128 v[121:124], v120 offset:848
	s_waitcnt vmcnt(26) lgkmcnt(0)
	v_fma_f64 v[121:122], v[143:144], v[121:122], v[137:138]
	s_waitcnt vmcnt(24)
	v_fma_f64 v[137:138], v[141:142], v[123:124], v[121:122]
	ds_read_b128 v[121:124], v120 offset:864
	s_waitcnt vmcnt(22) lgkmcnt(0)
	v_fma_f64 v[121:122], v[147:148], v[121:122], v[137:138]
	s_waitcnt vmcnt(20)
	v_fma_f64 v[137:138], v[145:146], v[123:124], v[121:122]
	;; [unrolled: 5-line block ×6, first 2 shown]
	ds_read_b64 v[123:124], v120 offset:944
	s_waitcnt vmcnt(2) lgkmcnt(0)
	v_fma_f64 v[121:122], v[135:136], v[123:124], v[121:122]
	s_waitcnt vmcnt(0)
	v_add_f64 v[121:122], v[133:134], -v[121:122]
	buffer_store_dword v122, off, s[0:3], 0 offset:172
	buffer_store_dword v121, off, s[0:3], 0 offset:168
	v_cmpx_lt_u32_e32 20, v0
	s_cbranch_execz .LBB58_323
; %bb.322:
	s_clause 0x1
	buffer_load_dword v121, off, s[0:3], 0 offset:160
	buffer_load_dword v122, off, s[0:3], 0 offset:164
	buffer_store_dword v120, off, s[0:3], 0 offset:160
	buffer_store_dword v120, off, s[0:3], 0 offset:164
	s_waitcnt vmcnt(0)
	ds_write_b64 v119, v[121:122]
.LBB58_323:
	s_or_b32 exec_lo, exec_lo, s4
	s_waitcnt lgkmcnt(0)
	s_waitcnt_vscnt null, 0x0
	s_barrier
	buffer_gl0_inv
	s_clause 0x1b
	buffer_load_dword v125, off, s[0:3], 0 offset:168
	buffer_load_dword v126, off, s[0:3], 0 offset:172
	;; [unrolled: 1-line block ×28, first 2 shown]
	ds_read2_b64 v[121:124], v120 offset0:81 offset1:82
	s_clause 0x1
	buffer_load_dword v153, off, s[0:3], 0 offset:280
	buffer_load_dword v154, off, s[0:3], 0 offset:284
	s_mov_b32 s4, exec_lo
	s_waitcnt vmcnt(28) lgkmcnt(0)
	v_fma_f64 v[121:122], v[125:126], v[121:122], 0
	s_clause 0x1
	buffer_load_dword v126, off, s[0:3], 0 offset:292
	buffer_load_dword v125, off, s[0:3], 0 offset:288
	s_waitcnt vmcnt(28)
	v_fma_f64 v[127:128], v[127:128], v[123:124], v[121:122]
	ds_read2_b64 v[121:124], v120 offset0:83 offset1:84
	s_clause 0x1
	buffer_load_dword v155, off, s[0:3], 0 offset:296
	buffer_load_dword v156, off, s[0:3], 0 offset:300
	s_waitcnt vmcnt(28) lgkmcnt(0)
	v_fma_f64 v[121:122], v[129:130], v[121:122], v[127:128]
	s_clause 0x1
	buffer_load_dword v127, off, s[0:3], 0 offset:304
	buffer_load_dword v128, off, s[0:3], 0 offset:308
	s_waitcnt vmcnt(28)
	v_fma_f64 v[129:130], v[131:132], v[123:124], v[121:122]
	ds_read2_b64 v[121:124], v120 offset0:85 offset1:86
	s_clause 0x1
	buffer_load_dword v131, off, s[0:3], 0 offset:312
	buffer_load_dword v132, off, s[0:3], 0 offset:316
	s_waitcnt vmcnt(28) lgkmcnt(0)
	v_fma_f64 v[121:122], v[133:134], v[121:122], v[129:130]
	s_clause 0x1
	buffer_load_dword v130, off, s[0:3], 0 offset:324
	buffer_load_dword v129, off, s[0:3], 0 offset:320
	s_waitcnt vmcnt(28)
	v_fma_f64 v[133:134], v[135:136], v[123:124], v[121:122]
	ds_read2_b64 v[121:124], v120 offset0:87 offset1:88
	s_clause 0x1
	buffer_load_dword v135, off, s[0:3], 0 offset:328
	buffer_load_dword v136, off, s[0:3], 0 offset:332
	s_waitcnt vmcnt(28) lgkmcnt(0)
	v_fma_f64 v[121:122], v[137:138], v[121:122], v[133:134]
	s_clause 0x1
	buffer_load_dword v133, off, s[0:3], 0 offset:336
	buffer_load_dword v134, off, s[0:3], 0 offset:340
	s_waitcnt vmcnt(28)
	v_fma_f64 v[137:138], v[139:140], v[123:124], v[121:122]
	ds_read2_b64 v[121:124], v120 offset0:89 offset1:90
	s_clause 0x1
	buffer_load_dword v139, off, s[0:3], 0 offset:344
	buffer_load_dword v140, off, s[0:3], 0 offset:348
	s_waitcnt vmcnt(28) lgkmcnt(0)
	v_fma_f64 v[121:122], v[141:142], v[121:122], v[137:138]
	s_clause 0x1
	buffer_load_dword v138, off, s[0:3], 0 offset:356
	buffer_load_dword v137, off, s[0:3], 0 offset:352
	s_waitcnt vmcnt(28)
	v_fma_f64 v[141:142], v[143:144], v[123:124], v[121:122]
	ds_read2_b64 v[121:124], v120 offset0:91 offset1:92
	s_clause 0x1
	buffer_load_dword v143, off, s[0:3], 0 offset:360
	buffer_load_dword v144, off, s[0:3], 0 offset:364
	s_waitcnt vmcnt(28) lgkmcnt(0)
	v_fma_f64 v[121:122], v[145:146], v[121:122], v[141:142]
	s_clause 0x1
	buffer_load_dword v141, off, s[0:3], 0 offset:368
	buffer_load_dword v142, off, s[0:3], 0 offset:372
	s_waitcnt vmcnt(28)
	v_fma_f64 v[145:146], v[147:148], v[123:124], v[121:122]
	ds_read2_b64 v[121:124], v120 offset0:93 offset1:94
	s_clause 0x1
	buffer_load_dword v147, off, s[0:3], 0 offset:376
	buffer_load_dword v148, off, s[0:3], 0 offset:380
	s_waitcnt vmcnt(28) lgkmcnt(0)
	v_fma_f64 v[121:122], v[149:150], v[121:122], v[145:146]
	s_clause 0x1
	buffer_load_dword v146, off, s[0:3], 0 offset:388
	buffer_load_dword v145, off, s[0:3], 0 offset:384
	s_waitcnt vmcnt(28)
	v_fma_f64 v[149:150], v[151:152], v[123:124], v[121:122]
	ds_read2_b64 v[121:124], v120 offset0:95 offset1:96
	s_clause 0x1
	buffer_load_dword v151, off, s[0:3], 0 offset:392
	buffer_load_dword v152, off, s[0:3], 0 offset:396
	s_waitcnt vmcnt(28) lgkmcnt(0)
	v_fma_f64 v[121:122], v[153:154], v[121:122], v[149:150]
	s_clause 0x1
	buffer_load_dword v149, off, s[0:3], 0 offset:400
	buffer_load_dword v150, off, s[0:3], 0 offset:404
	s_waitcnt vmcnt(28)
	v_fma_f64 v[125:126], v[125:126], v[123:124], v[121:122]
	ds_read2_b64 v[121:124], v120 offset0:97 offset1:98
	s_clause 0x1
	buffer_load_dword v153, off, s[0:3], 0 offset:408
	buffer_load_dword v154, off, s[0:3], 0 offset:412
	s_waitcnt vmcnt(28) lgkmcnt(0)
	v_fma_f64 v[121:122], v[155:156], v[121:122], v[125:126]
	s_clause 0x1
	buffer_load_dword v126, off, s[0:3], 0 offset:420
	buffer_load_dword v125, off, s[0:3], 0 offset:416
	s_waitcnt vmcnt(28)
	v_fma_f64 v[127:128], v[127:128], v[123:124], v[121:122]
	ds_read2_b64 v[121:124], v120 offset0:99 offset1:100
	s_clause 0x1
	buffer_load_dword v155, off, s[0:3], 0 offset:424
	buffer_load_dword v156, off, s[0:3], 0 offset:428
	s_waitcnt vmcnt(28) lgkmcnt(0)
	v_fma_f64 v[121:122], v[131:132], v[121:122], v[127:128]
	s_clause 0x1
	buffer_load_dword v127, off, s[0:3], 0 offset:432
	buffer_load_dword v128, off, s[0:3], 0 offset:436
	s_waitcnt vmcnt(28)
	v_fma_f64 v[129:130], v[129:130], v[123:124], v[121:122]
	ds_read2_b64 v[121:124], v120 offset0:101 offset1:102
	s_clause 0x1
	buffer_load_dword v131, off, s[0:3], 0 offset:440
	buffer_load_dword v132, off, s[0:3], 0 offset:444
	s_waitcnt vmcnt(28) lgkmcnt(0)
	v_fma_f64 v[121:122], v[135:136], v[121:122], v[129:130]
	s_clause 0x1
	buffer_load_dword v130, off, s[0:3], 0 offset:452
	buffer_load_dword v129, off, s[0:3], 0 offset:448
	s_waitcnt vmcnt(28)
	v_fma_f64 v[133:134], v[133:134], v[123:124], v[121:122]
	ds_read2_b64 v[121:124], v120 offset0:103 offset1:104
	s_clause 0x1
	buffer_load_dword v135, off, s[0:3], 0 offset:456
	buffer_load_dword v136, off, s[0:3], 0 offset:460
	s_waitcnt vmcnt(28) lgkmcnt(0)
	v_fma_f64 v[121:122], v[139:140], v[121:122], v[133:134]
	s_clause 0x1
	buffer_load_dword v133, off, s[0:3], 0 offset:464
	buffer_load_dword v134, off, s[0:3], 0 offset:468
	s_waitcnt vmcnt(28)
	v_fma_f64 v[137:138], v[137:138], v[123:124], v[121:122]
	ds_read2_b64 v[121:124], v120 offset0:105 offset1:106
	s_clause 0x1
	buffer_load_dword v139, off, s[0:3], 0 offset:160
	buffer_load_dword v140, off, s[0:3], 0 offset:164
	s_waitcnt vmcnt(28) lgkmcnt(0)
	v_fma_f64 v[121:122], v[143:144], v[121:122], v[137:138]
	s_waitcnt vmcnt(26)
	v_fma_f64 v[137:138], v[141:142], v[123:124], v[121:122]
	ds_read2_b64 v[121:124], v120 offset0:107 offset1:108
	s_waitcnt vmcnt(24) lgkmcnt(0)
	v_fma_f64 v[121:122], v[147:148], v[121:122], v[137:138]
	s_waitcnt vmcnt(22)
	v_fma_f64 v[137:138], v[145:146], v[123:124], v[121:122]
	ds_read2_b64 v[121:124], v120 offset0:109 offset1:110
	;; [unrolled: 5-line block ×6, first 2 shown]
	s_waitcnt vmcnt(4) lgkmcnt(0)
	v_fma_f64 v[120:121], v[135:136], v[120:121], v[124:125]
	s_waitcnt vmcnt(2)
	v_fma_f64 v[120:121], v[133:134], v[122:123], v[120:121]
	s_waitcnt vmcnt(0)
	v_add_f64 v[120:121], v[139:140], -v[120:121]
	buffer_store_dword v121, off, s[0:3], 0 offset:164
	buffer_store_dword v120, off, s[0:3], 0 offset:160
	v_cmpx_lt_u32_e32 19, v0
	s_cbranch_execz .LBB58_325
; %bb.324:
	s_clause 0x1
	buffer_load_dword v120, off, s[0:3], 0 offset:152
	buffer_load_dword v121, off, s[0:3], 0 offset:156
	v_mov_b32_e32 v122, 0
	buffer_store_dword v122, off, s[0:3], 0 offset:152
	buffer_store_dword v122, off, s[0:3], 0 offset:156
	s_waitcnt vmcnt(0)
	ds_write_b64 v119, v[120:121]
.LBB58_325:
	s_or_b32 exec_lo, exec_lo, s4
	s_waitcnt lgkmcnt(0)
	s_waitcnt_vscnt null, 0x0
	s_barrier
	buffer_gl0_inv
	s_clause 0x1b
	buffer_load_dword v125, off, s[0:3], 0 offset:160
	buffer_load_dword v126, off, s[0:3], 0 offset:164
	;; [unrolled: 1-line block ×28, first 2 shown]
	v_mov_b32_e32 v120, 0
	s_mov_b32 s4, exec_lo
	ds_read_b128 v[121:124], v120 offset:640
	s_clause 0x1
	buffer_load_dword v153, off, s[0:3], 0 offset:272
	buffer_load_dword v154, off, s[0:3], 0 offset:276
	s_waitcnt vmcnt(28) lgkmcnt(0)
	v_fma_f64 v[121:122], v[125:126], v[121:122], 0
	s_clause 0x1
	buffer_load_dword v126, off, s[0:3], 0 offset:284
	buffer_load_dword v125, off, s[0:3], 0 offset:280
	s_waitcnt vmcnt(28)
	v_fma_f64 v[127:128], v[127:128], v[123:124], v[121:122]
	ds_read_b128 v[121:124], v120 offset:656
	s_clause 0x1
	buffer_load_dword v155, off, s[0:3], 0 offset:288
	buffer_load_dword v156, off, s[0:3], 0 offset:292
	s_waitcnt vmcnt(28) lgkmcnt(0)
	v_fma_f64 v[121:122], v[129:130], v[121:122], v[127:128]
	s_clause 0x1
	buffer_load_dword v127, off, s[0:3], 0 offset:296
	buffer_load_dword v128, off, s[0:3], 0 offset:300
	s_waitcnt vmcnt(28)
	v_fma_f64 v[129:130], v[131:132], v[123:124], v[121:122]
	;; [unrolled: 11-line block ×13, first 2 shown]
	ds_read_b128 v[121:124], v120 offset:848
	s_waitcnt vmcnt(26) lgkmcnt(0)
	v_fma_f64 v[121:122], v[147:148], v[121:122], v[141:142]
	s_waitcnt vmcnt(24)
	v_fma_f64 v[141:142], v[145:146], v[123:124], v[121:122]
	ds_read_b128 v[121:124], v120 offset:864
	s_waitcnt vmcnt(22) lgkmcnt(0)
	v_fma_f64 v[121:122], v[151:152], v[121:122], v[141:142]
	s_waitcnt vmcnt(20)
	v_fma_f64 v[141:142], v[149:150], v[123:124], v[121:122]
	;; [unrolled: 5-line block ×6, first 2 shown]
	ds_read_b64 v[123:124], v120 offset:944
	s_waitcnt vmcnt(2) lgkmcnt(0)
	v_fma_f64 v[121:122], v[139:140], v[123:124], v[121:122]
	s_waitcnt vmcnt(0)
	v_add_f64 v[121:122], v[137:138], -v[121:122]
	buffer_store_dword v122, off, s[0:3], 0 offset:156
	buffer_store_dword v121, off, s[0:3], 0 offset:152
	v_cmpx_lt_u32_e32 18, v0
	s_cbranch_execz .LBB58_327
; %bb.326:
	s_clause 0x1
	buffer_load_dword v121, off, s[0:3], 0 offset:144
	buffer_load_dword v122, off, s[0:3], 0 offset:148
	buffer_store_dword v120, off, s[0:3], 0 offset:144
	buffer_store_dword v120, off, s[0:3], 0 offset:148
	s_waitcnt vmcnt(0)
	ds_write_b64 v119, v[121:122]
.LBB58_327:
	s_or_b32 exec_lo, exec_lo, s4
	s_waitcnt lgkmcnt(0)
	s_waitcnt_vscnt null, 0x0
	s_barrier
	buffer_gl0_inv
	s_clause 0x1b
	buffer_load_dword v125, off, s[0:3], 0 offset:152
	buffer_load_dword v126, off, s[0:3], 0 offset:156
	;; [unrolled: 1-line block ×28, first 2 shown]
	ds_read2_b64 v[121:124], v120 offset0:79 offset1:80
	s_clause 0x1
	buffer_load_dword v153, off, s[0:3], 0 offset:264
	buffer_load_dword v154, off, s[0:3], 0 offset:268
	s_mov_b32 s4, exec_lo
	s_waitcnt vmcnt(28) lgkmcnt(0)
	v_fma_f64 v[121:122], v[125:126], v[121:122], 0
	s_clause 0x1
	buffer_load_dword v126, off, s[0:3], 0 offset:276
	buffer_load_dword v125, off, s[0:3], 0 offset:272
	s_waitcnt vmcnt(28)
	v_fma_f64 v[127:128], v[127:128], v[123:124], v[121:122]
	ds_read2_b64 v[121:124], v120 offset0:81 offset1:82
	s_clause 0x1
	buffer_load_dword v155, off, s[0:3], 0 offset:280
	buffer_load_dword v156, off, s[0:3], 0 offset:284
	s_waitcnt vmcnt(28) lgkmcnt(0)
	v_fma_f64 v[121:122], v[129:130], v[121:122], v[127:128]
	s_clause 0x1
	buffer_load_dword v127, off, s[0:3], 0 offset:288
	buffer_load_dword v128, off, s[0:3], 0 offset:292
	s_waitcnt vmcnt(28)
	v_fma_f64 v[129:130], v[131:132], v[123:124], v[121:122]
	ds_read2_b64 v[121:124], v120 offset0:83 offset1:84
	s_clause 0x1
	buffer_load_dword v131, off, s[0:3], 0 offset:296
	buffer_load_dword v132, off, s[0:3], 0 offset:300
	;; [unrolled: 11-line block ×13, first 2 shown]
	s_waitcnt vmcnt(28) lgkmcnt(0)
	v_fma_f64 v[121:122], v[147:148], v[121:122], v[141:142]
	s_waitcnt vmcnt(26)
	v_fma_f64 v[141:142], v[145:146], v[123:124], v[121:122]
	ds_read2_b64 v[121:124], v120 offset0:107 offset1:108
	s_waitcnt vmcnt(24) lgkmcnt(0)
	v_fma_f64 v[121:122], v[151:152], v[121:122], v[141:142]
	s_waitcnt vmcnt(22)
	v_fma_f64 v[141:142], v[149:150], v[123:124], v[121:122]
	ds_read2_b64 v[121:124], v120 offset0:109 offset1:110
	;; [unrolled: 5-line block ×6, first 2 shown]
	s_waitcnt vmcnt(4) lgkmcnt(0)
	v_fma_f64 v[120:121], v[139:140], v[120:121], v[124:125]
	s_waitcnt vmcnt(2)
	v_fma_f64 v[120:121], v[137:138], v[122:123], v[120:121]
	s_waitcnt vmcnt(0)
	v_add_f64 v[120:121], v[143:144], -v[120:121]
	buffer_store_dword v121, off, s[0:3], 0 offset:148
	buffer_store_dword v120, off, s[0:3], 0 offset:144
	v_cmpx_lt_u32_e32 17, v0
	s_cbranch_execz .LBB58_329
; %bb.328:
	s_clause 0x1
	buffer_load_dword v120, off, s[0:3], 0 offset:136
	buffer_load_dword v121, off, s[0:3], 0 offset:140
	v_mov_b32_e32 v122, 0
	buffer_store_dword v122, off, s[0:3], 0 offset:136
	buffer_store_dword v122, off, s[0:3], 0 offset:140
	s_waitcnt vmcnt(0)
	ds_write_b64 v119, v[120:121]
.LBB58_329:
	s_or_b32 exec_lo, exec_lo, s4
	s_waitcnt lgkmcnt(0)
	s_waitcnt_vscnt null, 0x0
	s_barrier
	buffer_gl0_inv
	s_clause 0x1b
	buffer_load_dword v125, off, s[0:3], 0 offset:144
	buffer_load_dword v126, off, s[0:3], 0 offset:148
	;; [unrolled: 1-line block ×28, first 2 shown]
	v_mov_b32_e32 v120, 0
	s_mov_b32 s4, exec_lo
	ds_read_b128 v[121:124], v120 offset:624
	s_clause 0x1
	buffer_load_dword v153, off, s[0:3], 0 offset:256
	buffer_load_dword v154, off, s[0:3], 0 offset:260
	s_waitcnt vmcnt(28) lgkmcnt(0)
	v_fma_f64 v[121:122], v[125:126], v[121:122], 0
	s_clause 0x1
	buffer_load_dword v126, off, s[0:3], 0 offset:268
	buffer_load_dword v125, off, s[0:3], 0 offset:264
	s_waitcnt vmcnt(28)
	v_fma_f64 v[127:128], v[127:128], v[123:124], v[121:122]
	ds_read_b128 v[121:124], v120 offset:640
	s_clause 0x1
	buffer_load_dword v155, off, s[0:3], 0 offset:272
	buffer_load_dword v156, off, s[0:3], 0 offset:276
	s_waitcnt vmcnt(28) lgkmcnt(0)
	v_fma_f64 v[121:122], v[129:130], v[121:122], v[127:128]
	s_clause 0x1
	buffer_load_dword v127, off, s[0:3], 0 offset:280
	buffer_load_dword v128, off, s[0:3], 0 offset:284
	s_waitcnt vmcnt(28)
	v_fma_f64 v[129:130], v[131:132], v[123:124], v[121:122]
	;; [unrolled: 11-line block ×14, first 2 shown]
	ds_read_b128 v[121:124], v120 offset:848
	s_waitcnt vmcnt(26) lgkmcnt(0)
	v_fma_f64 v[121:122], v[151:152], v[121:122], v[145:146]
	s_waitcnt vmcnt(24)
	v_fma_f64 v[145:146], v[149:150], v[123:124], v[121:122]
	ds_read_b128 v[121:124], v120 offset:864
	s_waitcnt vmcnt(22) lgkmcnt(0)
	v_fma_f64 v[121:122], v[153:154], v[121:122], v[145:146]
	s_waitcnt vmcnt(20)
	v_fma_f64 v[125:126], v[125:126], v[123:124], v[121:122]
	;; [unrolled: 5-line block ×6, first 2 shown]
	ds_read_b64 v[123:124], v120 offset:944
	s_waitcnt vmcnt(2) lgkmcnt(0)
	v_fma_f64 v[121:122], v[143:144], v[123:124], v[121:122]
	s_waitcnt vmcnt(0)
	v_add_f64 v[121:122], v[141:142], -v[121:122]
	buffer_store_dword v122, off, s[0:3], 0 offset:140
	buffer_store_dword v121, off, s[0:3], 0 offset:136
	v_cmpx_lt_u32_e32 16, v0
	s_cbranch_execz .LBB58_331
; %bb.330:
	s_clause 0x1
	buffer_load_dword v121, off, s[0:3], 0 offset:128
	buffer_load_dword v122, off, s[0:3], 0 offset:132
	buffer_store_dword v120, off, s[0:3], 0 offset:128
	buffer_store_dword v120, off, s[0:3], 0 offset:132
	s_waitcnt vmcnt(0)
	ds_write_b64 v119, v[121:122]
.LBB58_331:
	s_or_b32 exec_lo, exec_lo, s4
	s_waitcnt lgkmcnt(0)
	s_waitcnt_vscnt null, 0x0
	s_barrier
	buffer_gl0_inv
	s_clause 0x1b
	buffer_load_dword v125, off, s[0:3], 0 offset:136
	buffer_load_dword v126, off, s[0:3], 0 offset:140
	;; [unrolled: 1-line block ×28, first 2 shown]
	ds_read2_b64 v[121:124], v120 offset0:77 offset1:78
	s_clause 0x1
	buffer_load_dword v153, off, s[0:3], 0 offset:248
	buffer_load_dword v154, off, s[0:3], 0 offset:252
	s_mov_b32 s4, exec_lo
	s_waitcnt vmcnt(28) lgkmcnt(0)
	v_fma_f64 v[121:122], v[125:126], v[121:122], 0
	s_clause 0x1
	buffer_load_dword v126, off, s[0:3], 0 offset:260
	buffer_load_dword v125, off, s[0:3], 0 offset:256
	s_waitcnt vmcnt(28)
	v_fma_f64 v[127:128], v[127:128], v[123:124], v[121:122]
	ds_read2_b64 v[121:124], v120 offset0:79 offset1:80
	s_clause 0x1
	buffer_load_dword v155, off, s[0:3], 0 offset:264
	buffer_load_dword v156, off, s[0:3], 0 offset:268
	s_waitcnt vmcnt(28) lgkmcnt(0)
	v_fma_f64 v[121:122], v[129:130], v[121:122], v[127:128]
	s_clause 0x1
	buffer_load_dword v127, off, s[0:3], 0 offset:272
	buffer_load_dword v128, off, s[0:3], 0 offset:276
	s_waitcnt vmcnt(28)
	v_fma_f64 v[129:130], v[131:132], v[123:124], v[121:122]
	ds_read2_b64 v[121:124], v120 offset0:81 offset1:82
	s_clause 0x1
	buffer_load_dword v131, off, s[0:3], 0 offset:280
	buffer_load_dword v132, off, s[0:3], 0 offset:284
	;; [unrolled: 11-line block ×14, first 2 shown]
	s_waitcnt vmcnt(28) lgkmcnt(0)
	v_fma_f64 v[121:122], v[151:152], v[121:122], v[145:146]
	s_waitcnt vmcnt(26)
	v_fma_f64 v[145:146], v[149:150], v[123:124], v[121:122]
	ds_read2_b64 v[121:124], v120 offset0:107 offset1:108
	s_waitcnt vmcnt(24) lgkmcnt(0)
	v_fma_f64 v[121:122], v[153:154], v[121:122], v[145:146]
	s_waitcnt vmcnt(22)
	v_fma_f64 v[125:126], v[125:126], v[123:124], v[121:122]
	ds_read2_b64 v[121:124], v120 offset0:109 offset1:110
	;; [unrolled: 5-line block ×6, first 2 shown]
	s_waitcnt vmcnt(4) lgkmcnt(0)
	v_fma_f64 v[120:121], v[143:144], v[120:121], v[124:125]
	s_waitcnt vmcnt(2)
	v_fma_f64 v[120:121], v[141:142], v[122:123], v[120:121]
	s_waitcnt vmcnt(0)
	v_add_f64 v[120:121], v[147:148], -v[120:121]
	buffer_store_dword v121, off, s[0:3], 0 offset:132
	buffer_store_dword v120, off, s[0:3], 0 offset:128
	v_cmpx_lt_u32_e32 15, v0
	s_cbranch_execz .LBB58_333
; %bb.332:
	s_clause 0x1
	buffer_load_dword v120, off, s[0:3], 0 offset:120
	buffer_load_dword v121, off, s[0:3], 0 offset:124
	v_mov_b32_e32 v122, 0
	buffer_store_dword v122, off, s[0:3], 0 offset:120
	buffer_store_dword v122, off, s[0:3], 0 offset:124
	s_waitcnt vmcnt(0)
	ds_write_b64 v119, v[120:121]
.LBB58_333:
	s_or_b32 exec_lo, exec_lo, s4
	s_waitcnt lgkmcnt(0)
	s_waitcnt_vscnt null, 0x0
	s_barrier
	buffer_gl0_inv
	s_clause 0x1b
	buffer_load_dword v125, off, s[0:3], 0 offset:128
	buffer_load_dword v126, off, s[0:3], 0 offset:132
	;; [unrolled: 1-line block ×28, first 2 shown]
	v_mov_b32_e32 v120, 0
	s_mov_b32 s4, exec_lo
	ds_read_b128 v[121:124], v120 offset:608
	s_clause 0x1
	buffer_load_dword v153, off, s[0:3], 0 offset:240
	buffer_load_dword v154, off, s[0:3], 0 offset:244
	s_waitcnt vmcnt(28) lgkmcnt(0)
	v_fma_f64 v[121:122], v[125:126], v[121:122], 0
	s_clause 0x1
	buffer_load_dword v126, off, s[0:3], 0 offset:252
	buffer_load_dword v125, off, s[0:3], 0 offset:248
	s_waitcnt vmcnt(28)
	v_fma_f64 v[127:128], v[127:128], v[123:124], v[121:122]
	ds_read_b128 v[121:124], v120 offset:624
	s_clause 0x1
	buffer_load_dword v155, off, s[0:3], 0 offset:256
	buffer_load_dword v156, off, s[0:3], 0 offset:260
	s_waitcnt vmcnt(28) lgkmcnt(0)
	v_fma_f64 v[121:122], v[129:130], v[121:122], v[127:128]
	s_clause 0x1
	buffer_load_dword v127, off, s[0:3], 0 offset:264
	buffer_load_dword v128, off, s[0:3], 0 offset:268
	s_waitcnt vmcnt(28)
	v_fma_f64 v[129:130], v[131:132], v[123:124], v[121:122]
	;; [unrolled: 11-line block ×15, first 2 shown]
	ds_read_b128 v[121:124], v120 offset:848
	s_waitcnt vmcnt(26) lgkmcnt(0)
	v_fma_f64 v[121:122], v[153:154], v[121:122], v[149:150]
	s_waitcnt vmcnt(24)
	v_fma_f64 v[125:126], v[125:126], v[123:124], v[121:122]
	ds_read_b128 v[121:124], v120 offset:864
	s_waitcnt vmcnt(22) lgkmcnt(0)
	v_fma_f64 v[121:122], v[155:156], v[121:122], v[125:126]
	s_waitcnt vmcnt(20)
	v_fma_f64 v[125:126], v[127:128], v[123:124], v[121:122]
	;; [unrolled: 5-line block ×6, first 2 shown]
	ds_read_b64 v[123:124], v120 offset:944
	s_waitcnt vmcnt(2) lgkmcnt(0)
	v_fma_f64 v[121:122], v[147:148], v[123:124], v[121:122]
	s_waitcnt vmcnt(0)
	v_add_f64 v[121:122], v[145:146], -v[121:122]
	buffer_store_dword v122, off, s[0:3], 0 offset:124
	buffer_store_dword v121, off, s[0:3], 0 offset:120
	v_cmpx_lt_u32_e32 14, v0
	s_cbranch_execz .LBB58_335
; %bb.334:
	s_clause 0x1
	buffer_load_dword v121, off, s[0:3], 0 offset:112
	buffer_load_dword v122, off, s[0:3], 0 offset:116
	buffer_store_dword v120, off, s[0:3], 0 offset:112
	buffer_store_dword v120, off, s[0:3], 0 offset:116
	s_waitcnt vmcnt(0)
	ds_write_b64 v119, v[121:122]
.LBB58_335:
	s_or_b32 exec_lo, exec_lo, s4
	s_waitcnt lgkmcnt(0)
	s_waitcnt_vscnt null, 0x0
	s_barrier
	buffer_gl0_inv
	s_clause 0x1b
	buffer_load_dword v125, off, s[0:3], 0 offset:120
	buffer_load_dword v126, off, s[0:3], 0 offset:124
	;; [unrolled: 1-line block ×28, first 2 shown]
	ds_read2_b64 v[121:124], v120 offset0:75 offset1:76
	s_clause 0x1
	buffer_load_dword v153, off, s[0:3], 0 offset:232
	buffer_load_dword v154, off, s[0:3], 0 offset:236
	s_mov_b32 s4, exec_lo
	s_waitcnt vmcnt(28) lgkmcnt(0)
	v_fma_f64 v[121:122], v[125:126], v[121:122], 0
	s_clause 0x1
	buffer_load_dword v126, off, s[0:3], 0 offset:244
	buffer_load_dword v125, off, s[0:3], 0 offset:240
	s_waitcnt vmcnt(28)
	v_fma_f64 v[127:128], v[127:128], v[123:124], v[121:122]
	ds_read2_b64 v[121:124], v120 offset0:77 offset1:78
	s_clause 0x1
	buffer_load_dword v155, off, s[0:3], 0 offset:248
	buffer_load_dword v156, off, s[0:3], 0 offset:252
	s_waitcnt vmcnt(28) lgkmcnt(0)
	v_fma_f64 v[121:122], v[129:130], v[121:122], v[127:128]
	s_clause 0x1
	buffer_load_dword v127, off, s[0:3], 0 offset:256
	buffer_load_dword v128, off, s[0:3], 0 offset:260
	s_waitcnt vmcnt(28)
	v_fma_f64 v[129:130], v[131:132], v[123:124], v[121:122]
	ds_read2_b64 v[121:124], v120 offset0:79 offset1:80
	s_clause 0x1
	buffer_load_dword v131, off, s[0:3], 0 offset:264
	buffer_load_dword v132, off, s[0:3], 0 offset:268
	;; [unrolled: 11-line block ×15, first 2 shown]
	s_waitcnt vmcnt(28) lgkmcnt(0)
	v_fma_f64 v[121:122], v[153:154], v[121:122], v[149:150]
	s_waitcnt vmcnt(26)
	v_fma_f64 v[125:126], v[125:126], v[123:124], v[121:122]
	ds_read2_b64 v[121:124], v120 offset0:107 offset1:108
	s_waitcnt vmcnt(24) lgkmcnt(0)
	v_fma_f64 v[121:122], v[155:156], v[121:122], v[125:126]
	s_waitcnt vmcnt(22)
	v_fma_f64 v[125:126], v[127:128], v[123:124], v[121:122]
	ds_read2_b64 v[121:124], v120 offset0:109 offset1:110
	;; [unrolled: 5-line block ×6, first 2 shown]
	s_waitcnt vmcnt(4) lgkmcnt(0)
	v_fma_f64 v[120:121], v[147:148], v[120:121], v[124:125]
	s_waitcnt vmcnt(2)
	v_fma_f64 v[120:121], v[145:146], v[122:123], v[120:121]
	s_waitcnt vmcnt(0)
	v_add_f64 v[120:121], v[151:152], -v[120:121]
	buffer_store_dword v121, off, s[0:3], 0 offset:116
	buffer_store_dword v120, off, s[0:3], 0 offset:112
	v_cmpx_lt_u32_e32 13, v0
	s_cbranch_execz .LBB58_337
; %bb.336:
	s_clause 0x1
	buffer_load_dword v120, off, s[0:3], 0 offset:104
	buffer_load_dword v121, off, s[0:3], 0 offset:108
	v_mov_b32_e32 v122, 0
	buffer_store_dword v122, off, s[0:3], 0 offset:104
	buffer_store_dword v122, off, s[0:3], 0 offset:108
	s_waitcnt vmcnt(0)
	ds_write_b64 v119, v[120:121]
.LBB58_337:
	s_or_b32 exec_lo, exec_lo, s4
	s_waitcnt lgkmcnt(0)
	s_waitcnt_vscnt null, 0x0
	s_barrier
	buffer_gl0_inv
	s_clause 0x1b
	buffer_load_dword v125, off, s[0:3], 0 offset:112
	buffer_load_dword v126, off, s[0:3], 0 offset:116
	;; [unrolled: 1-line block ×28, first 2 shown]
	v_mov_b32_e32 v120, 0
	s_mov_b32 s4, exec_lo
	ds_read_b128 v[121:124], v120 offset:592
	s_clause 0x1
	buffer_load_dword v153, off, s[0:3], 0 offset:224
	buffer_load_dword v154, off, s[0:3], 0 offset:228
	s_waitcnt vmcnt(28) lgkmcnt(0)
	v_fma_f64 v[121:122], v[125:126], v[121:122], 0
	s_clause 0x1
	buffer_load_dword v126, off, s[0:3], 0 offset:236
	buffer_load_dword v125, off, s[0:3], 0 offset:232
	s_waitcnt vmcnt(28)
	v_fma_f64 v[127:128], v[127:128], v[123:124], v[121:122]
	ds_read_b128 v[121:124], v120 offset:608
	s_clause 0x1
	buffer_load_dword v155, off, s[0:3], 0 offset:240
	buffer_load_dword v156, off, s[0:3], 0 offset:244
	s_waitcnt vmcnt(28) lgkmcnt(0)
	v_fma_f64 v[121:122], v[129:130], v[121:122], v[127:128]
	s_clause 0x1
	buffer_load_dword v127, off, s[0:3], 0 offset:248
	buffer_load_dword v128, off, s[0:3], 0 offset:252
	s_waitcnt vmcnt(28)
	v_fma_f64 v[129:130], v[131:132], v[123:124], v[121:122]
	ds_read_b128 v[121:124], v120 offset:624
	s_clause 0x1
	buffer_load_dword v131, off, s[0:3], 0 offset:256
	buffer_load_dword v132, off, s[0:3], 0 offset:260
	s_waitcnt vmcnt(28) lgkmcnt(0)
	v_fma_f64 v[121:122], v[133:134], v[121:122], v[129:130]
	s_clause 0x1
	buffer_load_dword v130, off, s[0:3], 0 offset:268
	buffer_load_dword v129, off, s[0:3], 0 offset:264
	s_waitcnt vmcnt(28)
	v_fma_f64 v[133:134], v[135:136], v[123:124], v[121:122]
	ds_read_b128 v[121:124], v120 offset:640
	s_clause 0x1
	buffer_load_dword v135, off, s[0:3], 0 offset:272
	buffer_load_dword v136, off, s[0:3], 0 offset:276
	s_waitcnt vmcnt(28) lgkmcnt(0)
	v_fma_f64 v[121:122], v[137:138], v[121:122], v[133:134]
	s_clause 0x1
	buffer_load_dword v133, off, s[0:3], 0 offset:280
	buffer_load_dword v134, off, s[0:3], 0 offset:284
	s_waitcnt vmcnt(28)
	v_fma_f64 v[137:138], v[139:140], v[123:124], v[121:122]
	ds_read_b128 v[121:124], v120 offset:656
	s_clause 0x1
	buffer_load_dword v139, off, s[0:3], 0 offset:288
	buffer_load_dword v140, off, s[0:3], 0 offset:292
	s_waitcnt vmcnt(28) lgkmcnt(0)
	v_fma_f64 v[121:122], v[141:142], v[121:122], v[137:138]
	s_clause 0x1
	buffer_load_dword v138, off, s[0:3], 0 offset:300
	buffer_load_dword v137, off, s[0:3], 0 offset:296
	s_waitcnt vmcnt(28)
	v_fma_f64 v[141:142], v[143:144], v[123:124], v[121:122]
	ds_read_b128 v[121:124], v120 offset:672
	s_clause 0x1
	buffer_load_dword v143, off, s[0:3], 0 offset:304
	buffer_load_dword v144, off, s[0:3], 0 offset:308
	s_waitcnt vmcnt(28) lgkmcnt(0)
	v_fma_f64 v[121:122], v[145:146], v[121:122], v[141:142]
	s_clause 0x1
	buffer_load_dword v141, off, s[0:3], 0 offset:312
	buffer_load_dword v142, off, s[0:3], 0 offset:316
	s_waitcnt vmcnt(28)
	v_fma_f64 v[145:146], v[147:148], v[123:124], v[121:122]
	ds_read_b128 v[121:124], v120 offset:688
	s_clause 0x1
	buffer_load_dword v147, off, s[0:3], 0 offset:320
	buffer_load_dword v148, off, s[0:3], 0 offset:324
	s_waitcnt vmcnt(28) lgkmcnt(0)
	v_fma_f64 v[121:122], v[149:150], v[121:122], v[145:146]
	s_clause 0x1
	buffer_load_dword v146, off, s[0:3], 0 offset:332
	buffer_load_dword v145, off, s[0:3], 0 offset:328
	s_waitcnt vmcnt(28)
	v_fma_f64 v[149:150], v[151:152], v[123:124], v[121:122]
	ds_read_b128 v[121:124], v120 offset:704
	s_clause 0x1
	buffer_load_dword v151, off, s[0:3], 0 offset:336
	buffer_load_dword v152, off, s[0:3], 0 offset:340
	s_waitcnt vmcnt(28) lgkmcnt(0)
	v_fma_f64 v[121:122], v[153:154], v[121:122], v[149:150]
	s_clause 0x1
	buffer_load_dword v149, off, s[0:3], 0 offset:344
	buffer_load_dword v150, off, s[0:3], 0 offset:348
	s_waitcnt vmcnt(28)
	v_fma_f64 v[125:126], v[125:126], v[123:124], v[121:122]
	ds_read_b128 v[121:124], v120 offset:720
	s_clause 0x1
	buffer_load_dword v153, off, s[0:3], 0 offset:352
	buffer_load_dword v154, off, s[0:3], 0 offset:356
	s_waitcnt vmcnt(28) lgkmcnt(0)
	v_fma_f64 v[121:122], v[155:156], v[121:122], v[125:126]
	s_clause 0x1
	buffer_load_dword v126, off, s[0:3], 0 offset:364
	buffer_load_dword v125, off, s[0:3], 0 offset:360
	s_waitcnt vmcnt(28)
	v_fma_f64 v[127:128], v[127:128], v[123:124], v[121:122]
	ds_read_b128 v[121:124], v120 offset:736
	s_clause 0x1
	buffer_load_dword v155, off, s[0:3], 0 offset:368
	buffer_load_dword v156, off, s[0:3], 0 offset:372
	s_waitcnt vmcnt(28) lgkmcnt(0)
	v_fma_f64 v[121:122], v[131:132], v[121:122], v[127:128]
	s_clause 0x1
	buffer_load_dword v127, off, s[0:3], 0 offset:376
	buffer_load_dword v128, off, s[0:3], 0 offset:380
	s_waitcnt vmcnt(28)
	v_fma_f64 v[129:130], v[129:130], v[123:124], v[121:122]
	ds_read_b128 v[121:124], v120 offset:752
	s_clause 0x1
	buffer_load_dword v131, off, s[0:3], 0 offset:384
	buffer_load_dword v132, off, s[0:3], 0 offset:388
	s_waitcnt vmcnt(28) lgkmcnt(0)
	v_fma_f64 v[121:122], v[135:136], v[121:122], v[129:130]
	s_clause 0x1
	buffer_load_dword v130, off, s[0:3], 0 offset:396
	buffer_load_dword v129, off, s[0:3], 0 offset:392
	s_waitcnt vmcnt(28)
	v_fma_f64 v[133:134], v[133:134], v[123:124], v[121:122]
	ds_read_b128 v[121:124], v120 offset:768
	s_clause 0x1
	buffer_load_dword v135, off, s[0:3], 0 offset:400
	buffer_load_dword v136, off, s[0:3], 0 offset:404
	s_waitcnt vmcnt(28) lgkmcnt(0)
	v_fma_f64 v[121:122], v[139:140], v[121:122], v[133:134]
	s_clause 0x1
	buffer_load_dword v133, off, s[0:3], 0 offset:408
	buffer_load_dword v134, off, s[0:3], 0 offset:412
	s_waitcnt vmcnt(28)
	v_fma_f64 v[137:138], v[137:138], v[123:124], v[121:122]
	ds_read_b128 v[121:124], v120 offset:784
	s_clause 0x1
	buffer_load_dword v139, off, s[0:3], 0 offset:416
	buffer_load_dword v140, off, s[0:3], 0 offset:420
	s_waitcnt vmcnt(28) lgkmcnt(0)
	v_fma_f64 v[121:122], v[143:144], v[121:122], v[137:138]
	s_clause 0x1
	buffer_load_dword v138, off, s[0:3], 0 offset:428
	buffer_load_dword v137, off, s[0:3], 0 offset:424
	s_waitcnt vmcnt(28)
	v_fma_f64 v[141:142], v[141:142], v[123:124], v[121:122]
	ds_read_b128 v[121:124], v120 offset:800
	s_clause 0x1
	buffer_load_dword v143, off, s[0:3], 0 offset:432
	buffer_load_dword v144, off, s[0:3], 0 offset:436
	s_waitcnt vmcnt(28) lgkmcnt(0)
	v_fma_f64 v[121:122], v[147:148], v[121:122], v[141:142]
	s_clause 0x1
	buffer_load_dword v141, off, s[0:3], 0 offset:440
	buffer_load_dword v142, off, s[0:3], 0 offset:444
	s_waitcnt vmcnt(28)
	v_fma_f64 v[145:146], v[145:146], v[123:124], v[121:122]
	ds_read_b128 v[121:124], v120 offset:816
	s_clause 0x1
	buffer_load_dword v147, off, s[0:3], 0 offset:448
	buffer_load_dword v148, off, s[0:3], 0 offset:452
	s_waitcnt vmcnt(28) lgkmcnt(0)
	v_fma_f64 v[121:122], v[151:152], v[121:122], v[145:146]
	s_clause 0x1
	buffer_load_dword v146, off, s[0:3], 0 offset:460
	buffer_load_dword v145, off, s[0:3], 0 offset:456
	s_waitcnt vmcnt(28)
	v_fma_f64 v[149:150], v[149:150], v[123:124], v[121:122]
	ds_read_b128 v[121:124], v120 offset:832
	s_clause 0x1
	buffer_load_dword v151, off, s[0:3], 0 offset:464
	buffer_load_dword v152, off, s[0:3], 0 offset:468
	s_waitcnt vmcnt(28) lgkmcnt(0)
	v_fma_f64 v[121:122], v[153:154], v[121:122], v[149:150]
	s_clause 0x1
	buffer_load_dword v149, off, s[0:3], 0 offset:104
	buffer_load_dword v150, off, s[0:3], 0 offset:108
	s_waitcnt vmcnt(28)
	v_fma_f64 v[125:126], v[125:126], v[123:124], v[121:122]
	ds_read_b128 v[121:124], v120 offset:848
	s_waitcnt vmcnt(26) lgkmcnt(0)
	v_fma_f64 v[121:122], v[155:156], v[121:122], v[125:126]
	s_waitcnt vmcnt(24)
	v_fma_f64 v[125:126], v[127:128], v[123:124], v[121:122]
	ds_read_b128 v[121:124], v120 offset:864
	s_waitcnt vmcnt(22) lgkmcnt(0)
	v_fma_f64 v[121:122], v[131:132], v[121:122], v[125:126]
	s_waitcnt vmcnt(20)
	v_fma_f64 v[125:126], v[129:130], v[123:124], v[121:122]
	;; [unrolled: 5-line block ×6, first 2 shown]
	ds_read_b64 v[123:124], v120 offset:944
	s_waitcnt vmcnt(2) lgkmcnt(0)
	v_fma_f64 v[121:122], v[151:152], v[123:124], v[121:122]
	s_waitcnt vmcnt(0)
	v_add_f64 v[121:122], v[149:150], -v[121:122]
	buffer_store_dword v122, off, s[0:3], 0 offset:108
	buffer_store_dword v121, off, s[0:3], 0 offset:104
	v_cmpx_lt_u32_e32 12, v0
	s_cbranch_execz .LBB58_339
; %bb.338:
	s_clause 0x1
	buffer_load_dword v121, off, s[0:3], 0 offset:96
	buffer_load_dword v122, off, s[0:3], 0 offset:100
	buffer_store_dword v120, off, s[0:3], 0 offset:96
	buffer_store_dword v120, off, s[0:3], 0 offset:100
	s_waitcnt vmcnt(0)
	ds_write_b64 v119, v[121:122]
.LBB58_339:
	s_or_b32 exec_lo, exec_lo, s4
	s_waitcnt lgkmcnt(0)
	s_waitcnt_vscnt null, 0x0
	s_barrier
	buffer_gl0_inv
	s_clause 0x1b
	buffer_load_dword v125, off, s[0:3], 0 offset:104
	buffer_load_dword v126, off, s[0:3], 0 offset:108
	;; [unrolled: 1-line block ×28, first 2 shown]
	ds_read2_b64 v[121:124], v120 offset0:73 offset1:74
	s_clause 0x1
	buffer_load_dword v153, off, s[0:3], 0 offset:216
	buffer_load_dword v154, off, s[0:3], 0 offset:220
	s_mov_b32 s4, exec_lo
	s_waitcnt vmcnt(28) lgkmcnt(0)
	v_fma_f64 v[121:122], v[125:126], v[121:122], 0
	s_clause 0x1
	buffer_load_dword v126, off, s[0:3], 0 offset:228
	buffer_load_dword v125, off, s[0:3], 0 offset:224
	s_waitcnt vmcnt(28)
	v_fma_f64 v[127:128], v[127:128], v[123:124], v[121:122]
	ds_read2_b64 v[121:124], v120 offset0:75 offset1:76
	s_clause 0x1
	buffer_load_dword v155, off, s[0:3], 0 offset:232
	buffer_load_dword v156, off, s[0:3], 0 offset:236
	s_waitcnt vmcnt(28) lgkmcnt(0)
	v_fma_f64 v[121:122], v[129:130], v[121:122], v[127:128]
	s_clause 0x1
	buffer_load_dword v127, off, s[0:3], 0 offset:240
	buffer_load_dword v128, off, s[0:3], 0 offset:244
	s_waitcnt vmcnt(28)
	v_fma_f64 v[129:130], v[131:132], v[123:124], v[121:122]
	ds_read2_b64 v[121:124], v120 offset0:77 offset1:78
	s_clause 0x1
	buffer_load_dword v131, off, s[0:3], 0 offset:248
	buffer_load_dword v132, off, s[0:3], 0 offset:252
	;; [unrolled: 11-line block ×16, first 2 shown]
	s_waitcnt vmcnt(28) lgkmcnt(0)
	v_fma_f64 v[121:122], v[155:156], v[121:122], v[125:126]
	s_waitcnt vmcnt(26)
	v_fma_f64 v[125:126], v[127:128], v[123:124], v[121:122]
	ds_read2_b64 v[121:124], v120 offset0:107 offset1:108
	s_waitcnt vmcnt(24) lgkmcnt(0)
	v_fma_f64 v[121:122], v[131:132], v[121:122], v[125:126]
	s_waitcnt vmcnt(22)
	v_fma_f64 v[125:126], v[129:130], v[123:124], v[121:122]
	ds_read2_b64 v[121:124], v120 offset0:109 offset1:110
	;; [unrolled: 5-line block ×6, first 2 shown]
	s_waitcnt vmcnt(4) lgkmcnt(0)
	v_fma_f64 v[120:121], v[151:152], v[120:121], v[124:125]
	s_waitcnt vmcnt(2)
	v_fma_f64 v[120:121], v[149:150], v[122:123], v[120:121]
	s_waitcnt vmcnt(0)
	v_add_f64 v[120:121], v[153:154], -v[120:121]
	buffer_store_dword v121, off, s[0:3], 0 offset:100
	buffer_store_dword v120, off, s[0:3], 0 offset:96
	v_cmpx_lt_u32_e32 11, v0
	s_cbranch_execz .LBB58_341
; %bb.340:
	s_clause 0x1
	buffer_load_dword v120, off, s[0:3], 0 offset:88
	buffer_load_dword v121, off, s[0:3], 0 offset:92
	v_mov_b32_e32 v122, 0
	buffer_store_dword v122, off, s[0:3], 0 offset:88
	buffer_store_dword v122, off, s[0:3], 0 offset:92
	s_waitcnt vmcnt(0)
	ds_write_b64 v119, v[120:121]
.LBB58_341:
	s_or_b32 exec_lo, exec_lo, s4
	s_waitcnt lgkmcnt(0)
	s_waitcnt_vscnt null, 0x0
	s_barrier
	buffer_gl0_inv
	s_clause 0x1b
	buffer_load_dword v125, off, s[0:3], 0 offset:96
	buffer_load_dword v126, off, s[0:3], 0 offset:100
	;; [unrolled: 1-line block ×28, first 2 shown]
	v_mov_b32_e32 v120, 0
	s_mov_b32 s4, exec_lo
	ds_read_b128 v[121:124], v120 offset:576
	s_clause 0x1
	buffer_load_dword v153, off, s[0:3], 0 offset:208
	buffer_load_dword v154, off, s[0:3], 0 offset:212
	s_waitcnt vmcnt(28) lgkmcnt(0)
	v_fma_f64 v[121:122], v[125:126], v[121:122], 0
	s_clause 0x1
	buffer_load_dword v126, off, s[0:3], 0 offset:220
	buffer_load_dword v125, off, s[0:3], 0 offset:216
	s_waitcnt vmcnt(28)
	v_fma_f64 v[127:128], v[127:128], v[123:124], v[121:122]
	ds_read_b128 v[121:124], v120 offset:592
	s_clause 0x1
	buffer_load_dword v155, off, s[0:3], 0 offset:224
	buffer_load_dword v156, off, s[0:3], 0 offset:228
	s_waitcnt vmcnt(28) lgkmcnt(0)
	v_fma_f64 v[121:122], v[129:130], v[121:122], v[127:128]
	s_clause 0x1
	buffer_load_dword v127, off, s[0:3], 0 offset:232
	buffer_load_dword v128, off, s[0:3], 0 offset:236
	s_waitcnt vmcnt(28)
	v_fma_f64 v[129:130], v[131:132], v[123:124], v[121:122]
	;; [unrolled: 11-line block ×17, first 2 shown]
	ds_read_b128 v[121:124], v120 offset:848
	s_waitcnt vmcnt(26) lgkmcnt(0)
	v_fma_f64 v[121:122], v[131:132], v[121:122], v[127:128]
	s_waitcnt vmcnt(24)
	v_fma_f64 v[127:128], v[129:130], v[123:124], v[121:122]
	ds_read_b128 v[121:124], v120 offset:864
	s_waitcnt vmcnt(22) lgkmcnt(0)
	v_fma_f64 v[121:122], v[135:136], v[121:122], v[127:128]
	s_waitcnt vmcnt(20)
	v_fma_f64 v[127:128], v[133:134], v[123:124], v[121:122]
	;; [unrolled: 5-line block ×6, first 2 shown]
	ds_read_b64 v[123:124], v120 offset:944
	s_waitcnt vmcnt(2) lgkmcnt(0)
	v_fma_f64 v[121:122], v[153:154], v[123:124], v[121:122]
	s_waitcnt vmcnt(0)
	v_add_f64 v[121:122], v[125:126], -v[121:122]
	buffer_store_dword v122, off, s[0:3], 0 offset:92
	buffer_store_dword v121, off, s[0:3], 0 offset:88
	v_cmpx_lt_u32_e32 10, v0
	s_cbranch_execz .LBB58_343
; %bb.342:
	s_clause 0x1
	buffer_load_dword v121, off, s[0:3], 0 offset:80
	buffer_load_dword v122, off, s[0:3], 0 offset:84
	buffer_store_dword v120, off, s[0:3], 0 offset:80
	buffer_store_dword v120, off, s[0:3], 0 offset:84
	s_waitcnt vmcnt(0)
	ds_write_b64 v119, v[121:122]
.LBB58_343:
	s_or_b32 exec_lo, exec_lo, s4
	s_waitcnt lgkmcnt(0)
	s_waitcnt_vscnt null, 0x0
	s_barrier
	buffer_gl0_inv
	s_clause 0x1b
	buffer_load_dword v125, off, s[0:3], 0 offset:88
	buffer_load_dword v126, off, s[0:3], 0 offset:92
	;; [unrolled: 1-line block ×28, first 2 shown]
	ds_read2_b64 v[121:124], v120 offset0:71 offset1:72
	s_clause 0x1
	buffer_load_dword v153, off, s[0:3], 0 offset:200
	buffer_load_dword v154, off, s[0:3], 0 offset:204
	s_mov_b32 s4, exec_lo
	s_waitcnt vmcnt(28) lgkmcnt(0)
	v_fma_f64 v[121:122], v[125:126], v[121:122], 0
	s_clause 0x1
	buffer_load_dword v126, off, s[0:3], 0 offset:212
	buffer_load_dword v125, off, s[0:3], 0 offset:208
	s_waitcnt vmcnt(28)
	v_fma_f64 v[127:128], v[127:128], v[123:124], v[121:122]
	ds_read2_b64 v[121:124], v120 offset0:73 offset1:74
	s_clause 0x1
	buffer_load_dword v155, off, s[0:3], 0 offset:216
	buffer_load_dword v156, off, s[0:3], 0 offset:220
	s_waitcnt vmcnt(28) lgkmcnt(0)
	v_fma_f64 v[121:122], v[129:130], v[121:122], v[127:128]
	s_clause 0x1
	buffer_load_dword v127, off, s[0:3], 0 offset:224
	buffer_load_dword v128, off, s[0:3], 0 offset:228
	s_waitcnt vmcnt(28)
	v_fma_f64 v[129:130], v[131:132], v[123:124], v[121:122]
	ds_read2_b64 v[121:124], v120 offset0:75 offset1:76
	s_clause 0x1
	buffer_load_dword v131, off, s[0:3], 0 offset:232
	buffer_load_dword v132, off, s[0:3], 0 offset:236
	;; [unrolled: 11-line block ×17, first 2 shown]
	s_waitcnt vmcnt(28) lgkmcnt(0)
	v_fma_f64 v[121:122], v[131:132], v[121:122], v[127:128]
	s_waitcnt vmcnt(26)
	v_fma_f64 v[127:128], v[129:130], v[123:124], v[121:122]
	ds_read2_b64 v[121:124], v120 offset0:107 offset1:108
	s_waitcnt vmcnt(24) lgkmcnt(0)
	v_fma_f64 v[121:122], v[135:136], v[121:122], v[127:128]
	s_waitcnt vmcnt(22)
	v_fma_f64 v[127:128], v[133:134], v[123:124], v[121:122]
	ds_read2_b64 v[121:124], v120 offset0:109 offset1:110
	;; [unrolled: 5-line block ×6, first 2 shown]
	s_waitcnt vmcnt(4) lgkmcnt(0)
	v_fma_f64 v[120:121], v[153:154], v[120:121], v[127:128]
	s_waitcnt vmcnt(2)
	v_fma_f64 v[120:121], v[125:126], v[122:123], v[120:121]
	s_waitcnt vmcnt(0)
	v_add_f64 v[120:121], v[155:156], -v[120:121]
	buffer_store_dword v121, off, s[0:3], 0 offset:84
	buffer_store_dword v120, off, s[0:3], 0 offset:80
	v_cmpx_lt_u32_e32 9, v0
	s_cbranch_execz .LBB58_345
; %bb.344:
	s_clause 0x1
	buffer_load_dword v120, off, s[0:3], 0 offset:72
	buffer_load_dword v121, off, s[0:3], 0 offset:76
	v_mov_b32_e32 v122, 0
	buffer_store_dword v122, off, s[0:3], 0 offset:72
	buffer_store_dword v122, off, s[0:3], 0 offset:76
	s_waitcnt vmcnt(0)
	ds_write_b64 v119, v[120:121]
.LBB58_345:
	s_or_b32 exec_lo, exec_lo, s4
	s_waitcnt lgkmcnt(0)
	s_waitcnt_vscnt null, 0x0
	s_barrier
	buffer_gl0_inv
	s_clause 0x1b
	buffer_load_dword v125, off, s[0:3], 0 offset:80
	buffer_load_dword v126, off, s[0:3], 0 offset:84
	;; [unrolled: 1-line block ×28, first 2 shown]
	v_mov_b32_e32 v120, 0
	s_mov_b32 s4, exec_lo
	ds_read_b128 v[121:124], v120 offset:560
	s_clause 0x1
	buffer_load_dword v153, off, s[0:3], 0 offset:192
	buffer_load_dword v154, off, s[0:3], 0 offset:196
	s_waitcnt vmcnt(28) lgkmcnt(0)
	v_fma_f64 v[121:122], v[125:126], v[121:122], 0
	s_clause 0x1
	buffer_load_dword v126, off, s[0:3], 0 offset:204
	buffer_load_dword v125, off, s[0:3], 0 offset:200
	s_waitcnt vmcnt(28)
	v_fma_f64 v[127:128], v[127:128], v[123:124], v[121:122]
	ds_read_b128 v[121:124], v120 offset:576
	s_clause 0x1
	buffer_load_dword v155, off, s[0:3], 0 offset:208
	buffer_load_dword v156, off, s[0:3], 0 offset:212
	s_waitcnt vmcnt(28) lgkmcnt(0)
	v_fma_f64 v[121:122], v[129:130], v[121:122], v[127:128]
	s_clause 0x1
	buffer_load_dword v127, off, s[0:3], 0 offset:216
	buffer_load_dword v128, off, s[0:3], 0 offset:220
	s_waitcnt vmcnt(28)
	v_fma_f64 v[129:130], v[131:132], v[123:124], v[121:122]
	;; [unrolled: 11-line block ×18, first 2 shown]
	ds_read_b128 v[121:124], v120 offset:848
	s_waitcnt vmcnt(26) lgkmcnt(0)
	v_fma_f64 v[121:122], v[135:136], v[121:122], v[129:130]
	s_waitcnt vmcnt(24)
	v_fma_f64 v[129:130], v[133:134], v[123:124], v[121:122]
	ds_read_b128 v[121:124], v120 offset:864
	s_waitcnt vmcnt(22) lgkmcnt(0)
	v_fma_f64 v[121:122], v[139:140], v[121:122], v[129:130]
	s_waitcnt vmcnt(20)
	v_fma_f64 v[129:130], v[137:138], v[123:124], v[121:122]
	;; [unrolled: 5-line block ×6, first 2 shown]
	ds_read_b64 v[123:124], v120 offset:944
	s_waitcnt vmcnt(2) lgkmcnt(0)
	v_fma_f64 v[121:122], v[155:156], v[123:124], v[121:122]
	s_waitcnt vmcnt(0)
	v_add_f64 v[121:122], v[127:128], -v[121:122]
	buffer_store_dword v122, off, s[0:3], 0 offset:76
	buffer_store_dword v121, off, s[0:3], 0 offset:72
	v_cmpx_lt_u32_e32 8, v0
	s_cbranch_execz .LBB58_347
; %bb.346:
	s_clause 0x1
	buffer_load_dword v121, off, s[0:3], 0 offset:64
	buffer_load_dword v122, off, s[0:3], 0 offset:68
	buffer_store_dword v120, off, s[0:3], 0 offset:64
	buffer_store_dword v120, off, s[0:3], 0 offset:68
	s_waitcnt vmcnt(0)
	ds_write_b64 v119, v[121:122]
.LBB58_347:
	s_or_b32 exec_lo, exec_lo, s4
	s_waitcnt lgkmcnt(0)
	s_waitcnt_vscnt null, 0x0
	s_barrier
	buffer_gl0_inv
	s_clause 0x1b
	buffer_load_dword v125, off, s[0:3], 0 offset:72
	buffer_load_dword v126, off, s[0:3], 0 offset:76
	;; [unrolled: 1-line block ×28, first 2 shown]
	ds_read2_b64 v[121:124], v120 offset0:69 offset1:70
	s_clause 0x1
	buffer_load_dword v153, off, s[0:3], 0 offset:184
	buffer_load_dword v154, off, s[0:3], 0 offset:188
	s_mov_b32 s4, exec_lo
	s_waitcnt vmcnt(28) lgkmcnt(0)
	v_fma_f64 v[121:122], v[125:126], v[121:122], 0
	s_clause 0x1
	buffer_load_dword v126, off, s[0:3], 0 offset:196
	buffer_load_dword v125, off, s[0:3], 0 offset:192
	s_waitcnt vmcnt(28)
	v_fma_f64 v[127:128], v[127:128], v[123:124], v[121:122]
	ds_read2_b64 v[121:124], v120 offset0:71 offset1:72
	s_clause 0x1
	buffer_load_dword v155, off, s[0:3], 0 offset:200
	buffer_load_dword v156, off, s[0:3], 0 offset:204
	s_waitcnt vmcnt(28) lgkmcnt(0)
	v_fma_f64 v[121:122], v[129:130], v[121:122], v[127:128]
	s_clause 0x1
	buffer_load_dword v127, off, s[0:3], 0 offset:208
	buffer_load_dword v128, off, s[0:3], 0 offset:212
	s_waitcnt vmcnt(28)
	v_fma_f64 v[129:130], v[131:132], v[123:124], v[121:122]
	ds_read2_b64 v[121:124], v120 offset0:73 offset1:74
	s_clause 0x1
	buffer_load_dword v131, off, s[0:3], 0 offset:216
	buffer_load_dword v132, off, s[0:3], 0 offset:220
	s_waitcnt vmcnt(28) lgkmcnt(0)
	v_fma_f64 v[121:122], v[133:134], v[121:122], v[129:130]
	s_clause 0x1
	buffer_load_dword v130, off, s[0:3], 0 offset:228
	buffer_load_dword v129, off, s[0:3], 0 offset:224
	s_waitcnt vmcnt(28)
	v_fma_f64 v[133:134], v[135:136], v[123:124], v[121:122]
	ds_read2_b64 v[121:124], v120 offset0:75 offset1:76
	s_clause 0x1
	buffer_load_dword v135, off, s[0:3], 0 offset:232
	buffer_load_dword v136, off, s[0:3], 0 offset:236
	s_waitcnt vmcnt(28) lgkmcnt(0)
	v_fma_f64 v[121:122], v[137:138], v[121:122], v[133:134]
	s_clause 0x1
	buffer_load_dword v133, off, s[0:3], 0 offset:240
	buffer_load_dword v134, off, s[0:3], 0 offset:244
	s_waitcnt vmcnt(28)
	v_fma_f64 v[137:138], v[139:140], v[123:124], v[121:122]
	ds_read2_b64 v[121:124], v120 offset0:77 offset1:78
	s_clause 0x1
	buffer_load_dword v139, off, s[0:3], 0 offset:248
	buffer_load_dword v140, off, s[0:3], 0 offset:252
	s_waitcnt vmcnt(28) lgkmcnt(0)
	v_fma_f64 v[121:122], v[141:142], v[121:122], v[137:138]
	s_clause 0x1
	buffer_load_dword v138, off, s[0:3], 0 offset:260
	buffer_load_dword v137, off, s[0:3], 0 offset:256
	s_waitcnt vmcnt(28)
	v_fma_f64 v[141:142], v[143:144], v[123:124], v[121:122]
	ds_read2_b64 v[121:124], v120 offset0:79 offset1:80
	s_clause 0x1
	buffer_load_dword v143, off, s[0:3], 0 offset:264
	buffer_load_dword v144, off, s[0:3], 0 offset:268
	s_waitcnt vmcnt(28) lgkmcnt(0)
	v_fma_f64 v[121:122], v[145:146], v[121:122], v[141:142]
	s_clause 0x1
	buffer_load_dword v141, off, s[0:3], 0 offset:272
	buffer_load_dword v142, off, s[0:3], 0 offset:276
	s_waitcnt vmcnt(28)
	v_fma_f64 v[145:146], v[147:148], v[123:124], v[121:122]
	ds_read2_b64 v[121:124], v120 offset0:81 offset1:82
	s_clause 0x1
	buffer_load_dword v147, off, s[0:3], 0 offset:280
	buffer_load_dword v148, off, s[0:3], 0 offset:284
	s_waitcnt vmcnt(28) lgkmcnt(0)
	v_fma_f64 v[121:122], v[149:150], v[121:122], v[145:146]
	s_clause 0x1
	buffer_load_dword v146, off, s[0:3], 0 offset:292
	buffer_load_dword v145, off, s[0:3], 0 offset:288
	s_waitcnt vmcnt(28)
	v_fma_f64 v[149:150], v[151:152], v[123:124], v[121:122]
	ds_read2_b64 v[121:124], v120 offset0:83 offset1:84
	s_clause 0x1
	buffer_load_dword v151, off, s[0:3], 0 offset:296
	buffer_load_dword v152, off, s[0:3], 0 offset:300
	s_waitcnt vmcnt(28) lgkmcnt(0)
	v_fma_f64 v[121:122], v[153:154], v[121:122], v[149:150]
	s_clause 0x1
	buffer_load_dword v149, off, s[0:3], 0 offset:304
	buffer_load_dword v150, off, s[0:3], 0 offset:308
	s_waitcnt vmcnt(28)
	v_fma_f64 v[125:126], v[125:126], v[123:124], v[121:122]
	ds_read2_b64 v[121:124], v120 offset0:85 offset1:86
	s_clause 0x1
	buffer_load_dword v153, off, s[0:3], 0 offset:312
	buffer_load_dword v154, off, s[0:3], 0 offset:316
	s_waitcnt vmcnt(28) lgkmcnt(0)
	v_fma_f64 v[121:122], v[155:156], v[121:122], v[125:126]
	s_clause 0x1
	buffer_load_dword v126, off, s[0:3], 0 offset:324
	buffer_load_dword v125, off, s[0:3], 0 offset:320
	s_waitcnt vmcnt(28)
	v_fma_f64 v[127:128], v[127:128], v[123:124], v[121:122]
	ds_read2_b64 v[121:124], v120 offset0:87 offset1:88
	s_clause 0x1
	buffer_load_dword v155, off, s[0:3], 0 offset:328
	buffer_load_dword v156, off, s[0:3], 0 offset:332
	s_waitcnt vmcnt(28) lgkmcnt(0)
	v_fma_f64 v[121:122], v[131:132], v[121:122], v[127:128]
	s_clause 0x1
	buffer_load_dword v127, off, s[0:3], 0 offset:336
	buffer_load_dword v128, off, s[0:3], 0 offset:340
	s_waitcnt vmcnt(28)
	v_fma_f64 v[129:130], v[129:130], v[123:124], v[121:122]
	ds_read2_b64 v[121:124], v120 offset0:89 offset1:90
	s_clause 0x1
	buffer_load_dword v131, off, s[0:3], 0 offset:344
	buffer_load_dword v132, off, s[0:3], 0 offset:348
	s_waitcnt vmcnt(28) lgkmcnt(0)
	v_fma_f64 v[121:122], v[135:136], v[121:122], v[129:130]
	s_clause 0x1
	buffer_load_dword v130, off, s[0:3], 0 offset:356
	buffer_load_dword v129, off, s[0:3], 0 offset:352
	s_waitcnt vmcnt(28)
	v_fma_f64 v[133:134], v[133:134], v[123:124], v[121:122]
	ds_read2_b64 v[121:124], v120 offset0:91 offset1:92
	s_clause 0x1
	buffer_load_dword v135, off, s[0:3], 0 offset:360
	buffer_load_dword v136, off, s[0:3], 0 offset:364
	s_waitcnt vmcnt(28) lgkmcnt(0)
	v_fma_f64 v[121:122], v[139:140], v[121:122], v[133:134]
	s_clause 0x1
	buffer_load_dword v133, off, s[0:3], 0 offset:368
	buffer_load_dword v134, off, s[0:3], 0 offset:372
	s_waitcnt vmcnt(28)
	v_fma_f64 v[137:138], v[137:138], v[123:124], v[121:122]
	ds_read2_b64 v[121:124], v120 offset0:93 offset1:94
	s_clause 0x1
	buffer_load_dword v139, off, s[0:3], 0 offset:376
	buffer_load_dword v140, off, s[0:3], 0 offset:380
	s_waitcnt vmcnt(28) lgkmcnt(0)
	v_fma_f64 v[121:122], v[143:144], v[121:122], v[137:138]
	s_clause 0x1
	buffer_load_dword v138, off, s[0:3], 0 offset:388
	buffer_load_dword v137, off, s[0:3], 0 offset:384
	s_waitcnt vmcnt(28)
	v_fma_f64 v[141:142], v[141:142], v[123:124], v[121:122]
	ds_read2_b64 v[121:124], v120 offset0:95 offset1:96
	s_clause 0x1
	buffer_load_dword v143, off, s[0:3], 0 offset:392
	buffer_load_dword v144, off, s[0:3], 0 offset:396
	s_waitcnt vmcnt(28) lgkmcnt(0)
	v_fma_f64 v[121:122], v[147:148], v[121:122], v[141:142]
	s_clause 0x1
	buffer_load_dword v141, off, s[0:3], 0 offset:400
	buffer_load_dword v142, off, s[0:3], 0 offset:404
	s_waitcnt vmcnt(28)
	v_fma_f64 v[145:146], v[145:146], v[123:124], v[121:122]
	ds_read2_b64 v[121:124], v120 offset0:97 offset1:98
	s_clause 0x1
	buffer_load_dword v147, off, s[0:3], 0 offset:408
	buffer_load_dword v148, off, s[0:3], 0 offset:412
	s_waitcnt vmcnt(28) lgkmcnt(0)
	v_fma_f64 v[121:122], v[151:152], v[121:122], v[145:146]
	s_clause 0x1
	buffer_load_dword v146, off, s[0:3], 0 offset:420
	buffer_load_dword v145, off, s[0:3], 0 offset:416
	s_waitcnt vmcnt(28)
	v_fma_f64 v[149:150], v[149:150], v[123:124], v[121:122]
	ds_read2_b64 v[121:124], v120 offset0:99 offset1:100
	s_clause 0x1
	buffer_load_dword v151, off, s[0:3], 0 offset:424
	buffer_load_dword v152, off, s[0:3], 0 offset:428
	s_waitcnt vmcnt(28) lgkmcnt(0)
	v_fma_f64 v[121:122], v[153:154], v[121:122], v[149:150]
	s_clause 0x1
	buffer_load_dword v149, off, s[0:3], 0 offset:432
	buffer_load_dword v150, off, s[0:3], 0 offset:436
	s_waitcnt vmcnt(28)
	v_fma_f64 v[125:126], v[125:126], v[123:124], v[121:122]
	ds_read2_b64 v[121:124], v120 offset0:101 offset1:102
	s_clause 0x1
	buffer_load_dword v153, off, s[0:3], 0 offset:440
	buffer_load_dword v154, off, s[0:3], 0 offset:444
	s_waitcnt vmcnt(28) lgkmcnt(0)
	v_fma_f64 v[121:122], v[155:156], v[121:122], v[125:126]
	s_clause 0x1
	buffer_load_dword v126, off, s[0:3], 0 offset:452
	buffer_load_dword v125, off, s[0:3], 0 offset:448
	s_waitcnt vmcnt(28)
	v_fma_f64 v[127:128], v[127:128], v[123:124], v[121:122]
	ds_read2_b64 v[121:124], v120 offset0:103 offset1:104
	s_clause 0x1
	buffer_load_dword v155, off, s[0:3], 0 offset:456
	buffer_load_dword v156, off, s[0:3], 0 offset:460
	s_waitcnt vmcnt(28) lgkmcnt(0)
	v_fma_f64 v[121:122], v[131:132], v[121:122], v[127:128]
	s_clause 0x1
	buffer_load_dword v127, off, s[0:3], 0 offset:464
	buffer_load_dword v128, off, s[0:3], 0 offset:468
	s_waitcnt vmcnt(28)
	v_fma_f64 v[129:130], v[129:130], v[123:124], v[121:122]
	ds_read2_b64 v[121:124], v120 offset0:105 offset1:106
	s_clause 0x1
	buffer_load_dword v131, off, s[0:3], 0 offset:64
	buffer_load_dword v132, off, s[0:3], 0 offset:68
	s_waitcnt vmcnt(28) lgkmcnt(0)
	v_fma_f64 v[121:122], v[135:136], v[121:122], v[129:130]
	s_waitcnt vmcnt(26)
	v_fma_f64 v[129:130], v[133:134], v[123:124], v[121:122]
	ds_read2_b64 v[121:124], v120 offset0:107 offset1:108
	s_waitcnt vmcnt(24) lgkmcnt(0)
	v_fma_f64 v[121:122], v[139:140], v[121:122], v[129:130]
	s_waitcnt vmcnt(22)
	v_fma_f64 v[129:130], v[137:138], v[123:124], v[121:122]
	ds_read2_b64 v[121:124], v120 offset0:109 offset1:110
	;; [unrolled: 5-line block ×6, first 2 shown]
	s_waitcnt vmcnt(4) lgkmcnt(0)
	v_fma_f64 v[120:121], v[155:156], v[120:121], v[124:125]
	s_waitcnt vmcnt(2)
	v_fma_f64 v[120:121], v[127:128], v[122:123], v[120:121]
	s_waitcnt vmcnt(0)
	v_add_f64 v[120:121], v[131:132], -v[120:121]
	buffer_store_dword v121, off, s[0:3], 0 offset:68
	buffer_store_dword v120, off, s[0:3], 0 offset:64
	v_cmpx_lt_u32_e32 7, v0
	s_cbranch_execz .LBB58_349
; %bb.348:
	s_clause 0x1
	buffer_load_dword v120, off, s[0:3], 0 offset:56
	buffer_load_dword v121, off, s[0:3], 0 offset:60
	v_mov_b32_e32 v122, 0
	buffer_store_dword v122, off, s[0:3], 0 offset:56
	buffer_store_dword v122, off, s[0:3], 0 offset:60
	s_waitcnt vmcnt(0)
	ds_write_b64 v119, v[120:121]
.LBB58_349:
	s_or_b32 exec_lo, exec_lo, s4
	s_waitcnt lgkmcnt(0)
	s_waitcnt_vscnt null, 0x0
	s_barrier
	buffer_gl0_inv
	s_clause 0x1b
	buffer_load_dword v125, off, s[0:3], 0 offset:64
	buffer_load_dword v126, off, s[0:3], 0 offset:68
	buffer_load_dword v127, off, s[0:3], 0 offset:72
	buffer_load_dword v128, off, s[0:3], 0 offset:76
	buffer_load_dword v129, off, s[0:3], 0 offset:80
	buffer_load_dword v130, off, s[0:3], 0 offset:84
	buffer_load_dword v131, off, s[0:3], 0 offset:88
	buffer_load_dword v132, off, s[0:3], 0 offset:92
	buffer_load_dword v133, off, s[0:3], 0 offset:96
	buffer_load_dword v134, off, s[0:3], 0 offset:100
	buffer_load_dword v135, off, s[0:3], 0 offset:104
	buffer_load_dword v136, off, s[0:3], 0 offset:108
	buffer_load_dword v137, off, s[0:3], 0 offset:112
	buffer_load_dword v138, off, s[0:3], 0 offset:116
	buffer_load_dword v140, off, s[0:3], 0 offset:124
	buffer_load_dword v139, off, s[0:3], 0 offset:120
	buffer_load_dword v141, off, s[0:3], 0 offset:128
	buffer_load_dword v142, off, s[0:3], 0 offset:132
	buffer_load_dword v143, off, s[0:3], 0 offset:136
	buffer_load_dword v144, off, s[0:3], 0 offset:140
	buffer_load_dword v145, off, s[0:3], 0 offset:144
	buffer_load_dword v146, off, s[0:3], 0 offset:148
	buffer_load_dword v148, off, s[0:3], 0 offset:156
	buffer_load_dword v147, off, s[0:3], 0 offset:152
	buffer_load_dword v149, off, s[0:3], 0 offset:160
	buffer_load_dword v150, off, s[0:3], 0 offset:164
	buffer_load_dword v151, off, s[0:3], 0 offset:168
	buffer_load_dword v152, off, s[0:3], 0 offset:172
	v_mov_b32_e32 v120, 0
	s_mov_b32 s4, exec_lo
	ds_read_b128 v[121:124], v120 offset:544
	s_clause 0x1
	buffer_load_dword v153, off, s[0:3], 0 offset:176
	buffer_load_dword v154, off, s[0:3], 0 offset:180
	s_waitcnt vmcnt(28) lgkmcnt(0)
	v_fma_f64 v[121:122], v[125:126], v[121:122], 0
	s_clause 0x1
	buffer_load_dword v126, off, s[0:3], 0 offset:188
	buffer_load_dword v125, off, s[0:3], 0 offset:184
	s_waitcnt vmcnt(28)
	v_fma_f64 v[127:128], v[127:128], v[123:124], v[121:122]
	ds_read_b128 v[121:124], v120 offset:560
	s_clause 0x1
	buffer_load_dword v155, off, s[0:3], 0 offset:192
	buffer_load_dword v156, off, s[0:3], 0 offset:196
	s_waitcnt vmcnt(28) lgkmcnt(0)
	v_fma_f64 v[121:122], v[129:130], v[121:122], v[127:128]
	s_clause 0x1
	buffer_load_dword v127, off, s[0:3], 0 offset:200
	buffer_load_dword v128, off, s[0:3], 0 offset:204
	s_waitcnt vmcnt(28)
	v_fma_f64 v[129:130], v[131:132], v[123:124], v[121:122]
	;; [unrolled: 11-line block ×19, first 2 shown]
	ds_read_b128 v[121:124], v120 offset:848
	s_waitcnt vmcnt(26) lgkmcnt(0)
	v_fma_f64 v[121:122], v[139:140], v[121:122], v[133:134]
	s_waitcnt vmcnt(24)
	v_fma_f64 v[133:134], v[137:138], v[123:124], v[121:122]
	ds_read_b128 v[121:124], v120 offset:864
	s_waitcnt vmcnt(22) lgkmcnt(0)
	v_fma_f64 v[121:122], v[143:144], v[121:122], v[133:134]
	s_waitcnt vmcnt(20)
	v_fma_f64 v[133:134], v[141:142], v[123:124], v[121:122]
	ds_read_b128 v[121:124], v120 offset:880
	s_waitcnt vmcnt(18) lgkmcnt(0)
	v_fma_f64 v[121:122], v[147:148], v[121:122], v[133:134]
	s_waitcnt vmcnt(16)
	v_fma_f64 v[133:134], v[145:146], v[123:124], v[121:122]
	ds_read_b128 v[121:124], v120 offset:896
	s_waitcnt vmcnt(14) lgkmcnt(0)
	v_fma_f64 v[121:122], v[151:152], v[121:122], v[133:134]
	s_waitcnt vmcnt(12)
	v_fma_f64 v[133:134], v[149:150], v[123:124], v[121:122]
	ds_read_b128 v[121:124], v120 offset:912
	s_waitcnt vmcnt(10) lgkmcnt(0)
	v_fma_f64 v[121:122], v[153:154], v[121:122], v[133:134]
	s_waitcnt vmcnt(8)
	v_fma_f64 v[125:126], v[125:126], v[123:124], v[121:122]
	ds_read_b128 v[121:124], v120 offset:928
	s_waitcnt vmcnt(6) lgkmcnt(0)
	v_fma_f64 v[121:122], v[155:156], v[121:122], v[125:126]
	s_waitcnt vmcnt(4)
	v_fma_f64 v[121:122], v[127:128], v[123:124], v[121:122]
	ds_read_b64 v[123:124], v120 offset:944
	s_waitcnt vmcnt(2) lgkmcnt(0)
	v_fma_f64 v[121:122], v[131:132], v[123:124], v[121:122]
	s_waitcnt vmcnt(0)
	v_add_f64 v[121:122], v[129:130], -v[121:122]
	buffer_store_dword v122, off, s[0:3], 0 offset:60
	buffer_store_dword v121, off, s[0:3], 0 offset:56
	v_cmpx_lt_u32_e32 6, v0
	s_cbranch_execz .LBB58_351
; %bb.350:
	s_clause 0x1
	buffer_load_dword v121, off, s[0:3], 0 offset:48
	buffer_load_dword v122, off, s[0:3], 0 offset:52
	buffer_store_dword v120, off, s[0:3], 0 offset:48
	buffer_store_dword v120, off, s[0:3], 0 offset:52
	s_waitcnt vmcnt(0)
	ds_write_b64 v119, v[121:122]
.LBB58_351:
	s_or_b32 exec_lo, exec_lo, s4
	s_waitcnt lgkmcnt(0)
	s_waitcnt_vscnt null, 0x0
	s_barrier
	buffer_gl0_inv
	s_clause 0x1b
	buffer_load_dword v125, off, s[0:3], 0 offset:56
	buffer_load_dword v126, off, s[0:3], 0 offset:60
	;; [unrolled: 1-line block ×28, first 2 shown]
	ds_read2_b64 v[121:124], v120 offset0:67 offset1:68
	s_clause 0x1
	buffer_load_dword v153, off, s[0:3], 0 offset:168
	buffer_load_dword v154, off, s[0:3], 0 offset:172
	s_mov_b32 s4, exec_lo
	s_waitcnt vmcnt(28) lgkmcnt(0)
	v_fma_f64 v[121:122], v[125:126], v[121:122], 0
	s_clause 0x1
	buffer_load_dword v126, off, s[0:3], 0 offset:180
	buffer_load_dword v125, off, s[0:3], 0 offset:176
	s_waitcnt vmcnt(28)
	v_fma_f64 v[127:128], v[127:128], v[123:124], v[121:122]
	ds_read2_b64 v[121:124], v120 offset0:69 offset1:70
	s_clause 0x1
	buffer_load_dword v155, off, s[0:3], 0 offset:184
	buffer_load_dword v156, off, s[0:3], 0 offset:188
	s_waitcnt vmcnt(28) lgkmcnt(0)
	v_fma_f64 v[121:122], v[129:130], v[121:122], v[127:128]
	s_clause 0x1
	buffer_load_dword v127, off, s[0:3], 0 offset:192
	buffer_load_dword v128, off, s[0:3], 0 offset:196
	s_waitcnt vmcnt(28)
	v_fma_f64 v[129:130], v[131:132], v[123:124], v[121:122]
	ds_read2_b64 v[121:124], v120 offset0:71 offset1:72
	s_clause 0x1
	buffer_load_dword v131, off, s[0:3], 0 offset:200
	buffer_load_dword v132, off, s[0:3], 0 offset:204
	;; [unrolled: 11-line block ×19, first 2 shown]
	s_waitcnt vmcnt(28) lgkmcnt(0)
	v_fma_f64 v[121:122], v[139:140], v[121:122], v[133:134]
	s_waitcnt vmcnt(26)
	v_fma_f64 v[133:134], v[137:138], v[123:124], v[121:122]
	ds_read2_b64 v[121:124], v120 offset0:107 offset1:108
	s_waitcnt vmcnt(24) lgkmcnt(0)
	v_fma_f64 v[121:122], v[143:144], v[121:122], v[133:134]
	s_waitcnt vmcnt(22)
	v_fma_f64 v[133:134], v[141:142], v[123:124], v[121:122]
	ds_read2_b64 v[121:124], v120 offset0:109 offset1:110
	;; [unrolled: 5-line block ×6, first 2 shown]
	s_waitcnt vmcnt(4) lgkmcnt(0)
	v_fma_f64 v[120:121], v[131:132], v[120:121], v[124:125]
	s_waitcnt vmcnt(2)
	v_fma_f64 v[120:121], v[129:130], v[122:123], v[120:121]
	s_waitcnt vmcnt(0)
	v_add_f64 v[120:121], v[135:136], -v[120:121]
	buffer_store_dword v121, off, s[0:3], 0 offset:52
	buffer_store_dword v120, off, s[0:3], 0 offset:48
	v_cmpx_lt_u32_e32 5, v0
	s_cbranch_execz .LBB58_353
; %bb.352:
	s_clause 0x1
	buffer_load_dword v120, off, s[0:3], 0 offset:40
	buffer_load_dword v121, off, s[0:3], 0 offset:44
	v_mov_b32_e32 v122, 0
	buffer_store_dword v122, off, s[0:3], 0 offset:40
	buffer_store_dword v122, off, s[0:3], 0 offset:44
	s_waitcnt vmcnt(0)
	ds_write_b64 v119, v[120:121]
.LBB58_353:
	s_or_b32 exec_lo, exec_lo, s4
	s_waitcnt lgkmcnt(0)
	s_waitcnt_vscnt null, 0x0
	s_barrier
	buffer_gl0_inv
	s_clause 0x1b
	buffer_load_dword v125, off, s[0:3], 0 offset:48
	buffer_load_dword v126, off, s[0:3], 0 offset:52
	buffer_load_dword v127, off, s[0:3], 0 offset:56
	buffer_load_dword v128, off, s[0:3], 0 offset:60
	buffer_load_dword v129, off, s[0:3], 0 offset:64
	buffer_load_dword v130, off, s[0:3], 0 offset:68
	buffer_load_dword v131, off, s[0:3], 0 offset:72
	buffer_load_dword v132, off, s[0:3], 0 offset:76
	buffer_load_dword v133, off, s[0:3], 0 offset:80
	buffer_load_dword v134, off, s[0:3], 0 offset:84
	buffer_load_dword v135, off, s[0:3], 0 offset:88
	buffer_load_dword v136, off, s[0:3], 0 offset:92
	buffer_load_dword v137, off, s[0:3], 0 offset:96
	buffer_load_dword v138, off, s[0:3], 0 offset:100
	buffer_load_dword v140, off, s[0:3], 0 offset:108
	buffer_load_dword v139, off, s[0:3], 0 offset:104
	buffer_load_dword v141, off, s[0:3], 0 offset:112
	buffer_load_dword v142, off, s[0:3], 0 offset:116
	buffer_load_dword v143, off, s[0:3], 0 offset:120
	buffer_load_dword v144, off, s[0:3], 0 offset:124
	buffer_load_dword v145, off, s[0:3], 0 offset:128
	buffer_load_dword v146, off, s[0:3], 0 offset:132
	buffer_load_dword v148, off, s[0:3], 0 offset:140
	buffer_load_dword v147, off, s[0:3], 0 offset:136
	buffer_load_dword v149, off, s[0:3], 0 offset:144
	buffer_load_dword v150, off, s[0:3], 0 offset:148
	buffer_load_dword v151, off, s[0:3], 0 offset:152
	buffer_load_dword v152, off, s[0:3], 0 offset:156
	v_mov_b32_e32 v120, 0
	s_mov_b32 s4, exec_lo
	ds_read_b128 v[121:124], v120 offset:528
	s_clause 0x1
	buffer_load_dword v153, off, s[0:3], 0 offset:160
	buffer_load_dword v154, off, s[0:3], 0 offset:164
	s_waitcnt vmcnt(28) lgkmcnt(0)
	v_fma_f64 v[121:122], v[125:126], v[121:122], 0
	s_clause 0x1
	buffer_load_dword v126, off, s[0:3], 0 offset:172
	buffer_load_dword v125, off, s[0:3], 0 offset:168
	s_waitcnt vmcnt(28)
	v_fma_f64 v[127:128], v[127:128], v[123:124], v[121:122]
	ds_read_b128 v[121:124], v120 offset:544
	s_clause 0x1
	buffer_load_dword v155, off, s[0:3], 0 offset:176
	buffer_load_dword v156, off, s[0:3], 0 offset:180
	s_waitcnt vmcnt(28) lgkmcnt(0)
	v_fma_f64 v[121:122], v[129:130], v[121:122], v[127:128]
	s_clause 0x1
	buffer_load_dword v127, off, s[0:3], 0 offset:184
	buffer_load_dword v128, off, s[0:3], 0 offset:188
	s_waitcnt vmcnt(28)
	v_fma_f64 v[129:130], v[131:132], v[123:124], v[121:122]
	;; [unrolled: 11-line block ×20, first 2 shown]
	ds_read_b128 v[121:124], v120 offset:848
	s_waitcnt vmcnt(26) lgkmcnt(0)
	v_fma_f64 v[121:122], v[143:144], v[121:122], v[137:138]
	s_waitcnt vmcnt(24)
	v_fma_f64 v[137:138], v[141:142], v[123:124], v[121:122]
	ds_read_b128 v[121:124], v120 offset:864
	s_waitcnt vmcnt(22) lgkmcnt(0)
	v_fma_f64 v[121:122], v[147:148], v[121:122], v[137:138]
	s_waitcnt vmcnt(20)
	v_fma_f64 v[137:138], v[145:146], v[123:124], v[121:122]
	;; [unrolled: 5-line block ×6, first 2 shown]
	ds_read_b64 v[123:124], v120 offset:944
	s_waitcnt vmcnt(2) lgkmcnt(0)
	v_fma_f64 v[121:122], v[135:136], v[123:124], v[121:122]
	s_waitcnt vmcnt(0)
	v_add_f64 v[121:122], v[133:134], -v[121:122]
	buffer_store_dword v122, off, s[0:3], 0 offset:44
	buffer_store_dword v121, off, s[0:3], 0 offset:40
	v_cmpx_lt_u32_e32 4, v0
	s_cbranch_execz .LBB58_355
; %bb.354:
	s_clause 0x1
	buffer_load_dword v121, off, s[0:3], 0 offset:32
	buffer_load_dword v122, off, s[0:3], 0 offset:36
	buffer_store_dword v120, off, s[0:3], 0 offset:32
	buffer_store_dword v120, off, s[0:3], 0 offset:36
	s_waitcnt vmcnt(0)
	ds_write_b64 v119, v[121:122]
.LBB58_355:
	s_or_b32 exec_lo, exec_lo, s4
	s_waitcnt lgkmcnt(0)
	s_waitcnt_vscnt null, 0x0
	s_barrier
	buffer_gl0_inv
	s_clause 0x1b
	buffer_load_dword v125, off, s[0:3], 0 offset:40
	buffer_load_dword v126, off, s[0:3], 0 offset:44
	;; [unrolled: 1-line block ×28, first 2 shown]
	ds_read2_b64 v[121:124], v120 offset0:65 offset1:66
	s_clause 0x1
	buffer_load_dword v153, off, s[0:3], 0 offset:152
	buffer_load_dword v154, off, s[0:3], 0 offset:156
	s_mov_b32 s4, exec_lo
	s_waitcnt vmcnt(28) lgkmcnt(0)
	v_fma_f64 v[121:122], v[125:126], v[121:122], 0
	s_clause 0x1
	buffer_load_dword v126, off, s[0:3], 0 offset:164
	buffer_load_dword v125, off, s[0:3], 0 offset:160
	s_waitcnt vmcnt(28)
	v_fma_f64 v[127:128], v[127:128], v[123:124], v[121:122]
	ds_read2_b64 v[121:124], v120 offset0:67 offset1:68
	s_clause 0x1
	buffer_load_dword v155, off, s[0:3], 0 offset:168
	buffer_load_dword v156, off, s[0:3], 0 offset:172
	s_waitcnt vmcnt(28) lgkmcnt(0)
	v_fma_f64 v[121:122], v[129:130], v[121:122], v[127:128]
	s_clause 0x1
	buffer_load_dword v127, off, s[0:3], 0 offset:176
	buffer_load_dword v128, off, s[0:3], 0 offset:180
	s_waitcnt vmcnt(28)
	v_fma_f64 v[129:130], v[131:132], v[123:124], v[121:122]
	ds_read2_b64 v[121:124], v120 offset0:69 offset1:70
	s_clause 0x1
	buffer_load_dword v131, off, s[0:3], 0 offset:184
	buffer_load_dword v132, off, s[0:3], 0 offset:188
	;; [unrolled: 11-line block ×20, first 2 shown]
	s_waitcnt vmcnt(28) lgkmcnt(0)
	v_fma_f64 v[121:122], v[143:144], v[121:122], v[137:138]
	s_waitcnt vmcnt(26)
	v_fma_f64 v[137:138], v[141:142], v[123:124], v[121:122]
	ds_read2_b64 v[121:124], v120 offset0:107 offset1:108
	s_waitcnt vmcnt(24) lgkmcnt(0)
	v_fma_f64 v[121:122], v[147:148], v[121:122], v[137:138]
	s_waitcnt vmcnt(22)
	v_fma_f64 v[137:138], v[145:146], v[123:124], v[121:122]
	ds_read2_b64 v[121:124], v120 offset0:109 offset1:110
	;; [unrolled: 5-line block ×6, first 2 shown]
	s_waitcnt vmcnt(4) lgkmcnt(0)
	v_fma_f64 v[120:121], v[135:136], v[120:121], v[124:125]
	s_waitcnt vmcnt(2)
	v_fma_f64 v[120:121], v[133:134], v[122:123], v[120:121]
	s_waitcnt vmcnt(0)
	v_add_f64 v[120:121], v[139:140], -v[120:121]
	buffer_store_dword v121, off, s[0:3], 0 offset:36
	buffer_store_dword v120, off, s[0:3], 0 offset:32
	v_cmpx_lt_u32_e32 3, v0
	s_cbranch_execz .LBB58_357
; %bb.356:
	s_clause 0x1
	buffer_load_dword v120, off, s[0:3], 0 offset:24
	buffer_load_dword v121, off, s[0:3], 0 offset:28
	v_mov_b32_e32 v122, 0
	buffer_store_dword v122, off, s[0:3], 0 offset:24
	buffer_store_dword v122, off, s[0:3], 0 offset:28
	s_waitcnt vmcnt(0)
	ds_write_b64 v119, v[120:121]
.LBB58_357:
	s_or_b32 exec_lo, exec_lo, s4
	s_waitcnt lgkmcnt(0)
	s_waitcnt_vscnt null, 0x0
	s_barrier
	buffer_gl0_inv
	s_clause 0x1b
	buffer_load_dword v125, off, s[0:3], 0 offset:32
	buffer_load_dword v126, off, s[0:3], 0 offset:36
	;; [unrolled: 1-line block ×28, first 2 shown]
	v_mov_b32_e32 v120, 0
	s_mov_b32 s4, exec_lo
	ds_read_b128 v[121:124], v120 offset:512
	s_clause 0x1
	buffer_load_dword v153, off, s[0:3], 0 offset:144
	buffer_load_dword v154, off, s[0:3], 0 offset:148
	s_waitcnt vmcnt(28) lgkmcnt(0)
	v_fma_f64 v[121:122], v[125:126], v[121:122], 0
	s_clause 0x1
	buffer_load_dword v126, off, s[0:3], 0 offset:156
	buffer_load_dword v125, off, s[0:3], 0 offset:152
	s_waitcnt vmcnt(28)
	v_fma_f64 v[127:128], v[127:128], v[123:124], v[121:122]
	ds_read_b128 v[121:124], v120 offset:528
	s_clause 0x1
	buffer_load_dword v155, off, s[0:3], 0 offset:160
	buffer_load_dword v156, off, s[0:3], 0 offset:164
	s_waitcnt vmcnt(28) lgkmcnt(0)
	v_fma_f64 v[121:122], v[129:130], v[121:122], v[127:128]
	s_clause 0x1
	buffer_load_dword v127, off, s[0:3], 0 offset:168
	buffer_load_dword v128, off, s[0:3], 0 offset:172
	s_waitcnt vmcnt(28)
	v_fma_f64 v[129:130], v[131:132], v[123:124], v[121:122]
	;; [unrolled: 11-line block ×21, first 2 shown]
	ds_read_b128 v[121:124], v120 offset:848
	s_waitcnt vmcnt(26) lgkmcnt(0)
	v_fma_f64 v[121:122], v[147:148], v[121:122], v[141:142]
	s_waitcnt vmcnt(24)
	v_fma_f64 v[141:142], v[145:146], v[123:124], v[121:122]
	ds_read_b128 v[121:124], v120 offset:864
	s_waitcnt vmcnt(22) lgkmcnt(0)
	v_fma_f64 v[121:122], v[151:152], v[121:122], v[141:142]
	s_waitcnt vmcnt(20)
	v_fma_f64 v[141:142], v[149:150], v[123:124], v[121:122]
	;; [unrolled: 5-line block ×6, first 2 shown]
	ds_read_b64 v[123:124], v120 offset:944
	s_waitcnt vmcnt(2) lgkmcnt(0)
	v_fma_f64 v[121:122], v[139:140], v[123:124], v[121:122]
	s_waitcnt vmcnt(0)
	v_add_f64 v[121:122], v[137:138], -v[121:122]
	buffer_store_dword v122, off, s[0:3], 0 offset:28
	buffer_store_dword v121, off, s[0:3], 0 offset:24
	v_cmpx_lt_u32_e32 2, v0
	s_cbranch_execz .LBB58_359
; %bb.358:
	s_clause 0x1
	buffer_load_dword v121, off, s[0:3], 0 offset:16
	buffer_load_dword v122, off, s[0:3], 0 offset:20
	buffer_store_dword v120, off, s[0:3], 0 offset:16
	buffer_store_dword v120, off, s[0:3], 0 offset:20
	s_waitcnt vmcnt(0)
	ds_write_b64 v119, v[121:122]
.LBB58_359:
	s_or_b32 exec_lo, exec_lo, s4
	s_waitcnt lgkmcnt(0)
	s_waitcnt_vscnt null, 0x0
	s_barrier
	buffer_gl0_inv
	s_clause 0x1b
	buffer_load_dword v125, off, s[0:3], 0 offset:24
	buffer_load_dword v126, off, s[0:3], 0 offset:28
	;; [unrolled: 1-line block ×28, first 2 shown]
	ds_read2_b64 v[121:124], v120 offset0:63 offset1:64
	s_clause 0x1
	buffer_load_dword v153, off, s[0:3], 0 offset:136
	buffer_load_dword v154, off, s[0:3], 0 offset:140
	s_mov_b32 s4, exec_lo
	s_waitcnt vmcnt(28) lgkmcnt(0)
	v_fma_f64 v[121:122], v[125:126], v[121:122], 0
	s_clause 0x1
	buffer_load_dword v126, off, s[0:3], 0 offset:148
	buffer_load_dword v125, off, s[0:3], 0 offset:144
	s_waitcnt vmcnt(28)
	v_fma_f64 v[127:128], v[127:128], v[123:124], v[121:122]
	ds_read2_b64 v[121:124], v120 offset0:65 offset1:66
	s_clause 0x1
	buffer_load_dword v155, off, s[0:3], 0 offset:152
	buffer_load_dword v156, off, s[0:3], 0 offset:156
	s_waitcnt vmcnt(28) lgkmcnt(0)
	v_fma_f64 v[121:122], v[129:130], v[121:122], v[127:128]
	s_clause 0x1
	buffer_load_dword v127, off, s[0:3], 0 offset:160
	buffer_load_dword v128, off, s[0:3], 0 offset:164
	s_waitcnt vmcnt(28)
	v_fma_f64 v[129:130], v[131:132], v[123:124], v[121:122]
	ds_read2_b64 v[121:124], v120 offset0:67 offset1:68
	s_clause 0x1
	buffer_load_dword v131, off, s[0:3], 0 offset:168
	buffer_load_dword v132, off, s[0:3], 0 offset:172
	s_waitcnt vmcnt(28) lgkmcnt(0)
	v_fma_f64 v[121:122], v[133:134], v[121:122], v[129:130]
	s_clause 0x1
	buffer_load_dword v130, off, s[0:3], 0 offset:180
	buffer_load_dword v129, off, s[0:3], 0 offset:176
	s_waitcnt vmcnt(28)
	v_fma_f64 v[133:134], v[135:136], v[123:124], v[121:122]
	ds_read2_b64 v[121:124], v120 offset0:69 offset1:70
	s_clause 0x1
	buffer_load_dword v135, off, s[0:3], 0 offset:184
	buffer_load_dword v136, off, s[0:3], 0 offset:188
	s_waitcnt vmcnt(28) lgkmcnt(0)
	v_fma_f64 v[121:122], v[137:138], v[121:122], v[133:134]
	s_clause 0x1
	buffer_load_dword v133, off, s[0:3], 0 offset:192
	buffer_load_dword v134, off, s[0:3], 0 offset:196
	s_waitcnt vmcnt(28)
	v_fma_f64 v[137:138], v[139:140], v[123:124], v[121:122]
	ds_read2_b64 v[121:124], v120 offset0:71 offset1:72
	s_clause 0x1
	buffer_load_dword v139, off, s[0:3], 0 offset:200
	buffer_load_dword v140, off, s[0:3], 0 offset:204
	s_waitcnt vmcnt(28) lgkmcnt(0)
	v_fma_f64 v[121:122], v[141:142], v[121:122], v[137:138]
	s_clause 0x1
	buffer_load_dword v138, off, s[0:3], 0 offset:212
	buffer_load_dword v137, off, s[0:3], 0 offset:208
	s_waitcnt vmcnt(28)
	v_fma_f64 v[141:142], v[143:144], v[123:124], v[121:122]
	ds_read2_b64 v[121:124], v120 offset0:73 offset1:74
	s_clause 0x1
	buffer_load_dword v143, off, s[0:3], 0 offset:216
	buffer_load_dword v144, off, s[0:3], 0 offset:220
	s_waitcnt vmcnt(28) lgkmcnt(0)
	v_fma_f64 v[121:122], v[145:146], v[121:122], v[141:142]
	s_clause 0x1
	buffer_load_dword v141, off, s[0:3], 0 offset:224
	buffer_load_dword v142, off, s[0:3], 0 offset:228
	s_waitcnt vmcnt(28)
	v_fma_f64 v[145:146], v[147:148], v[123:124], v[121:122]
	ds_read2_b64 v[121:124], v120 offset0:75 offset1:76
	s_clause 0x1
	buffer_load_dword v147, off, s[0:3], 0 offset:232
	buffer_load_dword v148, off, s[0:3], 0 offset:236
	s_waitcnt vmcnt(28) lgkmcnt(0)
	v_fma_f64 v[121:122], v[149:150], v[121:122], v[145:146]
	s_clause 0x1
	buffer_load_dword v146, off, s[0:3], 0 offset:244
	buffer_load_dword v145, off, s[0:3], 0 offset:240
	s_waitcnt vmcnt(28)
	v_fma_f64 v[149:150], v[151:152], v[123:124], v[121:122]
	ds_read2_b64 v[121:124], v120 offset0:77 offset1:78
	s_clause 0x1
	buffer_load_dword v151, off, s[0:3], 0 offset:248
	buffer_load_dword v152, off, s[0:3], 0 offset:252
	s_waitcnt vmcnt(28) lgkmcnt(0)
	v_fma_f64 v[121:122], v[153:154], v[121:122], v[149:150]
	s_clause 0x1
	buffer_load_dword v149, off, s[0:3], 0 offset:256
	buffer_load_dword v150, off, s[0:3], 0 offset:260
	s_waitcnt vmcnt(28)
	v_fma_f64 v[125:126], v[125:126], v[123:124], v[121:122]
	ds_read2_b64 v[121:124], v120 offset0:79 offset1:80
	s_clause 0x1
	buffer_load_dword v153, off, s[0:3], 0 offset:264
	buffer_load_dword v154, off, s[0:3], 0 offset:268
	s_waitcnt vmcnt(28) lgkmcnt(0)
	v_fma_f64 v[121:122], v[155:156], v[121:122], v[125:126]
	s_clause 0x1
	buffer_load_dword v126, off, s[0:3], 0 offset:276
	buffer_load_dword v125, off, s[0:3], 0 offset:272
	s_waitcnt vmcnt(28)
	v_fma_f64 v[127:128], v[127:128], v[123:124], v[121:122]
	ds_read2_b64 v[121:124], v120 offset0:81 offset1:82
	s_clause 0x1
	buffer_load_dword v155, off, s[0:3], 0 offset:280
	buffer_load_dword v156, off, s[0:3], 0 offset:284
	s_waitcnt vmcnt(28) lgkmcnt(0)
	v_fma_f64 v[121:122], v[131:132], v[121:122], v[127:128]
	s_clause 0x1
	buffer_load_dword v127, off, s[0:3], 0 offset:288
	buffer_load_dword v128, off, s[0:3], 0 offset:292
	s_waitcnt vmcnt(28)
	v_fma_f64 v[129:130], v[129:130], v[123:124], v[121:122]
	ds_read2_b64 v[121:124], v120 offset0:83 offset1:84
	s_clause 0x1
	buffer_load_dword v131, off, s[0:3], 0 offset:296
	buffer_load_dword v132, off, s[0:3], 0 offset:300
	s_waitcnt vmcnt(28) lgkmcnt(0)
	v_fma_f64 v[121:122], v[135:136], v[121:122], v[129:130]
	s_clause 0x1
	buffer_load_dword v130, off, s[0:3], 0 offset:308
	buffer_load_dword v129, off, s[0:3], 0 offset:304
	s_waitcnt vmcnt(28)
	v_fma_f64 v[133:134], v[133:134], v[123:124], v[121:122]
	ds_read2_b64 v[121:124], v120 offset0:85 offset1:86
	s_clause 0x1
	buffer_load_dword v135, off, s[0:3], 0 offset:312
	buffer_load_dword v136, off, s[0:3], 0 offset:316
	s_waitcnt vmcnt(28) lgkmcnt(0)
	v_fma_f64 v[121:122], v[139:140], v[121:122], v[133:134]
	s_clause 0x1
	buffer_load_dword v133, off, s[0:3], 0 offset:320
	buffer_load_dword v134, off, s[0:3], 0 offset:324
	s_waitcnt vmcnt(28)
	v_fma_f64 v[137:138], v[137:138], v[123:124], v[121:122]
	ds_read2_b64 v[121:124], v120 offset0:87 offset1:88
	s_clause 0x1
	buffer_load_dword v139, off, s[0:3], 0 offset:328
	buffer_load_dword v140, off, s[0:3], 0 offset:332
	s_waitcnt vmcnt(28) lgkmcnt(0)
	v_fma_f64 v[121:122], v[143:144], v[121:122], v[137:138]
	s_clause 0x1
	buffer_load_dword v138, off, s[0:3], 0 offset:340
	buffer_load_dword v137, off, s[0:3], 0 offset:336
	s_waitcnt vmcnt(28)
	v_fma_f64 v[141:142], v[141:142], v[123:124], v[121:122]
	ds_read2_b64 v[121:124], v120 offset0:89 offset1:90
	s_clause 0x1
	buffer_load_dword v143, off, s[0:3], 0 offset:344
	buffer_load_dword v144, off, s[0:3], 0 offset:348
	s_waitcnt vmcnt(28) lgkmcnt(0)
	v_fma_f64 v[121:122], v[147:148], v[121:122], v[141:142]
	s_clause 0x1
	buffer_load_dword v141, off, s[0:3], 0 offset:352
	buffer_load_dword v142, off, s[0:3], 0 offset:356
	s_waitcnt vmcnt(28)
	v_fma_f64 v[145:146], v[145:146], v[123:124], v[121:122]
	ds_read2_b64 v[121:124], v120 offset0:91 offset1:92
	s_clause 0x1
	buffer_load_dword v147, off, s[0:3], 0 offset:360
	buffer_load_dword v148, off, s[0:3], 0 offset:364
	s_waitcnt vmcnt(28) lgkmcnt(0)
	v_fma_f64 v[121:122], v[151:152], v[121:122], v[145:146]
	s_clause 0x1
	buffer_load_dword v146, off, s[0:3], 0 offset:372
	buffer_load_dword v145, off, s[0:3], 0 offset:368
	s_waitcnt vmcnt(28)
	v_fma_f64 v[149:150], v[149:150], v[123:124], v[121:122]
	ds_read2_b64 v[121:124], v120 offset0:93 offset1:94
	s_clause 0x1
	buffer_load_dword v151, off, s[0:3], 0 offset:376
	buffer_load_dword v152, off, s[0:3], 0 offset:380
	s_waitcnt vmcnt(28) lgkmcnt(0)
	v_fma_f64 v[121:122], v[153:154], v[121:122], v[149:150]
	s_clause 0x1
	buffer_load_dword v149, off, s[0:3], 0 offset:384
	buffer_load_dword v150, off, s[0:3], 0 offset:388
	s_waitcnt vmcnt(28)
	v_fma_f64 v[125:126], v[125:126], v[123:124], v[121:122]
	ds_read2_b64 v[121:124], v120 offset0:95 offset1:96
	s_clause 0x1
	buffer_load_dword v153, off, s[0:3], 0 offset:392
	buffer_load_dword v154, off, s[0:3], 0 offset:396
	s_waitcnt vmcnt(28) lgkmcnt(0)
	v_fma_f64 v[121:122], v[155:156], v[121:122], v[125:126]
	s_clause 0x1
	buffer_load_dword v126, off, s[0:3], 0 offset:404
	buffer_load_dword v125, off, s[0:3], 0 offset:400
	s_waitcnt vmcnt(28)
	v_fma_f64 v[127:128], v[127:128], v[123:124], v[121:122]
	ds_read2_b64 v[121:124], v120 offset0:97 offset1:98
	s_clause 0x1
	buffer_load_dword v155, off, s[0:3], 0 offset:408
	buffer_load_dword v156, off, s[0:3], 0 offset:412
	s_waitcnt vmcnt(28) lgkmcnt(0)
	v_fma_f64 v[121:122], v[131:132], v[121:122], v[127:128]
	s_clause 0x1
	buffer_load_dword v127, off, s[0:3], 0 offset:416
	buffer_load_dword v128, off, s[0:3], 0 offset:420
	s_waitcnt vmcnt(28)
	v_fma_f64 v[129:130], v[129:130], v[123:124], v[121:122]
	ds_read2_b64 v[121:124], v120 offset0:99 offset1:100
	s_clause 0x1
	buffer_load_dword v131, off, s[0:3], 0 offset:424
	buffer_load_dword v132, off, s[0:3], 0 offset:428
	s_waitcnt vmcnt(28) lgkmcnt(0)
	v_fma_f64 v[121:122], v[135:136], v[121:122], v[129:130]
	s_clause 0x1
	buffer_load_dword v130, off, s[0:3], 0 offset:436
	buffer_load_dword v129, off, s[0:3], 0 offset:432
	s_waitcnt vmcnt(28)
	v_fma_f64 v[133:134], v[133:134], v[123:124], v[121:122]
	ds_read2_b64 v[121:124], v120 offset0:101 offset1:102
	s_clause 0x1
	buffer_load_dword v135, off, s[0:3], 0 offset:440
	buffer_load_dword v136, off, s[0:3], 0 offset:444
	s_waitcnt vmcnt(28) lgkmcnt(0)
	v_fma_f64 v[121:122], v[139:140], v[121:122], v[133:134]
	s_clause 0x1
	buffer_load_dword v133, off, s[0:3], 0 offset:448
	buffer_load_dword v134, off, s[0:3], 0 offset:452
	s_waitcnt vmcnt(28)
	v_fma_f64 v[137:138], v[137:138], v[123:124], v[121:122]
	ds_read2_b64 v[121:124], v120 offset0:103 offset1:104
	s_clause 0x1
	buffer_load_dword v139, off, s[0:3], 0 offset:456
	buffer_load_dword v140, off, s[0:3], 0 offset:460
	s_waitcnt vmcnt(28) lgkmcnt(0)
	v_fma_f64 v[121:122], v[143:144], v[121:122], v[137:138]
	s_clause 0x1
	buffer_load_dword v138, off, s[0:3], 0 offset:468
	buffer_load_dword v137, off, s[0:3], 0 offset:464
	s_waitcnt vmcnt(28)
	v_fma_f64 v[141:142], v[141:142], v[123:124], v[121:122]
	ds_read2_b64 v[121:124], v120 offset0:105 offset1:106
	s_clause 0x1
	buffer_load_dword v143, off, s[0:3], 0 offset:16
	buffer_load_dword v144, off, s[0:3], 0 offset:20
	s_waitcnt vmcnt(28) lgkmcnt(0)
	v_fma_f64 v[121:122], v[147:148], v[121:122], v[141:142]
	s_waitcnt vmcnt(26)
	v_fma_f64 v[141:142], v[145:146], v[123:124], v[121:122]
	ds_read2_b64 v[121:124], v120 offset0:107 offset1:108
	s_waitcnt vmcnt(24) lgkmcnt(0)
	v_fma_f64 v[121:122], v[151:152], v[121:122], v[141:142]
	s_waitcnt vmcnt(22)
	v_fma_f64 v[141:142], v[149:150], v[123:124], v[121:122]
	ds_read2_b64 v[121:124], v120 offset0:109 offset1:110
	;; [unrolled: 5-line block ×6, first 2 shown]
	s_waitcnt vmcnt(4) lgkmcnt(0)
	v_fma_f64 v[120:121], v[139:140], v[120:121], v[124:125]
	s_waitcnt vmcnt(2)
	v_fma_f64 v[120:121], v[137:138], v[122:123], v[120:121]
	s_waitcnt vmcnt(0)
	v_add_f64 v[120:121], v[143:144], -v[120:121]
	buffer_store_dword v121, off, s[0:3], 0 offset:20
	buffer_store_dword v120, off, s[0:3], 0 offset:16
	v_cmpx_lt_u32_e32 1, v0
	s_cbranch_execz .LBB58_361
; %bb.360:
	s_clause 0x1
	buffer_load_dword v120, off, s[0:3], 0 offset:8
	buffer_load_dword v121, off, s[0:3], 0 offset:12
	v_mov_b32_e32 v122, 0
	buffer_store_dword v122, off, s[0:3], 0 offset:8
	buffer_store_dword v122, off, s[0:3], 0 offset:12
	s_waitcnt vmcnt(0)
	ds_write_b64 v119, v[120:121]
.LBB58_361:
	s_or_b32 exec_lo, exec_lo, s4
	s_waitcnt lgkmcnt(0)
	s_waitcnt_vscnt null, 0x0
	s_barrier
	buffer_gl0_inv
	s_clause 0x1b
	buffer_load_dword v125, off, s[0:3], 0 offset:16
	buffer_load_dword v126, off, s[0:3], 0 offset:20
	;; [unrolled: 1-line block ×28, first 2 shown]
	v_mov_b32_e32 v120, 0
	s_mov_b32 s4, exec_lo
	ds_read_b128 v[121:124], v120 offset:496
	s_clause 0x1
	buffer_load_dword v153, off, s[0:3], 0 offset:128
	buffer_load_dword v154, off, s[0:3], 0 offset:132
	s_waitcnt vmcnt(28) lgkmcnt(0)
	v_fma_f64 v[121:122], v[125:126], v[121:122], 0
	s_clause 0x1
	buffer_load_dword v126, off, s[0:3], 0 offset:140
	buffer_load_dword v125, off, s[0:3], 0 offset:136
	s_waitcnt vmcnt(28)
	v_fma_f64 v[127:128], v[127:128], v[123:124], v[121:122]
	ds_read_b128 v[121:124], v120 offset:512
	s_clause 0x1
	buffer_load_dword v155, off, s[0:3], 0 offset:144
	buffer_load_dword v156, off, s[0:3], 0 offset:148
	s_waitcnt vmcnt(28) lgkmcnt(0)
	v_fma_f64 v[121:122], v[129:130], v[121:122], v[127:128]
	s_clause 0x1
	buffer_load_dword v127, off, s[0:3], 0 offset:152
	buffer_load_dword v128, off, s[0:3], 0 offset:156
	s_waitcnt vmcnt(28)
	v_fma_f64 v[129:130], v[131:132], v[123:124], v[121:122]
	;; [unrolled: 11-line block ×22, first 2 shown]
	ds_read_b128 v[121:124], v120 offset:848
	s_waitcnt vmcnt(26) lgkmcnt(0)
	v_fma_f64 v[121:122], v[151:152], v[121:122], v[145:146]
	s_waitcnt vmcnt(24)
	v_fma_f64 v[145:146], v[149:150], v[123:124], v[121:122]
	ds_read_b128 v[121:124], v120 offset:864
	s_waitcnt vmcnt(22) lgkmcnt(0)
	v_fma_f64 v[121:122], v[153:154], v[121:122], v[145:146]
	s_waitcnt vmcnt(20)
	v_fma_f64 v[125:126], v[125:126], v[123:124], v[121:122]
	;; [unrolled: 5-line block ×6, first 2 shown]
	ds_read_b64 v[123:124], v120 offset:944
	s_waitcnt vmcnt(2) lgkmcnt(0)
	v_fma_f64 v[121:122], v[143:144], v[123:124], v[121:122]
	s_waitcnt vmcnt(0)
	v_add_f64 v[121:122], v[141:142], -v[121:122]
	buffer_store_dword v122, off, s[0:3], 0 offset:12
	buffer_store_dword v121, off, s[0:3], 0 offset:8
	v_cmpx_ne_u32_e32 0, v0
	s_cbranch_execz .LBB58_363
; %bb.362:
	s_clause 0x1
	buffer_load_dword v121, off, s[0:3], 0
	buffer_load_dword v122, off, s[0:3], 0 offset:4
	buffer_store_dword v120, off, s[0:3], 0
	buffer_store_dword v120, off, s[0:3], 0 offset:4
	s_waitcnt vmcnt(0)
	ds_write_b64 v119, v[121:122]
.LBB58_363:
	s_or_b32 exec_lo, exec_lo, s4
	s_waitcnt lgkmcnt(0)
	s_waitcnt_vscnt null, 0x0
	s_barrier
	buffer_gl0_inv
	s_clause 0x1b
	buffer_load_dword v125, off, s[0:3], 0 offset:8
	buffer_load_dword v126, off, s[0:3], 0 offset:12
	;; [unrolled: 1-line block ×28, first 2 shown]
	ds_read2_b64 v[121:124], v120 offset0:61 offset1:62
	s_clause 0x1
	buffer_load_dword v153, off, s[0:3], 0 offset:120
	buffer_load_dword v154, off, s[0:3], 0 offset:124
	s_and_b32 vcc_lo, exec_lo, s22
	s_waitcnt vmcnt(28) lgkmcnt(0)
	v_fma_f64 v[121:122], v[125:126], v[121:122], 0
	s_clause 0x1
	buffer_load_dword v126, off, s[0:3], 0 offset:132
	buffer_load_dword v125, off, s[0:3], 0 offset:128
	s_waitcnt vmcnt(28)
	v_fma_f64 v[127:128], v[127:128], v[123:124], v[121:122]
	ds_read2_b64 v[121:124], v120 offset0:63 offset1:64
	s_clause 0x1
	buffer_load_dword v155, off, s[0:3], 0 offset:136
	buffer_load_dword v156, off, s[0:3], 0 offset:140
	s_waitcnt vmcnt(28) lgkmcnt(0)
	v_fma_f64 v[121:122], v[129:130], v[121:122], v[127:128]
	s_clause 0x1
	buffer_load_dword v127, off, s[0:3], 0 offset:144
	buffer_load_dword v128, off, s[0:3], 0 offset:148
	s_waitcnt vmcnt(28)
	v_fma_f64 v[129:130], v[131:132], v[123:124], v[121:122]
	ds_read2_b64 v[121:124], v120 offset0:65 offset1:66
	s_clause 0x1
	buffer_load_dword v131, off, s[0:3], 0 offset:152
	buffer_load_dword v132, off, s[0:3], 0 offset:156
	;; [unrolled: 11-line block ×21, first 2 shown]
	s_waitcnt vmcnt(28) lgkmcnt(0)
	v_fma_f64 v[123:124], v[147:148], v[123:124], v[141:142]
	s_clause 0x1
	buffer_load_dword v141, off, s[0:3], 0 offset:464
	buffer_load_dword v142, off, s[0:3], 0 offset:468
	s_waitcnt vmcnt(28)
	v_fma_f64 v[145:146], v[145:146], v[125:126], v[123:124]
	ds_read2_b64 v[123:126], v120 offset0:105 offset1:106
	s_clause 0x1
	buffer_load_dword v147, off, s[0:3], 0
	buffer_load_dword v148, off, s[0:3], 0 offset:4
	s_waitcnt vmcnt(28) lgkmcnt(0)
	v_fma_f64 v[123:124], v[151:152], v[123:124], v[145:146]
	s_waitcnt vmcnt(26)
	v_fma_f64 v[145:146], v[149:150], v[125:126], v[123:124]
	ds_read2_b64 v[123:126], v120 offset0:107 offset1:108
	s_waitcnt vmcnt(24) lgkmcnt(0)
	v_fma_f64 v[123:124], v[153:154], v[123:124], v[145:146]
	s_waitcnt vmcnt(22)
	v_fma_f64 v[145:146], v[155:156], v[125:126], v[123:124]
	ds_read2_b64 v[123:126], v120 offset0:109 offset1:110
	;; [unrolled: 5-line block ×6, first 2 shown]
	s_waitcnt vmcnt(4) lgkmcnt(0)
	v_fma_f64 v[119:120], v[121:122], v[123:124], v[127:128]
	s_waitcnt vmcnt(2)
	v_fma_f64 v[119:120], v[141:142], v[125:126], v[119:120]
	s_waitcnt vmcnt(0)
	v_add_f64 v[119:120], v[147:148], -v[119:120]
	buffer_store_dword v120, off, s[0:3], 0 offset:4
	buffer_store_dword v119, off, s[0:3], 0
	s_cbranch_vccz .LBB58_480
; %bb.364:
	v_mov_b32_e32 v0, 0
	global_load_dword v119, v0, s[20:21] offset:228
	s_waitcnt vmcnt(0)
	v_add_nc_u32_e32 v119, -1, v119
	v_cmp_ne_u32_e32 vcc_lo, 57, v119
	s_cbranch_vccz .LBB58_366
; %bb.365:
	v_lshlrev_b32_e32 v119, 3, v119
	s_clause 0x1
	buffer_load_dword v120, v119, s[0:3], 0 offen
	buffer_load_dword v123, v119, s[0:3], 0 offen offset:4
	s_waitcnt vmcnt(1)
	buffer_store_dword v120, off, s[0:3], 0 offset:456
	s_waitcnt vmcnt(0)
	buffer_store_dword v123, off, s[0:3], 0 offset:460
	buffer_store_dword v121, v119, s[0:3], 0 offen
	buffer_store_dword v122, v119, s[0:3], 0 offen offset:4
.LBB58_366:
	global_load_dword v0, v0, s[20:21] offset:224
	s_waitcnt vmcnt(0)
	v_add_nc_u32_e32 v0, -1, v0
	v_cmp_eq_u32_e32 vcc_lo, 56, v0
	s_cbranch_vccnz .LBB58_368
; %bb.367:
	v_lshlrev_b32_e32 v0, 3, v0
	s_clause 0x3
	buffer_load_dword v119, v0, s[0:3], 0 offen
	buffer_load_dword v120, v0, s[0:3], 0 offen offset:4
	buffer_load_dword v121, off, s[0:3], 0 offset:452
	buffer_load_dword v122, off, s[0:3], 0 offset:448
	s_waitcnt vmcnt(3)
	buffer_store_dword v119, off, s[0:3], 0 offset:448
	s_waitcnt vmcnt(2)
	buffer_store_dword v120, off, s[0:3], 0 offset:452
	s_waitcnt vmcnt(1)
	buffer_store_dword v121, v0, s[0:3], 0 offen offset:4
	s_waitcnt vmcnt(0)
	buffer_store_dword v122, v0, s[0:3], 0 offen
.LBB58_368:
	v_mov_b32_e32 v0, 0
	global_load_dword v119, v0, s[20:21] offset:220
	s_waitcnt vmcnt(0)
	v_add_nc_u32_e32 v119, -1, v119
	v_cmp_eq_u32_e32 vcc_lo, 55, v119
	s_cbranch_vccnz .LBB58_370
; %bb.369:
	v_lshlrev_b32_e32 v119, 3, v119
	s_clause 0x3
	buffer_load_dword v120, v119, s[0:3], 0 offen
	buffer_load_dword v121, v119, s[0:3], 0 offen offset:4
	buffer_load_dword v122, off, s[0:3], 0 offset:440
	buffer_load_dword v123, off, s[0:3], 0 offset:444
	s_waitcnt vmcnt(3)
	buffer_store_dword v120, off, s[0:3], 0 offset:440
	s_waitcnt vmcnt(2)
	buffer_store_dword v121, off, s[0:3], 0 offset:444
	s_waitcnt vmcnt(1)
	buffer_store_dword v122, v119, s[0:3], 0 offen
	s_waitcnt vmcnt(0)
	buffer_store_dword v123, v119, s[0:3], 0 offen offset:4
.LBB58_370:
	global_load_dword v0, v0, s[20:21] offset:216
	s_waitcnt vmcnt(0)
	v_add_nc_u32_e32 v0, -1, v0
	v_cmp_eq_u32_e32 vcc_lo, 54, v0
	s_cbranch_vccnz .LBB58_372
; %bb.371:
	v_lshlrev_b32_e32 v0, 3, v0
	s_clause 0x3
	buffer_load_dword v119, v0, s[0:3], 0 offen
	buffer_load_dword v120, v0, s[0:3], 0 offen offset:4
	buffer_load_dword v121, off, s[0:3], 0 offset:436
	buffer_load_dword v122, off, s[0:3], 0 offset:432
	s_waitcnt vmcnt(3)
	buffer_store_dword v119, off, s[0:3], 0 offset:432
	s_waitcnt vmcnt(2)
	buffer_store_dword v120, off, s[0:3], 0 offset:436
	s_waitcnt vmcnt(1)
	buffer_store_dword v121, v0, s[0:3], 0 offen offset:4
	s_waitcnt vmcnt(0)
	buffer_store_dword v122, v0, s[0:3], 0 offen
.LBB58_372:
	v_mov_b32_e32 v0, 0
	global_load_dword v119, v0, s[20:21] offset:212
	s_waitcnt vmcnt(0)
	v_add_nc_u32_e32 v119, -1, v119
	v_cmp_eq_u32_e32 vcc_lo, 53, v119
	s_cbranch_vccnz .LBB58_374
; %bb.373:
	v_lshlrev_b32_e32 v119, 3, v119
	s_clause 0x3
	buffer_load_dword v120, v119, s[0:3], 0 offen
	buffer_load_dword v121, v119, s[0:3], 0 offen offset:4
	buffer_load_dword v122, off, s[0:3], 0 offset:424
	buffer_load_dword v123, off, s[0:3], 0 offset:428
	s_waitcnt vmcnt(3)
	buffer_store_dword v120, off, s[0:3], 0 offset:424
	s_waitcnt vmcnt(2)
	buffer_store_dword v121, off, s[0:3], 0 offset:428
	s_waitcnt vmcnt(1)
	buffer_store_dword v122, v119, s[0:3], 0 offen
	s_waitcnt vmcnt(0)
	buffer_store_dword v123, v119, s[0:3], 0 offen offset:4
.LBB58_374:
	;; [unrolled: 43-line block ×28, first 2 shown]
	global_load_dword v0, v0, s[20:21]
	s_clause 0x1
	buffer_load_dword v119, off, s[0:3], 0
	buffer_load_dword v120, off, s[0:3], 0 offset:4
	s_waitcnt vmcnt(2)
	v_add_nc_u32_e32 v0, -1, v0
	v_cmp_eq_u32_e32 vcc_lo, 0, v0
	s_cbranch_vccnz .LBB58_480
; %bb.479:
	v_lshlrev_b32_e32 v0, 3, v0
	s_clause 0x1
	buffer_load_dword v121, v0, s[0:3], 0 offen offset:4
	buffer_load_dword v122, v0, s[0:3], 0 offen
	s_waitcnt vmcnt(1)
	buffer_store_dword v121, off, s[0:3], 0 offset:4
	s_waitcnt vmcnt(0)
	buffer_store_dword v122, off, s[0:3], 0
	buffer_store_dword v120, v0, s[0:3], 0 offen offset:4
	buffer_store_dword v119, v0, s[0:3], 0 offen
	s_clause 0x1
	buffer_load_dword v119, off, s[0:3], 0
	buffer_load_dword v120, off, s[0:3], 0 offset:4
.LBB58_480:
	s_clause 0x23
	buffer_load_dword v121, off, s[0:3], 0 offset:8
	buffer_load_dword v122, off, s[0:3], 0 offset:12
	;; [unrolled: 1-line block ×36, first 2 shown]
	s_waitcnt vmcnt(36)
	global_store_dwordx2 v[71:72], v[119:120], off
	s_clause 0x3
	buffer_load_dword v71, off, s[0:3], 0 offset:152
	buffer_load_dword v72, off, s[0:3], 0 offset:156
	buffer_load_dword v119, off, s[0:3], 0 offset:160
	buffer_load_dword v120, off, s[0:3], 0 offset:164
	s_waitcnt vmcnt(38)
	global_store_dwordx2 v[67:68], v[121:122], off
	s_waitcnt vmcnt(36)
	global_store_dwordx2 v[43:44], v[123:124], off
	s_clause 0x7
	buffer_load_dword v43, off, s[0:3], 0 offset:168
	buffer_load_dword v44, off, s[0:3], 0 offset:172
	buffer_load_dword v67, off, s[0:3], 0 offset:176
	buffer_load_dword v68, off, s[0:3], 0 offset:180
	buffer_load_dword v121, off, s[0:3], 0 offset:184
	buffer_load_dword v122, off, s[0:3], 0 offset:188
	buffer_load_dword v123, off, s[0:3], 0 offset:192
	buffer_load_dword v124, off, s[0:3], 0 offset:196
	s_waitcnt vmcnt(42)
	global_store_dwordx2 v[27:28], v[125:126], off
	s_waitcnt vmcnt(40)
	global_store_dwordx2 v[29:30], v[127:128], off
	s_clause 0x7
	buffer_load_dword v27, off, s[0:3], 0 offset:200
	buffer_load_dword v28, off, s[0:3], 0 offset:204
	buffer_load_dword v29, off, s[0:3], 0 offset:208
	buffer_load_dword v30, off, s[0:3], 0 offset:212
	buffer_load_dword v125, off, s[0:3], 0 offset:216
	buffer_load_dword v126, off, s[0:3], 0 offset:220
	buffer_load_dword v127, off, s[0:3], 0 offset:224
	buffer_load_dword v128, off, s[0:3], 0 offset:228
	s_waitcnt vmcnt(46)
	global_store_dwordx2 v[13:14], v[129:130], off
	s_waitcnt vmcnt(44)
	global_store_dwordx2 v[19:20], v[131:132], off
	s_clause 0x7
	buffer_load_dword v13, off, s[0:3], 0 offset:232
	buffer_load_dword v14, off, s[0:3], 0 offset:236
	buffer_load_dword v19, off, s[0:3], 0 offset:240
	buffer_load_dword v20, off, s[0:3], 0 offset:244
	buffer_load_dword v129, off, s[0:3], 0 offset:248
	buffer_load_dword v130, off, s[0:3], 0 offset:252
	buffer_load_dword v131, off, s[0:3], 0 offset:256
	buffer_load_dword v132, off, s[0:3], 0 offset:260
	s_waitcnt vmcnt(50)
	global_store_dwordx2 v[15:16], v[133:134], off
	s_waitcnt vmcnt(48)
	global_store_dwordx2 v[21:22], v[135:136], off
	s_clause 0x7
	buffer_load_dword v15, off, s[0:3], 0 offset:264
	buffer_load_dword v16, off, s[0:3], 0 offset:268
	buffer_load_dword v21, off, s[0:3], 0 offset:272
	buffer_load_dword v22, off, s[0:3], 0 offset:276
	buffer_load_dword v133, off, s[0:3], 0 offset:280
	buffer_load_dword v134, off, s[0:3], 0 offset:284
	buffer_load_dword v135, off, s[0:3], 0 offset:288
	buffer_load_dword v136, off, s[0:3], 0 offset:292
	s_waitcnt vmcnt(54)
	global_store_dwordx2 v[5:6], v[137:138], off
	s_waitcnt vmcnt(52)
	global_store_dwordx2 v[7:8], v[139:140], off
	s_clause 0x7
	buffer_load_dword v5, off, s[0:3], 0 offset:296
	buffer_load_dword v6, off, s[0:3], 0 offset:300
	buffer_load_dword v7, off, s[0:3], 0 offset:304
	buffer_load_dword v8, off, s[0:3], 0 offset:308
	buffer_load_dword v137, off, s[0:3], 0 offset:312
	buffer_load_dword v138, off, s[0:3], 0 offset:316
	buffer_load_dword v139, off, s[0:3], 0 offset:320
	buffer_load_dword v140, off, s[0:3], 0 offset:324
	s_waitcnt vmcnt(58)
	global_store_dwordx2 v[1:2], v[141:142], off
	s_waitcnt vmcnt(56)
	global_store_dwordx2 v[3:4], v[143:144], off
	s_clause 0x7
	buffer_load_dword v0, off, s[0:3], 0 offset:328
	buffer_load_dword v1, off, s[0:3], 0 offset:332
	buffer_load_dword v2, off, s[0:3], 0 offset:336
	buffer_load_dword v3, off, s[0:3], 0 offset:340
	buffer_load_dword v141, off, s[0:3], 0 offset:344
	buffer_load_dword v142, off, s[0:3], 0 offset:348
	buffer_load_dword v143, off, s[0:3], 0 offset:352
	buffer_load_dword v144, off, s[0:3], 0 offset:356
	s_waitcnt vmcnt(62)
	global_store_dwordx2 v[11:12], v[145:146], off
	s_waitcnt vmcnt(60)
	global_store_dwordx2 v[17:18], v[147:148], off
	s_clause 0x7
	buffer_load_dword v11, off, s[0:3], 0 offset:360
	buffer_load_dword v12, off, s[0:3], 0 offset:364
	buffer_load_dword v17, off, s[0:3], 0 offset:368
	buffer_load_dword v18, off, s[0:3], 0 offset:372
	buffer_load_dword v145, off, s[0:3], 0 offset:376
	buffer_load_dword v146, off, s[0:3], 0 offset:380
	buffer_load_dword v147, off, s[0:3], 0 offset:384
	buffer_load_dword v148, off, s[0:3], 0 offset:388
	s_waitcnt vmcnt(62)
	global_store_dwordx2 v[9:10], v[149:150], off
	global_store_dwordx2 v[25:26], v[151:152], off
	s_clause 0x7
	buffer_load_dword v9, off, s[0:3], 0 offset:392
	buffer_load_dword v10, off, s[0:3], 0 offset:396
	buffer_load_dword v25, off, s[0:3], 0 offset:400
	buffer_load_dword v26, off, s[0:3], 0 offset:404
	buffer_load_dword v149, off, s[0:3], 0 offset:408
	buffer_load_dword v150, off, s[0:3], 0 offset:412
	buffer_load_dword v151, off, s[0:3], 0 offset:416
	buffer_load_dword v152, off, s[0:3], 0 offset:420
	global_store_dwordx2 v[23:24], v[153:154], off
	s_waitcnt vmcnt(62)
	global_store_dwordx2 v[37:38], v[155:156], off
	s_clause 0x7
	buffer_load_dword v23, off, s[0:3], 0 offset:424
	buffer_load_dword v24, off, s[0:3], 0 offset:428
	;; [unrolled: 1-line block ×8, first 2 shown]
	global_store_dwordx2 v[33:34], v[71:72], off
	s_clause 0x3
	buffer_load_dword v33, off, s[0:3], 0 offset:456
	buffer_load_dword v34, off, s[0:3], 0 offset:460
	;; [unrolled: 1-line block ×4, first 2 shown]
	global_store_dwordx2 v[31:32], v[119:120], off
	global_store_dwordx2 v[35:36], v[43:44], off
	s_waitcnt vmcnt(62)
	global_store_dwordx2 v[39:40], v[67:68], off
	global_store_dwordx2 v[41:42], v[121:122], off
	;; [unrolled: 1-line block ×6, first 2 shown]
	s_waitcnt vmcnt(60)
	global_store_dwordx2 v[53:54], v[127:128], off
	s_waitcnt vmcnt(58)
	global_store_dwordx2 v[55:56], v[13:14], off
	;; [unrolled: 2-line block ×31, first 2 shown]
	s_endpgm
	.section	.rodata,"a",@progbits
	.p2align	6, 0x0
	.amdhsa_kernel _ZN9rocsolver6v33100L18getri_kernel_smallILi59EdPdEEvT1_iilPiilS4_bb
		.amdhsa_group_segment_fixed_size 952
		.amdhsa_private_segment_fixed_size 480
		.amdhsa_kernarg_size 60
		.amdhsa_user_sgpr_count 6
		.amdhsa_user_sgpr_private_segment_buffer 1
		.amdhsa_user_sgpr_dispatch_ptr 0
		.amdhsa_user_sgpr_queue_ptr 0
		.amdhsa_user_sgpr_kernarg_segment_ptr 1
		.amdhsa_user_sgpr_dispatch_id 0
		.amdhsa_user_sgpr_flat_scratch_init 0
		.amdhsa_user_sgpr_private_segment_size 0
		.amdhsa_wavefront_size32 1
		.amdhsa_uses_dynamic_stack 0
		.amdhsa_system_sgpr_private_segment_wavefront_offset 1
		.amdhsa_system_sgpr_workgroup_id_x 1
		.amdhsa_system_sgpr_workgroup_id_y 0
		.amdhsa_system_sgpr_workgroup_id_z 0
		.amdhsa_system_sgpr_workgroup_info 0
		.amdhsa_system_vgpr_workitem_id 0
		.amdhsa_next_free_vgpr 167
		.amdhsa_next_free_sgpr 23
		.amdhsa_reserve_vcc 1
		.amdhsa_reserve_flat_scratch 0
		.amdhsa_float_round_mode_32 0
		.amdhsa_float_round_mode_16_64 0
		.amdhsa_float_denorm_mode_32 3
		.amdhsa_float_denorm_mode_16_64 3
		.amdhsa_dx10_clamp 1
		.amdhsa_ieee_mode 1
		.amdhsa_fp16_overflow 0
		.amdhsa_workgroup_processor_mode 1
		.amdhsa_memory_ordered 1
		.amdhsa_forward_progress 1
		.amdhsa_shared_vgpr_count 0
		.amdhsa_exception_fp_ieee_invalid_op 0
		.amdhsa_exception_fp_denorm_src 0
		.amdhsa_exception_fp_ieee_div_zero 0
		.amdhsa_exception_fp_ieee_overflow 0
		.amdhsa_exception_fp_ieee_underflow 0
		.amdhsa_exception_fp_ieee_inexact 0
		.amdhsa_exception_int_div_zero 0
	.end_amdhsa_kernel
	.section	.text._ZN9rocsolver6v33100L18getri_kernel_smallILi59EdPdEEvT1_iilPiilS4_bb,"axG",@progbits,_ZN9rocsolver6v33100L18getri_kernel_smallILi59EdPdEEvT1_iilPiilS4_bb,comdat
.Lfunc_end58:
	.size	_ZN9rocsolver6v33100L18getri_kernel_smallILi59EdPdEEvT1_iilPiilS4_bb, .Lfunc_end58-_ZN9rocsolver6v33100L18getri_kernel_smallILi59EdPdEEvT1_iilPiilS4_bb
                                        ; -- End function
	.set _ZN9rocsolver6v33100L18getri_kernel_smallILi59EdPdEEvT1_iilPiilS4_bb.num_vgpr, 167
	.set _ZN9rocsolver6v33100L18getri_kernel_smallILi59EdPdEEvT1_iilPiilS4_bb.num_agpr, 0
	.set _ZN9rocsolver6v33100L18getri_kernel_smallILi59EdPdEEvT1_iilPiilS4_bb.numbered_sgpr, 23
	.set _ZN9rocsolver6v33100L18getri_kernel_smallILi59EdPdEEvT1_iilPiilS4_bb.num_named_barrier, 0
	.set _ZN9rocsolver6v33100L18getri_kernel_smallILi59EdPdEEvT1_iilPiilS4_bb.private_seg_size, 480
	.set _ZN9rocsolver6v33100L18getri_kernel_smallILi59EdPdEEvT1_iilPiilS4_bb.uses_vcc, 1
	.set _ZN9rocsolver6v33100L18getri_kernel_smallILi59EdPdEEvT1_iilPiilS4_bb.uses_flat_scratch, 0
	.set _ZN9rocsolver6v33100L18getri_kernel_smallILi59EdPdEEvT1_iilPiilS4_bb.has_dyn_sized_stack, 0
	.set _ZN9rocsolver6v33100L18getri_kernel_smallILi59EdPdEEvT1_iilPiilS4_bb.has_recursion, 0
	.set _ZN9rocsolver6v33100L18getri_kernel_smallILi59EdPdEEvT1_iilPiilS4_bb.has_indirect_call, 0
	.section	.AMDGPU.csdata,"",@progbits
; Kernel info:
; codeLenInByte = 92124
; TotalNumSgprs: 25
; NumVgprs: 167
; ScratchSize: 480
; MemoryBound: 1
; FloatMode: 240
; IeeeMode: 1
; LDSByteSize: 952 bytes/workgroup (compile time only)
; SGPRBlocks: 0
; VGPRBlocks: 20
; NumSGPRsForWavesPerEU: 25
; NumVGPRsForWavesPerEU: 167
; Occupancy: 5
; WaveLimiterHint : 1
; COMPUTE_PGM_RSRC2:SCRATCH_EN: 1
; COMPUTE_PGM_RSRC2:USER_SGPR: 6
; COMPUTE_PGM_RSRC2:TRAP_HANDLER: 0
; COMPUTE_PGM_RSRC2:TGID_X_EN: 1
; COMPUTE_PGM_RSRC2:TGID_Y_EN: 0
; COMPUTE_PGM_RSRC2:TGID_Z_EN: 0
; COMPUTE_PGM_RSRC2:TIDIG_COMP_CNT: 0
	.section	.text._ZN9rocsolver6v33100L18getri_kernel_smallILi60EdPdEEvT1_iilPiilS4_bb,"axG",@progbits,_ZN9rocsolver6v33100L18getri_kernel_smallILi60EdPdEEvT1_iilPiilS4_bb,comdat
	.globl	_ZN9rocsolver6v33100L18getri_kernel_smallILi60EdPdEEvT1_iilPiilS4_bb ; -- Begin function _ZN9rocsolver6v33100L18getri_kernel_smallILi60EdPdEEvT1_iilPiilS4_bb
	.p2align	8
	.type	_ZN9rocsolver6v33100L18getri_kernel_smallILi60EdPdEEvT1_iilPiilS4_bb,@function
_ZN9rocsolver6v33100L18getri_kernel_smallILi60EdPdEEvT1_iilPiilS4_bb: ; @_ZN9rocsolver6v33100L18getri_kernel_smallILi60EdPdEEvT1_iilPiilS4_bb
; %bb.0:
	s_add_u32 s0, s0, s7
	s_addc_u32 s1, s1, 0
	s_mov_b32 s7, exec_lo
	v_cmpx_gt_u32_e32 60, v0
	s_cbranch_execz .LBB59_250
; %bb.1:
	s_clause 0x2
	s_load_dword s7, s[4:5], 0x38
	s_load_dwordx4 s[16:19], s[4:5], 0x10
	s_load_dwordx4 s[8:11], s[4:5], 0x28
                                        ; implicit-def: $sgpr20_sgpr21
	s_waitcnt lgkmcnt(0)
	s_bitcmp1_b32 s7, 8
	s_cselect_b32 s22, -1, 0
	s_bfe_u32 s12, s7, 0x10008
	s_ashr_i32 s7, s6, 31
	s_cmp_eq_u32 s12, 0
	s_cbranch_scc1 .LBB59_3
; %bb.2:
	s_load_dword s12, s[4:5], 0x20
	s_mul_i32 s13, s8, s7
	s_mul_hi_u32 s14, s8, s6
	s_mul_i32 s9, s9, s6
	s_add_i32 s13, s14, s13
	s_mul_i32 s8, s8, s6
	s_add_i32 s9, s13, s9
	s_lshl_b64 s[8:9], s[8:9], 2
	s_waitcnt lgkmcnt(0)
	s_ashr_i32 s13, s12, 31
	s_add_u32 s14, s18, s8
	s_addc_u32 s15, s19, s9
	s_lshl_b64 s[8:9], s[12:13], 2
	s_add_u32 s20, s14, s8
	s_addc_u32 s21, s15, s9
.LBB59_3:
	s_clause 0x1
	s_load_dwordx4 s[12:15], s[4:5], 0x0
	s_load_dword s8, s[4:5], 0x38
	s_mul_i32 s4, s16, s7
	s_mul_hi_u32 s5, s16, s6
	s_mul_i32 s9, s17, s6
	s_add_i32 s5, s5, s4
	s_mul_i32 s4, s16, s6
	s_add_i32 s5, s5, s9
	v_lshlrev_b32_e32 v123, 3, v0
	s_lshl_b64 s[4:5], s[4:5], 3
	s_waitcnt lgkmcnt(0)
	v_add3_u32 v1, s15, s15, v0
	s_ashr_i32 s17, s14, 31
	s_mov_b32 s16, s14
	s_add_u32 s9, s12, s4
	s_addc_u32 s12, s13, s5
	v_add_nc_u32_e32 v3, s15, v1
	v_ashrrev_i32_e32 v2, 31, v1
	s_lshl_b64 s[4:5], s[16:17], 3
	s_add_u32 s4, s9, s4
	v_add_nc_u32_e32 v5, s15, v3
	v_ashrrev_i32_e32 v4, 31, v3
	v_lshlrev_b64 v[1:2], 3, v[1:2]
	s_addc_u32 s5, s12, s5
	v_add_co_u32 v93, s9, s4, v123
	v_add_nc_u32_e32 v7, s15, v5
	v_ashrrev_i32_e32 v6, 31, v5
	v_lshlrev_b64 v[3:4], 3, v[3:4]
	v_add_co_u32 v1, vcc_lo, s4, v1
	v_add_nc_u32_e32 v11, s15, v7
	v_ashrrev_i32_e32 v8, 31, v7
	v_lshlrev_b64 v[9:10], 3, v[5:6]
	v_add_co_ci_u32_e64 v2, null, s5, v2, vcc_lo
	v_add_nc_u32_e32 v13, s15, v11
	v_ashrrev_i32_e32 v12, 31, v11
	v_lshlrev_b64 v[7:8], 3, v[7:8]
	v_add_co_u32 v5, vcc_lo, s4, v3
	v_add_nc_u32_e32 v15, s15, v13
	v_lshlrev_b64 v[11:12], 3, v[11:12]
	v_add_co_ci_u32_e64 v6, null, s5, v4, vcc_lo
	v_add_co_u32 v3, vcc_lo, s4, v9
	v_ashrrev_i32_e32 v16, 31, v15
	v_add_nc_u32_e32 v17, s15, v15
	v_add_co_ci_u32_e64 v4, null, s5, v10, vcc_lo
	v_add_co_u32 v9, vcc_lo, s4, v7
	v_add_co_ci_u32_e64 v10, null, s5, v8, vcc_lo
	v_add_co_u32 v7, vcc_lo, s4, v11
	v_add_co_ci_u32_e64 v8, null, s5, v12, vcc_lo
	v_lshlrev_b64 v[11:12], 3, v[15:16]
	v_add_nc_u32_e32 v15, s15, v17
	v_ashrrev_i32_e32 v14, 31, v13
	v_ashrrev_i32_e32 v18, 31, v17
	s_ashr_i32 s13, s15, 31
	s_mov_b32 s12, s15
	v_add_nc_u32_e32 v19, s15, v15
	v_lshlrev_b64 v[13:14], 3, v[13:14]
	v_ashrrev_i32_e32 v16, 31, v15
	v_lshlrev_b64 v[17:18], 3, v[17:18]
	v_add_co_ci_u32_e64 v94, null, s5, 0, s9
	v_add_nc_u32_e32 v21, s15, v19
	v_ashrrev_i32_e32 v20, 31, v19
	v_add_co_u32 v13, vcc_lo, s4, v13
	v_lshlrev_b64 v[15:16], 3, v[15:16]
	v_add_nc_u32_e32 v25, s15, v21
	v_add_co_ci_u32_e64 v14, null, s5, v14, vcc_lo
	v_add_co_u32 v11, vcc_lo, s4, v11
	v_lshlrev_b64 v[19:20], 3, v[19:20]
	v_add_co_ci_u32_e64 v12, null, s5, v12, vcc_lo
	v_add_co_u32 v17, vcc_lo, s4, v17
	v_ashrrev_i32_e32 v26, 31, v25
	v_add_nc_u32_e32 v27, s15, v25
	v_add_co_ci_u32_e64 v18, null, s5, v18, vcc_lo
	v_add_co_u32 v15, vcc_lo, s4, v15
	v_add_co_ci_u32_e64 v16, null, s5, v16, vcc_lo
	v_add_co_u32 v23, vcc_lo, s4, v19
	v_add_co_ci_u32_e64 v24, null, s5, v20, vcc_lo
	v_lshlrev_b64 v[19:20], 3, v[25:26]
	v_add_nc_u32_e32 v25, s15, v27
	v_ashrrev_i32_e32 v22, 31, v21
	v_ashrrev_i32_e32 v28, 31, v27
	s_lshl_b64 s[12:13], s[12:13], 3
	global_load_dwordx2 v[109:110], v123, s[4:5]
	v_add_nc_u32_e32 v29, s15, v25
	v_lshlrev_b64 v[21:22], 3, v[21:22]
	v_ashrrev_i32_e32 v26, 31, v25
	v_lshlrev_b64 v[27:28], 3, v[27:28]
	s_bitcmp0_b32 s8, 0
	v_add_nc_u32_e32 v33, s15, v29
	v_ashrrev_i32_e32 v30, 31, v29
	v_add_co_u32 v21, vcc_lo, s4, v21
	v_lshlrev_b64 v[31:32], 3, v[25:26]
	v_add_co_ci_u32_e64 v22, null, s5, v22, vcc_lo
	v_add_co_u32 v19, vcc_lo, s4, v19
	v_ashrrev_i32_e32 v34, 31, v33
	v_add_nc_u32_e32 v35, s15, v33
	v_add_co_ci_u32_e64 v20, null, s5, v20, vcc_lo
	v_add_co_u32 v25, vcc_lo, s4, v27
	v_add_co_ci_u32_e64 v26, null, s5, v28, vcc_lo
	v_add_co_u32 v27, vcc_lo, s4, v31
	v_add_co_ci_u32_e64 v28, null, s5, v32, vcc_lo
	v_lshlrev_b64 v[31:32], 3, v[33:34]
	v_add_nc_u32_e32 v33, s15, v35
	v_ashrrev_i32_e32 v36, 31, v35
	v_lshlrev_b64 v[29:30], 3, v[29:30]
	v_add_nc_u32_e32 v37, s15, v33
	v_ashrrev_i32_e32 v34, 31, v33
	v_lshlrev_b64 v[35:36], 3, v[35:36]
	v_add_co_u32 v29, vcc_lo, s4, v29
	v_add_nc_u32_e32 v41, s15, v37
	v_lshlrev_b64 v[39:40], 3, v[33:34]
	v_add_co_ci_u32_e64 v30, null, s5, v30, vcc_lo
	v_add_co_u32 v31, vcc_lo, s4, v31
	v_ashrrev_i32_e32 v42, 31, v41
	v_add_nc_u32_e32 v43, s15, v41
	v_add_co_ci_u32_e64 v32, null, s5, v32, vcc_lo
	v_add_co_u32 v33, vcc_lo, s4, v35
	v_add_co_ci_u32_e64 v34, null, s5, v36, vcc_lo
	v_add_co_u32 v35, vcc_lo, s4, v39
	v_ashrrev_i32_e32 v38, 31, v37
	v_add_co_ci_u32_e64 v36, null, s5, v40, vcc_lo
	v_lshlrev_b64 v[39:40], 3, v[41:42]
	v_add_nc_u32_e32 v41, s15, v43
	v_lshlrev_b64 v[37:38], 3, v[37:38]
	v_ashrrev_i32_e32 v44, 31, v43
	v_add_nc_u32_e32 v45, s15, v41
	v_ashrrev_i32_e32 v42, 31, v41
	v_add_co_u32 v37, vcc_lo, s4, v37
	v_lshlrev_b64 v[43:44], 3, v[43:44]
	v_ashrrev_i32_e32 v46, 31, v45
	v_add_co_ci_u32_e64 v38, null, s5, v38, vcc_lo
	v_add_co_u32 v49, vcc_lo, v93, s12
	v_lshlrev_b64 v[47:48], 3, v[41:42]
	v_add_co_ci_u32_e64 v50, null, s13, v94, vcc_lo
	v_add_co_u32 v39, vcc_lo, s4, v39
	v_add_nc_u32_e32 v51, s15, v45
	v_lshlrev_b64 v[45:46], 3, v[45:46]
	v_add_co_ci_u32_e64 v40, null, s5, v40, vcc_lo
	v_add_co_u32 v41, vcc_lo, s4, v43
	v_add_co_ci_u32_e64 v42, null, s5, v44, vcc_lo
	v_add_co_u32 v43, vcc_lo, s4, v47
	;; [unrolled: 2-line block ×3, first 2 shown]
	v_add_co_ci_u32_e64 v46, null, s5, v46, vcc_lo
	s_clause 0x17
	global_load_dwordx2 v[111:112], v[49:50], off
	global_load_dwordx2 v[113:114], v[1:2], off
	;; [unrolled: 1-line block ×24, first 2 shown]
	v_ashrrev_i32_e32 v52, 31, v51
	v_add_nc_u32_e32 v53, s15, v51
	v_lshlrev_b64 v[47:48], 3, v[51:52]
	v_ashrrev_i32_e32 v54, 31, v53
	v_add_co_u32 v47, vcc_lo, s4, v47
	v_add_co_ci_u32_e64 v48, null, s5, v48, vcc_lo
	v_lshlrev_b64 v[51:52], 3, v[53:54]
	v_add_nc_u32_e32 v53, s15, v53
	global_load_dwordx2 v[160:161], v[47:48], off
	v_add_co_u32 v51, vcc_lo, s4, v51
	v_add_co_ci_u32_e64 v52, null, s5, v52, vcc_lo
	v_add_nc_u32_e32 v55, s15, v53
	v_ashrrev_i32_e32 v54, 31, v53
	global_load_dwordx2 v[162:163], v[51:52], off
	s_waitcnt vmcnt(26)
	buffer_store_dword v110, off, s[0:3], 0 offset:4
	buffer_store_dword v109, off, s[0:3], 0
	s_waitcnt vmcnt(25)
	buffer_store_dword v112, off, s[0:3], 0 offset:12
	buffer_store_dword v111, off, s[0:3], 0 offset:8
	s_waitcnt vmcnt(24)
	buffer_store_dword v114, off, s[0:3], 0 offset:20
	buffer_store_dword v113, off, s[0:3], 0 offset:16
	;; [unrolled: 3-line block ×6, first 2 shown]
	buffer_store_dword v125, off, s[0:3], 0 offset:60
	buffer_store_dword v124, off, s[0:3], 0 offset:56
	s_waitcnt vmcnt(18)
	buffer_store_dword v127, off, s[0:3], 0 offset:68
	buffer_store_dword v126, off, s[0:3], 0 offset:64
	s_waitcnt vmcnt(17)
	buffer_store_dword v128, off, s[0:3], 0 offset:72
	buffer_store_dword v129, off, s[0:3], 0 offset:76
	s_waitcnt vmcnt(16)
	buffer_store_dword v130, off, s[0:3], 0 offset:80
	buffer_store_dword v131, off, s[0:3], 0 offset:84
	s_waitcnt vmcnt(15)
	buffer_store_dword v132, off, s[0:3], 0 offset:88
	buffer_store_dword v133, off, s[0:3], 0 offset:92
	s_waitcnt vmcnt(14)
	buffer_store_dword v134, off, s[0:3], 0 offset:96
	buffer_store_dword v135, off, s[0:3], 0 offset:100
	s_waitcnt vmcnt(13)
	buffer_store_dword v136, off, s[0:3], 0 offset:104
	buffer_store_dword v137, off, s[0:3], 0 offset:108
	s_waitcnt vmcnt(12)
	buffer_store_dword v139, off, s[0:3], 0 offset:116
	buffer_store_dword v138, off, s[0:3], 0 offset:112
	s_waitcnt vmcnt(11)
	buffer_store_dword v140, off, s[0:3], 0 offset:120
	buffer_store_dword v141, off, s[0:3], 0 offset:124
	s_waitcnt vmcnt(10)
	buffer_store_dword v142, off, s[0:3], 0 offset:128
	buffer_store_dword v143, off, s[0:3], 0 offset:132
	s_waitcnt vmcnt(9)
	buffer_store_dword v144, off, s[0:3], 0 offset:136
	buffer_store_dword v145, off, s[0:3], 0 offset:140
	s_waitcnt vmcnt(8)
	buffer_store_dword v146, off, s[0:3], 0 offset:144
	buffer_store_dword v147, off, s[0:3], 0 offset:148
	s_waitcnt vmcnt(7)
	buffer_store_dword v149, off, s[0:3], 0 offset:156
	buffer_store_dword v148, off, s[0:3], 0 offset:152
	s_waitcnt vmcnt(6)
	buffer_store_dword v151, off, s[0:3], 0 offset:164
	buffer_store_dword v150, off, s[0:3], 0 offset:160
	s_waitcnt vmcnt(5)
	buffer_store_dword v152, off, s[0:3], 0 offset:168
	buffer_store_dword v153, off, s[0:3], 0 offset:172
	s_waitcnt vmcnt(4)
	buffer_store_dword v154, off, s[0:3], 0 offset:176
	buffer_store_dword v155, off, s[0:3], 0 offset:180
	s_waitcnt vmcnt(3)
	buffer_store_dword v156, off, s[0:3], 0 offset:184
	buffer_store_dword v157, off, s[0:3], 0 offset:188
	s_waitcnt vmcnt(2)
	buffer_store_dword v158, off, s[0:3], 0 offset:192
	buffer_store_dword v159, off, s[0:3], 0 offset:196
	v_add_nc_u32_e32 v57, s15, v55
	v_ashrrev_i32_e32 v56, 31, v55
	v_lshlrev_b64 v[53:54], 3, v[53:54]
	v_add_nc_u32_e32 v59, s15, v57
	v_ashrrev_i32_e32 v58, 31, v57
	v_lshlrev_b64 v[55:56], 3, v[55:56]
	v_add_co_u32 v53, vcc_lo, s4, v53
	v_add_nc_u32_e32 v61, s15, v59
	v_ashrrev_i32_e32 v60, 31, v59
	v_lshlrev_b64 v[57:58], 3, v[57:58]
	v_add_co_ci_u32_e64 v54, null, s5, v54, vcc_lo
	v_add_nc_u32_e32 v63, s15, v61
	v_ashrrev_i32_e32 v62, 31, v61
	v_lshlrev_b64 v[59:60], 3, v[59:60]
	v_add_co_u32 v55, vcc_lo, s4, v55
	v_add_nc_u32_e32 v65, s15, v63
	v_ashrrev_i32_e32 v64, 31, v63
	v_lshlrev_b64 v[61:62], 3, v[61:62]
	v_add_co_ci_u32_e64 v56, null, s5, v56, vcc_lo
	v_add_nc_u32_e32 v67, s15, v65
	v_ashrrev_i32_e32 v66, 31, v65
	v_add_co_u32 v57, vcc_lo, s4, v57
	v_lshlrev_b64 v[63:64], 3, v[63:64]
	v_add_nc_u32_e32 v69, s15, v67
	v_ashrrev_i32_e32 v68, 31, v67
	v_add_co_ci_u32_e64 v58, null, s5, v58, vcc_lo
	v_add_co_u32 v59, vcc_lo, s4, v59
	v_add_nc_u32_e32 v71, s15, v69
	v_ashrrev_i32_e32 v70, 31, v69
	v_lshlrev_b64 v[65:66], 3, v[65:66]
	v_add_co_ci_u32_e64 v60, null, s5, v60, vcc_lo
	v_add_nc_u32_e32 v73, s15, v71
	v_ashrrev_i32_e32 v72, 31, v71
	v_add_co_u32 v61, vcc_lo, s4, v61
	v_lshlrev_b64 v[67:68], 3, v[67:68]
	v_add_nc_u32_e32 v75, s15, v73
	v_ashrrev_i32_e32 v74, 31, v73
	v_add_co_ci_u32_e64 v62, null, s5, v62, vcc_lo
	v_add_co_u32 v63, vcc_lo, s4, v63
	v_add_nc_u32_e32 v77, s15, v75
	v_lshlrev_b64 v[69:70], 3, v[69:70]
	v_ashrrev_i32_e32 v76, 31, v75
	v_add_co_ci_u32_e64 v64, null, s5, v64, vcc_lo
	v_add_nc_u32_e32 v79, s15, v77
	v_add_co_u32 v65, vcc_lo, s4, v65
	v_lshlrev_b64 v[71:72], 3, v[71:72]
	v_ashrrev_i32_e32 v78, 31, v77
	v_add_nc_u32_e32 v81, s15, v79
	v_add_co_ci_u32_e64 v66, null, s5, v66, vcc_lo
	v_add_co_u32 v67, vcc_lo, s4, v67
	v_add_nc_u32_e32 v83, s15, v81
	v_lshlrev_b64 v[73:74], 3, v[73:74]
	v_ashrrev_i32_e32 v80, 31, v79
	v_add_co_ci_u32_e64 v68, null, s5, v68, vcc_lo
	v_add_nc_u32_e32 v85, s15, v83
	v_add_co_u32 v69, vcc_lo, s4, v69
	v_lshlrev_b64 v[75:76], 3, v[75:76]
	v_ashrrev_i32_e32 v82, 31, v81
	v_add_nc_u32_e32 v87, s15, v85
	;; [unrolled: 11-line block ×5, first 2 shown]
	v_add_co_ci_u32_e64 v82, null, s5, v82, vcc_lo
	v_add_co_u32 v83, vcc_lo, s4, v83
	v_lshlrev_b64 v[89:90], 3, v[89:90]
	v_ashrrev_i32_e32 v98, 31, v97
	v_add_co_ci_u32_e64 v84, null, s5, v84, vcc_lo
	v_add_co_u32 v85, vcc_lo, s4, v85
	v_lshlrev_b64 v[91:92], 3, v[91:92]
	v_add_nc_u32_e32 v164, s15, v107
	v_ashrrev_i32_e32 v100, 31, v99
	v_add_co_ci_u32_e64 v86, null, s5, v86, vcc_lo
	v_add_co_u32 v87, vcc_lo, s4, v87
	v_lshlrev_b64 v[95:96], 3, v[95:96]
	v_ashrrev_i32_e32 v102, 31, v101
	v_add_co_ci_u32_e64 v88, null, s5, v88, vcc_lo
	v_add_co_u32 v89, vcc_lo, s4, v89
	v_lshlrev_b64 v[97:98], 3, v[97:98]
	v_ashrrev_i32_e32 v104, 31, v103
	v_add_nc_u32_e32 v111, s15, v164
	v_add_co_ci_u32_e64 v90, null, s5, v90, vcc_lo
	v_add_co_u32 v91, vcc_lo, s4, v91
	v_lshlrev_b64 v[99:100], 3, v[99:100]
	v_ashrrev_i32_e32 v106, 31, v105
	v_add_co_ci_u32_e64 v92, null, s5, v92, vcc_lo
	v_add_co_u32 v95, vcc_lo, s4, v95
	v_lshlrev_b64 v[101:102], 3, v[101:102]
	v_ashrrev_i32_e32 v108, 31, v107
	v_add_co_ci_u32_e64 v96, null, s5, v96, vcc_lo
	v_add_co_u32 v97, vcc_lo, s4, v97
	v_lshlrev_b64 v[103:104], 3, v[103:104]
	v_add_nc_u32_e32 v113, s15, v111
	v_ashrrev_i32_e32 v165, 31, v164
	v_add_co_ci_u32_e64 v98, null, s5, v98, vcc_lo
	v_add_co_u32 v99, vcc_lo, s4, v99
	v_lshlrev_b64 v[105:106], 3, v[105:106]
	v_ashrrev_i32_e32 v112, 31, v111
	v_add_co_ci_u32_e64 v100, null, s5, v100, vcc_lo
	v_add_co_u32 v101, vcc_lo, s4, v101
	v_lshlrev_b64 v[107:108], 3, v[107:108]
	;; [unrolled: 4-line block ×3, first 2 shown]
	v_add_co_ci_u32_e64 v104, null, s5, v104, vcc_lo
	v_add_co_u32 v105, vcc_lo, s4, v105
	v_lshlrev_b64 v[111:112], 3, v[111:112]
	v_add_co_ci_u32_e64 v106, null, s5, v106, vcc_lo
	v_add_co_u32 v107, vcc_lo, s4, v107
	v_add_nc_u32_e32 v115, s15, v113
	v_lshlrev_b64 v[113:114], 3, v[113:114]
	v_add_co_ci_u32_e64 v108, null, s5, v108, vcc_lo
	v_add_co_u32 v109, vcc_lo, s4, v165
	v_add_co_ci_u32_e64 v110, null, s5, v166, vcc_lo
	v_add_co_u32 v111, vcc_lo, s4, v111
	;; [unrolled: 2-line block ×3, first 2 shown]
	v_add_co_ci_u32_e64 v114, null, s5, v114, vcc_lo
	s_clause 0x1
	global_load_dwordx2 v[121:122], v[53:54], off
	global_load_dwordx2 v[124:125], v[55:56], off
	s_waitcnt vmcnt(3)
	buffer_store_dword v161, off, s[0:3], 0 offset:204
	buffer_store_dword v160, off, s[0:3], 0 offset:200
	s_clause 0x1b
	global_load_dwordx2 v[126:127], v[57:58], off
	global_load_dwordx2 v[128:129], v[59:60], off
	;; [unrolled: 1-line block ×28, first 2 shown]
	v_add_nc_u32_e32 v117, s15, v115
	v_ashrrev_i32_e32 v116, 31, v115
	s_waitcnt vmcnt(30)
	buffer_store_dword v163, off, s[0:3], 0 offset:212
	buffer_store_dword v162, off, s[0:3], 0 offset:208
	v_add_nc_u32_e32 v119, s15, v117
	v_ashrrev_i32_e32 v118, 31, v117
	v_lshlrev_b64 v[115:116], 3, v[115:116]
	v_ashrrev_i32_e32 v120, 31, v119
	v_lshlrev_b64 v[117:118], 3, v[117:118]
	v_add_co_u32 v115, vcc_lo, s4, v115
	v_lshlrev_b64 v[119:120], 3, v[119:120]
	v_add_co_ci_u32_e64 v116, null, s5, v116, vcc_lo
	v_add_co_u32 v117, vcc_lo, s4, v117
	v_add_co_ci_u32_e64 v118, null, s5, v118, vcc_lo
	v_add_co_u32 v119, vcc_lo, s4, v119
	v_add_co_ci_u32_e64 v120, null, s5, v120, vcc_lo
	s_clause 0x1
	global_load_dwordx2 v[184:185], v[115:116], off
	global_load_dwordx2 v[186:187], v[117:118], off
	s_mov_b32 s5, -1
	global_load_dwordx2 v[162:163], v[119:120], off
	s_waitcnt vmcnt(32)
	buffer_store_dword v121, off, s[0:3], 0 offset:216
	buffer_store_dword v122, off, s[0:3], 0 offset:220
	s_waitcnt vmcnt(31)
	buffer_store_dword v124, off, s[0:3], 0 offset:224
	buffer_store_dword v125, off, s[0:3], 0 offset:228
	;; [unrolled: 3-line block ×33, first 2 shown]
	s_cbranch_scc1 .LBB59_248
; %bb.4:
	v_cmp_eq_u32_e64 s4, 0, v0
	s_and_saveexec_b32 s5, s4
; %bb.5:
	v_mov_b32_e32 v121, 0
	ds_write_b32 v121, v121 offset:960
; %bb.6:
	s_or_b32 exec_lo, exec_lo, s5
	v_lshl_add_u32 v121, v0, 3, 0
	s_waitcnt lgkmcnt(0)
	s_waitcnt_vscnt null, 0x0
	s_barrier
	buffer_gl0_inv
	s_mov_b32 s8, exec_lo
	s_clause 0x1
	buffer_load_dword v124, v121, s[0:3], 0 offen
	buffer_load_dword v125, v121, s[0:3], 0 offen offset:4
	s_waitcnt vmcnt(0)
	v_cmpx_eq_f64_e32 0, v[124:125]
	s_cbranch_execz .LBB59_10
; %bb.7:
	v_mov_b32_e32 v122, 0
	s_mov_b32 s9, 0
	ds_read_b32 v124, v122 offset:960
	s_waitcnt lgkmcnt(0)
	v_readfirstlane_b32 s5, v124
	v_add_nc_u32_e32 v124, 1, v0
	s_cmp_eq_u32 s5, 0
	v_cmp_gt_i32_e32 vcc_lo, s5, v124
	s_cselect_b32 s12, -1, 0
	s_or_b32 s12, s12, vcc_lo
	s_and_b32 exec_lo, exec_lo, s12
	s_cbranch_execz .LBB59_10
; %bb.8:
	v_mov_b32_e32 v125, s5
.LBB59_9:                               ; =>This Inner Loop Header: Depth=1
	ds_cmpst_rtn_b32 v125, v122, v125, v124 offset:960
	s_waitcnt lgkmcnt(0)
	v_cmp_ne_u32_e32 vcc_lo, 0, v125
	v_cmp_le_i32_e64 s5, v125, v124
	s_and_b32 s5, vcc_lo, s5
	s_and_b32 s5, exec_lo, s5
	s_or_b32 s9, s5, s9
	s_andn2_b32 exec_lo, exec_lo, s9
	s_cbranch_execnz .LBB59_9
.LBB59_10:
	s_or_b32 exec_lo, exec_lo, s8
	v_mov_b32_e32 v122, 0
	s_barrier
	buffer_gl0_inv
	ds_read_b32 v124, v122 offset:960
	s_and_saveexec_b32 s5, s4
	s_cbranch_execz .LBB59_12
; %bb.11:
	s_lshl_b64 s[8:9], s[6:7], 2
	s_add_u32 s8, s10, s8
	s_addc_u32 s9, s11, s9
	s_waitcnt lgkmcnt(0)
	global_store_dword v122, v124, s[8:9]
.LBB59_12:
	s_or_b32 exec_lo, exec_lo, s5
	s_waitcnt lgkmcnt(0)
	v_cmp_ne_u32_e32 vcc_lo, 0, v124
	s_mov_b32 s5, 0
	s_cbranch_vccnz .LBB59_248
; %bb.13:
	s_clause 0x1
	buffer_load_dword v124, v121, s[0:3], 0 offen
	buffer_load_dword v125, v121, s[0:3], 0 offen offset:4
	s_waitcnt vmcnt(0)
	v_div_scale_f64 v[126:127], null, v[124:125], v[124:125], 1.0
	v_div_scale_f64 v[132:133], vcc_lo, 1.0, v[124:125], 1.0
	v_rcp_f64_e32 v[128:129], v[126:127]
	v_fma_f64 v[130:131], -v[126:127], v[128:129], 1.0
	v_fma_f64 v[128:129], v[128:129], v[130:131], v[128:129]
	v_fma_f64 v[130:131], -v[126:127], v[128:129], 1.0
	v_fma_f64 v[128:129], v[128:129], v[130:131], v[128:129]
	v_mul_f64 v[130:131], v[132:133], v[128:129]
	v_fma_f64 v[126:127], -v[126:127], v[130:131], v[132:133]
	v_div_fmas_f64 v[126:127], v[126:127], v[128:129], v[130:131]
	v_div_fixup_f64 v[125:126], v[126:127], v[124:125], 1.0
	v_add_nc_u32_e32 v124, 0x1e0, v123
	buffer_store_dword v126, v121, s[0:3], 0 offen offset:4
	buffer_store_dword v125, v121, s[0:3], 0 offen
	s_clause 0x1
	buffer_load_dword v128, off, s[0:3], 0 offset:12
	buffer_load_dword v127, off, s[0:3], 0 offset:8
	v_xor_b32_e32 v126, 0x80000000, v126
	s_waitcnt vmcnt(0)
	ds_write2_b64 v123, v[125:126], v[127:128] offset1:60
	s_waitcnt lgkmcnt(0)
	s_waitcnt_vscnt null, 0x0
	s_barrier
	buffer_gl0_inv
	s_and_saveexec_b32 s5, s4
	s_cbranch_execz .LBB59_15
; %bb.14:
	s_clause 0x1
	buffer_load_dword v125, v121, s[0:3], 0 offen
	buffer_load_dword v126, v121, s[0:3], 0 offen offset:4
	ds_read_b64 v[127:128], v124
	v_mov_b32_e32 v122, 0
	ds_read_b64 v[129:130], v122 offset:8
	s_waitcnt vmcnt(0) lgkmcnt(1)
	v_fma_f64 v[125:126], v[125:126], v[127:128], 0
	s_waitcnt lgkmcnt(0)
	v_mul_f64 v[125:126], v[125:126], v[129:130]
	buffer_store_dword v125, off, s[0:3], 0 offset:8
	buffer_store_dword v126, off, s[0:3], 0 offset:12
.LBB59_15:
	s_or_b32 exec_lo, exec_lo, s5
	s_waitcnt_vscnt null, 0x0
	s_barrier
	buffer_gl0_inv
	s_clause 0x1
	buffer_load_dword v125, off, s[0:3], 0 offset:16
	buffer_load_dword v126, off, s[0:3], 0 offset:20
	s_mov_b32 s5, exec_lo
	s_waitcnt vmcnt(0)
	ds_write_b64 v124, v[125:126]
	s_waitcnt lgkmcnt(0)
	s_barrier
	buffer_gl0_inv
	v_cmpx_gt_u32_e32 2, v0
	s_cbranch_execz .LBB59_19
; %bb.16:
	s_clause 0x1
	buffer_load_dword v125, v121, s[0:3], 0 offen
	buffer_load_dword v126, v121, s[0:3], 0 offen offset:4
	ds_read_b64 v[121:122], v124
	s_waitcnt vmcnt(0) lgkmcnt(0)
	v_fma_f64 v[121:122], v[125:126], v[121:122], 0
	s_and_saveexec_b32 s8, s4
	s_cbranch_execz .LBB59_18
; %bb.17:
	s_clause 0x1
	buffer_load_dword v125, off, s[0:3], 0 offset:8
	buffer_load_dword v126, off, s[0:3], 0 offset:12
	v_mov_b32_e32 v127, 0
	ds_read_b64 v[127:128], v127 offset:488
	s_waitcnt vmcnt(0) lgkmcnt(0)
	v_fma_f64 v[121:122], v[125:126], v[127:128], v[121:122]
.LBB59_18:
	s_or_b32 exec_lo, exec_lo, s8
	v_mov_b32_e32 v125, 0
	ds_read_b64 v[125:126], v125 offset:16
	s_waitcnt lgkmcnt(0)
	v_mul_f64 v[121:122], v[121:122], v[125:126]
	buffer_store_dword v122, off, s[0:3], 0 offset:20
	buffer_store_dword v121, off, s[0:3], 0 offset:16
.LBB59_19:
	s_or_b32 exec_lo, exec_lo, s5
	s_waitcnt_vscnt null, 0x0
	s_barrier
	buffer_gl0_inv
	s_clause 0x1
	buffer_load_dword v121, off, s[0:3], 0 offset:24
	buffer_load_dword v122, off, s[0:3], 0 offset:28
	v_add_nc_u32_e32 v125, -1, v0
	s_mov_b32 s4, exec_lo
	s_waitcnt vmcnt(0)
	ds_write_b64 v124, v[121:122]
	s_waitcnt lgkmcnt(0)
	s_barrier
	buffer_gl0_inv
	v_cmpx_gt_u32_e32 3, v0
	s_cbranch_execz .LBB59_23
; %bb.20:
	v_mov_b32_e32 v121, 0
	v_add_nc_u32_e32 v126, -1, v0
	v_add_nc_u32_e32 v127, 0x1e0, v123
	v_mov_b32_e32 v122, 0
	v_mov_b32_e32 v128, v123
	s_mov_b32 s5, 0
.LBB59_21:                              ; =>This Inner Loop Header: Depth=1
	s_clause 0x1
	buffer_load_dword v129, v128, s[0:3], 0 offen
	buffer_load_dword v130, v128, s[0:3], 0 offen offset:4
	ds_read_b64 v[131:132], v127
	v_add_nc_u32_e32 v126, 1, v126
	v_add_nc_u32_e32 v127, 8, v127
	v_add_nc_u32_e32 v128, 8, v128
	v_cmp_lt_u32_e32 vcc_lo, 1, v126
	s_or_b32 s5, vcc_lo, s5
	s_waitcnt vmcnt(0) lgkmcnt(0)
	v_fma_f64 v[121:122], v[129:130], v[131:132], v[121:122]
	s_andn2_b32 exec_lo, exec_lo, s5
	s_cbranch_execnz .LBB59_21
; %bb.22:
	s_or_b32 exec_lo, exec_lo, s5
	v_mov_b32_e32 v126, 0
	ds_read_b64 v[126:127], v126 offset:24
	s_waitcnt lgkmcnt(0)
	v_mul_f64 v[121:122], v[121:122], v[126:127]
	buffer_store_dword v122, off, s[0:3], 0 offset:28
	buffer_store_dword v121, off, s[0:3], 0 offset:24
.LBB59_23:
	s_or_b32 exec_lo, exec_lo, s4
	s_waitcnt_vscnt null, 0x0
	s_barrier
	buffer_gl0_inv
	s_clause 0x1
	buffer_load_dword v121, off, s[0:3], 0 offset:32
	buffer_load_dword v122, off, s[0:3], 0 offset:36
	s_mov_b32 s4, exec_lo
	s_waitcnt vmcnt(0)
	ds_write_b64 v124, v[121:122]
	s_waitcnt lgkmcnt(0)
	s_barrier
	buffer_gl0_inv
	v_cmpx_gt_u32_e32 4, v0
	s_cbranch_execz .LBB59_27
; %bb.24:
	v_mov_b32_e32 v121, 0
	v_add_nc_u32_e32 v126, -1, v0
	v_add_nc_u32_e32 v127, 0x1e0, v123
	v_mov_b32_e32 v122, 0
	v_mov_b32_e32 v128, v123
	s_mov_b32 s5, 0
.LBB59_25:                              ; =>This Inner Loop Header: Depth=1
	s_clause 0x1
	buffer_load_dword v129, v128, s[0:3], 0 offen
	buffer_load_dword v130, v128, s[0:3], 0 offen offset:4
	ds_read_b64 v[131:132], v127
	v_add_nc_u32_e32 v126, 1, v126
	v_add_nc_u32_e32 v127, 8, v127
	v_add_nc_u32_e32 v128, 8, v128
	v_cmp_lt_u32_e32 vcc_lo, 2, v126
	s_or_b32 s5, vcc_lo, s5
	s_waitcnt vmcnt(0) lgkmcnt(0)
	v_fma_f64 v[121:122], v[129:130], v[131:132], v[121:122]
	s_andn2_b32 exec_lo, exec_lo, s5
	s_cbranch_execnz .LBB59_25
; %bb.26:
	s_or_b32 exec_lo, exec_lo, s5
	v_mov_b32_e32 v126, 0
	ds_read_b64 v[126:127], v126 offset:32
	s_waitcnt lgkmcnt(0)
	v_mul_f64 v[121:122], v[121:122], v[126:127]
	buffer_store_dword v122, off, s[0:3], 0 offset:36
	buffer_store_dword v121, off, s[0:3], 0 offset:32
.LBB59_27:
	s_or_b32 exec_lo, exec_lo, s4
	s_waitcnt_vscnt null, 0x0
	s_barrier
	buffer_gl0_inv
	s_clause 0x1
	buffer_load_dword v121, off, s[0:3], 0 offset:40
	buffer_load_dword v122, off, s[0:3], 0 offset:44
	;; [unrolled: 45-line block ×20, first 2 shown]
	s_mov_b32 s4, exec_lo
	s_waitcnt vmcnt(0)
	ds_write_b64 v124, v[121:122]
	s_waitcnt lgkmcnt(0)
	s_barrier
	buffer_gl0_inv
	v_cmpx_gt_u32_e32 23, v0
	s_cbranch_execz .LBB59_103
; %bb.100:
	v_mov_b32_e32 v121, 0
	v_add_nc_u32_e32 v126, -1, v0
	v_add_nc_u32_e32 v127, 0x1e0, v123
	v_mov_b32_e32 v122, 0
	v_mov_b32_e32 v128, v123
	s_mov_b32 s5, 0
.LBB59_101:                             ; =>This Inner Loop Header: Depth=1
	s_clause 0x1
	buffer_load_dword v129, v128, s[0:3], 0 offen
	buffer_load_dword v130, v128, s[0:3], 0 offen offset:4
	ds_read_b64 v[131:132], v127
	v_add_nc_u32_e32 v126, 1, v126
	v_add_nc_u32_e32 v127, 8, v127
	v_add_nc_u32_e32 v128, 8, v128
	v_cmp_lt_u32_e32 vcc_lo, 21, v126
	s_or_b32 s5, vcc_lo, s5
	s_waitcnt vmcnt(0) lgkmcnt(0)
	v_fma_f64 v[121:122], v[129:130], v[131:132], v[121:122]
	s_andn2_b32 exec_lo, exec_lo, s5
	s_cbranch_execnz .LBB59_101
; %bb.102:
	s_or_b32 exec_lo, exec_lo, s5
	v_mov_b32_e32 v126, 0
	ds_read_b64 v[126:127], v126 offset:184
	s_waitcnt lgkmcnt(0)
	v_mul_f64 v[121:122], v[121:122], v[126:127]
	buffer_store_dword v122, off, s[0:3], 0 offset:188
	buffer_store_dword v121, off, s[0:3], 0 offset:184
.LBB59_103:
	s_or_b32 exec_lo, exec_lo, s4
	s_waitcnt_vscnt null, 0x0
	s_barrier
	buffer_gl0_inv
	s_clause 0x1
	buffer_load_dword v121, off, s[0:3], 0 offset:192
	buffer_load_dword v122, off, s[0:3], 0 offset:196
	s_mov_b32 s4, exec_lo
	s_waitcnt vmcnt(0)
	ds_write_b64 v124, v[121:122]
	s_waitcnt lgkmcnt(0)
	s_barrier
	buffer_gl0_inv
	v_cmpx_gt_u32_e32 24, v0
	s_cbranch_execz .LBB59_107
; %bb.104:
	v_mov_b32_e32 v121, 0
	v_add_nc_u32_e32 v126, -1, v0
	v_add_nc_u32_e32 v127, 0x1e0, v123
	v_mov_b32_e32 v122, 0
	v_mov_b32_e32 v128, v123
	s_mov_b32 s5, 0
.LBB59_105:                             ; =>This Inner Loop Header: Depth=1
	s_clause 0x1
	buffer_load_dword v129, v128, s[0:3], 0 offen
	buffer_load_dword v130, v128, s[0:3], 0 offen offset:4
	ds_read_b64 v[131:132], v127
	v_add_nc_u32_e32 v126, 1, v126
	v_add_nc_u32_e32 v127, 8, v127
	v_add_nc_u32_e32 v128, 8, v128
	v_cmp_lt_u32_e32 vcc_lo, 22, v126
	s_or_b32 s5, vcc_lo, s5
	s_waitcnt vmcnt(0) lgkmcnt(0)
	v_fma_f64 v[121:122], v[129:130], v[131:132], v[121:122]
	s_andn2_b32 exec_lo, exec_lo, s5
	s_cbranch_execnz .LBB59_105
; %bb.106:
	s_or_b32 exec_lo, exec_lo, s5
	v_mov_b32_e32 v126, 0
	ds_read_b64 v[126:127], v126 offset:192
	s_waitcnt lgkmcnt(0)
	v_mul_f64 v[121:122], v[121:122], v[126:127]
	buffer_store_dword v122, off, s[0:3], 0 offset:196
	buffer_store_dword v121, off, s[0:3], 0 offset:192
.LBB59_107:
	s_or_b32 exec_lo, exec_lo, s4
	s_waitcnt_vscnt null, 0x0
	s_barrier
	buffer_gl0_inv
	s_clause 0x1
	buffer_load_dword v121, off, s[0:3], 0 offset:200
	buffer_load_dword v122, off, s[0:3], 0 offset:204
	;; [unrolled: 45-line block ×36, first 2 shown]
	s_mov_b32 s4, exec_lo
	s_waitcnt vmcnt(0)
	ds_write_b64 v124, v[121:122]
	s_waitcnt lgkmcnt(0)
	s_barrier
	buffer_gl0_inv
	v_cmpx_ne_u32_e32 59, v0
	s_cbranch_execz .LBB59_247
; %bb.244:
	v_mov_b32_e32 v121, 0
	v_mov_b32_e32 v122, 0
	s_mov_b32 s5, 0
.LBB59_245:                             ; =>This Inner Loop Header: Depth=1
	s_clause 0x1
	buffer_load_dword v126, v123, s[0:3], 0 offen
	buffer_load_dword v127, v123, s[0:3], 0 offen offset:4
	ds_read_b64 v[128:129], v124
	v_add_nc_u32_e32 v125, 1, v125
	v_add_nc_u32_e32 v124, 8, v124
	;; [unrolled: 1-line block ×3, first 2 shown]
	v_cmp_lt_u32_e32 vcc_lo, 57, v125
	s_or_b32 s5, vcc_lo, s5
	s_waitcnt vmcnt(0) lgkmcnt(0)
	v_fma_f64 v[121:122], v[126:127], v[128:129], v[121:122]
	s_andn2_b32 exec_lo, exec_lo, s5
	s_cbranch_execnz .LBB59_245
; %bb.246:
	s_or_b32 exec_lo, exec_lo, s5
	v_mov_b32_e32 v123, 0
	ds_read_b64 v[123:124], v123 offset:472
	s_waitcnt lgkmcnt(0)
	v_mul_f64 v[121:122], v[121:122], v[123:124]
	buffer_store_dword v122, off, s[0:3], 0 offset:476
	buffer_store_dword v121, off, s[0:3], 0 offset:472
.LBB59_247:
	s_or_b32 exec_lo, exec_lo, s4
	s_mov_b32 s5, -1
	s_waitcnt_vscnt null, 0x0
	s_barrier
	buffer_gl0_inv
.LBB59_248:
	s_and_b32 vcc_lo, exec_lo, s5
	s_cbranch_vccz .LBB59_250
; %bb.249:
	s_lshl_b64 s[4:5], s[6:7], 2
	v_mov_b32_e32 v121, 0
	s_add_u32 s4, s10, s4
	s_addc_u32 s5, s11, s5
	global_load_dword v121, v121, s[4:5]
	s_waitcnt vmcnt(0)
	v_cmp_ne_u32_e32 vcc_lo, 0, v121
	s_cbranch_vccz .LBB59_251
.LBB59_250:
	s_endpgm
.LBB59_251:
	v_lshl_add_u32 v121, v0, 3, 0x1e0
	s_mov_b32 s4, exec_lo
	v_cmpx_eq_u32_e32 59, v0
	s_cbranch_execz .LBB59_253
; %bb.252:
	s_clause 0x1
	buffer_load_dword v122, off, s[0:3], 0 offset:464
	buffer_load_dword v123, off, s[0:3], 0 offset:468
	v_mov_b32_e32 v124, 0
	buffer_store_dword v124, off, s[0:3], 0 offset:464
	buffer_store_dword v124, off, s[0:3], 0 offset:468
	s_waitcnt vmcnt(0)
	ds_write_b64 v121, v[122:123]
.LBB59_253:
	s_or_b32 exec_lo, exec_lo, s4
	s_waitcnt lgkmcnt(0)
	s_waitcnt_vscnt null, 0x0
	s_barrier
	buffer_gl0_inv
	s_clause 0x3
	buffer_load_dword v123, off, s[0:3], 0 offset:472
	buffer_load_dword v124, off, s[0:3], 0 offset:476
	;; [unrolled: 1-line block ×4, first 2 shown]
	v_mov_b32_e32 v122, 0
	s_mov_b32 s4, exec_lo
	ds_read_b64 v[127:128], v122 offset:952
	s_waitcnt vmcnt(2) lgkmcnt(0)
	v_fma_f64 v[123:124], v[123:124], v[127:128], 0
	s_waitcnt vmcnt(0)
	v_add_f64 v[123:124], v[125:126], -v[123:124]
	buffer_store_dword v123, off, s[0:3], 0 offset:464
	buffer_store_dword v124, off, s[0:3], 0 offset:468
	v_cmpx_lt_u32_e32 57, v0
	s_cbranch_execz .LBB59_255
; %bb.254:
	s_clause 0x1
	buffer_load_dword v123, off, s[0:3], 0 offset:456
	buffer_load_dword v124, off, s[0:3], 0 offset:460
	buffer_store_dword v122, off, s[0:3], 0 offset:456
	buffer_store_dword v122, off, s[0:3], 0 offset:460
	s_waitcnt vmcnt(0)
	ds_write_b64 v121, v[123:124]
.LBB59_255:
	s_or_b32 exec_lo, exec_lo, s4
	s_waitcnt lgkmcnt(0)
	s_waitcnt_vscnt null, 0x0
	s_barrier
	buffer_gl0_inv
	s_clause 0x5
	buffer_load_dword v126, off, s[0:3], 0 offset:464
	buffer_load_dword v127, off, s[0:3], 0 offset:468
	;; [unrolled: 1-line block ×6, first 2 shown]
	ds_read_b128 v[122:125], v122 offset:944
	s_mov_b32 s4, exec_lo
	s_waitcnt vmcnt(4) lgkmcnt(0)
	v_fma_f64 v[122:123], v[126:127], v[122:123], 0
	s_waitcnt vmcnt(2)
	v_fma_f64 v[122:123], v[128:129], v[124:125], v[122:123]
	s_waitcnt vmcnt(0)
	v_add_f64 v[122:123], v[130:131], -v[122:123]
	buffer_store_dword v122, off, s[0:3], 0 offset:456
	buffer_store_dword v123, off, s[0:3], 0 offset:460
	v_cmpx_lt_u32_e32 56, v0
	s_cbranch_execz .LBB59_257
; %bb.256:
	s_clause 0x1
	buffer_load_dword v122, off, s[0:3], 0 offset:448
	buffer_load_dword v123, off, s[0:3], 0 offset:452
	v_mov_b32_e32 v124, 0
	buffer_store_dword v124, off, s[0:3], 0 offset:448
	buffer_store_dword v124, off, s[0:3], 0 offset:452
	s_waitcnt vmcnt(0)
	ds_write_b64 v121, v[122:123]
.LBB59_257:
	s_or_b32 exec_lo, exec_lo, s4
	s_waitcnt lgkmcnt(0)
	s_waitcnt_vscnt null, 0x0
	s_barrier
	buffer_gl0_inv
	s_clause 0x7
	buffer_load_dword v127, off, s[0:3], 0 offset:456
	buffer_load_dword v128, off, s[0:3], 0 offset:460
	;; [unrolled: 1-line block ×8, first 2 shown]
	v_mov_b32_e32 v122, 0
	ds_read2_b64 v[123:126], v122 offset0:117 offset1:118
	ds_read_b64 v[135:136], v122 offset:952
	s_mov_b32 s4, exec_lo
	s_waitcnt vmcnt(6) lgkmcnt(1)
	v_fma_f64 v[123:124], v[127:128], v[123:124], 0
	s_waitcnt vmcnt(4)
	v_fma_f64 v[123:124], v[129:130], v[125:126], v[123:124]
	s_waitcnt vmcnt(2) lgkmcnt(0)
	v_fma_f64 v[123:124], v[131:132], v[135:136], v[123:124]
	s_waitcnt vmcnt(0)
	v_add_f64 v[123:124], v[133:134], -v[123:124]
	buffer_store_dword v123, off, s[0:3], 0 offset:448
	buffer_store_dword v124, off, s[0:3], 0 offset:452
	v_cmpx_lt_u32_e32 55, v0
	s_cbranch_execz .LBB59_259
; %bb.258:
	s_clause 0x1
	buffer_load_dword v123, off, s[0:3], 0 offset:440
	buffer_load_dword v124, off, s[0:3], 0 offset:444
	buffer_store_dword v122, off, s[0:3], 0 offset:440
	buffer_store_dword v122, off, s[0:3], 0 offset:444
	s_waitcnt vmcnt(0)
	ds_write_b64 v121, v[123:124]
.LBB59_259:
	s_or_b32 exec_lo, exec_lo, s4
	s_waitcnt lgkmcnt(0)
	s_waitcnt_vscnt null, 0x0
	s_barrier
	buffer_gl0_inv
	s_clause 0x9
	buffer_load_dword v131, off, s[0:3], 0 offset:448
	buffer_load_dword v132, off, s[0:3], 0 offset:452
	;; [unrolled: 1-line block ×10, first 2 shown]
	ds_read_b128 v[123:126], v122 offset:928
	ds_read_b128 v[127:130], v122 offset:944
	s_mov_b32 s4, exec_lo
	s_waitcnt vmcnt(8) lgkmcnt(1)
	v_fma_f64 v[122:123], v[131:132], v[123:124], 0
	s_waitcnt vmcnt(6)
	v_fma_f64 v[122:123], v[133:134], v[125:126], v[122:123]
	s_waitcnt vmcnt(4) lgkmcnt(0)
	v_fma_f64 v[122:123], v[135:136], v[127:128], v[122:123]
	s_waitcnt vmcnt(2)
	v_fma_f64 v[122:123], v[137:138], v[129:130], v[122:123]
	s_waitcnt vmcnt(0)
	v_add_f64 v[122:123], v[139:140], -v[122:123]
	buffer_store_dword v122, off, s[0:3], 0 offset:440
	buffer_store_dword v123, off, s[0:3], 0 offset:444
	v_cmpx_lt_u32_e32 54, v0
	s_cbranch_execz .LBB59_261
; %bb.260:
	s_clause 0x1
	buffer_load_dword v122, off, s[0:3], 0 offset:432
	buffer_load_dword v123, off, s[0:3], 0 offset:436
	v_mov_b32_e32 v124, 0
	buffer_store_dword v124, off, s[0:3], 0 offset:432
	buffer_store_dword v124, off, s[0:3], 0 offset:436
	s_waitcnt vmcnt(0)
	ds_write_b64 v121, v[122:123]
.LBB59_261:
	s_or_b32 exec_lo, exec_lo, s4
	s_waitcnt lgkmcnt(0)
	s_waitcnt_vscnt null, 0x0
	s_barrier
	buffer_gl0_inv
	s_clause 0xb
	buffer_load_dword v131, off, s[0:3], 0 offset:440
	buffer_load_dword v132, off, s[0:3], 0 offset:444
	;; [unrolled: 1-line block ×12, first 2 shown]
	v_mov_b32_e32 v122, 0
	ds_read2_b64 v[123:126], v122 offset0:115 offset1:116
	ds_read2_b64 v[127:130], v122 offset0:117 offset1:118
	s_mov_b32 s4, exec_lo
	s_waitcnt vmcnt(10) lgkmcnt(1)
	v_fma_f64 v[123:124], v[131:132], v[123:124], 0
	s_waitcnt vmcnt(8)
	v_fma_f64 v[123:124], v[133:134], v[125:126], v[123:124]
	ds_read_b64 v[125:126], v122 offset:952
	s_waitcnt vmcnt(6) lgkmcnt(1)
	v_fma_f64 v[123:124], v[135:136], v[127:128], v[123:124]
	s_waitcnt vmcnt(4)
	v_fma_f64 v[123:124], v[137:138], v[129:130], v[123:124]
	s_waitcnt vmcnt(2) lgkmcnt(0)
	v_fma_f64 v[123:124], v[139:140], v[125:126], v[123:124]
	s_waitcnt vmcnt(0)
	v_add_f64 v[123:124], v[141:142], -v[123:124]
	buffer_store_dword v123, off, s[0:3], 0 offset:432
	buffer_store_dword v124, off, s[0:3], 0 offset:436
	v_cmpx_lt_u32_e32 53, v0
	s_cbranch_execz .LBB59_263
; %bb.262:
	s_clause 0x1
	buffer_load_dword v123, off, s[0:3], 0 offset:424
	buffer_load_dword v124, off, s[0:3], 0 offset:428
	buffer_store_dword v122, off, s[0:3], 0 offset:424
	buffer_store_dword v122, off, s[0:3], 0 offset:428
	s_waitcnt vmcnt(0)
	ds_write_b64 v121, v[123:124]
.LBB59_263:
	s_or_b32 exec_lo, exec_lo, s4
	s_waitcnt lgkmcnt(0)
	s_waitcnt_vscnt null, 0x0
	s_barrier
	buffer_gl0_inv
	s_clause 0xd
	buffer_load_dword v131, off, s[0:3], 0 offset:432
	buffer_load_dword v132, off, s[0:3], 0 offset:436
	;; [unrolled: 1-line block ×14, first 2 shown]
	ds_read_b128 v[123:126], v122 offset:912
	ds_read_b128 v[127:130], v122 offset:928
	s_mov_b32 s4, exec_lo
	s_waitcnt vmcnt(12) lgkmcnt(1)
	v_fma_f64 v[123:124], v[131:132], v[123:124], 0
	s_waitcnt vmcnt(10)
	v_fma_f64 v[123:124], v[133:134], v[125:126], v[123:124]
	s_waitcnt vmcnt(8) lgkmcnt(0)
	v_fma_f64 v[123:124], v[135:136], v[127:128], v[123:124]
	s_waitcnt vmcnt(6)
	v_fma_f64 v[126:127], v[137:138], v[129:130], v[123:124]
	ds_read_b128 v[122:125], v122 offset:944
	s_waitcnt vmcnt(4) lgkmcnt(0)
	v_fma_f64 v[122:123], v[139:140], v[122:123], v[126:127]
	s_waitcnt vmcnt(2)
	v_fma_f64 v[122:123], v[141:142], v[124:125], v[122:123]
	s_waitcnt vmcnt(0)
	v_add_f64 v[122:123], v[143:144], -v[122:123]
	buffer_store_dword v122, off, s[0:3], 0 offset:424
	buffer_store_dword v123, off, s[0:3], 0 offset:428
	v_cmpx_lt_u32_e32 52, v0
	s_cbranch_execz .LBB59_265
; %bb.264:
	s_clause 0x1
	buffer_load_dword v122, off, s[0:3], 0 offset:416
	buffer_load_dword v123, off, s[0:3], 0 offset:420
	v_mov_b32_e32 v124, 0
	buffer_store_dword v124, off, s[0:3], 0 offset:416
	buffer_store_dword v124, off, s[0:3], 0 offset:420
	s_waitcnt vmcnt(0)
	ds_write_b64 v121, v[122:123]
.LBB59_265:
	s_or_b32 exec_lo, exec_lo, s4
	s_waitcnt lgkmcnt(0)
	s_waitcnt_vscnt null, 0x0
	s_barrier
	buffer_gl0_inv
	s_clause 0xf
	buffer_load_dword v131, off, s[0:3], 0 offset:424
	buffer_load_dword v132, off, s[0:3], 0 offset:428
	buffer_load_dword v133, off, s[0:3], 0 offset:432
	buffer_load_dword v134, off, s[0:3], 0 offset:436
	buffer_load_dword v135, off, s[0:3], 0 offset:440
	buffer_load_dword v136, off, s[0:3], 0 offset:444
	buffer_load_dword v137, off, s[0:3], 0 offset:448
	buffer_load_dword v138, off, s[0:3], 0 offset:452
	buffer_load_dword v139, off, s[0:3], 0 offset:456
	buffer_load_dword v140, off, s[0:3], 0 offset:460
	buffer_load_dword v141, off, s[0:3], 0 offset:464
	buffer_load_dword v142, off, s[0:3], 0 offset:468
	buffer_load_dword v143, off, s[0:3], 0 offset:472
	buffer_load_dword v144, off, s[0:3], 0 offset:476
	buffer_load_dword v145, off, s[0:3], 0 offset:416
	buffer_load_dword v146, off, s[0:3], 0 offset:420
	v_mov_b32_e32 v122, 0
	ds_read2_b64 v[123:126], v122 offset0:113 offset1:114
	ds_read2_b64 v[127:130], v122 offset0:115 offset1:116
	s_mov_b32 s4, exec_lo
	s_waitcnt vmcnt(14) lgkmcnt(1)
	v_fma_f64 v[123:124], v[131:132], v[123:124], 0
	s_waitcnt vmcnt(12)
	v_fma_f64 v[123:124], v[133:134], v[125:126], v[123:124]
	s_waitcnt vmcnt(10) lgkmcnt(0)
	v_fma_f64 v[123:124], v[135:136], v[127:128], v[123:124]
	s_waitcnt vmcnt(8)
	v_fma_f64 v[127:128], v[137:138], v[129:130], v[123:124]
	ds_read2_b64 v[123:126], v122 offset0:117 offset1:118
	ds_read_b64 v[129:130], v122 offset:952
	s_waitcnt vmcnt(6) lgkmcnt(1)
	v_fma_f64 v[123:124], v[139:140], v[123:124], v[127:128]
	s_waitcnt vmcnt(4)
	v_fma_f64 v[123:124], v[141:142], v[125:126], v[123:124]
	s_waitcnt vmcnt(2) lgkmcnt(0)
	v_fma_f64 v[123:124], v[143:144], v[129:130], v[123:124]
	s_waitcnt vmcnt(0)
	v_add_f64 v[123:124], v[145:146], -v[123:124]
	buffer_store_dword v123, off, s[0:3], 0 offset:416
	buffer_store_dword v124, off, s[0:3], 0 offset:420
	v_cmpx_lt_u32_e32 51, v0
	s_cbranch_execz .LBB59_267
; %bb.266:
	s_clause 0x1
	buffer_load_dword v123, off, s[0:3], 0 offset:408
	buffer_load_dword v124, off, s[0:3], 0 offset:412
	buffer_store_dword v122, off, s[0:3], 0 offset:408
	buffer_store_dword v122, off, s[0:3], 0 offset:412
	s_waitcnt vmcnt(0)
	ds_write_b64 v121, v[123:124]
.LBB59_267:
	s_or_b32 exec_lo, exec_lo, s4
	s_waitcnt lgkmcnt(0)
	s_waitcnt_vscnt null, 0x0
	s_barrier
	buffer_gl0_inv
	s_clause 0x11
	buffer_load_dword v131, off, s[0:3], 0 offset:416
	buffer_load_dword v132, off, s[0:3], 0 offset:420
	;; [unrolled: 1-line block ×18, first 2 shown]
	ds_read_b128 v[123:126], v122 offset:896
	ds_read_b128 v[127:130], v122 offset:912
	s_mov_b32 s4, exec_lo
	s_waitcnt vmcnt(16) lgkmcnt(1)
	v_fma_f64 v[123:124], v[131:132], v[123:124], 0
	s_waitcnt vmcnt(14)
	v_fma_f64 v[123:124], v[133:134], v[125:126], v[123:124]
	s_waitcnt vmcnt(12) lgkmcnt(0)
	v_fma_f64 v[123:124], v[135:136], v[127:128], v[123:124]
	s_waitcnt vmcnt(10)
	v_fma_f64 v[131:132], v[137:138], v[129:130], v[123:124]
	ds_read_b128 v[123:126], v122 offset:928
	ds_read_b128 v[127:130], v122 offset:944
	s_waitcnt vmcnt(8) lgkmcnt(1)
	v_fma_f64 v[122:123], v[139:140], v[123:124], v[131:132]
	s_waitcnt vmcnt(6)
	v_fma_f64 v[122:123], v[141:142], v[125:126], v[122:123]
	s_waitcnt vmcnt(4) lgkmcnt(0)
	v_fma_f64 v[122:123], v[143:144], v[127:128], v[122:123]
	s_waitcnt vmcnt(2)
	v_fma_f64 v[122:123], v[145:146], v[129:130], v[122:123]
	s_waitcnt vmcnt(0)
	v_add_f64 v[122:123], v[147:148], -v[122:123]
	buffer_store_dword v122, off, s[0:3], 0 offset:408
	buffer_store_dword v123, off, s[0:3], 0 offset:412
	v_cmpx_lt_u32_e32 50, v0
	s_cbranch_execz .LBB59_269
; %bb.268:
	s_clause 0x1
	buffer_load_dword v122, off, s[0:3], 0 offset:400
	buffer_load_dword v123, off, s[0:3], 0 offset:404
	v_mov_b32_e32 v124, 0
	buffer_store_dword v124, off, s[0:3], 0 offset:400
	buffer_store_dword v124, off, s[0:3], 0 offset:404
	s_waitcnt vmcnt(0)
	ds_write_b64 v121, v[122:123]
.LBB59_269:
	s_or_b32 exec_lo, exec_lo, s4
	s_waitcnt lgkmcnt(0)
	s_waitcnt_vscnt null, 0x0
	s_barrier
	buffer_gl0_inv
	s_clause 0x13
	buffer_load_dword v131, off, s[0:3], 0 offset:408
	buffer_load_dword v132, off, s[0:3], 0 offset:412
	;; [unrolled: 1-line block ×20, first 2 shown]
	v_mov_b32_e32 v122, 0
	ds_read2_b64 v[123:126], v122 offset0:111 offset1:112
	ds_read2_b64 v[127:130], v122 offset0:113 offset1:114
	s_mov_b32 s4, exec_lo
	s_waitcnt vmcnt(18) lgkmcnt(1)
	v_fma_f64 v[123:124], v[131:132], v[123:124], 0
	s_waitcnt vmcnt(16)
	v_fma_f64 v[123:124], v[133:134], v[125:126], v[123:124]
	s_waitcnt vmcnt(14) lgkmcnt(0)
	v_fma_f64 v[123:124], v[135:136], v[127:128], v[123:124]
	s_waitcnt vmcnt(12)
	v_fma_f64 v[131:132], v[137:138], v[129:130], v[123:124]
	ds_read2_b64 v[123:126], v122 offset0:115 offset1:116
	ds_read2_b64 v[127:130], v122 offset0:117 offset1:118
	s_waitcnt vmcnt(10) lgkmcnt(1)
	v_fma_f64 v[123:124], v[139:140], v[123:124], v[131:132]
	s_waitcnt vmcnt(8)
	v_fma_f64 v[123:124], v[141:142], v[125:126], v[123:124]
	ds_read_b64 v[125:126], v122 offset:952
	s_waitcnt vmcnt(6) lgkmcnt(1)
	v_fma_f64 v[123:124], v[143:144], v[127:128], v[123:124]
	s_waitcnt vmcnt(3)
	v_fma_f64 v[123:124], v[145:146], v[129:130], v[123:124]
	s_waitcnt vmcnt(2) lgkmcnt(0)
	v_fma_f64 v[123:124], v[147:148], v[125:126], v[123:124]
	s_waitcnt vmcnt(0)
	v_add_f64 v[123:124], v[149:150], -v[123:124]
	buffer_store_dword v123, off, s[0:3], 0 offset:400
	buffer_store_dword v124, off, s[0:3], 0 offset:404
	v_cmpx_lt_u32_e32 49, v0
	s_cbranch_execz .LBB59_271
; %bb.270:
	s_clause 0x1
	buffer_load_dword v123, off, s[0:3], 0 offset:392
	buffer_load_dword v124, off, s[0:3], 0 offset:396
	buffer_store_dword v122, off, s[0:3], 0 offset:392
	buffer_store_dword v122, off, s[0:3], 0 offset:396
	s_waitcnt vmcnt(0)
	ds_write_b64 v121, v[123:124]
.LBB59_271:
	s_or_b32 exec_lo, exec_lo, s4
	s_waitcnt lgkmcnt(0)
	s_waitcnt_vscnt null, 0x0
	s_barrier
	buffer_gl0_inv
	s_clause 0x15
	buffer_load_dword v131, off, s[0:3], 0 offset:400
	buffer_load_dword v132, off, s[0:3], 0 offset:404
	;; [unrolled: 1-line block ×22, first 2 shown]
	ds_read_b128 v[123:126], v122 offset:880
	ds_read_b128 v[127:130], v122 offset:896
	s_mov_b32 s4, exec_lo
	s_waitcnt vmcnt(20) lgkmcnt(1)
	v_fma_f64 v[123:124], v[131:132], v[123:124], 0
	s_waitcnt vmcnt(18)
	v_fma_f64 v[123:124], v[133:134], v[125:126], v[123:124]
	s_waitcnt vmcnt(16) lgkmcnt(0)
	v_fma_f64 v[123:124], v[135:136], v[127:128], v[123:124]
	s_waitcnt vmcnt(14)
	v_fma_f64 v[131:132], v[137:138], v[129:130], v[123:124]
	ds_read_b128 v[123:126], v122 offset:912
	ds_read_b128 v[127:130], v122 offset:928
	s_waitcnt vmcnt(12) lgkmcnt(1)
	v_fma_f64 v[123:124], v[139:140], v[123:124], v[131:132]
	s_waitcnt vmcnt(10)
	v_fma_f64 v[123:124], v[141:142], v[125:126], v[123:124]
	s_waitcnt vmcnt(8) lgkmcnt(0)
	v_fma_f64 v[123:124], v[143:144], v[127:128], v[123:124]
	s_waitcnt vmcnt(4)
	v_fma_f64 v[126:127], v[145:146], v[129:130], v[123:124]
	ds_read_b128 v[122:125], v122 offset:944
	s_waitcnt vmcnt(3) lgkmcnt(0)
	v_fma_f64 v[122:123], v[149:150], v[122:123], v[126:127]
	s_waitcnt vmcnt(2)
	v_fma_f64 v[122:123], v[147:148], v[124:125], v[122:123]
	s_waitcnt vmcnt(0)
	v_add_f64 v[122:123], v[151:152], -v[122:123]
	buffer_store_dword v122, off, s[0:3], 0 offset:392
	buffer_store_dword v123, off, s[0:3], 0 offset:396
	v_cmpx_lt_u32_e32 48, v0
	s_cbranch_execz .LBB59_273
; %bb.272:
	s_clause 0x1
	buffer_load_dword v122, off, s[0:3], 0 offset:384
	buffer_load_dword v123, off, s[0:3], 0 offset:388
	v_mov_b32_e32 v124, 0
	buffer_store_dword v124, off, s[0:3], 0 offset:384
	buffer_store_dword v124, off, s[0:3], 0 offset:388
	s_waitcnt vmcnt(0)
	ds_write_b64 v121, v[122:123]
.LBB59_273:
	s_or_b32 exec_lo, exec_lo, s4
	s_waitcnt lgkmcnt(0)
	s_waitcnt_vscnt null, 0x0
	s_barrier
	buffer_gl0_inv
	s_clause 0x17
	buffer_load_dword v131, off, s[0:3], 0 offset:392
	buffer_load_dword v132, off, s[0:3], 0 offset:396
	;; [unrolled: 1-line block ×24, first 2 shown]
	v_mov_b32_e32 v122, 0
	ds_read2_b64 v[123:126], v122 offset0:109 offset1:110
	ds_read2_b64 v[127:130], v122 offset0:111 offset1:112
	s_mov_b32 s4, exec_lo
	s_waitcnt vmcnt(22) lgkmcnt(1)
	v_fma_f64 v[123:124], v[131:132], v[123:124], 0
	s_waitcnt vmcnt(20)
	v_fma_f64 v[123:124], v[133:134], v[125:126], v[123:124]
	s_waitcnt vmcnt(18) lgkmcnt(0)
	v_fma_f64 v[123:124], v[135:136], v[127:128], v[123:124]
	s_waitcnt vmcnt(16)
	v_fma_f64 v[131:132], v[137:138], v[129:130], v[123:124]
	ds_read2_b64 v[123:126], v122 offset0:113 offset1:114
	ds_read2_b64 v[127:130], v122 offset0:115 offset1:116
	s_waitcnt vmcnt(14) lgkmcnt(1)
	v_fma_f64 v[123:124], v[139:140], v[123:124], v[131:132]
	s_waitcnt vmcnt(12)
	v_fma_f64 v[123:124], v[141:142], v[125:126], v[123:124]
	s_waitcnt vmcnt(10) lgkmcnt(0)
	v_fma_f64 v[123:124], v[143:144], v[127:128], v[123:124]
	s_waitcnt vmcnt(5)
	v_fma_f64 v[127:128], v[145:146], v[129:130], v[123:124]
	ds_read2_b64 v[123:126], v122 offset0:117 offset1:118
	ds_read_b64 v[129:130], v122 offset:952
	s_waitcnt vmcnt(4) lgkmcnt(1)
	v_fma_f64 v[123:124], v[151:152], v[123:124], v[127:128]
	s_waitcnt vmcnt(3)
	v_fma_f64 v[123:124], v[149:150], v[125:126], v[123:124]
	s_waitcnt vmcnt(2) lgkmcnt(0)
	v_fma_f64 v[123:124], v[147:148], v[129:130], v[123:124]
	s_waitcnt vmcnt(0)
	v_add_f64 v[123:124], v[153:154], -v[123:124]
	buffer_store_dword v124, off, s[0:3], 0 offset:388
	buffer_store_dword v123, off, s[0:3], 0 offset:384
	v_cmpx_lt_u32_e32 47, v0
	s_cbranch_execz .LBB59_275
; %bb.274:
	s_clause 0x1
	buffer_load_dword v123, off, s[0:3], 0 offset:376
	buffer_load_dword v124, off, s[0:3], 0 offset:380
	buffer_store_dword v122, off, s[0:3], 0 offset:376
	buffer_store_dword v122, off, s[0:3], 0 offset:380
	s_waitcnt vmcnt(0)
	ds_write_b64 v121, v[123:124]
.LBB59_275:
	s_or_b32 exec_lo, exec_lo, s4
	s_waitcnt lgkmcnt(0)
	s_waitcnt_vscnt null, 0x0
	s_barrier
	buffer_gl0_inv
	s_clause 0x19
	buffer_load_dword v131, off, s[0:3], 0 offset:384
	buffer_load_dword v132, off, s[0:3], 0 offset:388
	;; [unrolled: 1-line block ×26, first 2 shown]
	ds_read_b128 v[123:126], v122 offset:864
	ds_read_b128 v[127:130], v122 offset:880
	s_mov_b32 s4, exec_lo
	s_waitcnt vmcnt(24) lgkmcnt(1)
	v_fma_f64 v[123:124], v[131:132], v[123:124], 0
	s_waitcnt vmcnt(22)
	v_fma_f64 v[123:124], v[133:134], v[125:126], v[123:124]
	s_waitcnt vmcnt(20) lgkmcnt(0)
	v_fma_f64 v[123:124], v[135:136], v[127:128], v[123:124]
	s_waitcnt vmcnt(18)
	v_fma_f64 v[131:132], v[137:138], v[129:130], v[123:124]
	ds_read_b128 v[123:126], v122 offset:896
	ds_read_b128 v[127:130], v122 offset:912
	s_waitcnt vmcnt(16) lgkmcnt(1)
	v_fma_f64 v[123:124], v[139:140], v[123:124], v[131:132]
	s_waitcnt vmcnt(14)
	v_fma_f64 v[123:124], v[141:142], v[125:126], v[123:124]
	s_waitcnt vmcnt(12) lgkmcnt(0)
	v_fma_f64 v[123:124], v[143:144], v[127:128], v[123:124]
	s_waitcnt vmcnt(7)
	v_fma_f64 v[131:132], v[145:146], v[129:130], v[123:124]
	ds_read_b128 v[123:126], v122 offset:928
	ds_read_b128 v[127:130], v122 offset:944
	s_waitcnt vmcnt(6) lgkmcnt(1)
	v_fma_f64 v[122:123], v[151:152], v[123:124], v[131:132]
	s_waitcnt vmcnt(5)
	v_fma_f64 v[122:123], v[149:150], v[125:126], v[122:123]
	s_waitcnt vmcnt(4) lgkmcnt(0)
	v_fma_f64 v[122:123], v[147:148], v[127:128], v[122:123]
	s_waitcnt vmcnt(2)
	v_fma_f64 v[122:123], v[153:154], v[129:130], v[122:123]
	s_waitcnt vmcnt(0)
	v_add_f64 v[122:123], v[155:156], -v[122:123]
	buffer_store_dword v123, off, s[0:3], 0 offset:380
	buffer_store_dword v122, off, s[0:3], 0 offset:376
	v_cmpx_lt_u32_e32 46, v0
	s_cbranch_execz .LBB59_277
; %bb.276:
	s_clause 0x1
	buffer_load_dword v122, off, s[0:3], 0 offset:368
	buffer_load_dword v123, off, s[0:3], 0 offset:372
	v_mov_b32_e32 v124, 0
	buffer_store_dword v124, off, s[0:3], 0 offset:368
	buffer_store_dword v124, off, s[0:3], 0 offset:372
	s_waitcnt vmcnt(0)
	ds_write_b64 v121, v[122:123]
.LBB59_277:
	s_or_b32 exec_lo, exec_lo, s4
	s_waitcnt lgkmcnt(0)
	s_waitcnt_vscnt null, 0x0
	s_barrier
	buffer_gl0_inv
	s_clause 0x1b
	buffer_load_dword v127, off, s[0:3], 0 offset:376
	buffer_load_dword v128, off, s[0:3], 0 offset:380
	;; [unrolled: 1-line block ×28, first 2 shown]
	v_mov_b32_e32 v122, 0
	s_mov_b32 s4, exec_lo
	ds_read2_b64 v[123:126], v122 offset0:107 offset1:108
	s_waitcnt vmcnt(26) lgkmcnt(0)
	v_fma_f64 v[123:124], v[127:128], v[123:124], 0
	s_waitcnt vmcnt(24)
	v_fma_f64 v[127:128], v[129:130], v[125:126], v[123:124]
	ds_read2_b64 v[123:126], v122 offset0:109 offset1:110
	s_waitcnt vmcnt(22) lgkmcnt(0)
	v_fma_f64 v[123:124], v[131:132], v[123:124], v[127:128]
	s_waitcnt vmcnt(20)
	v_fma_f64 v[127:128], v[133:134], v[125:126], v[123:124]
	;; [unrolled: 5-line block ×6, first 2 shown]
	ds_read_b64 v[125:126], v122 offset:952
	s_waitcnt vmcnt(2) lgkmcnt(0)
	v_fma_f64 v[123:124], v[151:152], v[125:126], v[123:124]
	s_waitcnt vmcnt(0)
	v_add_f64 v[123:124], v[153:154], -v[123:124]
	buffer_store_dword v124, off, s[0:3], 0 offset:372
	buffer_store_dword v123, off, s[0:3], 0 offset:368
	v_cmpx_lt_u32_e32 45, v0
	s_cbranch_execz .LBB59_279
; %bb.278:
	s_clause 0x1
	buffer_load_dword v123, off, s[0:3], 0 offset:360
	buffer_load_dword v124, off, s[0:3], 0 offset:364
	buffer_store_dword v122, off, s[0:3], 0 offset:360
	buffer_store_dword v122, off, s[0:3], 0 offset:364
	s_waitcnt vmcnt(0)
	ds_write_b64 v121, v[123:124]
.LBB59_279:
	s_or_b32 exec_lo, exec_lo, s4
	s_waitcnt lgkmcnt(0)
	s_waitcnt_vscnt null, 0x0
	s_barrier
	buffer_gl0_inv
	s_clause 0x1b
	buffer_load_dword v127, off, s[0:3], 0 offset:368
	buffer_load_dword v128, off, s[0:3], 0 offset:372
	;; [unrolled: 1-line block ×28, first 2 shown]
	ds_read_b128 v[123:126], v122 offset:848
	s_clause 0x1
	buffer_load_dword v155, off, s[0:3], 0 offset:360
	buffer_load_dword v156, off, s[0:3], 0 offset:364
	s_mov_b32 s4, exec_lo
	s_waitcnt vmcnt(28) lgkmcnt(0)
	v_fma_f64 v[123:124], v[127:128], v[123:124], 0
	s_waitcnt vmcnt(26)
	v_fma_f64 v[127:128], v[129:130], v[125:126], v[123:124]
	ds_read_b128 v[123:126], v122 offset:864
	s_waitcnt vmcnt(24) lgkmcnt(0)
	v_fma_f64 v[123:124], v[131:132], v[123:124], v[127:128]
	s_waitcnt vmcnt(22)
	v_fma_f64 v[127:128], v[133:134], v[125:126], v[123:124]
	ds_read_b128 v[123:126], v122 offset:880
	;; [unrolled: 5-line block ×6, first 2 shown]
	s_waitcnt vmcnt(4) lgkmcnt(0)
	v_fma_f64 v[122:123], v[151:152], v[122:123], v[126:127]
	s_waitcnt vmcnt(2)
	v_fma_f64 v[122:123], v[153:154], v[124:125], v[122:123]
	s_waitcnt vmcnt(0)
	v_add_f64 v[122:123], v[155:156], -v[122:123]
	buffer_store_dword v123, off, s[0:3], 0 offset:364
	buffer_store_dword v122, off, s[0:3], 0 offset:360
	v_cmpx_lt_u32_e32 44, v0
	s_cbranch_execz .LBB59_281
; %bb.280:
	s_clause 0x1
	buffer_load_dword v122, off, s[0:3], 0 offset:352
	buffer_load_dword v123, off, s[0:3], 0 offset:356
	v_mov_b32_e32 v124, 0
	buffer_store_dword v124, off, s[0:3], 0 offset:352
	buffer_store_dword v124, off, s[0:3], 0 offset:356
	s_waitcnt vmcnt(0)
	ds_write_b64 v121, v[122:123]
.LBB59_281:
	s_or_b32 exec_lo, exec_lo, s4
	s_waitcnt lgkmcnt(0)
	s_waitcnt_vscnt null, 0x0
	s_barrier
	buffer_gl0_inv
	s_clause 0x1b
	buffer_load_dword v127, off, s[0:3], 0 offset:360
	buffer_load_dword v128, off, s[0:3], 0 offset:364
	;; [unrolled: 1-line block ×28, first 2 shown]
	v_mov_b32_e32 v122, 0
	s_mov_b32 s4, exec_lo
	ds_read2_b64 v[123:126], v122 offset0:105 offset1:106
	s_clause 0x1
	buffer_load_dword v155, off, s[0:3], 0 offset:472
	buffer_load_dword v156, off, s[0:3], 0 offset:476
	s_waitcnt vmcnt(28) lgkmcnt(0)
	v_fma_f64 v[123:124], v[127:128], v[123:124], 0
	s_clause 0x1
	buffer_load_dword v127, off, s[0:3], 0 offset:352
	buffer_load_dword v128, off, s[0:3], 0 offset:356
	s_waitcnt vmcnt(28)
	v_fma_f64 v[129:130], v[129:130], v[125:126], v[123:124]
	ds_read2_b64 v[123:126], v122 offset0:107 offset1:108
	s_waitcnt vmcnt(26) lgkmcnt(0)
	v_fma_f64 v[123:124], v[131:132], v[123:124], v[129:130]
	s_waitcnt vmcnt(24)
	v_fma_f64 v[129:130], v[133:134], v[125:126], v[123:124]
	ds_read2_b64 v[123:126], v122 offset0:109 offset1:110
	s_waitcnt vmcnt(22) lgkmcnt(0)
	v_fma_f64 v[123:124], v[135:136], v[123:124], v[129:130]
	;; [unrolled: 5-line block ×6, first 2 shown]
	s_waitcnt vmcnt(4)
	v_fma_f64 v[123:124], v[153:154], v[125:126], v[123:124]
	ds_read_b64 v[125:126], v122 offset:952
	s_waitcnt vmcnt(2) lgkmcnt(0)
	v_fma_f64 v[123:124], v[155:156], v[125:126], v[123:124]
	s_waitcnt vmcnt(0)
	v_add_f64 v[123:124], v[127:128], -v[123:124]
	buffer_store_dword v124, off, s[0:3], 0 offset:356
	buffer_store_dword v123, off, s[0:3], 0 offset:352
	v_cmpx_lt_u32_e32 43, v0
	s_cbranch_execz .LBB59_283
; %bb.282:
	s_clause 0x1
	buffer_load_dword v123, off, s[0:3], 0 offset:344
	buffer_load_dword v124, off, s[0:3], 0 offset:348
	buffer_store_dword v122, off, s[0:3], 0 offset:344
	buffer_store_dword v122, off, s[0:3], 0 offset:348
	s_waitcnt vmcnt(0)
	ds_write_b64 v121, v[123:124]
.LBB59_283:
	s_or_b32 exec_lo, exec_lo, s4
	s_waitcnt lgkmcnt(0)
	s_waitcnt_vscnt null, 0x0
	s_barrier
	buffer_gl0_inv
	s_clause 0x1b
	buffer_load_dword v127, off, s[0:3], 0 offset:352
	buffer_load_dword v128, off, s[0:3], 0 offset:356
	;; [unrolled: 1-line block ×28, first 2 shown]
	ds_read_b128 v[123:126], v122 offset:832
	s_clause 0x1
	buffer_load_dword v155, off, s[0:3], 0 offset:464
	buffer_load_dword v156, off, s[0:3], 0 offset:468
	s_mov_b32 s4, exec_lo
	s_waitcnt vmcnt(28) lgkmcnt(0)
	v_fma_f64 v[123:124], v[127:128], v[123:124], 0
	s_clause 0x1
	buffer_load_dword v128, off, s[0:3], 0 offset:476
	buffer_load_dword v127, off, s[0:3], 0 offset:472
	s_waitcnt vmcnt(28)
	v_fma_f64 v[129:130], v[129:130], v[125:126], v[123:124]
	ds_read_b128 v[123:126], v122 offset:848
	s_clause 0x1
	buffer_load_dword v157, off, s[0:3], 0 offset:344
	buffer_load_dword v158, off, s[0:3], 0 offset:348
	s_waitcnt vmcnt(28) lgkmcnt(0)
	v_fma_f64 v[123:124], v[131:132], v[123:124], v[129:130]
	s_waitcnt vmcnt(26)
	v_fma_f64 v[129:130], v[133:134], v[125:126], v[123:124]
	ds_read_b128 v[123:126], v122 offset:864
	s_waitcnt vmcnt(24) lgkmcnt(0)
	v_fma_f64 v[123:124], v[135:136], v[123:124], v[129:130]
	s_waitcnt vmcnt(22)
	v_fma_f64 v[129:130], v[137:138], v[125:126], v[123:124]
	ds_read_b128 v[123:126], v122 offset:880
	;; [unrolled: 5-line block ×6, first 2 shown]
	s_waitcnt vmcnt(4) lgkmcnt(0)
	v_fma_f64 v[122:123], v[155:156], v[122:123], v[129:130]
	s_waitcnt vmcnt(2)
	v_fma_f64 v[122:123], v[127:128], v[124:125], v[122:123]
	s_waitcnt vmcnt(0)
	v_add_f64 v[122:123], v[157:158], -v[122:123]
	buffer_store_dword v123, off, s[0:3], 0 offset:348
	buffer_store_dword v122, off, s[0:3], 0 offset:344
	v_cmpx_lt_u32_e32 42, v0
	s_cbranch_execz .LBB59_285
; %bb.284:
	s_clause 0x1
	buffer_load_dword v122, off, s[0:3], 0 offset:336
	buffer_load_dword v123, off, s[0:3], 0 offset:340
	v_mov_b32_e32 v124, 0
	buffer_store_dword v124, off, s[0:3], 0 offset:336
	buffer_store_dword v124, off, s[0:3], 0 offset:340
	s_waitcnt vmcnt(0)
	ds_write_b64 v121, v[122:123]
.LBB59_285:
	s_or_b32 exec_lo, exec_lo, s4
	s_waitcnt lgkmcnt(0)
	s_waitcnt_vscnt null, 0x0
	s_barrier
	buffer_gl0_inv
	s_clause 0x1c
	buffer_load_dword v131, off, s[0:3], 0 offset:344
	buffer_load_dword v132, off, s[0:3], 0 offset:348
	;; [unrolled: 1-line block ×29, first 2 shown]
	v_mov_b32_e32 v122, 0
	buffer_load_dword v156, off, s[0:3], 0 offset:460
	s_mov_b32 s4, exec_lo
	ds_read2_b64 v[123:126], v122 offset0:103 offset1:104
	ds_read2_b64 v[127:130], v122 offset0:105 offset1:106
	s_waitcnt vmcnt(28) lgkmcnt(1)
	v_fma_f64 v[123:124], v[131:132], v[123:124], 0
	s_clause 0x3
	buffer_load_dword v132, off, s[0:3], 0 offset:468
	buffer_load_dword v161, off, s[0:3], 0 offset:472
	;; [unrolled: 1-line block ×4, first 2 shown]
	s_waitcnt vmcnt(30)
	v_fma_f64 v[123:124], v[133:134], v[125:126], v[123:124]
	s_clause 0x1
	buffer_load_dword v133, off, s[0:3], 0 offset:336
	buffer_load_dword v134, off, s[0:3], 0 offset:340
	s_waitcnt vmcnt(30) lgkmcnt(0)
	v_fma_f64 v[123:124], v[135:136], v[127:128], v[123:124]
	s_waitcnt vmcnt(28)
	v_fma_f64 v[135:136], v[137:138], v[129:130], v[123:124]
	ds_read2_b64 v[123:126], v122 offset0:107 offset1:108
	ds_read2_b64 v[127:130], v122 offset0:109 offset1:110
	s_waitcnt vmcnt(26) lgkmcnt(1)
	v_fma_f64 v[123:124], v[139:140], v[123:124], v[135:136]
	s_waitcnt vmcnt(24)
	v_fma_f64 v[123:124], v[141:142], v[125:126], v[123:124]
	s_waitcnt vmcnt(22) lgkmcnt(0)
	v_fma_f64 v[123:124], v[143:144], v[127:128], v[123:124]
	s_waitcnt vmcnt(17)
	v_fma_f64 v[135:136], v[145:146], v[129:130], v[123:124]
	ds_read2_b64 v[123:126], v122 offset0:111 offset1:112
	ds_read2_b64 v[127:130], v122 offset0:113 offset1:114
	s_waitcnt vmcnt(16) lgkmcnt(1)
	v_fma_f64 v[123:124], v[151:152], v[123:124], v[135:136]
	s_waitcnt vmcnt(15)
	v_fma_f64 v[123:124], v[149:150], v[125:126], v[123:124]
	;; [unrolled: 10-line block ×3, first 2 shown]
	ds_read_b64 v[125:126], v122 offset:952
	s_waitcnt vmcnt(6) lgkmcnt(1)
	v_fma_f64 v[123:124], v[155:156], v[127:128], v[123:124]
	s_waitcnt vmcnt(3)
	v_fma_f64 v[123:124], v[131:132], v[129:130], v[123:124]
	s_waitcnt vmcnt(2) lgkmcnt(0)
	v_fma_f64 v[123:124], v[161:162], v[125:126], v[123:124]
	s_waitcnt vmcnt(0)
	v_add_f64 v[123:124], v[133:134], -v[123:124]
	buffer_store_dword v124, off, s[0:3], 0 offset:340
	buffer_store_dword v123, off, s[0:3], 0 offset:336
	v_cmpx_lt_u32_e32 41, v0
	s_cbranch_execz .LBB59_287
; %bb.286:
	s_clause 0x1
	buffer_load_dword v123, off, s[0:3], 0 offset:328
	buffer_load_dword v124, off, s[0:3], 0 offset:332
	buffer_store_dword v122, off, s[0:3], 0 offset:328
	buffer_store_dword v122, off, s[0:3], 0 offset:332
	s_waitcnt vmcnt(0)
	ds_write_b64 v121, v[123:124]
.LBB59_287:
	s_or_b32 exec_lo, exec_lo, s4
	s_waitcnt lgkmcnt(0)
	s_waitcnt_vscnt null, 0x0
	s_barrier
	buffer_gl0_inv
	s_clause 0x1c
	buffer_load_dword v131, off, s[0:3], 0 offset:336
	buffer_load_dword v132, off, s[0:3], 0 offset:340
	;; [unrolled: 1-line block ×29, first 2 shown]
	ds_read_b128 v[123:126], v122 offset:816
	ds_read_b128 v[127:130], v122 offset:832
	buffer_load_dword v156, off, s[0:3], 0 offset:452
	s_mov_b32 s4, exec_lo
	s_waitcnt vmcnt(28) lgkmcnt(1)
	v_fma_f64 v[123:124], v[131:132], v[123:124], 0
	s_clause 0x5
	buffer_load_dword v132, off, s[0:3], 0 offset:460
	buffer_load_dword v161, off, s[0:3], 0 offset:472
	buffer_load_dword v163, off, s[0:3], 0 offset:464
	buffer_load_dword v131, off, s[0:3], 0 offset:456
	buffer_load_dword v164, off, s[0:3], 0 offset:468
	buffer_load_dword v162, off, s[0:3], 0 offset:476
	s_waitcnt vmcnt(32)
	v_fma_f64 v[123:124], v[133:134], v[125:126], v[123:124]
	s_waitcnt vmcnt(30) lgkmcnt(0)
	v_fma_f64 v[123:124], v[135:136], v[127:128], v[123:124]
	s_waitcnt vmcnt(28)
	v_fma_f64 v[133:134], v[137:138], v[129:130], v[123:124]
	ds_read_b128 v[123:126], v122 offset:848
	s_clause 0x1
	buffer_load_dword v135, off, s[0:3], 0 offset:328
	buffer_load_dword v136, off, s[0:3], 0 offset:332
	ds_read_b128 v[127:130], v122 offset:864
	s_waitcnt vmcnt(28) lgkmcnt(1)
	v_fma_f64 v[123:124], v[139:140], v[123:124], v[133:134]
	s_waitcnt vmcnt(26)
	v_fma_f64 v[123:124], v[141:142], v[125:126], v[123:124]
	s_waitcnt vmcnt(24) lgkmcnt(0)
	v_fma_f64 v[123:124], v[143:144], v[127:128], v[123:124]
	s_waitcnt vmcnt(19)
	v_fma_f64 v[133:134], v[145:146], v[129:130], v[123:124]
	ds_read_b128 v[123:126], v122 offset:880
	ds_read_b128 v[127:130], v122 offset:896
	s_waitcnt vmcnt(18) lgkmcnt(1)
	v_fma_f64 v[123:124], v[151:152], v[123:124], v[133:134]
	s_waitcnt vmcnt(17)
	v_fma_f64 v[123:124], v[149:150], v[125:126], v[123:124]
	s_waitcnt vmcnt(16) lgkmcnt(0)
	v_fma_f64 v[123:124], v[147:148], v[127:128], v[123:124]
	s_waitcnt vmcnt(11)
	v_fma_f64 v[133:134], v[153:154], v[129:130], v[123:124]
	ds_read_b128 v[123:126], v122 offset:912
	;; [unrolled: 10-line block ×3, first 2 shown]
	s_waitcnt vmcnt(3) lgkmcnt(0)
	v_fma_f64 v[122:123], v[163:164], v[122:123], v[126:127]
	s_waitcnt vmcnt(2)
	v_fma_f64 v[122:123], v[161:162], v[124:125], v[122:123]
	s_waitcnt vmcnt(0)
	v_add_f64 v[122:123], v[135:136], -v[122:123]
	buffer_store_dword v123, off, s[0:3], 0 offset:332
	buffer_store_dword v122, off, s[0:3], 0 offset:328
	v_cmpx_lt_u32_e32 40, v0
	s_cbranch_execz .LBB59_289
; %bb.288:
	s_clause 0x1
	buffer_load_dword v122, off, s[0:3], 0 offset:320
	buffer_load_dword v123, off, s[0:3], 0 offset:324
	v_mov_b32_e32 v124, 0
	buffer_store_dword v124, off, s[0:3], 0 offset:320
	buffer_store_dword v124, off, s[0:3], 0 offset:324
	s_waitcnt vmcnt(0)
	ds_write_b64 v121, v[122:123]
.LBB59_289:
	s_or_b32 exec_lo, exec_lo, s4
	s_waitcnt lgkmcnt(0)
	s_waitcnt_vscnt null, 0x0
	s_barrier
	buffer_gl0_inv
	s_clause 0x1c
	buffer_load_dword v131, off, s[0:3], 0 offset:328
	buffer_load_dword v132, off, s[0:3], 0 offset:332
	;; [unrolled: 1-line block ×29, first 2 shown]
	v_mov_b32_e32 v122, 0
	buffer_load_dword v156, off, s[0:3], 0 offset:444
	s_mov_b32 s4, exec_lo
	ds_read2_b64 v[123:126], v122 offset0:101 offset1:102
	ds_read2_b64 v[127:130], v122 offset0:103 offset1:104
	s_waitcnt vmcnt(28) lgkmcnt(1)
	v_fma_f64 v[123:124], v[131:132], v[123:124], 0
	s_clause 0x7
	buffer_load_dword v132, off, s[0:3], 0 offset:452
	buffer_load_dword v161, off, s[0:3], 0 offset:472
	;; [unrolled: 1-line block ×8, first 2 shown]
	s_waitcnt vmcnt(34)
	v_fma_f64 v[123:124], v[133:134], v[125:126], v[123:124]
	s_waitcnt vmcnt(32) lgkmcnt(0)
	v_fma_f64 v[123:124], v[135:136], v[127:128], v[123:124]
	s_waitcnt vmcnt(30)
	v_fma_f64 v[133:134], v[137:138], v[129:130], v[123:124]
	ds_read2_b64 v[123:126], v122 offset0:105 offset1:106
	ds_read2_b64 v[127:130], v122 offset0:107 offset1:108
	s_waitcnt vmcnt(28) lgkmcnt(1)
	v_fma_f64 v[123:124], v[139:140], v[123:124], v[133:134]
	s_clause 0x1
	buffer_load_dword v133, off, s[0:3], 0 offset:320
	buffer_load_dword v134, off, s[0:3], 0 offset:324
	s_waitcnt vmcnt(28)
	v_fma_f64 v[123:124], v[141:142], v[125:126], v[123:124]
	s_waitcnt vmcnt(26) lgkmcnt(0)
	v_fma_f64 v[123:124], v[143:144], v[127:128], v[123:124]
	s_waitcnt vmcnt(21)
	v_fma_f64 v[135:136], v[145:146], v[129:130], v[123:124]
	ds_read2_b64 v[123:126], v122 offset0:109 offset1:110
	ds_read2_b64 v[127:130], v122 offset0:111 offset1:112
	s_waitcnt vmcnt(20) lgkmcnt(1)
	v_fma_f64 v[123:124], v[151:152], v[123:124], v[135:136]
	s_waitcnt vmcnt(19)
	v_fma_f64 v[123:124], v[149:150], v[125:126], v[123:124]
	s_waitcnt vmcnt(18) lgkmcnt(0)
	v_fma_f64 v[123:124], v[147:148], v[127:128], v[123:124]
	s_waitcnt vmcnt(13)
	v_fma_f64 v[135:136], v[153:154], v[129:130], v[123:124]
	ds_read2_b64 v[123:126], v122 offset0:113 offset1:114
	ds_read2_b64 v[127:130], v122 offset0:115 offset1:116
	s_waitcnt vmcnt(12) lgkmcnt(1)
	v_fma_f64 v[123:124], v[159:160], v[123:124], v[135:136]
	s_waitcnt vmcnt(11)
	v_fma_f64 v[123:124], v[157:158], v[125:126], v[123:124]
	s_waitcnt vmcnt(10) lgkmcnt(0)
	v_fma_f64 v[123:124], v[155:156], v[127:128], v[123:124]
	s_waitcnt vmcnt(5)
	v_fma_f64 v[127:128], v[131:132], v[129:130], v[123:124]
	ds_read2_b64 v[123:126], v122 offset0:117 offset1:118
	ds_read_b64 v[129:130], v122 offset:952
	s_waitcnt vmcnt(4) lgkmcnt(1)
	v_fma_f64 v[123:124], v[165:166], v[123:124], v[127:128]
	s_waitcnt vmcnt(3)
	v_fma_f64 v[123:124], v[163:164], v[125:126], v[123:124]
	s_waitcnt vmcnt(2) lgkmcnt(0)
	v_fma_f64 v[123:124], v[161:162], v[129:130], v[123:124]
	s_waitcnt vmcnt(0)
	v_add_f64 v[123:124], v[133:134], -v[123:124]
	buffer_store_dword v124, off, s[0:3], 0 offset:324
	buffer_store_dword v123, off, s[0:3], 0 offset:320
	v_cmpx_lt_u32_e32 39, v0
	s_cbranch_execz .LBB59_291
; %bb.290:
	s_clause 0x1
	buffer_load_dword v123, off, s[0:3], 0 offset:312
	buffer_load_dword v124, off, s[0:3], 0 offset:316
	buffer_store_dword v122, off, s[0:3], 0 offset:312
	buffer_store_dword v122, off, s[0:3], 0 offset:316
	s_waitcnt vmcnt(0)
	ds_write_b64 v121, v[123:124]
.LBB59_291:
	s_or_b32 exec_lo, exec_lo, s4
	s_waitcnt lgkmcnt(0)
	s_waitcnt_vscnt null, 0x0
	s_barrier
	buffer_gl0_inv
	s_clause 0x1c
	buffer_load_dword v131, off, s[0:3], 0 offset:320
	buffer_load_dword v132, off, s[0:3], 0 offset:324
	;; [unrolled: 1-line block ×29, first 2 shown]
	ds_read_b128 v[123:126], v122 offset:800
	ds_read_b128 v[127:130], v122 offset:816
	buffer_load_dword v156, off, s[0:3], 0 offset:436
	s_mov_b32 s4, exec_lo
	s_waitcnt vmcnt(28) lgkmcnt(1)
	v_fma_f64 v[123:124], v[131:132], v[123:124], 0
	s_clause 0x7
	buffer_load_dword v132, off, s[0:3], 0 offset:444
	buffer_load_dword v161, off, s[0:3], 0 offset:464
	;; [unrolled: 1-line block ×8, first 2 shown]
	s_waitcnt vmcnt(34)
	v_fma_f64 v[123:124], v[133:134], v[125:126], v[123:124]
	s_waitcnt vmcnt(32) lgkmcnt(0)
	v_fma_f64 v[123:124], v[135:136], v[127:128], v[123:124]
	s_waitcnt vmcnt(30)
	v_fma_f64 v[133:134], v[137:138], v[129:130], v[123:124]
	ds_read_b128 v[123:126], v122 offset:832
	ds_read_b128 v[127:130], v122 offset:848
	s_waitcnt vmcnt(28) lgkmcnt(1)
	v_fma_f64 v[123:124], v[139:140], v[123:124], v[133:134]
	s_clause 0x3
	buffer_load_dword v134, off, s[0:3], 0 offset:476
	buffer_load_dword v133, off, s[0:3], 0 offset:472
	;; [unrolled: 1-line block ×4, first 2 shown]
	s_waitcnt vmcnt(30)
	v_fma_f64 v[123:124], v[141:142], v[125:126], v[123:124]
	s_waitcnt vmcnt(28) lgkmcnt(0)
	v_fma_f64 v[123:124], v[143:144], v[127:128], v[123:124]
	s_waitcnt vmcnt(23)
	v_fma_f64 v[137:138], v[145:146], v[129:130], v[123:124]
	ds_read_b128 v[123:126], v122 offset:864
	ds_read_b128 v[127:130], v122 offset:880
	s_waitcnt vmcnt(22) lgkmcnt(1)
	v_fma_f64 v[123:124], v[151:152], v[123:124], v[137:138]
	s_waitcnt vmcnt(21)
	v_fma_f64 v[123:124], v[149:150], v[125:126], v[123:124]
	s_waitcnt vmcnt(20) lgkmcnt(0)
	v_fma_f64 v[123:124], v[147:148], v[127:128], v[123:124]
	s_waitcnt vmcnt(15)
	v_fma_f64 v[137:138], v[153:154], v[129:130], v[123:124]
	ds_read_b128 v[123:126], v122 offset:896
	ds_read_b128 v[127:130], v122 offset:912
	s_waitcnt vmcnt(14) lgkmcnt(1)
	v_fma_f64 v[123:124], v[159:160], v[123:124], v[137:138]
	;; [unrolled: 10-line block ×3, first 2 shown]
	s_waitcnt vmcnt(5)
	v_fma_f64 v[122:123], v[163:164], v[125:126], v[122:123]
	s_waitcnt vmcnt(4) lgkmcnt(0)
	v_fma_f64 v[122:123], v[161:162], v[127:128], v[122:123]
	s_waitcnt vmcnt(2)
	v_fma_f64 v[122:123], v[133:134], v[129:130], v[122:123]
	s_waitcnt vmcnt(0)
	v_add_f64 v[122:123], v[135:136], -v[122:123]
	buffer_store_dword v123, off, s[0:3], 0 offset:316
	buffer_store_dword v122, off, s[0:3], 0 offset:312
	v_cmpx_lt_u32_e32 38, v0
	s_cbranch_execz .LBB59_293
; %bb.292:
	s_clause 0x1
	buffer_load_dword v122, off, s[0:3], 0 offset:304
	buffer_load_dword v123, off, s[0:3], 0 offset:308
	v_mov_b32_e32 v124, 0
	buffer_store_dword v124, off, s[0:3], 0 offset:304
	buffer_store_dword v124, off, s[0:3], 0 offset:308
	s_waitcnt vmcnt(0)
	ds_write_b64 v121, v[122:123]
.LBB59_293:
	s_or_b32 exec_lo, exec_lo, s4
	s_waitcnt lgkmcnt(0)
	s_waitcnt_vscnt null, 0x0
	s_barrier
	buffer_gl0_inv
	s_clause 0x1c
	buffer_load_dword v131, off, s[0:3], 0 offset:312
	buffer_load_dword v132, off, s[0:3], 0 offset:316
	;; [unrolled: 1-line block ×29, first 2 shown]
	v_mov_b32_e32 v122, 0
	buffer_load_dword v156, off, s[0:3], 0 offset:428
	s_mov_b32 s4, exec_lo
	ds_read2_b64 v[123:126], v122 offset0:99 offset1:100
	ds_read2_b64 v[127:130], v122 offset0:101 offset1:102
	s_waitcnt vmcnt(28) lgkmcnt(1)
	v_fma_f64 v[123:124], v[131:132], v[123:124], 0
	s_clause 0x7
	buffer_load_dword v132, off, s[0:3], 0 offset:436
	buffer_load_dword v161, off, s[0:3], 0 offset:456
	;; [unrolled: 1-line block ×8, first 2 shown]
	s_waitcnt vmcnt(34)
	v_fma_f64 v[123:124], v[133:134], v[125:126], v[123:124]
	s_waitcnt vmcnt(32) lgkmcnt(0)
	v_fma_f64 v[123:124], v[135:136], v[127:128], v[123:124]
	s_waitcnt vmcnt(30)
	v_fma_f64 v[133:134], v[137:138], v[129:130], v[123:124]
	ds_read2_b64 v[123:126], v122 offset0:103 offset1:104
	ds_read2_b64 v[127:130], v122 offset0:105 offset1:106
	s_waitcnt vmcnt(28) lgkmcnt(1)
	v_fma_f64 v[123:124], v[139:140], v[123:124], v[133:134]
	s_clause 0x5
	buffer_load_dword v134, off, s[0:3], 0 offset:468
	buffer_load_dword v135, off, s[0:3], 0 offset:472
	;; [unrolled: 1-line block ×6, first 2 shown]
	s_waitcnt vmcnt(32)
	v_fma_f64 v[123:124], v[141:142], v[125:126], v[123:124]
	s_waitcnt vmcnt(30) lgkmcnt(0)
	v_fma_f64 v[123:124], v[143:144], v[127:128], v[123:124]
	s_waitcnt vmcnt(25)
	v_fma_f64 v[139:140], v[145:146], v[129:130], v[123:124]
	ds_read2_b64 v[123:126], v122 offset0:107 offset1:108
	ds_read2_b64 v[127:130], v122 offset0:109 offset1:110
	s_waitcnt vmcnt(24) lgkmcnt(1)
	v_fma_f64 v[123:124], v[151:152], v[123:124], v[139:140]
	s_waitcnt vmcnt(23)
	v_fma_f64 v[123:124], v[149:150], v[125:126], v[123:124]
	s_waitcnt vmcnt(22) lgkmcnt(0)
	v_fma_f64 v[123:124], v[147:148], v[127:128], v[123:124]
	s_waitcnt vmcnt(17)
	v_fma_f64 v[139:140], v[153:154], v[129:130], v[123:124]
	ds_read2_b64 v[123:126], v122 offset0:111 offset1:112
	ds_read2_b64 v[127:130], v122 offset0:113 offset1:114
	s_waitcnt vmcnt(16) lgkmcnt(1)
	v_fma_f64 v[123:124], v[159:160], v[123:124], v[139:140]
	s_waitcnt vmcnt(15)
	v_fma_f64 v[123:124], v[157:158], v[125:126], v[123:124]
	s_waitcnt vmcnt(14) lgkmcnt(0)
	v_fma_f64 v[123:124], v[155:156], v[127:128], v[123:124]
	s_waitcnt vmcnt(9)
	v_fma_f64 v[131:132], v[131:132], v[129:130], v[123:124]
	ds_read2_b64 v[123:126], v122 offset0:115 offset1:116
	ds_read2_b64 v[127:130], v122 offset0:117 offset1:118
	s_waitcnt vmcnt(8) lgkmcnt(1)
	v_fma_f64 v[123:124], v[165:166], v[123:124], v[131:132]
	s_waitcnt vmcnt(7)
	v_fma_f64 v[123:124], v[163:164], v[125:126], v[123:124]
	ds_read_b64 v[125:126], v122 offset:952
	s_waitcnt vmcnt(6) lgkmcnt(1)
	v_fma_f64 v[123:124], v[161:162], v[127:128], v[123:124]
	s_waitcnt vmcnt(3)
	v_fma_f64 v[123:124], v[133:134], v[129:130], v[123:124]
	s_waitcnt vmcnt(2) lgkmcnt(0)
	v_fma_f64 v[123:124], v[135:136], v[125:126], v[123:124]
	s_waitcnt vmcnt(0)
	v_add_f64 v[123:124], v[137:138], -v[123:124]
	buffer_store_dword v124, off, s[0:3], 0 offset:308
	buffer_store_dword v123, off, s[0:3], 0 offset:304
	v_cmpx_lt_u32_e32 37, v0
	s_cbranch_execz .LBB59_295
; %bb.294:
	s_clause 0x1
	buffer_load_dword v123, off, s[0:3], 0 offset:296
	buffer_load_dword v124, off, s[0:3], 0 offset:300
	buffer_store_dword v122, off, s[0:3], 0 offset:296
	buffer_store_dword v122, off, s[0:3], 0 offset:300
	s_waitcnt vmcnt(0)
	ds_write_b64 v121, v[123:124]
.LBB59_295:
	s_or_b32 exec_lo, exec_lo, s4
	s_waitcnt lgkmcnt(0)
	s_waitcnt_vscnt null, 0x0
	s_barrier
	buffer_gl0_inv
	s_clause 0x1c
	buffer_load_dword v131, off, s[0:3], 0 offset:304
	buffer_load_dword v132, off, s[0:3], 0 offset:308
	;; [unrolled: 1-line block ×29, first 2 shown]
	ds_read_b128 v[123:126], v122 offset:784
	ds_read_b128 v[127:130], v122 offset:800
	buffer_load_dword v156, off, s[0:3], 0 offset:420
	s_mov_b32 s4, exec_lo
	s_waitcnt vmcnt(28) lgkmcnt(1)
	v_fma_f64 v[123:124], v[131:132], v[123:124], 0
	s_clause 0x7
	buffer_load_dword v132, off, s[0:3], 0 offset:428
	buffer_load_dword v161, off, s[0:3], 0 offset:448
	;; [unrolled: 1-line block ×8, first 2 shown]
	s_waitcnt vmcnt(34)
	v_fma_f64 v[123:124], v[133:134], v[125:126], v[123:124]
	s_waitcnt vmcnt(32) lgkmcnt(0)
	v_fma_f64 v[123:124], v[135:136], v[127:128], v[123:124]
	s_waitcnt vmcnt(30)
	v_fma_f64 v[133:134], v[137:138], v[129:130], v[123:124]
	ds_read_b128 v[123:126], v122 offset:816
	ds_read_b128 v[127:130], v122 offset:832
	s_waitcnt vmcnt(28) lgkmcnt(1)
	v_fma_f64 v[123:124], v[139:140], v[123:124], v[133:134]
	s_clause 0x5
	buffer_load_dword v134, off, s[0:3], 0 offset:460
	buffer_load_dword v135, off, s[0:3], 0 offset:472
	;; [unrolled: 1-line block ×6, first 2 shown]
	s_waitcnt vmcnt(32)
	v_fma_f64 v[123:124], v[141:142], v[125:126], v[123:124]
	s_waitcnt vmcnt(30) lgkmcnt(0)
	v_fma_f64 v[123:124], v[143:144], v[127:128], v[123:124]
	s_waitcnt vmcnt(25)
	v_fma_f64 v[139:140], v[145:146], v[129:130], v[123:124]
	ds_read_b128 v[123:126], v122 offset:848
	s_clause 0x1
	buffer_load_dword v141, off, s[0:3], 0 offset:296
	buffer_load_dword v142, off, s[0:3], 0 offset:300
	ds_read_b128 v[127:130], v122 offset:864
	s_waitcnt vmcnt(26) lgkmcnt(1)
	v_fma_f64 v[123:124], v[151:152], v[123:124], v[139:140]
	s_waitcnt vmcnt(25)
	v_fma_f64 v[123:124], v[149:150], v[125:126], v[123:124]
	s_waitcnt vmcnt(24) lgkmcnt(0)
	v_fma_f64 v[123:124], v[147:148], v[127:128], v[123:124]
	s_waitcnt vmcnt(19)
	v_fma_f64 v[139:140], v[153:154], v[129:130], v[123:124]
	ds_read_b128 v[123:126], v122 offset:880
	ds_read_b128 v[127:130], v122 offset:896
	s_waitcnt vmcnt(18) lgkmcnt(1)
	v_fma_f64 v[123:124], v[159:160], v[123:124], v[139:140]
	s_waitcnt vmcnt(17)
	v_fma_f64 v[123:124], v[157:158], v[125:126], v[123:124]
	s_waitcnt vmcnt(16) lgkmcnt(0)
	v_fma_f64 v[123:124], v[155:156], v[127:128], v[123:124]
	s_waitcnt vmcnt(11)
	v_fma_f64 v[131:132], v[131:132], v[129:130], v[123:124]
	ds_read_b128 v[123:126], v122 offset:912
	;; [unrolled: 10-line block ×3, first 2 shown]
	s_waitcnt vmcnt(3) lgkmcnt(0)
	v_fma_f64 v[122:123], v[137:138], v[122:123], v[126:127]
	s_waitcnt vmcnt(2)
	v_fma_f64 v[122:123], v[135:136], v[124:125], v[122:123]
	s_waitcnt vmcnt(0)
	v_add_f64 v[122:123], v[141:142], -v[122:123]
	buffer_store_dword v123, off, s[0:3], 0 offset:300
	buffer_store_dword v122, off, s[0:3], 0 offset:296
	v_cmpx_lt_u32_e32 36, v0
	s_cbranch_execz .LBB59_297
; %bb.296:
	s_clause 0x1
	buffer_load_dword v122, off, s[0:3], 0 offset:288
	buffer_load_dword v123, off, s[0:3], 0 offset:292
	v_mov_b32_e32 v124, 0
	buffer_store_dword v124, off, s[0:3], 0 offset:288
	buffer_store_dword v124, off, s[0:3], 0 offset:292
	s_waitcnt vmcnt(0)
	ds_write_b64 v121, v[122:123]
.LBB59_297:
	s_or_b32 exec_lo, exec_lo, s4
	s_waitcnt lgkmcnt(0)
	s_waitcnt_vscnt null, 0x0
	s_barrier
	buffer_gl0_inv
	s_clause 0x1c
	buffer_load_dword v131, off, s[0:3], 0 offset:296
	buffer_load_dword v132, off, s[0:3], 0 offset:300
	;; [unrolled: 1-line block ×29, first 2 shown]
	v_mov_b32_e32 v122, 0
	buffer_load_dword v156, off, s[0:3], 0 offset:412
	s_mov_b32 s4, exec_lo
	ds_read2_b64 v[123:126], v122 offset0:97 offset1:98
	ds_read2_b64 v[127:130], v122 offset0:99 offset1:100
	s_waitcnt vmcnt(28) lgkmcnt(1)
	v_fma_f64 v[123:124], v[131:132], v[123:124], 0
	s_clause 0x7
	buffer_load_dword v132, off, s[0:3], 0 offset:420
	buffer_load_dword v161, off, s[0:3], 0 offset:440
	;; [unrolled: 1-line block ×8, first 2 shown]
	s_waitcnt vmcnt(34)
	v_fma_f64 v[123:124], v[133:134], v[125:126], v[123:124]
	s_waitcnt vmcnt(32) lgkmcnt(0)
	v_fma_f64 v[123:124], v[135:136], v[127:128], v[123:124]
	s_waitcnt vmcnt(30)
	v_fma_f64 v[133:134], v[137:138], v[129:130], v[123:124]
	ds_read2_b64 v[123:126], v122 offset0:101 offset1:102
	ds_read2_b64 v[127:130], v122 offset0:103 offset1:104
	s_waitcnt vmcnt(28) lgkmcnt(1)
	v_fma_f64 v[123:124], v[139:140], v[123:124], v[133:134]
	s_clause 0x7
	buffer_load_dword v134, off, s[0:3], 0 offset:452
	buffer_load_dword v135, off, s[0:3], 0 offset:472
	;; [unrolled: 1-line block ×8, first 2 shown]
	s_waitcnt vmcnt(34)
	v_fma_f64 v[123:124], v[141:142], v[125:126], v[123:124]
	s_waitcnt vmcnt(32) lgkmcnt(0)
	v_fma_f64 v[123:124], v[143:144], v[127:128], v[123:124]
	s_waitcnt vmcnt(27)
	v_fma_f64 v[141:142], v[145:146], v[129:130], v[123:124]
	ds_read2_b64 v[123:126], v122 offset0:105 offset1:106
	ds_read2_b64 v[127:130], v122 offset0:107 offset1:108
	s_waitcnt vmcnt(26) lgkmcnt(1)
	v_fma_f64 v[123:124], v[151:152], v[123:124], v[141:142]
	s_clause 0x1
	buffer_load_dword v141, off, s[0:3], 0 offset:288
	buffer_load_dword v142, off, s[0:3], 0 offset:292
	s_waitcnt vmcnt(27)
	v_fma_f64 v[123:124], v[149:150], v[125:126], v[123:124]
	s_waitcnt vmcnt(26) lgkmcnt(0)
	v_fma_f64 v[123:124], v[147:148], v[127:128], v[123:124]
	s_waitcnt vmcnt(21)
	v_fma_f64 v[143:144], v[153:154], v[129:130], v[123:124]
	ds_read2_b64 v[123:126], v122 offset0:109 offset1:110
	ds_read2_b64 v[127:130], v122 offset0:111 offset1:112
	s_waitcnt vmcnt(20) lgkmcnt(1)
	v_fma_f64 v[123:124], v[159:160], v[123:124], v[143:144]
	s_waitcnt vmcnt(19)
	v_fma_f64 v[123:124], v[157:158], v[125:126], v[123:124]
	s_waitcnt vmcnt(18) lgkmcnt(0)
	v_fma_f64 v[123:124], v[155:156], v[127:128], v[123:124]
	s_waitcnt vmcnt(13)
	v_fma_f64 v[131:132], v[131:132], v[129:130], v[123:124]
	ds_read2_b64 v[123:126], v122 offset0:113 offset1:114
	ds_read2_b64 v[127:130], v122 offset0:115 offset1:116
	s_waitcnt vmcnt(12) lgkmcnt(1)
	v_fma_f64 v[123:124], v[165:166], v[123:124], v[131:132]
	s_waitcnt vmcnt(11)
	v_fma_f64 v[123:124], v[163:164], v[125:126], v[123:124]
	s_waitcnt vmcnt(10) lgkmcnt(0)
	v_fma_f64 v[123:124], v[161:162], v[127:128], v[123:124]
	s_waitcnt vmcnt(5)
	v_fma_f64 v[127:128], v[133:134], v[129:130], v[123:124]
	ds_read2_b64 v[123:126], v122 offset0:117 offset1:118
	ds_read_b64 v[129:130], v122 offset:952
	s_waitcnt vmcnt(4) lgkmcnt(1)
	v_fma_f64 v[123:124], v[139:140], v[123:124], v[127:128]
	s_waitcnt vmcnt(3)
	v_fma_f64 v[123:124], v[137:138], v[125:126], v[123:124]
	s_waitcnt vmcnt(2) lgkmcnt(0)
	v_fma_f64 v[123:124], v[135:136], v[129:130], v[123:124]
	s_waitcnt vmcnt(0)
	v_add_f64 v[123:124], v[141:142], -v[123:124]
	buffer_store_dword v124, off, s[0:3], 0 offset:292
	buffer_store_dword v123, off, s[0:3], 0 offset:288
	v_cmpx_lt_u32_e32 35, v0
	s_cbranch_execz .LBB59_299
; %bb.298:
	s_clause 0x1
	buffer_load_dword v123, off, s[0:3], 0 offset:280
	buffer_load_dword v124, off, s[0:3], 0 offset:284
	buffer_store_dword v122, off, s[0:3], 0 offset:280
	buffer_store_dword v122, off, s[0:3], 0 offset:284
	s_waitcnt vmcnt(0)
	ds_write_b64 v121, v[123:124]
.LBB59_299:
	s_or_b32 exec_lo, exec_lo, s4
	s_waitcnt lgkmcnt(0)
	s_waitcnt_vscnt null, 0x0
	s_barrier
	buffer_gl0_inv
	s_clause 0x1c
	buffer_load_dword v131, off, s[0:3], 0 offset:288
	buffer_load_dword v132, off, s[0:3], 0 offset:292
	;; [unrolled: 1-line block ×29, first 2 shown]
	ds_read_b128 v[123:126], v122 offset:768
	ds_read_b128 v[127:130], v122 offset:784
	buffer_load_dword v156, off, s[0:3], 0 offset:404
	s_mov_b32 s4, exec_lo
	s_waitcnt vmcnt(28) lgkmcnt(1)
	v_fma_f64 v[123:124], v[131:132], v[123:124], 0
	s_clause 0x7
	buffer_load_dword v132, off, s[0:3], 0 offset:412
	buffer_load_dword v161, off, s[0:3], 0 offset:432
	;; [unrolled: 1-line block ×8, first 2 shown]
	s_waitcnt vmcnt(34)
	v_fma_f64 v[123:124], v[133:134], v[125:126], v[123:124]
	s_waitcnt vmcnt(32) lgkmcnt(0)
	v_fma_f64 v[123:124], v[135:136], v[127:128], v[123:124]
	s_waitcnt vmcnt(30)
	v_fma_f64 v[133:134], v[137:138], v[129:130], v[123:124]
	ds_read_b128 v[123:126], v122 offset:800
	ds_read_b128 v[127:130], v122 offset:816
	s_waitcnt vmcnt(28) lgkmcnt(1)
	v_fma_f64 v[123:124], v[139:140], v[123:124], v[133:134]
	s_clause 0x7
	buffer_load_dword v134, off, s[0:3], 0 offset:444
	buffer_load_dword v135, off, s[0:3], 0 offset:464
	;; [unrolled: 1-line block ×8, first 2 shown]
	s_waitcnt vmcnt(34)
	v_fma_f64 v[123:124], v[141:142], v[125:126], v[123:124]
	s_waitcnt vmcnt(32) lgkmcnt(0)
	v_fma_f64 v[123:124], v[143:144], v[127:128], v[123:124]
	s_waitcnt vmcnt(27)
	v_fma_f64 v[141:142], v[145:146], v[129:130], v[123:124]
	ds_read_b128 v[123:126], v122 offset:832
	ds_read_b128 v[127:130], v122 offset:848
	s_waitcnt vmcnt(26) lgkmcnt(1)
	v_fma_f64 v[123:124], v[151:152], v[123:124], v[141:142]
	s_clause 0x3
	buffer_load_dword v142, off, s[0:3], 0 offset:476
	buffer_load_dword v141, off, s[0:3], 0 offset:472
	;; [unrolled: 1-line block ×4, first 2 shown]
	s_waitcnt vmcnt(29)
	v_fma_f64 v[123:124], v[149:150], v[125:126], v[123:124]
	s_waitcnt vmcnt(28) lgkmcnt(0)
	v_fma_f64 v[123:124], v[147:148], v[127:128], v[123:124]
	s_waitcnt vmcnt(23)
	v_fma_f64 v[145:146], v[153:154], v[129:130], v[123:124]
	ds_read_b128 v[123:126], v122 offset:864
	ds_read_b128 v[127:130], v122 offset:880
	s_waitcnt vmcnt(22) lgkmcnt(1)
	v_fma_f64 v[123:124], v[159:160], v[123:124], v[145:146]
	s_waitcnt vmcnt(21)
	v_fma_f64 v[123:124], v[157:158], v[125:126], v[123:124]
	s_waitcnt vmcnt(20) lgkmcnt(0)
	v_fma_f64 v[123:124], v[155:156], v[127:128], v[123:124]
	s_waitcnt vmcnt(15)
	v_fma_f64 v[131:132], v[131:132], v[129:130], v[123:124]
	ds_read_b128 v[123:126], v122 offset:896
	ds_read_b128 v[127:130], v122 offset:912
	s_waitcnt vmcnt(14) lgkmcnt(1)
	v_fma_f64 v[123:124], v[165:166], v[123:124], v[131:132]
	;; [unrolled: 10-line block ×3, first 2 shown]
	s_waitcnt vmcnt(5)
	v_fma_f64 v[122:123], v[137:138], v[125:126], v[122:123]
	s_waitcnt vmcnt(4) lgkmcnt(0)
	v_fma_f64 v[122:123], v[135:136], v[127:128], v[122:123]
	s_waitcnt vmcnt(2)
	v_fma_f64 v[122:123], v[141:142], v[129:130], v[122:123]
	s_waitcnt vmcnt(0)
	v_add_f64 v[122:123], v[143:144], -v[122:123]
	buffer_store_dword v123, off, s[0:3], 0 offset:284
	buffer_store_dword v122, off, s[0:3], 0 offset:280
	v_cmpx_lt_u32_e32 34, v0
	s_cbranch_execz .LBB59_301
; %bb.300:
	s_clause 0x1
	buffer_load_dword v122, off, s[0:3], 0 offset:272
	buffer_load_dword v123, off, s[0:3], 0 offset:276
	v_mov_b32_e32 v124, 0
	buffer_store_dword v124, off, s[0:3], 0 offset:272
	buffer_store_dword v124, off, s[0:3], 0 offset:276
	s_waitcnt vmcnt(0)
	ds_write_b64 v121, v[122:123]
.LBB59_301:
	s_or_b32 exec_lo, exec_lo, s4
	s_waitcnt lgkmcnt(0)
	s_waitcnt_vscnt null, 0x0
	s_barrier
	buffer_gl0_inv
	s_clause 0x1c
	buffer_load_dword v131, off, s[0:3], 0 offset:280
	buffer_load_dword v132, off, s[0:3], 0 offset:284
	;; [unrolled: 1-line block ×29, first 2 shown]
	v_mov_b32_e32 v122, 0
	buffer_load_dword v156, off, s[0:3], 0 offset:396
	s_mov_b32 s4, exec_lo
	ds_read2_b64 v[123:126], v122 offset0:95 offset1:96
	ds_read2_b64 v[127:130], v122 offset0:97 offset1:98
	s_waitcnt vmcnt(28) lgkmcnt(1)
	v_fma_f64 v[123:124], v[131:132], v[123:124], 0
	s_clause 0x7
	buffer_load_dword v132, off, s[0:3], 0 offset:404
	buffer_load_dword v161, off, s[0:3], 0 offset:424
	;; [unrolled: 1-line block ×8, first 2 shown]
	s_waitcnt vmcnt(34)
	v_fma_f64 v[123:124], v[133:134], v[125:126], v[123:124]
	s_waitcnt vmcnt(32) lgkmcnt(0)
	v_fma_f64 v[123:124], v[135:136], v[127:128], v[123:124]
	s_waitcnt vmcnt(30)
	v_fma_f64 v[133:134], v[137:138], v[129:130], v[123:124]
	ds_read2_b64 v[123:126], v122 offset0:99 offset1:100
	ds_read2_b64 v[127:130], v122 offset0:101 offset1:102
	s_waitcnt vmcnt(28) lgkmcnt(1)
	v_fma_f64 v[123:124], v[139:140], v[123:124], v[133:134]
	s_clause 0x7
	buffer_load_dword v134, off, s[0:3], 0 offset:436
	buffer_load_dword v135, off, s[0:3], 0 offset:456
	;; [unrolled: 1-line block ×8, first 2 shown]
	s_waitcnt vmcnt(34)
	v_fma_f64 v[123:124], v[141:142], v[125:126], v[123:124]
	s_waitcnt vmcnt(32) lgkmcnt(0)
	v_fma_f64 v[123:124], v[143:144], v[127:128], v[123:124]
	s_waitcnt vmcnt(27)
	v_fma_f64 v[141:142], v[145:146], v[129:130], v[123:124]
	ds_read2_b64 v[123:126], v122 offset0:103 offset1:104
	ds_read2_b64 v[127:130], v122 offset0:105 offset1:106
	s_waitcnt vmcnt(26) lgkmcnt(1)
	v_fma_f64 v[123:124], v[151:152], v[123:124], v[141:142]
	s_clause 0x5
	buffer_load_dword v142, off, s[0:3], 0 offset:468
	buffer_load_dword v143, off, s[0:3], 0 offset:472
	;; [unrolled: 1-line block ×6, first 2 shown]
	s_waitcnt vmcnt(31)
	v_fma_f64 v[123:124], v[149:150], v[125:126], v[123:124]
	s_waitcnt vmcnt(30) lgkmcnt(0)
	v_fma_f64 v[123:124], v[147:148], v[127:128], v[123:124]
	s_waitcnt vmcnt(25)
	v_fma_f64 v[147:148], v[153:154], v[129:130], v[123:124]
	ds_read2_b64 v[123:126], v122 offset0:107 offset1:108
	ds_read2_b64 v[127:130], v122 offset0:109 offset1:110
	s_waitcnt vmcnt(24) lgkmcnt(1)
	v_fma_f64 v[123:124], v[159:160], v[123:124], v[147:148]
	s_waitcnt vmcnt(23)
	v_fma_f64 v[123:124], v[157:158], v[125:126], v[123:124]
	s_waitcnt vmcnt(22) lgkmcnt(0)
	v_fma_f64 v[123:124], v[155:156], v[127:128], v[123:124]
	s_waitcnt vmcnt(17)
	v_fma_f64 v[131:132], v[131:132], v[129:130], v[123:124]
	ds_read2_b64 v[123:126], v122 offset0:111 offset1:112
	ds_read2_b64 v[127:130], v122 offset0:113 offset1:114
	s_waitcnt vmcnt(16) lgkmcnt(1)
	v_fma_f64 v[123:124], v[165:166], v[123:124], v[131:132]
	;; [unrolled: 10-line block ×3, first 2 shown]
	s_waitcnt vmcnt(7)
	v_fma_f64 v[123:124], v[137:138], v[125:126], v[123:124]
	ds_read_b64 v[125:126], v122 offset:952
	s_waitcnt vmcnt(6) lgkmcnt(1)
	v_fma_f64 v[123:124], v[135:136], v[127:128], v[123:124]
	s_waitcnt vmcnt(3)
	v_fma_f64 v[123:124], v[141:142], v[129:130], v[123:124]
	s_waitcnt vmcnt(2) lgkmcnt(0)
	v_fma_f64 v[123:124], v[143:144], v[125:126], v[123:124]
	s_waitcnt vmcnt(0)
	v_add_f64 v[123:124], v[145:146], -v[123:124]
	buffer_store_dword v124, off, s[0:3], 0 offset:276
	buffer_store_dword v123, off, s[0:3], 0 offset:272
	v_cmpx_lt_u32_e32 33, v0
	s_cbranch_execz .LBB59_303
; %bb.302:
	s_clause 0x1
	buffer_load_dword v123, off, s[0:3], 0 offset:264
	buffer_load_dword v124, off, s[0:3], 0 offset:268
	buffer_store_dword v122, off, s[0:3], 0 offset:264
	buffer_store_dword v122, off, s[0:3], 0 offset:268
	s_waitcnt vmcnt(0)
	ds_write_b64 v121, v[123:124]
.LBB59_303:
	s_or_b32 exec_lo, exec_lo, s4
	s_waitcnt lgkmcnt(0)
	s_waitcnt_vscnt null, 0x0
	s_barrier
	buffer_gl0_inv
	s_clause 0x1c
	buffer_load_dword v131, off, s[0:3], 0 offset:272
	buffer_load_dword v132, off, s[0:3], 0 offset:276
	;; [unrolled: 1-line block ×29, first 2 shown]
	ds_read_b128 v[123:126], v122 offset:752
	ds_read_b128 v[127:130], v122 offset:768
	buffer_load_dword v156, off, s[0:3], 0 offset:388
	s_mov_b32 s4, exec_lo
	s_waitcnt vmcnt(28) lgkmcnt(1)
	v_fma_f64 v[123:124], v[131:132], v[123:124], 0
	s_clause 0x7
	buffer_load_dword v132, off, s[0:3], 0 offset:396
	buffer_load_dword v161, off, s[0:3], 0 offset:416
	;; [unrolled: 1-line block ×8, first 2 shown]
	s_waitcnt vmcnt(34)
	v_fma_f64 v[123:124], v[133:134], v[125:126], v[123:124]
	s_waitcnt vmcnt(32) lgkmcnt(0)
	v_fma_f64 v[123:124], v[135:136], v[127:128], v[123:124]
	s_waitcnt vmcnt(30)
	v_fma_f64 v[133:134], v[137:138], v[129:130], v[123:124]
	ds_read_b128 v[123:126], v122 offset:784
	ds_read_b128 v[127:130], v122 offset:800
	s_waitcnt vmcnt(28) lgkmcnt(1)
	v_fma_f64 v[123:124], v[139:140], v[123:124], v[133:134]
	s_clause 0x7
	buffer_load_dword v134, off, s[0:3], 0 offset:428
	buffer_load_dword v135, off, s[0:3], 0 offset:448
	;; [unrolled: 1-line block ×8, first 2 shown]
	s_waitcnt vmcnt(34)
	v_fma_f64 v[123:124], v[141:142], v[125:126], v[123:124]
	s_waitcnt vmcnt(32) lgkmcnt(0)
	v_fma_f64 v[123:124], v[143:144], v[127:128], v[123:124]
	s_waitcnt vmcnt(27)
	v_fma_f64 v[141:142], v[145:146], v[129:130], v[123:124]
	ds_read_b128 v[123:126], v122 offset:816
	ds_read_b128 v[127:130], v122 offset:832
	s_waitcnt vmcnt(26) lgkmcnt(1)
	v_fma_f64 v[123:124], v[151:152], v[123:124], v[141:142]
	s_clause 0x5
	buffer_load_dword v142, off, s[0:3], 0 offset:460
	buffer_load_dword v143, off, s[0:3], 0 offset:472
	;; [unrolled: 1-line block ×6, first 2 shown]
	s_waitcnt vmcnt(31)
	v_fma_f64 v[123:124], v[149:150], v[125:126], v[123:124]
	s_waitcnt vmcnt(30) lgkmcnt(0)
	v_fma_f64 v[123:124], v[147:148], v[127:128], v[123:124]
	s_waitcnt vmcnt(25)
	v_fma_f64 v[147:148], v[153:154], v[129:130], v[123:124]
	ds_read_b128 v[123:126], v122 offset:848
	s_clause 0x1
	buffer_load_dword v149, off, s[0:3], 0 offset:264
	buffer_load_dword v150, off, s[0:3], 0 offset:268
	ds_read_b128 v[127:130], v122 offset:864
	s_waitcnt vmcnt(26) lgkmcnt(1)
	v_fma_f64 v[123:124], v[159:160], v[123:124], v[147:148]
	s_waitcnt vmcnt(25)
	v_fma_f64 v[123:124], v[157:158], v[125:126], v[123:124]
	s_waitcnt vmcnt(24) lgkmcnt(0)
	v_fma_f64 v[123:124], v[155:156], v[127:128], v[123:124]
	s_waitcnt vmcnt(19)
	v_fma_f64 v[131:132], v[131:132], v[129:130], v[123:124]
	ds_read_b128 v[123:126], v122 offset:880
	ds_read_b128 v[127:130], v122 offset:896
	s_waitcnt vmcnt(18) lgkmcnt(1)
	v_fma_f64 v[123:124], v[165:166], v[123:124], v[131:132]
	s_waitcnt vmcnt(17)
	v_fma_f64 v[123:124], v[163:164], v[125:126], v[123:124]
	s_waitcnt vmcnt(16) lgkmcnt(0)
	v_fma_f64 v[123:124], v[161:162], v[127:128], v[123:124]
	s_waitcnt vmcnt(11)
	v_fma_f64 v[131:132], v[133:134], v[129:130], v[123:124]
	ds_read_b128 v[123:126], v122 offset:912
	;; [unrolled: 10-line block ×3, first 2 shown]
	s_waitcnt vmcnt(3) lgkmcnt(0)
	v_fma_f64 v[122:123], v[145:146], v[122:123], v[126:127]
	s_waitcnt vmcnt(2)
	v_fma_f64 v[122:123], v[143:144], v[124:125], v[122:123]
	s_waitcnt vmcnt(0)
	v_add_f64 v[122:123], v[149:150], -v[122:123]
	buffer_store_dword v123, off, s[0:3], 0 offset:268
	buffer_store_dword v122, off, s[0:3], 0 offset:264
	v_cmpx_lt_u32_e32 32, v0
	s_cbranch_execz .LBB59_305
; %bb.304:
	s_clause 0x1
	buffer_load_dword v122, off, s[0:3], 0 offset:256
	buffer_load_dword v123, off, s[0:3], 0 offset:260
	v_mov_b32_e32 v124, 0
	buffer_store_dword v124, off, s[0:3], 0 offset:256
	buffer_store_dword v124, off, s[0:3], 0 offset:260
	s_waitcnt vmcnt(0)
	ds_write_b64 v121, v[122:123]
.LBB59_305:
	s_or_b32 exec_lo, exec_lo, s4
	s_waitcnt lgkmcnt(0)
	s_waitcnt_vscnt null, 0x0
	s_barrier
	buffer_gl0_inv
	s_clause 0x1c
	buffer_load_dword v131, off, s[0:3], 0 offset:264
	buffer_load_dword v132, off, s[0:3], 0 offset:268
	;; [unrolled: 1-line block ×29, first 2 shown]
	v_mov_b32_e32 v122, 0
	buffer_load_dword v156, off, s[0:3], 0 offset:380
	s_mov_b32 s4, exec_lo
	ds_read2_b64 v[123:126], v122 offset0:93 offset1:94
	ds_read2_b64 v[127:130], v122 offset0:95 offset1:96
	s_waitcnt vmcnt(28) lgkmcnt(1)
	v_fma_f64 v[123:124], v[131:132], v[123:124], 0
	s_clause 0x7
	buffer_load_dword v132, off, s[0:3], 0 offset:388
	buffer_load_dword v161, off, s[0:3], 0 offset:408
	buffer_load_dword v163, off, s[0:3], 0 offset:400
	buffer_load_dword v165, off, s[0:3], 0 offset:392
	buffer_load_dword v131, off, s[0:3], 0 offset:384
	buffer_load_dword v166, off, s[0:3], 0 offset:396
	buffer_load_dword v164, off, s[0:3], 0 offset:404
	buffer_load_dword v162, off, s[0:3], 0 offset:412
	s_waitcnt vmcnt(34)
	v_fma_f64 v[123:124], v[133:134], v[125:126], v[123:124]
	s_waitcnt vmcnt(32) lgkmcnt(0)
	v_fma_f64 v[123:124], v[135:136], v[127:128], v[123:124]
	s_waitcnt vmcnt(30)
	v_fma_f64 v[133:134], v[137:138], v[129:130], v[123:124]
	ds_read2_b64 v[123:126], v122 offset0:97 offset1:98
	ds_read2_b64 v[127:130], v122 offset0:99 offset1:100
	s_waitcnt vmcnt(28) lgkmcnt(1)
	v_fma_f64 v[123:124], v[139:140], v[123:124], v[133:134]
	s_clause 0x7
	buffer_load_dword v134, off, s[0:3], 0 offset:420
	buffer_load_dword v135, off, s[0:3], 0 offset:440
	buffer_load_dword v137, off, s[0:3], 0 offset:432
	buffer_load_dword v139, off, s[0:3], 0 offset:424
	buffer_load_dword v133, off, s[0:3], 0 offset:416
	buffer_load_dword v140, off, s[0:3], 0 offset:428
	buffer_load_dword v138, off, s[0:3], 0 offset:436
	buffer_load_dword v136, off, s[0:3], 0 offset:444
	s_waitcnt vmcnt(34)
	v_fma_f64 v[123:124], v[141:142], v[125:126], v[123:124]
	s_waitcnt vmcnt(32) lgkmcnt(0)
	v_fma_f64 v[123:124], v[143:144], v[127:128], v[123:124]
	s_waitcnt vmcnt(27)
	v_fma_f64 v[141:142], v[145:146], v[129:130], v[123:124]
	;; [unrolled: 19-line block ×3, first 2 shown]
	ds_read2_b64 v[123:126], v122 offset0:105 offset1:106
	ds_read2_b64 v[127:130], v122 offset0:107 offset1:108
	s_waitcnt vmcnt(26) lgkmcnt(1)
	v_fma_f64 v[123:124], v[159:160], v[123:124], v[147:148]
	s_clause 0x1
	buffer_load_dword v147, off, s[0:3], 0 offset:256
	buffer_load_dword v148, off, s[0:3], 0 offset:260
	s_waitcnt vmcnt(27)
	v_fma_f64 v[123:124], v[157:158], v[125:126], v[123:124]
	s_waitcnt vmcnt(26) lgkmcnt(0)
	v_fma_f64 v[123:124], v[155:156], v[127:128], v[123:124]
	s_waitcnt vmcnt(21)
	v_fma_f64 v[131:132], v[131:132], v[129:130], v[123:124]
	ds_read2_b64 v[123:126], v122 offset0:109 offset1:110
	ds_read2_b64 v[127:130], v122 offset0:111 offset1:112
	s_waitcnt vmcnt(20) lgkmcnt(1)
	v_fma_f64 v[123:124], v[165:166], v[123:124], v[131:132]
	s_waitcnt vmcnt(19)
	v_fma_f64 v[123:124], v[163:164], v[125:126], v[123:124]
	s_waitcnt vmcnt(18) lgkmcnt(0)
	v_fma_f64 v[123:124], v[161:162], v[127:128], v[123:124]
	s_waitcnt vmcnt(13)
	v_fma_f64 v[131:132], v[133:134], v[129:130], v[123:124]
	ds_read2_b64 v[123:126], v122 offset0:113 offset1:114
	ds_read2_b64 v[127:130], v122 offset0:115 offset1:116
	s_waitcnt vmcnt(12) lgkmcnt(1)
	v_fma_f64 v[123:124], v[139:140], v[123:124], v[131:132]
	s_waitcnt vmcnt(11)
	v_fma_f64 v[123:124], v[137:138], v[125:126], v[123:124]
	s_waitcnt vmcnt(10) lgkmcnt(0)
	v_fma_f64 v[123:124], v[135:136], v[127:128], v[123:124]
	s_waitcnt vmcnt(5)
	v_fma_f64 v[127:128], v[141:142], v[129:130], v[123:124]
	ds_read2_b64 v[123:126], v122 offset0:117 offset1:118
	ds_read_b64 v[129:130], v122 offset:952
	s_waitcnt vmcnt(4) lgkmcnt(1)
	v_fma_f64 v[123:124], v[151:152], v[123:124], v[127:128]
	s_waitcnt vmcnt(3)
	v_fma_f64 v[123:124], v[145:146], v[125:126], v[123:124]
	s_waitcnt vmcnt(2) lgkmcnt(0)
	v_fma_f64 v[123:124], v[143:144], v[129:130], v[123:124]
	s_waitcnt vmcnt(0)
	v_add_f64 v[123:124], v[147:148], -v[123:124]
	buffer_store_dword v124, off, s[0:3], 0 offset:260
	buffer_store_dword v123, off, s[0:3], 0 offset:256
	v_cmpx_lt_u32_e32 31, v0
	s_cbranch_execz .LBB59_307
; %bb.306:
	s_clause 0x1
	buffer_load_dword v123, off, s[0:3], 0 offset:248
	buffer_load_dword v124, off, s[0:3], 0 offset:252
	buffer_store_dword v122, off, s[0:3], 0 offset:248
	buffer_store_dword v122, off, s[0:3], 0 offset:252
	s_waitcnt vmcnt(0)
	ds_write_b64 v121, v[123:124]
.LBB59_307:
	s_or_b32 exec_lo, exec_lo, s4
	s_waitcnt lgkmcnt(0)
	s_waitcnt_vscnt null, 0x0
	s_barrier
	buffer_gl0_inv
	s_clause 0x1c
	buffer_load_dword v131, off, s[0:3], 0 offset:256
	buffer_load_dword v132, off, s[0:3], 0 offset:260
	;; [unrolled: 1-line block ×29, first 2 shown]
	ds_read_b128 v[123:126], v122 offset:736
	ds_read_b128 v[127:130], v122 offset:752
	buffer_load_dword v156, off, s[0:3], 0 offset:372
	s_mov_b32 s4, exec_lo
	s_waitcnt vmcnt(28) lgkmcnt(1)
	v_fma_f64 v[123:124], v[131:132], v[123:124], 0
	s_clause 0x7
	buffer_load_dword v132, off, s[0:3], 0 offset:380
	buffer_load_dword v161, off, s[0:3], 0 offset:400
	buffer_load_dword v163, off, s[0:3], 0 offset:392
	buffer_load_dword v165, off, s[0:3], 0 offset:384
	buffer_load_dword v131, off, s[0:3], 0 offset:376
	buffer_load_dword v166, off, s[0:3], 0 offset:388
	buffer_load_dword v164, off, s[0:3], 0 offset:396
	buffer_load_dword v162, off, s[0:3], 0 offset:404
	s_waitcnt vmcnt(34)
	v_fma_f64 v[123:124], v[133:134], v[125:126], v[123:124]
	s_waitcnt vmcnt(32) lgkmcnt(0)
	v_fma_f64 v[123:124], v[135:136], v[127:128], v[123:124]
	s_waitcnt vmcnt(30)
	v_fma_f64 v[133:134], v[137:138], v[129:130], v[123:124]
	ds_read_b128 v[123:126], v122 offset:768
	ds_read_b128 v[127:130], v122 offset:784
	s_waitcnt vmcnt(28) lgkmcnt(1)
	v_fma_f64 v[123:124], v[139:140], v[123:124], v[133:134]
	s_clause 0x7
	buffer_load_dword v134, off, s[0:3], 0 offset:412
	buffer_load_dword v135, off, s[0:3], 0 offset:432
	buffer_load_dword v137, off, s[0:3], 0 offset:424
	buffer_load_dword v139, off, s[0:3], 0 offset:416
	buffer_load_dword v133, off, s[0:3], 0 offset:408
	buffer_load_dword v140, off, s[0:3], 0 offset:420
	buffer_load_dword v138, off, s[0:3], 0 offset:428
	buffer_load_dword v136, off, s[0:3], 0 offset:436
	s_waitcnt vmcnt(34)
	v_fma_f64 v[123:124], v[141:142], v[125:126], v[123:124]
	s_waitcnt vmcnt(32) lgkmcnt(0)
	v_fma_f64 v[123:124], v[143:144], v[127:128], v[123:124]
	s_waitcnt vmcnt(27)
	v_fma_f64 v[141:142], v[145:146], v[129:130], v[123:124]
	ds_read_b128 v[123:126], v122 offset:800
	ds_read_b128 v[127:130], v122 offset:816
	;; [unrolled: 19-line block ×3, first 2 shown]
	s_waitcnt vmcnt(26) lgkmcnt(1)
	v_fma_f64 v[123:124], v[159:160], v[123:124], v[147:148]
	s_clause 0x3
	buffer_load_dword v148, off, s[0:3], 0 offset:476
	buffer_load_dword v147, off, s[0:3], 0 offset:472
	;; [unrolled: 1-line block ×4, first 2 shown]
	s_waitcnt vmcnt(29)
	v_fma_f64 v[123:124], v[157:158], v[125:126], v[123:124]
	s_waitcnt vmcnt(28) lgkmcnt(0)
	v_fma_f64 v[123:124], v[155:156], v[127:128], v[123:124]
	s_waitcnt vmcnt(23)
	v_fma_f64 v[131:132], v[131:132], v[129:130], v[123:124]
	ds_read_b128 v[123:126], v122 offset:864
	ds_read_b128 v[127:130], v122 offset:880
	s_waitcnt vmcnt(22) lgkmcnt(1)
	v_fma_f64 v[123:124], v[165:166], v[123:124], v[131:132]
	s_waitcnt vmcnt(21)
	v_fma_f64 v[123:124], v[163:164], v[125:126], v[123:124]
	s_waitcnt vmcnt(20) lgkmcnt(0)
	v_fma_f64 v[123:124], v[161:162], v[127:128], v[123:124]
	s_waitcnt vmcnt(15)
	v_fma_f64 v[131:132], v[133:134], v[129:130], v[123:124]
	ds_read_b128 v[123:126], v122 offset:896
	ds_read_b128 v[127:130], v122 offset:912
	s_waitcnt vmcnt(14) lgkmcnt(1)
	v_fma_f64 v[123:124], v[139:140], v[123:124], v[131:132]
	;; [unrolled: 10-line block ×3, first 2 shown]
	s_waitcnt vmcnt(5)
	v_fma_f64 v[122:123], v[145:146], v[125:126], v[122:123]
	s_waitcnt vmcnt(4) lgkmcnt(0)
	v_fma_f64 v[122:123], v[143:144], v[127:128], v[122:123]
	s_waitcnt vmcnt(2)
	v_fma_f64 v[122:123], v[147:148], v[129:130], v[122:123]
	s_waitcnt vmcnt(0)
	v_add_f64 v[122:123], v[149:150], -v[122:123]
	buffer_store_dword v123, off, s[0:3], 0 offset:252
	buffer_store_dword v122, off, s[0:3], 0 offset:248
	v_cmpx_lt_u32_e32 30, v0
	s_cbranch_execz .LBB59_309
; %bb.308:
	s_clause 0x1
	buffer_load_dword v122, off, s[0:3], 0 offset:240
	buffer_load_dword v123, off, s[0:3], 0 offset:244
	v_mov_b32_e32 v124, 0
	buffer_store_dword v124, off, s[0:3], 0 offset:240
	buffer_store_dword v124, off, s[0:3], 0 offset:244
	s_waitcnt vmcnt(0)
	ds_write_b64 v121, v[122:123]
.LBB59_309:
	s_or_b32 exec_lo, exec_lo, s4
	s_waitcnt lgkmcnt(0)
	s_waitcnt_vscnt null, 0x0
	s_barrier
	buffer_gl0_inv
	s_clause 0x1c
	buffer_load_dword v131, off, s[0:3], 0 offset:248
	buffer_load_dword v132, off, s[0:3], 0 offset:252
	;; [unrolled: 1-line block ×29, first 2 shown]
	v_mov_b32_e32 v122, 0
	buffer_load_dword v156, off, s[0:3], 0 offset:364
	s_mov_b32 s4, exec_lo
	ds_read2_b64 v[123:126], v122 offset0:91 offset1:92
	ds_read2_b64 v[127:130], v122 offset0:93 offset1:94
	s_waitcnt vmcnt(28) lgkmcnt(1)
	v_fma_f64 v[123:124], v[131:132], v[123:124], 0
	s_clause 0x7
	buffer_load_dword v132, off, s[0:3], 0 offset:372
	buffer_load_dword v161, off, s[0:3], 0 offset:392
	buffer_load_dword v163, off, s[0:3], 0 offset:384
	buffer_load_dword v165, off, s[0:3], 0 offset:376
	buffer_load_dword v131, off, s[0:3], 0 offset:368
	buffer_load_dword v166, off, s[0:3], 0 offset:380
	buffer_load_dword v164, off, s[0:3], 0 offset:388
	buffer_load_dword v162, off, s[0:3], 0 offset:396
	s_waitcnt vmcnt(34)
	v_fma_f64 v[123:124], v[133:134], v[125:126], v[123:124]
	s_waitcnt vmcnt(32) lgkmcnt(0)
	v_fma_f64 v[123:124], v[135:136], v[127:128], v[123:124]
	s_waitcnt vmcnt(30)
	v_fma_f64 v[133:134], v[137:138], v[129:130], v[123:124]
	ds_read2_b64 v[123:126], v122 offset0:95 offset1:96
	ds_read2_b64 v[127:130], v122 offset0:97 offset1:98
	s_waitcnt vmcnt(28) lgkmcnt(1)
	v_fma_f64 v[123:124], v[139:140], v[123:124], v[133:134]
	s_clause 0x7
	buffer_load_dword v134, off, s[0:3], 0 offset:404
	buffer_load_dword v135, off, s[0:3], 0 offset:424
	buffer_load_dword v137, off, s[0:3], 0 offset:416
	buffer_load_dword v139, off, s[0:3], 0 offset:408
	buffer_load_dword v133, off, s[0:3], 0 offset:400
	buffer_load_dword v140, off, s[0:3], 0 offset:412
	buffer_load_dword v138, off, s[0:3], 0 offset:420
	buffer_load_dword v136, off, s[0:3], 0 offset:428
	s_waitcnt vmcnt(34)
	v_fma_f64 v[123:124], v[141:142], v[125:126], v[123:124]
	s_waitcnt vmcnt(32) lgkmcnt(0)
	v_fma_f64 v[123:124], v[143:144], v[127:128], v[123:124]
	s_waitcnt vmcnt(27)
	v_fma_f64 v[141:142], v[145:146], v[129:130], v[123:124]
	;; [unrolled: 19-line block ×3, first 2 shown]
	ds_read2_b64 v[123:126], v122 offset0:103 offset1:104
	ds_read2_b64 v[127:130], v122 offset0:105 offset1:106
	s_waitcnt vmcnt(26) lgkmcnt(1)
	v_fma_f64 v[123:124], v[159:160], v[123:124], v[147:148]
	s_clause 0x5
	buffer_load_dword v148, off, s[0:3], 0 offset:468
	buffer_load_dword v149, off, s[0:3], 0 offset:472
	;; [unrolled: 1-line block ×6, first 2 shown]
	s_waitcnt vmcnt(31)
	v_fma_f64 v[123:124], v[157:158], v[125:126], v[123:124]
	s_waitcnt vmcnt(30) lgkmcnt(0)
	v_fma_f64 v[123:124], v[155:156], v[127:128], v[123:124]
	s_waitcnt vmcnt(25)
	v_fma_f64 v[131:132], v[131:132], v[129:130], v[123:124]
	ds_read2_b64 v[123:126], v122 offset0:107 offset1:108
	ds_read2_b64 v[127:130], v122 offset0:109 offset1:110
	s_waitcnt vmcnt(24) lgkmcnt(1)
	v_fma_f64 v[123:124], v[165:166], v[123:124], v[131:132]
	s_waitcnt vmcnt(23)
	v_fma_f64 v[123:124], v[163:164], v[125:126], v[123:124]
	s_waitcnt vmcnt(22) lgkmcnt(0)
	v_fma_f64 v[123:124], v[161:162], v[127:128], v[123:124]
	s_waitcnt vmcnt(17)
	v_fma_f64 v[131:132], v[133:134], v[129:130], v[123:124]
	ds_read2_b64 v[123:126], v122 offset0:111 offset1:112
	ds_read2_b64 v[127:130], v122 offset0:113 offset1:114
	s_waitcnt vmcnt(16) lgkmcnt(1)
	v_fma_f64 v[123:124], v[139:140], v[123:124], v[131:132]
	;; [unrolled: 10-line block ×3, first 2 shown]
	s_waitcnt vmcnt(7)
	v_fma_f64 v[123:124], v[145:146], v[125:126], v[123:124]
	ds_read_b64 v[125:126], v122 offset:952
	s_waitcnt vmcnt(6) lgkmcnt(1)
	v_fma_f64 v[123:124], v[143:144], v[127:128], v[123:124]
	s_waitcnt vmcnt(3)
	v_fma_f64 v[123:124], v[147:148], v[129:130], v[123:124]
	s_waitcnt vmcnt(2) lgkmcnt(0)
	v_fma_f64 v[123:124], v[149:150], v[125:126], v[123:124]
	s_waitcnt vmcnt(0)
	v_add_f64 v[123:124], v[153:154], -v[123:124]
	buffer_store_dword v124, off, s[0:3], 0 offset:244
	buffer_store_dword v123, off, s[0:3], 0 offset:240
	v_cmpx_lt_u32_e32 29, v0
	s_cbranch_execz .LBB59_311
; %bb.310:
	s_clause 0x1
	buffer_load_dword v123, off, s[0:3], 0 offset:232
	buffer_load_dword v124, off, s[0:3], 0 offset:236
	buffer_store_dword v122, off, s[0:3], 0 offset:232
	buffer_store_dword v122, off, s[0:3], 0 offset:236
	s_waitcnt vmcnt(0)
	ds_write_b64 v121, v[123:124]
.LBB59_311:
	s_or_b32 exec_lo, exec_lo, s4
	s_waitcnt lgkmcnt(0)
	s_waitcnt_vscnt null, 0x0
	s_barrier
	buffer_gl0_inv
	s_clause 0x1c
	buffer_load_dword v131, off, s[0:3], 0 offset:240
	buffer_load_dword v132, off, s[0:3], 0 offset:244
	;; [unrolled: 1-line block ×29, first 2 shown]
	ds_read_b128 v[123:126], v122 offset:720
	ds_read_b128 v[127:130], v122 offset:736
	buffer_load_dword v156, off, s[0:3], 0 offset:356
	s_mov_b32 s4, exec_lo
	s_waitcnt vmcnt(28) lgkmcnt(1)
	v_fma_f64 v[123:124], v[131:132], v[123:124], 0
	s_clause 0x7
	buffer_load_dword v132, off, s[0:3], 0 offset:364
	buffer_load_dword v161, off, s[0:3], 0 offset:384
	buffer_load_dword v163, off, s[0:3], 0 offset:376
	buffer_load_dword v165, off, s[0:3], 0 offset:368
	buffer_load_dword v131, off, s[0:3], 0 offset:360
	buffer_load_dword v166, off, s[0:3], 0 offset:372
	buffer_load_dword v164, off, s[0:3], 0 offset:380
	buffer_load_dword v162, off, s[0:3], 0 offset:388
	s_waitcnt vmcnt(34)
	v_fma_f64 v[123:124], v[133:134], v[125:126], v[123:124]
	s_waitcnt vmcnt(32) lgkmcnt(0)
	v_fma_f64 v[123:124], v[135:136], v[127:128], v[123:124]
	s_waitcnt vmcnt(30)
	v_fma_f64 v[133:134], v[137:138], v[129:130], v[123:124]
	ds_read_b128 v[123:126], v122 offset:752
	ds_read_b128 v[127:130], v122 offset:768
	s_waitcnt vmcnt(28) lgkmcnt(1)
	v_fma_f64 v[123:124], v[139:140], v[123:124], v[133:134]
	s_clause 0x7
	buffer_load_dword v134, off, s[0:3], 0 offset:396
	buffer_load_dword v135, off, s[0:3], 0 offset:416
	buffer_load_dword v137, off, s[0:3], 0 offset:408
	buffer_load_dword v139, off, s[0:3], 0 offset:400
	buffer_load_dword v133, off, s[0:3], 0 offset:392
	buffer_load_dword v140, off, s[0:3], 0 offset:404
	buffer_load_dword v138, off, s[0:3], 0 offset:412
	buffer_load_dword v136, off, s[0:3], 0 offset:420
	s_waitcnt vmcnt(34)
	v_fma_f64 v[123:124], v[141:142], v[125:126], v[123:124]
	s_waitcnt vmcnt(32) lgkmcnt(0)
	v_fma_f64 v[123:124], v[143:144], v[127:128], v[123:124]
	s_waitcnt vmcnt(27)
	v_fma_f64 v[141:142], v[145:146], v[129:130], v[123:124]
	ds_read_b128 v[123:126], v122 offset:784
	ds_read_b128 v[127:130], v122 offset:800
	;; [unrolled: 19-line block ×3, first 2 shown]
	s_waitcnt vmcnt(26) lgkmcnt(1)
	v_fma_f64 v[123:124], v[159:160], v[123:124], v[147:148]
	s_clause 0x5
	buffer_load_dword v148, off, s[0:3], 0 offset:460
	buffer_load_dword v149, off, s[0:3], 0 offset:472
	;; [unrolled: 1-line block ×6, first 2 shown]
	s_waitcnt vmcnt(31)
	v_fma_f64 v[123:124], v[157:158], v[125:126], v[123:124]
	s_waitcnt vmcnt(30) lgkmcnt(0)
	v_fma_f64 v[123:124], v[155:156], v[127:128], v[123:124]
	s_waitcnt vmcnt(25)
	v_fma_f64 v[131:132], v[131:132], v[129:130], v[123:124]
	ds_read_b128 v[123:126], v122 offset:848
	s_clause 0x1
	buffer_load_dword v155, off, s[0:3], 0 offset:232
	buffer_load_dword v156, off, s[0:3], 0 offset:236
	ds_read_b128 v[127:130], v122 offset:864
	s_waitcnt vmcnt(26) lgkmcnt(1)
	v_fma_f64 v[123:124], v[165:166], v[123:124], v[131:132]
	s_waitcnt vmcnt(25)
	v_fma_f64 v[123:124], v[163:164], v[125:126], v[123:124]
	s_waitcnt vmcnt(24) lgkmcnt(0)
	v_fma_f64 v[123:124], v[161:162], v[127:128], v[123:124]
	s_waitcnt vmcnt(19)
	v_fma_f64 v[131:132], v[133:134], v[129:130], v[123:124]
	ds_read_b128 v[123:126], v122 offset:880
	ds_read_b128 v[127:130], v122 offset:896
	s_waitcnt vmcnt(18) lgkmcnt(1)
	v_fma_f64 v[123:124], v[139:140], v[123:124], v[131:132]
	s_waitcnt vmcnt(17)
	v_fma_f64 v[123:124], v[137:138], v[125:126], v[123:124]
	s_waitcnt vmcnt(16) lgkmcnt(0)
	v_fma_f64 v[123:124], v[135:136], v[127:128], v[123:124]
	s_waitcnt vmcnt(11)
	v_fma_f64 v[131:132], v[141:142], v[129:130], v[123:124]
	ds_read_b128 v[123:126], v122 offset:912
	;; [unrolled: 10-line block ×3, first 2 shown]
	s_waitcnt vmcnt(3) lgkmcnt(0)
	v_fma_f64 v[122:123], v[153:154], v[122:123], v[126:127]
	s_waitcnt vmcnt(2)
	v_fma_f64 v[122:123], v[149:150], v[124:125], v[122:123]
	s_waitcnt vmcnt(0)
	v_add_f64 v[122:123], v[155:156], -v[122:123]
	buffer_store_dword v123, off, s[0:3], 0 offset:236
	buffer_store_dword v122, off, s[0:3], 0 offset:232
	v_cmpx_lt_u32_e32 28, v0
	s_cbranch_execz .LBB59_313
; %bb.312:
	s_clause 0x1
	buffer_load_dword v122, off, s[0:3], 0 offset:224
	buffer_load_dword v123, off, s[0:3], 0 offset:228
	v_mov_b32_e32 v124, 0
	buffer_store_dword v124, off, s[0:3], 0 offset:224
	buffer_store_dword v124, off, s[0:3], 0 offset:228
	s_waitcnt vmcnt(0)
	ds_write_b64 v121, v[122:123]
.LBB59_313:
	s_or_b32 exec_lo, exec_lo, s4
	s_waitcnt lgkmcnt(0)
	s_waitcnt_vscnt null, 0x0
	s_barrier
	buffer_gl0_inv
	s_clause 0x1c
	buffer_load_dword v131, off, s[0:3], 0 offset:232
	buffer_load_dword v132, off, s[0:3], 0 offset:236
	;; [unrolled: 1-line block ×29, first 2 shown]
	v_mov_b32_e32 v122, 0
	buffer_load_dword v156, off, s[0:3], 0 offset:348
	s_mov_b32 s4, exec_lo
	ds_read2_b64 v[123:126], v122 offset0:89 offset1:90
	ds_read2_b64 v[127:130], v122 offset0:91 offset1:92
	s_waitcnt vmcnt(28) lgkmcnt(1)
	v_fma_f64 v[123:124], v[131:132], v[123:124], 0
	s_clause 0x7
	buffer_load_dword v132, off, s[0:3], 0 offset:356
	buffer_load_dword v161, off, s[0:3], 0 offset:376
	buffer_load_dword v163, off, s[0:3], 0 offset:368
	buffer_load_dword v165, off, s[0:3], 0 offset:360
	buffer_load_dword v131, off, s[0:3], 0 offset:352
	buffer_load_dword v166, off, s[0:3], 0 offset:364
	buffer_load_dword v164, off, s[0:3], 0 offset:372
	buffer_load_dword v162, off, s[0:3], 0 offset:380
	s_waitcnt vmcnt(34)
	v_fma_f64 v[123:124], v[133:134], v[125:126], v[123:124]
	s_waitcnt vmcnt(32) lgkmcnt(0)
	v_fma_f64 v[123:124], v[135:136], v[127:128], v[123:124]
	s_waitcnt vmcnt(30)
	v_fma_f64 v[133:134], v[137:138], v[129:130], v[123:124]
	ds_read2_b64 v[123:126], v122 offset0:93 offset1:94
	ds_read2_b64 v[127:130], v122 offset0:95 offset1:96
	s_waitcnt vmcnt(28) lgkmcnt(1)
	v_fma_f64 v[123:124], v[139:140], v[123:124], v[133:134]
	s_clause 0x7
	buffer_load_dword v134, off, s[0:3], 0 offset:388
	buffer_load_dword v135, off, s[0:3], 0 offset:408
	buffer_load_dword v137, off, s[0:3], 0 offset:400
	buffer_load_dword v139, off, s[0:3], 0 offset:392
	buffer_load_dword v133, off, s[0:3], 0 offset:384
	buffer_load_dword v140, off, s[0:3], 0 offset:396
	buffer_load_dword v138, off, s[0:3], 0 offset:404
	buffer_load_dword v136, off, s[0:3], 0 offset:412
	s_waitcnt vmcnt(34)
	v_fma_f64 v[123:124], v[141:142], v[125:126], v[123:124]
	s_waitcnt vmcnt(32) lgkmcnt(0)
	v_fma_f64 v[123:124], v[143:144], v[127:128], v[123:124]
	s_waitcnt vmcnt(27)
	v_fma_f64 v[141:142], v[145:146], v[129:130], v[123:124]
	;; [unrolled: 19-line block ×4, first 2 shown]
	ds_read2_b64 v[123:126], v122 offset0:105 offset1:106
	ds_read2_b64 v[127:130], v122 offset0:107 offset1:108
	s_waitcnt vmcnt(26) lgkmcnt(1)
	v_fma_f64 v[123:124], v[165:166], v[123:124], v[131:132]
	s_clause 0x1
	buffer_load_dword v131, off, s[0:3], 0 offset:224
	buffer_load_dword v132, off, s[0:3], 0 offset:228
	s_waitcnt vmcnt(27)
	v_fma_f64 v[123:124], v[163:164], v[125:126], v[123:124]
	s_waitcnt vmcnt(26) lgkmcnt(0)
	v_fma_f64 v[123:124], v[161:162], v[127:128], v[123:124]
	s_waitcnt vmcnt(21)
	v_fma_f64 v[133:134], v[133:134], v[129:130], v[123:124]
	ds_read2_b64 v[123:126], v122 offset0:109 offset1:110
	ds_read2_b64 v[127:130], v122 offset0:111 offset1:112
	s_waitcnt vmcnt(20) lgkmcnt(1)
	v_fma_f64 v[123:124], v[139:140], v[123:124], v[133:134]
	s_waitcnt vmcnt(19)
	v_fma_f64 v[123:124], v[137:138], v[125:126], v[123:124]
	s_waitcnt vmcnt(18) lgkmcnt(0)
	v_fma_f64 v[123:124], v[135:136], v[127:128], v[123:124]
	s_waitcnt vmcnt(13)
	v_fma_f64 v[133:134], v[141:142], v[129:130], v[123:124]
	ds_read2_b64 v[123:126], v122 offset0:113 offset1:114
	ds_read2_b64 v[127:130], v122 offset0:115 offset1:116
	s_waitcnt vmcnt(12) lgkmcnt(1)
	v_fma_f64 v[123:124], v[151:152], v[123:124], v[133:134]
	s_waitcnt vmcnt(11)
	v_fma_f64 v[123:124], v[145:146], v[125:126], v[123:124]
	s_waitcnt vmcnt(10) lgkmcnt(0)
	v_fma_f64 v[123:124], v[143:144], v[127:128], v[123:124]
	s_waitcnt vmcnt(5)
	v_fma_f64 v[127:128], v[147:148], v[129:130], v[123:124]
	ds_read2_b64 v[123:126], v122 offset0:117 offset1:118
	ds_read_b64 v[129:130], v122 offset:952
	s_waitcnt vmcnt(4) lgkmcnt(1)
	v_fma_f64 v[123:124], v[159:160], v[123:124], v[127:128]
	s_waitcnt vmcnt(3)
	v_fma_f64 v[123:124], v[153:154], v[125:126], v[123:124]
	s_waitcnt vmcnt(2) lgkmcnt(0)
	v_fma_f64 v[123:124], v[149:150], v[129:130], v[123:124]
	s_waitcnt vmcnt(0)
	v_add_f64 v[123:124], v[131:132], -v[123:124]
	buffer_store_dword v124, off, s[0:3], 0 offset:228
	buffer_store_dword v123, off, s[0:3], 0 offset:224
	v_cmpx_lt_u32_e32 27, v0
	s_cbranch_execz .LBB59_315
; %bb.314:
	s_clause 0x1
	buffer_load_dword v123, off, s[0:3], 0 offset:216
	buffer_load_dword v124, off, s[0:3], 0 offset:220
	buffer_store_dword v122, off, s[0:3], 0 offset:216
	buffer_store_dword v122, off, s[0:3], 0 offset:220
	s_waitcnt vmcnt(0)
	ds_write_b64 v121, v[123:124]
.LBB59_315:
	s_or_b32 exec_lo, exec_lo, s4
	s_waitcnt lgkmcnt(0)
	s_waitcnt_vscnt null, 0x0
	s_barrier
	buffer_gl0_inv
	s_clause 0x1c
	buffer_load_dword v131, off, s[0:3], 0 offset:224
	buffer_load_dword v132, off, s[0:3], 0 offset:228
	;; [unrolled: 1-line block ×29, first 2 shown]
	ds_read_b128 v[123:126], v122 offset:704
	ds_read_b128 v[127:130], v122 offset:720
	buffer_load_dword v156, off, s[0:3], 0 offset:340
	s_mov_b32 s4, exec_lo
	s_waitcnt vmcnt(28) lgkmcnt(1)
	v_fma_f64 v[123:124], v[131:132], v[123:124], 0
	s_clause 0x7
	buffer_load_dword v132, off, s[0:3], 0 offset:348
	buffer_load_dword v161, off, s[0:3], 0 offset:368
	buffer_load_dword v163, off, s[0:3], 0 offset:360
	buffer_load_dword v165, off, s[0:3], 0 offset:352
	buffer_load_dword v131, off, s[0:3], 0 offset:344
	buffer_load_dword v166, off, s[0:3], 0 offset:356
	buffer_load_dword v164, off, s[0:3], 0 offset:364
	buffer_load_dword v162, off, s[0:3], 0 offset:372
	s_waitcnt vmcnt(34)
	v_fma_f64 v[123:124], v[133:134], v[125:126], v[123:124]
	s_waitcnt vmcnt(32) lgkmcnt(0)
	v_fma_f64 v[123:124], v[135:136], v[127:128], v[123:124]
	s_waitcnt vmcnt(30)
	v_fma_f64 v[133:134], v[137:138], v[129:130], v[123:124]
	ds_read_b128 v[123:126], v122 offset:736
	ds_read_b128 v[127:130], v122 offset:752
	s_waitcnt vmcnt(28) lgkmcnt(1)
	v_fma_f64 v[123:124], v[139:140], v[123:124], v[133:134]
	s_clause 0x7
	buffer_load_dword v134, off, s[0:3], 0 offset:380
	buffer_load_dword v135, off, s[0:3], 0 offset:400
	buffer_load_dword v137, off, s[0:3], 0 offset:392
	buffer_load_dword v139, off, s[0:3], 0 offset:384
	buffer_load_dword v133, off, s[0:3], 0 offset:376
	buffer_load_dword v140, off, s[0:3], 0 offset:388
	buffer_load_dword v138, off, s[0:3], 0 offset:396
	buffer_load_dword v136, off, s[0:3], 0 offset:404
	s_waitcnt vmcnt(34)
	v_fma_f64 v[123:124], v[141:142], v[125:126], v[123:124]
	s_waitcnt vmcnt(32) lgkmcnt(0)
	v_fma_f64 v[123:124], v[143:144], v[127:128], v[123:124]
	s_waitcnt vmcnt(27)
	v_fma_f64 v[141:142], v[145:146], v[129:130], v[123:124]
	ds_read_b128 v[123:126], v122 offset:768
	ds_read_b128 v[127:130], v122 offset:784
	;; [unrolled: 19-line block ×4, first 2 shown]
	s_waitcnt vmcnt(26) lgkmcnt(1)
	v_fma_f64 v[123:124], v[165:166], v[123:124], v[131:132]
	s_clause 0x3
	buffer_load_dword v132, off, s[0:3], 0 offset:476
	buffer_load_dword v131, off, s[0:3], 0 offset:472
	;; [unrolled: 1-line block ×4, first 2 shown]
	s_waitcnt vmcnt(29)
	v_fma_f64 v[123:124], v[163:164], v[125:126], v[123:124]
	s_waitcnt vmcnt(28) lgkmcnt(0)
	v_fma_f64 v[123:124], v[161:162], v[127:128], v[123:124]
	s_waitcnt vmcnt(23)
	v_fma_f64 v[133:134], v[133:134], v[129:130], v[123:124]
	ds_read_b128 v[123:126], v122 offset:864
	ds_read_b128 v[127:130], v122 offset:880
	s_waitcnt vmcnt(22) lgkmcnt(1)
	v_fma_f64 v[123:124], v[139:140], v[123:124], v[133:134]
	s_waitcnt vmcnt(21)
	v_fma_f64 v[123:124], v[137:138], v[125:126], v[123:124]
	s_waitcnt vmcnt(20) lgkmcnt(0)
	v_fma_f64 v[123:124], v[135:136], v[127:128], v[123:124]
	s_waitcnt vmcnt(15)
	v_fma_f64 v[133:134], v[141:142], v[129:130], v[123:124]
	ds_read_b128 v[123:126], v122 offset:896
	ds_read_b128 v[127:130], v122 offset:912
	s_waitcnt vmcnt(14) lgkmcnt(1)
	v_fma_f64 v[123:124], v[151:152], v[123:124], v[133:134]
	;; [unrolled: 10-line block ×3, first 2 shown]
	s_waitcnt vmcnt(5)
	v_fma_f64 v[122:123], v[153:154], v[125:126], v[122:123]
	s_waitcnt vmcnt(4) lgkmcnt(0)
	v_fma_f64 v[122:123], v[149:150], v[127:128], v[122:123]
	s_waitcnt vmcnt(2)
	v_fma_f64 v[122:123], v[131:132], v[129:130], v[122:123]
	s_waitcnt vmcnt(0)
	v_add_f64 v[122:123], v[155:156], -v[122:123]
	buffer_store_dword v123, off, s[0:3], 0 offset:220
	buffer_store_dword v122, off, s[0:3], 0 offset:216
	v_cmpx_lt_u32_e32 26, v0
	s_cbranch_execz .LBB59_317
; %bb.316:
	s_clause 0x1
	buffer_load_dword v122, off, s[0:3], 0 offset:208
	buffer_load_dword v123, off, s[0:3], 0 offset:212
	v_mov_b32_e32 v124, 0
	buffer_store_dword v124, off, s[0:3], 0 offset:208
	buffer_store_dword v124, off, s[0:3], 0 offset:212
	s_waitcnt vmcnt(0)
	ds_write_b64 v121, v[122:123]
.LBB59_317:
	s_or_b32 exec_lo, exec_lo, s4
	s_waitcnt lgkmcnt(0)
	s_waitcnt_vscnt null, 0x0
	s_barrier
	buffer_gl0_inv
	s_clause 0x1c
	buffer_load_dword v131, off, s[0:3], 0 offset:216
	buffer_load_dword v132, off, s[0:3], 0 offset:220
	;; [unrolled: 1-line block ×29, first 2 shown]
	v_mov_b32_e32 v122, 0
	buffer_load_dword v156, off, s[0:3], 0 offset:332
	s_mov_b32 s4, exec_lo
	ds_read2_b64 v[123:126], v122 offset0:87 offset1:88
	ds_read2_b64 v[127:130], v122 offset0:89 offset1:90
	s_waitcnt vmcnt(28) lgkmcnt(1)
	v_fma_f64 v[123:124], v[131:132], v[123:124], 0
	s_clause 0x7
	buffer_load_dword v132, off, s[0:3], 0 offset:340
	buffer_load_dword v161, off, s[0:3], 0 offset:360
	buffer_load_dword v163, off, s[0:3], 0 offset:352
	buffer_load_dword v165, off, s[0:3], 0 offset:344
	buffer_load_dword v131, off, s[0:3], 0 offset:336
	buffer_load_dword v166, off, s[0:3], 0 offset:348
	buffer_load_dword v164, off, s[0:3], 0 offset:356
	buffer_load_dword v162, off, s[0:3], 0 offset:364
	s_waitcnt vmcnt(34)
	v_fma_f64 v[123:124], v[133:134], v[125:126], v[123:124]
	s_waitcnt vmcnt(32) lgkmcnt(0)
	v_fma_f64 v[123:124], v[135:136], v[127:128], v[123:124]
	s_waitcnt vmcnt(30)
	v_fma_f64 v[133:134], v[137:138], v[129:130], v[123:124]
	ds_read2_b64 v[123:126], v122 offset0:91 offset1:92
	ds_read2_b64 v[127:130], v122 offset0:93 offset1:94
	s_waitcnt vmcnt(28) lgkmcnt(1)
	v_fma_f64 v[123:124], v[139:140], v[123:124], v[133:134]
	s_clause 0x7
	buffer_load_dword v134, off, s[0:3], 0 offset:372
	buffer_load_dword v135, off, s[0:3], 0 offset:392
	buffer_load_dword v137, off, s[0:3], 0 offset:384
	buffer_load_dword v139, off, s[0:3], 0 offset:376
	buffer_load_dword v133, off, s[0:3], 0 offset:368
	buffer_load_dword v140, off, s[0:3], 0 offset:380
	buffer_load_dword v138, off, s[0:3], 0 offset:388
	buffer_load_dword v136, off, s[0:3], 0 offset:396
	s_waitcnt vmcnt(34)
	v_fma_f64 v[123:124], v[141:142], v[125:126], v[123:124]
	s_waitcnt vmcnt(32) lgkmcnt(0)
	v_fma_f64 v[123:124], v[143:144], v[127:128], v[123:124]
	s_waitcnt vmcnt(27)
	v_fma_f64 v[141:142], v[145:146], v[129:130], v[123:124]
	ds_read2_b64 v[123:126], v122 offset0:95 offset1:96
	ds_read2_b64 v[127:130], v122 offset0:97 offset1:98
	s_waitcnt vmcnt(26) lgkmcnt(1)
	v_fma_f64 v[123:124], v[151:152], v[123:124], v[141:142]
	s_clause 0x7
	buffer_load_dword v142, off, s[0:3], 0 offset:404
	buffer_load_dword v143, off, s[0:3], 0 offset:424
	buffer_load_dword v145, off, s[0:3], 0 offset:416
	buffer_load_dword v151, off, s[0:3], 0 offset:408
	buffer_load_dword v141, off, s[0:3], 0 offset:400
	buffer_load_dword v152, off, s[0:3], 0 offset:412
	buffer_load_dword v146, off, s[0:3], 0 offset:420
	buffer_load_dword v144, off, s[0:3], 0 offset:428
	s_waitcnt vmcnt(33)
	v_fma_f64 v[123:124], v[149:150], v[125:126], v[123:124]
	s_waitcnt vmcnt(32) lgkmcnt(0)
	v_fma_f64 v[123:124], v[147:148], v[127:128], v[123:124]
	s_waitcnt vmcnt(27)
	v_fma_f64 v[147:148], v[153:154], v[129:130], v[123:124]
	ds_read2_b64 v[123:126], v122 offset0:99 offset1:100
	ds_read2_b64 v[127:130], v122 offset0:101 offset1:102
	s_waitcnt vmcnt(26) lgkmcnt(1)
	v_fma_f64 v[123:124], v[159:160], v[123:124], v[147:148]
	s_clause 0x7
	buffer_load_dword v148, off, s[0:3], 0 offset:436
	buffer_load_dword v149, off, s[0:3], 0 offset:456
	buffer_load_dword v153, off, s[0:3], 0 offset:448
	buffer_load_dword v159, off, s[0:3], 0 offset:440
	buffer_load_dword v147, off, s[0:3], 0 offset:432
	buffer_load_dword v160, off, s[0:3], 0 offset:444
	buffer_load_dword v154, off, s[0:3], 0 offset:452
	buffer_load_dword v150, off, s[0:3], 0 offset:460
	s_waitcnt vmcnt(33)
	v_fma_f64 v[123:124], v[157:158], v[125:126], v[123:124]
	s_waitcnt vmcnt(32) lgkmcnt(0)
	v_fma_f64 v[123:124], v[155:156], v[127:128], v[123:124]
	s_waitcnt vmcnt(27)
	v_fma_f64 v[131:132], v[131:132], v[129:130], v[123:124]
	ds_read2_b64 v[123:126], v122 offset0:103 offset1:104
	ds_read2_b64 v[127:130], v122 offset0:105 offset1:106
	s_waitcnt vmcnt(26) lgkmcnt(1)
	v_fma_f64 v[123:124], v[165:166], v[123:124], v[131:132]
	s_clause 0x5
	buffer_load_dword v132, off, s[0:3], 0 offset:468
	buffer_load_dword v155, off, s[0:3], 0 offset:472
	;; [unrolled: 1-line block ×6, first 2 shown]
	s_waitcnt vmcnt(31)
	v_fma_f64 v[123:124], v[163:164], v[125:126], v[123:124]
	s_waitcnt vmcnt(30) lgkmcnt(0)
	v_fma_f64 v[123:124], v[161:162], v[127:128], v[123:124]
	s_waitcnt vmcnt(25)
	v_fma_f64 v[133:134], v[133:134], v[129:130], v[123:124]
	ds_read2_b64 v[123:126], v122 offset0:107 offset1:108
	ds_read2_b64 v[127:130], v122 offset0:109 offset1:110
	s_waitcnt vmcnt(24) lgkmcnt(1)
	v_fma_f64 v[123:124], v[139:140], v[123:124], v[133:134]
	s_waitcnt vmcnt(23)
	v_fma_f64 v[123:124], v[137:138], v[125:126], v[123:124]
	s_waitcnt vmcnt(22) lgkmcnt(0)
	v_fma_f64 v[123:124], v[135:136], v[127:128], v[123:124]
	s_waitcnt vmcnt(17)
	v_fma_f64 v[133:134], v[141:142], v[129:130], v[123:124]
	ds_read2_b64 v[123:126], v122 offset0:111 offset1:112
	ds_read2_b64 v[127:130], v122 offset0:113 offset1:114
	s_waitcnt vmcnt(16) lgkmcnt(1)
	v_fma_f64 v[123:124], v[151:152], v[123:124], v[133:134]
	s_waitcnt vmcnt(15)
	v_fma_f64 v[123:124], v[145:146], v[125:126], v[123:124]
	s_waitcnt vmcnt(14) lgkmcnt(0)
	v_fma_f64 v[123:124], v[143:144], v[127:128], v[123:124]
	s_waitcnt vmcnt(9)
	v_fma_f64 v[133:134], v[147:148], v[129:130], v[123:124]
	ds_read2_b64 v[123:126], v122 offset0:115 offset1:116
	ds_read2_b64 v[127:130], v122 offset0:117 offset1:118
	s_waitcnt vmcnt(8) lgkmcnt(1)
	v_fma_f64 v[123:124], v[159:160], v[123:124], v[133:134]
	s_waitcnt vmcnt(7)
	v_fma_f64 v[123:124], v[153:154], v[125:126], v[123:124]
	ds_read_b64 v[125:126], v122 offset:952
	s_waitcnt vmcnt(6) lgkmcnt(1)
	v_fma_f64 v[123:124], v[149:150], v[127:128], v[123:124]
	s_waitcnt vmcnt(3)
	v_fma_f64 v[123:124], v[131:132], v[129:130], v[123:124]
	s_waitcnt vmcnt(2) lgkmcnt(0)
	v_fma_f64 v[123:124], v[155:156], v[125:126], v[123:124]
	s_waitcnt vmcnt(0)
	v_add_f64 v[123:124], v[157:158], -v[123:124]
	buffer_store_dword v124, off, s[0:3], 0 offset:212
	buffer_store_dword v123, off, s[0:3], 0 offset:208
	v_cmpx_lt_u32_e32 25, v0
	s_cbranch_execz .LBB59_319
; %bb.318:
	s_clause 0x1
	buffer_load_dword v123, off, s[0:3], 0 offset:200
	buffer_load_dword v124, off, s[0:3], 0 offset:204
	buffer_store_dword v122, off, s[0:3], 0 offset:200
	buffer_store_dword v122, off, s[0:3], 0 offset:204
	s_waitcnt vmcnt(0)
	ds_write_b64 v121, v[123:124]
.LBB59_319:
	s_or_b32 exec_lo, exec_lo, s4
	s_waitcnt lgkmcnt(0)
	s_waitcnt_vscnt null, 0x0
	s_barrier
	buffer_gl0_inv
	s_clause 0x1c
	buffer_load_dword v131, off, s[0:3], 0 offset:208
	buffer_load_dword v132, off, s[0:3], 0 offset:212
	;; [unrolled: 1-line block ×29, first 2 shown]
	ds_read_b128 v[123:126], v122 offset:688
	ds_read_b128 v[127:130], v122 offset:704
	buffer_load_dword v156, off, s[0:3], 0 offset:324
	s_mov_b32 s4, exec_lo
	s_waitcnt vmcnt(28) lgkmcnt(1)
	v_fma_f64 v[123:124], v[131:132], v[123:124], 0
	s_clause 0x7
	buffer_load_dword v132, off, s[0:3], 0 offset:332
	buffer_load_dword v161, off, s[0:3], 0 offset:352
	buffer_load_dword v163, off, s[0:3], 0 offset:344
	buffer_load_dword v165, off, s[0:3], 0 offset:336
	buffer_load_dword v131, off, s[0:3], 0 offset:328
	buffer_load_dword v166, off, s[0:3], 0 offset:340
	buffer_load_dword v164, off, s[0:3], 0 offset:348
	buffer_load_dword v162, off, s[0:3], 0 offset:356
	s_waitcnt vmcnt(34)
	v_fma_f64 v[123:124], v[133:134], v[125:126], v[123:124]
	s_waitcnt vmcnt(32) lgkmcnt(0)
	v_fma_f64 v[123:124], v[135:136], v[127:128], v[123:124]
	s_waitcnt vmcnt(30)
	v_fma_f64 v[133:134], v[137:138], v[129:130], v[123:124]
	ds_read_b128 v[123:126], v122 offset:720
	ds_read_b128 v[127:130], v122 offset:736
	s_waitcnt vmcnt(28) lgkmcnt(1)
	v_fma_f64 v[123:124], v[139:140], v[123:124], v[133:134]
	s_clause 0x7
	buffer_load_dword v134, off, s[0:3], 0 offset:364
	buffer_load_dword v135, off, s[0:3], 0 offset:384
	buffer_load_dword v137, off, s[0:3], 0 offset:376
	buffer_load_dword v139, off, s[0:3], 0 offset:368
	buffer_load_dword v133, off, s[0:3], 0 offset:360
	buffer_load_dword v140, off, s[0:3], 0 offset:372
	buffer_load_dword v138, off, s[0:3], 0 offset:380
	buffer_load_dword v136, off, s[0:3], 0 offset:388
	s_waitcnt vmcnt(34)
	v_fma_f64 v[123:124], v[141:142], v[125:126], v[123:124]
	s_waitcnt vmcnt(32) lgkmcnt(0)
	v_fma_f64 v[123:124], v[143:144], v[127:128], v[123:124]
	s_waitcnt vmcnt(27)
	v_fma_f64 v[141:142], v[145:146], v[129:130], v[123:124]
	ds_read_b128 v[123:126], v122 offset:752
	ds_read_b128 v[127:130], v122 offset:768
	;; [unrolled: 19-line block ×4, first 2 shown]
	s_waitcnt vmcnt(26) lgkmcnt(1)
	v_fma_f64 v[123:124], v[165:166], v[123:124], v[131:132]
	s_clause 0x5
	buffer_load_dword v132, off, s[0:3], 0 offset:460
	buffer_load_dword v155, off, s[0:3], 0 offset:472
	;; [unrolled: 1-line block ×6, first 2 shown]
	s_waitcnt vmcnt(31)
	v_fma_f64 v[123:124], v[163:164], v[125:126], v[123:124]
	s_waitcnt vmcnt(30) lgkmcnt(0)
	v_fma_f64 v[123:124], v[161:162], v[127:128], v[123:124]
	s_waitcnt vmcnt(25)
	v_fma_f64 v[133:134], v[133:134], v[129:130], v[123:124]
	ds_read_b128 v[123:126], v122 offset:848
	s_clause 0x1
	buffer_load_dword v161, off, s[0:3], 0 offset:200
	buffer_load_dword v162, off, s[0:3], 0 offset:204
	ds_read_b128 v[127:130], v122 offset:864
	s_waitcnt vmcnt(26) lgkmcnt(1)
	v_fma_f64 v[123:124], v[139:140], v[123:124], v[133:134]
	s_waitcnt vmcnt(25)
	v_fma_f64 v[123:124], v[137:138], v[125:126], v[123:124]
	s_waitcnt vmcnt(24) lgkmcnt(0)
	v_fma_f64 v[123:124], v[135:136], v[127:128], v[123:124]
	s_waitcnt vmcnt(19)
	v_fma_f64 v[133:134], v[141:142], v[129:130], v[123:124]
	ds_read_b128 v[123:126], v122 offset:880
	ds_read_b128 v[127:130], v122 offset:896
	s_waitcnt vmcnt(18) lgkmcnt(1)
	v_fma_f64 v[123:124], v[151:152], v[123:124], v[133:134]
	s_waitcnt vmcnt(17)
	v_fma_f64 v[123:124], v[145:146], v[125:126], v[123:124]
	s_waitcnt vmcnt(16) lgkmcnt(0)
	v_fma_f64 v[123:124], v[143:144], v[127:128], v[123:124]
	s_waitcnt vmcnt(11)
	v_fma_f64 v[133:134], v[147:148], v[129:130], v[123:124]
	ds_read_b128 v[123:126], v122 offset:912
	;; [unrolled: 10-line block ×3, first 2 shown]
	s_waitcnt vmcnt(3) lgkmcnt(0)
	v_fma_f64 v[122:123], v[157:158], v[122:123], v[126:127]
	s_waitcnt vmcnt(2)
	v_fma_f64 v[122:123], v[155:156], v[124:125], v[122:123]
	s_waitcnt vmcnt(0)
	v_add_f64 v[122:123], v[161:162], -v[122:123]
	buffer_store_dword v123, off, s[0:3], 0 offset:204
	buffer_store_dword v122, off, s[0:3], 0 offset:200
	v_cmpx_lt_u32_e32 24, v0
	s_cbranch_execz .LBB59_321
; %bb.320:
	s_clause 0x1
	buffer_load_dword v122, off, s[0:3], 0 offset:192
	buffer_load_dword v123, off, s[0:3], 0 offset:196
	v_mov_b32_e32 v124, 0
	buffer_store_dword v124, off, s[0:3], 0 offset:192
	buffer_store_dword v124, off, s[0:3], 0 offset:196
	s_waitcnt vmcnt(0)
	ds_write_b64 v121, v[122:123]
.LBB59_321:
	s_or_b32 exec_lo, exec_lo, s4
	s_waitcnt lgkmcnt(0)
	s_waitcnt_vscnt null, 0x0
	s_barrier
	buffer_gl0_inv
	s_clause 0x1c
	buffer_load_dword v131, off, s[0:3], 0 offset:200
	buffer_load_dword v132, off, s[0:3], 0 offset:204
	;; [unrolled: 1-line block ×29, first 2 shown]
	v_mov_b32_e32 v122, 0
	buffer_load_dword v156, off, s[0:3], 0 offset:316
	s_mov_b32 s4, exec_lo
	ds_read2_b64 v[123:126], v122 offset0:85 offset1:86
	ds_read2_b64 v[127:130], v122 offset0:87 offset1:88
	s_waitcnt vmcnt(28) lgkmcnt(1)
	v_fma_f64 v[123:124], v[131:132], v[123:124], 0
	s_clause 0x7
	buffer_load_dword v132, off, s[0:3], 0 offset:324
	buffer_load_dword v161, off, s[0:3], 0 offset:344
	buffer_load_dword v163, off, s[0:3], 0 offset:336
	buffer_load_dword v165, off, s[0:3], 0 offset:328
	buffer_load_dword v131, off, s[0:3], 0 offset:320
	buffer_load_dword v166, off, s[0:3], 0 offset:332
	buffer_load_dword v164, off, s[0:3], 0 offset:340
	buffer_load_dword v162, off, s[0:3], 0 offset:348
	s_waitcnt vmcnt(34)
	v_fma_f64 v[123:124], v[133:134], v[125:126], v[123:124]
	s_waitcnt vmcnt(32) lgkmcnt(0)
	v_fma_f64 v[123:124], v[135:136], v[127:128], v[123:124]
	s_waitcnt vmcnt(30)
	v_fma_f64 v[133:134], v[137:138], v[129:130], v[123:124]
	ds_read2_b64 v[123:126], v122 offset0:89 offset1:90
	ds_read2_b64 v[127:130], v122 offset0:91 offset1:92
	s_waitcnt vmcnt(28) lgkmcnt(1)
	v_fma_f64 v[123:124], v[139:140], v[123:124], v[133:134]
	s_clause 0x7
	buffer_load_dword v134, off, s[0:3], 0 offset:356
	buffer_load_dword v135, off, s[0:3], 0 offset:376
	buffer_load_dword v137, off, s[0:3], 0 offset:368
	buffer_load_dword v139, off, s[0:3], 0 offset:360
	buffer_load_dword v133, off, s[0:3], 0 offset:352
	buffer_load_dword v140, off, s[0:3], 0 offset:364
	buffer_load_dword v138, off, s[0:3], 0 offset:372
	buffer_load_dword v136, off, s[0:3], 0 offset:380
	s_waitcnt vmcnt(34)
	v_fma_f64 v[123:124], v[141:142], v[125:126], v[123:124]
	s_waitcnt vmcnt(32) lgkmcnt(0)
	v_fma_f64 v[123:124], v[143:144], v[127:128], v[123:124]
	s_waitcnt vmcnt(27)
	v_fma_f64 v[141:142], v[145:146], v[129:130], v[123:124]
	;; [unrolled: 19-line block ×5, first 2 shown]
	ds_read2_b64 v[123:126], v122 offset0:105 offset1:106
	ds_read2_b64 v[127:130], v122 offset0:107 offset1:108
	s_waitcnt vmcnt(26) lgkmcnt(1)
	v_fma_f64 v[123:124], v[139:140], v[123:124], v[133:134]
	s_clause 0x1
	buffer_load_dword v133, off, s[0:3], 0 offset:192
	buffer_load_dword v134, off, s[0:3], 0 offset:196
	s_waitcnt vmcnt(27)
	v_fma_f64 v[123:124], v[137:138], v[125:126], v[123:124]
	s_waitcnt vmcnt(26) lgkmcnt(0)
	v_fma_f64 v[123:124], v[135:136], v[127:128], v[123:124]
	s_waitcnt vmcnt(21)
	v_fma_f64 v[135:136], v[141:142], v[129:130], v[123:124]
	ds_read2_b64 v[123:126], v122 offset0:109 offset1:110
	ds_read2_b64 v[127:130], v122 offset0:111 offset1:112
	s_waitcnt vmcnt(20) lgkmcnt(1)
	v_fma_f64 v[123:124], v[151:152], v[123:124], v[135:136]
	s_waitcnt vmcnt(19)
	v_fma_f64 v[123:124], v[145:146], v[125:126], v[123:124]
	s_waitcnt vmcnt(18) lgkmcnt(0)
	v_fma_f64 v[123:124], v[143:144], v[127:128], v[123:124]
	s_waitcnt vmcnt(13)
	v_fma_f64 v[135:136], v[147:148], v[129:130], v[123:124]
	ds_read2_b64 v[123:126], v122 offset0:113 offset1:114
	ds_read2_b64 v[127:130], v122 offset0:115 offset1:116
	s_waitcnt vmcnt(12) lgkmcnt(1)
	v_fma_f64 v[123:124], v[159:160], v[123:124], v[135:136]
	s_waitcnt vmcnt(11)
	v_fma_f64 v[123:124], v[153:154], v[125:126], v[123:124]
	s_waitcnt vmcnt(10) lgkmcnt(0)
	v_fma_f64 v[123:124], v[149:150], v[127:128], v[123:124]
	s_waitcnt vmcnt(5)
	v_fma_f64 v[127:128], v[131:132], v[129:130], v[123:124]
	ds_read2_b64 v[123:126], v122 offset0:117 offset1:118
	ds_read_b64 v[129:130], v122 offset:952
	s_waitcnt vmcnt(4) lgkmcnt(1)
	v_fma_f64 v[123:124], v[165:166], v[123:124], v[127:128]
	s_waitcnt vmcnt(3)
	v_fma_f64 v[123:124], v[157:158], v[125:126], v[123:124]
	s_waitcnt vmcnt(2) lgkmcnt(0)
	v_fma_f64 v[123:124], v[155:156], v[129:130], v[123:124]
	s_waitcnt vmcnt(0)
	v_add_f64 v[123:124], v[133:134], -v[123:124]
	buffer_store_dword v124, off, s[0:3], 0 offset:196
	buffer_store_dword v123, off, s[0:3], 0 offset:192
	v_cmpx_lt_u32_e32 23, v0
	s_cbranch_execz .LBB59_323
; %bb.322:
	s_clause 0x1
	buffer_load_dword v123, off, s[0:3], 0 offset:184
	buffer_load_dword v124, off, s[0:3], 0 offset:188
	buffer_store_dword v122, off, s[0:3], 0 offset:184
	buffer_store_dword v122, off, s[0:3], 0 offset:188
	s_waitcnt vmcnt(0)
	ds_write_b64 v121, v[123:124]
.LBB59_323:
	s_or_b32 exec_lo, exec_lo, s4
	s_waitcnt lgkmcnt(0)
	s_waitcnt_vscnt null, 0x0
	s_barrier
	buffer_gl0_inv
	s_clause 0x1c
	buffer_load_dword v131, off, s[0:3], 0 offset:192
	buffer_load_dword v132, off, s[0:3], 0 offset:196
	;; [unrolled: 1-line block ×29, first 2 shown]
	ds_read_b128 v[123:126], v122 offset:672
	ds_read_b128 v[127:130], v122 offset:688
	buffer_load_dword v156, off, s[0:3], 0 offset:308
	s_mov_b32 s4, exec_lo
	s_waitcnt vmcnt(28) lgkmcnt(1)
	v_fma_f64 v[123:124], v[131:132], v[123:124], 0
	s_clause 0x7
	buffer_load_dword v132, off, s[0:3], 0 offset:316
	buffer_load_dword v161, off, s[0:3], 0 offset:336
	buffer_load_dword v163, off, s[0:3], 0 offset:328
	buffer_load_dword v165, off, s[0:3], 0 offset:320
	buffer_load_dword v131, off, s[0:3], 0 offset:312
	buffer_load_dword v166, off, s[0:3], 0 offset:324
	buffer_load_dword v164, off, s[0:3], 0 offset:332
	buffer_load_dword v162, off, s[0:3], 0 offset:340
	s_waitcnt vmcnt(34)
	v_fma_f64 v[123:124], v[133:134], v[125:126], v[123:124]
	s_waitcnt vmcnt(32) lgkmcnt(0)
	v_fma_f64 v[123:124], v[135:136], v[127:128], v[123:124]
	s_waitcnt vmcnt(30)
	v_fma_f64 v[133:134], v[137:138], v[129:130], v[123:124]
	ds_read_b128 v[123:126], v122 offset:704
	ds_read_b128 v[127:130], v122 offset:720
	s_waitcnt vmcnt(28) lgkmcnt(1)
	v_fma_f64 v[123:124], v[139:140], v[123:124], v[133:134]
	s_clause 0x7
	buffer_load_dword v134, off, s[0:3], 0 offset:348
	buffer_load_dword v135, off, s[0:3], 0 offset:368
	buffer_load_dword v137, off, s[0:3], 0 offset:360
	buffer_load_dword v139, off, s[0:3], 0 offset:352
	buffer_load_dword v133, off, s[0:3], 0 offset:344
	buffer_load_dword v140, off, s[0:3], 0 offset:356
	buffer_load_dword v138, off, s[0:3], 0 offset:364
	buffer_load_dword v136, off, s[0:3], 0 offset:372
	s_waitcnt vmcnt(34)
	v_fma_f64 v[123:124], v[141:142], v[125:126], v[123:124]
	s_waitcnt vmcnt(32) lgkmcnt(0)
	v_fma_f64 v[123:124], v[143:144], v[127:128], v[123:124]
	s_waitcnt vmcnt(27)
	v_fma_f64 v[141:142], v[145:146], v[129:130], v[123:124]
	ds_read_b128 v[123:126], v122 offset:736
	ds_read_b128 v[127:130], v122 offset:752
	;; [unrolled: 19-line block ×5, first 2 shown]
	s_waitcnt vmcnt(26) lgkmcnt(1)
	v_fma_f64 v[123:124], v[139:140], v[123:124], v[133:134]
	s_clause 0x1
	buffer_load_dword v134, off, s[0:3], 0 offset:476
	buffer_load_dword v133, off, s[0:3], 0 offset:472
	s_waitcnt vmcnt(27)
	v_fma_f64 v[123:124], v[137:138], v[125:126], v[123:124]
	s_clause 0x1
	buffer_load_dword v137, off, s[0:3], 0 offset:184
	buffer_load_dword v138, off, s[0:3], 0 offset:188
	s_waitcnt vmcnt(28) lgkmcnt(0)
	v_fma_f64 v[123:124], v[135:136], v[127:128], v[123:124]
	s_waitcnt vmcnt(23)
	v_fma_f64 v[135:136], v[141:142], v[129:130], v[123:124]
	ds_read_b128 v[123:126], v122 offset:864
	ds_read_b128 v[127:130], v122 offset:880
	s_waitcnt vmcnt(22) lgkmcnt(1)
	v_fma_f64 v[123:124], v[151:152], v[123:124], v[135:136]
	s_waitcnt vmcnt(21)
	v_fma_f64 v[123:124], v[145:146], v[125:126], v[123:124]
	s_waitcnt vmcnt(20) lgkmcnt(0)
	v_fma_f64 v[123:124], v[143:144], v[127:128], v[123:124]
	s_waitcnt vmcnt(15)
	v_fma_f64 v[135:136], v[147:148], v[129:130], v[123:124]
	ds_read_b128 v[123:126], v122 offset:896
	ds_read_b128 v[127:130], v122 offset:912
	s_waitcnt vmcnt(14) lgkmcnt(1)
	v_fma_f64 v[123:124], v[159:160], v[123:124], v[135:136]
	s_waitcnt vmcnt(13)
	v_fma_f64 v[123:124], v[153:154], v[125:126], v[123:124]
	;; [unrolled: 10-line block ×3, first 2 shown]
	s_waitcnt vmcnt(4) lgkmcnt(0)
	v_fma_f64 v[122:123], v[155:156], v[127:128], v[122:123]
	s_waitcnt vmcnt(2)
	v_fma_f64 v[122:123], v[133:134], v[129:130], v[122:123]
	s_waitcnt vmcnt(0)
	v_add_f64 v[122:123], v[137:138], -v[122:123]
	buffer_store_dword v123, off, s[0:3], 0 offset:188
	buffer_store_dword v122, off, s[0:3], 0 offset:184
	v_cmpx_lt_u32_e32 22, v0
	s_cbranch_execz .LBB59_325
; %bb.324:
	s_clause 0x1
	buffer_load_dword v122, off, s[0:3], 0 offset:176
	buffer_load_dword v123, off, s[0:3], 0 offset:180
	v_mov_b32_e32 v124, 0
	buffer_store_dword v124, off, s[0:3], 0 offset:176
	buffer_store_dword v124, off, s[0:3], 0 offset:180
	s_waitcnt vmcnt(0)
	ds_write_b64 v121, v[122:123]
.LBB59_325:
	s_or_b32 exec_lo, exec_lo, s4
	s_waitcnt lgkmcnt(0)
	s_waitcnt_vscnt null, 0x0
	s_barrier
	buffer_gl0_inv
	s_clause 0x1c
	buffer_load_dword v131, off, s[0:3], 0 offset:184
	buffer_load_dword v132, off, s[0:3], 0 offset:188
	;; [unrolled: 1-line block ×29, first 2 shown]
	v_mov_b32_e32 v122, 0
	buffer_load_dword v156, off, s[0:3], 0 offset:300
	s_mov_b32 s4, exec_lo
	ds_read2_b64 v[123:126], v122 offset0:83 offset1:84
	ds_read2_b64 v[127:130], v122 offset0:85 offset1:86
	s_waitcnt vmcnt(28) lgkmcnt(1)
	v_fma_f64 v[123:124], v[131:132], v[123:124], 0
	s_clause 0x7
	buffer_load_dword v132, off, s[0:3], 0 offset:308
	buffer_load_dword v161, off, s[0:3], 0 offset:328
	buffer_load_dword v163, off, s[0:3], 0 offset:320
	buffer_load_dword v165, off, s[0:3], 0 offset:312
	buffer_load_dword v131, off, s[0:3], 0 offset:304
	buffer_load_dword v166, off, s[0:3], 0 offset:316
	buffer_load_dword v164, off, s[0:3], 0 offset:324
	buffer_load_dword v162, off, s[0:3], 0 offset:332
	s_waitcnt vmcnt(34)
	v_fma_f64 v[123:124], v[133:134], v[125:126], v[123:124]
	s_waitcnt vmcnt(32) lgkmcnt(0)
	v_fma_f64 v[123:124], v[135:136], v[127:128], v[123:124]
	s_waitcnt vmcnt(30)
	v_fma_f64 v[133:134], v[137:138], v[129:130], v[123:124]
	ds_read2_b64 v[123:126], v122 offset0:87 offset1:88
	ds_read2_b64 v[127:130], v122 offset0:89 offset1:90
	s_waitcnt vmcnt(28) lgkmcnt(1)
	v_fma_f64 v[123:124], v[139:140], v[123:124], v[133:134]
	s_clause 0x7
	buffer_load_dword v134, off, s[0:3], 0 offset:340
	buffer_load_dword v135, off, s[0:3], 0 offset:360
	buffer_load_dword v137, off, s[0:3], 0 offset:352
	buffer_load_dword v139, off, s[0:3], 0 offset:344
	buffer_load_dword v133, off, s[0:3], 0 offset:336
	buffer_load_dword v140, off, s[0:3], 0 offset:348
	buffer_load_dword v138, off, s[0:3], 0 offset:356
	buffer_load_dword v136, off, s[0:3], 0 offset:364
	s_waitcnt vmcnt(34)
	v_fma_f64 v[123:124], v[141:142], v[125:126], v[123:124]
	s_waitcnt vmcnt(32) lgkmcnt(0)
	v_fma_f64 v[123:124], v[143:144], v[127:128], v[123:124]
	s_waitcnt vmcnt(27)
	v_fma_f64 v[141:142], v[145:146], v[129:130], v[123:124]
	;; [unrolled: 19-line block ×5, first 2 shown]
	ds_read2_b64 v[123:126], v122 offset0:103 offset1:104
	ds_read2_b64 v[127:130], v122 offset0:105 offset1:106
	s_waitcnt vmcnt(26) lgkmcnt(1)
	v_fma_f64 v[123:124], v[139:140], v[123:124], v[133:134]
	s_clause 0x3
	buffer_load_dword v134, off, s[0:3], 0 offset:468
	buffer_load_dword v139, off, s[0:3], 0 offset:472
	;; [unrolled: 1-line block ×4, first 2 shown]
	s_waitcnt vmcnt(29)
	v_fma_f64 v[123:124], v[137:138], v[125:126], v[123:124]
	s_waitcnt vmcnt(28) lgkmcnt(0)
	v_fma_f64 v[123:124], v[135:136], v[127:128], v[123:124]
	s_clause 0x1
	buffer_load_dword v135, off, s[0:3], 0 offset:176
	buffer_load_dword v136, off, s[0:3], 0 offset:180
	s_waitcnt vmcnt(25)
	v_fma_f64 v[137:138], v[141:142], v[129:130], v[123:124]
	ds_read2_b64 v[123:126], v122 offset0:107 offset1:108
	ds_read2_b64 v[127:130], v122 offset0:109 offset1:110
	s_waitcnt vmcnt(24) lgkmcnt(1)
	v_fma_f64 v[123:124], v[151:152], v[123:124], v[137:138]
	s_waitcnt vmcnt(23)
	v_fma_f64 v[123:124], v[145:146], v[125:126], v[123:124]
	s_waitcnt vmcnt(22) lgkmcnt(0)
	v_fma_f64 v[123:124], v[143:144], v[127:128], v[123:124]
	s_waitcnt vmcnt(17)
	v_fma_f64 v[137:138], v[147:148], v[129:130], v[123:124]
	ds_read2_b64 v[123:126], v122 offset0:111 offset1:112
	ds_read2_b64 v[127:130], v122 offset0:113 offset1:114
	s_waitcnt vmcnt(16) lgkmcnt(1)
	v_fma_f64 v[123:124], v[159:160], v[123:124], v[137:138]
	s_waitcnt vmcnt(15)
	v_fma_f64 v[123:124], v[153:154], v[125:126], v[123:124]
	s_waitcnt vmcnt(14) lgkmcnt(0)
	v_fma_f64 v[123:124], v[149:150], v[127:128], v[123:124]
	s_waitcnt vmcnt(9)
	v_fma_f64 v[131:132], v[131:132], v[129:130], v[123:124]
	ds_read2_b64 v[123:126], v122 offset0:115 offset1:116
	ds_read2_b64 v[127:130], v122 offset0:117 offset1:118
	s_waitcnt vmcnt(8) lgkmcnt(1)
	v_fma_f64 v[123:124], v[165:166], v[123:124], v[131:132]
	s_waitcnt vmcnt(7)
	v_fma_f64 v[123:124], v[157:158], v[125:126], v[123:124]
	ds_read_b64 v[125:126], v122 offset:952
	s_waitcnt vmcnt(6) lgkmcnt(1)
	v_fma_f64 v[123:124], v[155:156], v[127:128], v[123:124]
	s_waitcnt vmcnt(3)
	v_fma_f64 v[123:124], v[133:134], v[129:130], v[123:124]
	s_waitcnt vmcnt(2) lgkmcnt(0)
	v_fma_f64 v[123:124], v[139:140], v[125:126], v[123:124]
	s_waitcnt vmcnt(0)
	v_add_f64 v[123:124], v[135:136], -v[123:124]
	buffer_store_dword v124, off, s[0:3], 0 offset:180
	buffer_store_dword v123, off, s[0:3], 0 offset:176
	v_cmpx_lt_u32_e32 21, v0
	s_cbranch_execz .LBB59_327
; %bb.326:
	s_clause 0x1
	buffer_load_dword v123, off, s[0:3], 0 offset:168
	buffer_load_dword v124, off, s[0:3], 0 offset:172
	buffer_store_dword v122, off, s[0:3], 0 offset:168
	buffer_store_dword v122, off, s[0:3], 0 offset:172
	s_waitcnt vmcnt(0)
	ds_write_b64 v121, v[123:124]
.LBB59_327:
	s_or_b32 exec_lo, exec_lo, s4
	s_waitcnt lgkmcnt(0)
	s_waitcnt_vscnt null, 0x0
	s_barrier
	buffer_gl0_inv
	s_clause 0x1c
	buffer_load_dword v131, off, s[0:3], 0 offset:176
	buffer_load_dword v132, off, s[0:3], 0 offset:180
	;; [unrolled: 1-line block ×29, first 2 shown]
	ds_read_b128 v[123:126], v122 offset:656
	ds_read_b128 v[127:130], v122 offset:672
	buffer_load_dword v156, off, s[0:3], 0 offset:292
	s_mov_b32 s4, exec_lo
	s_waitcnt vmcnt(28) lgkmcnt(1)
	v_fma_f64 v[123:124], v[131:132], v[123:124], 0
	s_clause 0x7
	buffer_load_dword v132, off, s[0:3], 0 offset:300
	buffer_load_dword v161, off, s[0:3], 0 offset:320
	buffer_load_dword v163, off, s[0:3], 0 offset:312
	buffer_load_dword v165, off, s[0:3], 0 offset:304
	buffer_load_dword v131, off, s[0:3], 0 offset:296
	buffer_load_dword v166, off, s[0:3], 0 offset:308
	buffer_load_dword v164, off, s[0:3], 0 offset:316
	buffer_load_dword v162, off, s[0:3], 0 offset:324
	s_waitcnt vmcnt(34)
	v_fma_f64 v[123:124], v[133:134], v[125:126], v[123:124]
	s_waitcnt vmcnt(32) lgkmcnt(0)
	v_fma_f64 v[123:124], v[135:136], v[127:128], v[123:124]
	s_waitcnt vmcnt(30)
	v_fma_f64 v[133:134], v[137:138], v[129:130], v[123:124]
	ds_read_b128 v[123:126], v122 offset:688
	ds_read_b128 v[127:130], v122 offset:704
	s_waitcnt vmcnt(28) lgkmcnt(1)
	v_fma_f64 v[123:124], v[139:140], v[123:124], v[133:134]
	s_clause 0x7
	buffer_load_dword v134, off, s[0:3], 0 offset:332
	buffer_load_dword v135, off, s[0:3], 0 offset:352
	buffer_load_dword v137, off, s[0:3], 0 offset:344
	buffer_load_dword v139, off, s[0:3], 0 offset:336
	buffer_load_dword v133, off, s[0:3], 0 offset:328
	buffer_load_dword v140, off, s[0:3], 0 offset:340
	buffer_load_dword v138, off, s[0:3], 0 offset:348
	buffer_load_dword v136, off, s[0:3], 0 offset:356
	s_waitcnt vmcnt(34)
	v_fma_f64 v[123:124], v[141:142], v[125:126], v[123:124]
	s_waitcnt vmcnt(32) lgkmcnt(0)
	v_fma_f64 v[123:124], v[143:144], v[127:128], v[123:124]
	s_waitcnt vmcnt(27)
	v_fma_f64 v[141:142], v[145:146], v[129:130], v[123:124]
	ds_read_b128 v[123:126], v122 offset:720
	ds_read_b128 v[127:130], v122 offset:736
	;; [unrolled: 19-line block ×5, first 2 shown]
	s_waitcnt vmcnt(26) lgkmcnt(1)
	v_fma_f64 v[123:124], v[139:140], v[123:124], v[133:134]
	s_clause 0x5
	buffer_load_dword v134, off, s[0:3], 0 offset:460
	buffer_load_dword v139, off, s[0:3], 0 offset:472
	;; [unrolled: 1-line block ×6, first 2 shown]
	s_waitcnt vmcnt(31)
	v_fma_f64 v[123:124], v[137:138], v[125:126], v[123:124]
	s_waitcnt vmcnt(30) lgkmcnt(0)
	v_fma_f64 v[123:124], v[135:136], v[127:128], v[123:124]
	s_waitcnt vmcnt(25)
	v_fma_f64 v[135:136], v[141:142], v[129:130], v[123:124]
	ds_read_b128 v[123:126], v122 offset:848
	s_clause 0x1
	buffer_load_dword v137, off, s[0:3], 0 offset:168
	buffer_load_dword v138, off, s[0:3], 0 offset:172
	ds_read_b128 v[127:130], v122 offset:864
	s_waitcnt vmcnt(26) lgkmcnt(1)
	v_fma_f64 v[123:124], v[151:152], v[123:124], v[135:136]
	s_waitcnt vmcnt(25)
	v_fma_f64 v[123:124], v[145:146], v[125:126], v[123:124]
	s_waitcnt vmcnt(24) lgkmcnt(0)
	v_fma_f64 v[123:124], v[143:144], v[127:128], v[123:124]
	s_waitcnt vmcnt(19)
	v_fma_f64 v[135:136], v[147:148], v[129:130], v[123:124]
	ds_read_b128 v[123:126], v122 offset:880
	ds_read_b128 v[127:130], v122 offset:896
	s_waitcnt vmcnt(18) lgkmcnt(1)
	v_fma_f64 v[123:124], v[159:160], v[123:124], v[135:136]
	s_waitcnt vmcnt(17)
	v_fma_f64 v[123:124], v[153:154], v[125:126], v[123:124]
	s_waitcnt vmcnt(16) lgkmcnt(0)
	v_fma_f64 v[123:124], v[149:150], v[127:128], v[123:124]
	s_waitcnt vmcnt(11)
	v_fma_f64 v[131:132], v[131:132], v[129:130], v[123:124]
	ds_read_b128 v[123:126], v122 offset:912
	;; [unrolled: 10-line block ×3, first 2 shown]
	s_waitcnt vmcnt(3) lgkmcnt(0)
	v_fma_f64 v[122:123], v[161:162], v[122:123], v[126:127]
	s_waitcnt vmcnt(2)
	v_fma_f64 v[122:123], v[139:140], v[124:125], v[122:123]
	s_waitcnt vmcnt(0)
	v_add_f64 v[122:123], v[137:138], -v[122:123]
	buffer_store_dword v123, off, s[0:3], 0 offset:172
	buffer_store_dword v122, off, s[0:3], 0 offset:168
	v_cmpx_lt_u32_e32 20, v0
	s_cbranch_execz .LBB59_329
; %bb.328:
	s_clause 0x1
	buffer_load_dword v122, off, s[0:3], 0 offset:160
	buffer_load_dword v123, off, s[0:3], 0 offset:164
	v_mov_b32_e32 v124, 0
	buffer_store_dword v124, off, s[0:3], 0 offset:160
	buffer_store_dword v124, off, s[0:3], 0 offset:164
	s_waitcnt vmcnt(0)
	ds_write_b64 v121, v[122:123]
.LBB59_329:
	s_or_b32 exec_lo, exec_lo, s4
	s_waitcnt lgkmcnt(0)
	s_waitcnt_vscnt null, 0x0
	s_barrier
	buffer_gl0_inv
	s_clause 0x1c
	buffer_load_dword v131, off, s[0:3], 0 offset:168
	buffer_load_dword v132, off, s[0:3], 0 offset:172
	;; [unrolled: 1-line block ×29, first 2 shown]
	v_mov_b32_e32 v122, 0
	buffer_load_dword v156, off, s[0:3], 0 offset:284
	s_mov_b32 s4, exec_lo
	ds_read2_b64 v[123:126], v122 offset0:81 offset1:82
	ds_read2_b64 v[127:130], v122 offset0:83 offset1:84
	s_waitcnt vmcnt(28) lgkmcnt(1)
	v_fma_f64 v[123:124], v[131:132], v[123:124], 0
	s_clause 0x7
	buffer_load_dword v132, off, s[0:3], 0 offset:292
	buffer_load_dword v161, off, s[0:3], 0 offset:312
	buffer_load_dword v163, off, s[0:3], 0 offset:304
	buffer_load_dword v165, off, s[0:3], 0 offset:296
	buffer_load_dword v131, off, s[0:3], 0 offset:288
	buffer_load_dword v166, off, s[0:3], 0 offset:300
	buffer_load_dword v164, off, s[0:3], 0 offset:308
	buffer_load_dword v162, off, s[0:3], 0 offset:316
	s_waitcnt vmcnt(34)
	v_fma_f64 v[123:124], v[133:134], v[125:126], v[123:124]
	s_waitcnt vmcnt(32) lgkmcnt(0)
	v_fma_f64 v[123:124], v[135:136], v[127:128], v[123:124]
	s_waitcnt vmcnt(30)
	v_fma_f64 v[133:134], v[137:138], v[129:130], v[123:124]
	ds_read2_b64 v[123:126], v122 offset0:85 offset1:86
	ds_read2_b64 v[127:130], v122 offset0:87 offset1:88
	s_waitcnt vmcnt(28) lgkmcnt(1)
	v_fma_f64 v[123:124], v[139:140], v[123:124], v[133:134]
	s_clause 0x7
	buffer_load_dword v134, off, s[0:3], 0 offset:324
	buffer_load_dword v135, off, s[0:3], 0 offset:344
	buffer_load_dword v137, off, s[0:3], 0 offset:336
	buffer_load_dword v139, off, s[0:3], 0 offset:328
	buffer_load_dword v133, off, s[0:3], 0 offset:320
	buffer_load_dword v140, off, s[0:3], 0 offset:332
	buffer_load_dword v138, off, s[0:3], 0 offset:340
	buffer_load_dword v136, off, s[0:3], 0 offset:348
	s_waitcnt vmcnt(34)
	v_fma_f64 v[123:124], v[141:142], v[125:126], v[123:124]
	s_waitcnt vmcnt(32) lgkmcnt(0)
	v_fma_f64 v[123:124], v[143:144], v[127:128], v[123:124]
	s_waitcnt vmcnt(27)
	v_fma_f64 v[141:142], v[145:146], v[129:130], v[123:124]
	ds_read2_b64 v[123:126], v122 offset0:89 offset1:90
	ds_read2_b64 v[127:130], v122 offset0:91 offset1:92
	s_waitcnt vmcnt(26) lgkmcnt(1)
	v_fma_f64 v[123:124], v[151:152], v[123:124], v[141:142]
	s_clause 0x7
	buffer_load_dword v142, off, s[0:3], 0 offset:356
	buffer_load_dword v143, off, s[0:3], 0 offset:376
	buffer_load_dword v145, off, s[0:3], 0 offset:368
	buffer_load_dword v151, off, s[0:3], 0 offset:360
	buffer_load_dword v141, off, s[0:3], 0 offset:352
	buffer_load_dword v152, off, s[0:3], 0 offset:364
	buffer_load_dword v146, off, s[0:3], 0 offset:372
	buffer_load_dword v144, off, s[0:3], 0 offset:380
	s_waitcnt vmcnt(33)
	v_fma_f64 v[123:124], v[149:150], v[125:126], v[123:124]
	s_waitcnt vmcnt(32) lgkmcnt(0)
	v_fma_f64 v[123:124], v[147:148], v[127:128], v[123:124]
	s_waitcnt vmcnt(27)
	v_fma_f64 v[147:148], v[153:154], v[129:130], v[123:124]
	ds_read2_b64 v[123:126], v122 offset0:93 offset1:94
	ds_read2_b64 v[127:130], v122 offset0:95 offset1:96
	s_waitcnt vmcnt(26) lgkmcnt(1)
	v_fma_f64 v[123:124], v[159:160], v[123:124], v[147:148]
	s_clause 0x7
	buffer_load_dword v148, off, s[0:3], 0 offset:388
	buffer_load_dword v149, off, s[0:3], 0 offset:408
	buffer_load_dword v153, off, s[0:3], 0 offset:400
	buffer_load_dword v159, off, s[0:3], 0 offset:392
	buffer_load_dword v147, off, s[0:3], 0 offset:384
	buffer_load_dword v160, off, s[0:3], 0 offset:396
	buffer_load_dword v154, off, s[0:3], 0 offset:404
	buffer_load_dword v150, off, s[0:3], 0 offset:412
	s_waitcnt vmcnt(33)
	v_fma_f64 v[123:124], v[157:158], v[125:126], v[123:124]
	s_waitcnt vmcnt(32) lgkmcnt(0)
	v_fma_f64 v[123:124], v[155:156], v[127:128], v[123:124]
	s_waitcnt vmcnt(27)
	v_fma_f64 v[131:132], v[131:132], v[129:130], v[123:124]
	ds_read2_b64 v[123:126], v122 offset0:97 offset1:98
	ds_read2_b64 v[127:130], v122 offset0:99 offset1:100
	s_waitcnt vmcnt(26) lgkmcnt(1)
	v_fma_f64 v[123:124], v[165:166], v[123:124], v[131:132]
	s_clause 0x7
	buffer_load_dword v132, off, s[0:3], 0 offset:420
	buffer_load_dword v155, off, s[0:3], 0 offset:440
	buffer_load_dword v157, off, s[0:3], 0 offset:432
	buffer_load_dword v165, off, s[0:3], 0 offset:424
	buffer_load_dword v131, off, s[0:3], 0 offset:416
	buffer_load_dword v166, off, s[0:3], 0 offset:428
	buffer_load_dword v158, off, s[0:3], 0 offset:436
	buffer_load_dword v156, off, s[0:3], 0 offset:444
	s_waitcnt vmcnt(33)
	v_fma_f64 v[123:124], v[163:164], v[125:126], v[123:124]
	s_waitcnt vmcnt(32) lgkmcnt(0)
	v_fma_f64 v[123:124], v[161:162], v[127:128], v[123:124]
	s_waitcnt vmcnt(27)
	v_fma_f64 v[133:134], v[133:134], v[129:130], v[123:124]
	ds_read2_b64 v[123:126], v122 offset0:101 offset1:102
	ds_read2_b64 v[127:130], v122 offset0:103 offset1:104
	s_waitcnt vmcnt(26) lgkmcnt(1)
	v_fma_f64 v[123:124], v[139:140], v[123:124], v[133:134]
	s_clause 0x7
	buffer_load_dword v134, off, s[0:3], 0 offset:452
	buffer_load_dword v139, off, s[0:3], 0 offset:472
	buffer_load_dword v161, off, s[0:3], 0 offset:464
	buffer_load_dword v163, off, s[0:3], 0 offset:456
	buffer_load_dword v133, off, s[0:3], 0 offset:448
	buffer_load_dword v164, off, s[0:3], 0 offset:460
	buffer_load_dword v162, off, s[0:3], 0 offset:468
	buffer_load_dword v140, off, s[0:3], 0 offset:476
	s_waitcnt vmcnt(33)
	v_fma_f64 v[123:124], v[137:138], v[125:126], v[123:124]
	s_waitcnt vmcnt(32) lgkmcnt(0)
	v_fma_f64 v[123:124], v[135:136], v[127:128], v[123:124]
	s_waitcnt vmcnt(27)
	v_fma_f64 v[135:136], v[141:142], v[129:130], v[123:124]
	ds_read2_b64 v[123:126], v122 offset0:105 offset1:106
	ds_read2_b64 v[127:130], v122 offset0:107 offset1:108
	s_waitcnt vmcnt(26) lgkmcnt(1)
	v_fma_f64 v[123:124], v[151:152], v[123:124], v[135:136]
	s_clause 0x1
	buffer_load_dword v135, off, s[0:3], 0 offset:160
	buffer_load_dword v136, off, s[0:3], 0 offset:164
	s_waitcnt vmcnt(27)
	v_fma_f64 v[123:124], v[145:146], v[125:126], v[123:124]
	s_waitcnt vmcnt(26) lgkmcnt(0)
	v_fma_f64 v[123:124], v[143:144], v[127:128], v[123:124]
	s_waitcnt vmcnt(21)
	v_fma_f64 v[137:138], v[147:148], v[129:130], v[123:124]
	ds_read2_b64 v[123:126], v122 offset0:109 offset1:110
	ds_read2_b64 v[127:130], v122 offset0:111 offset1:112
	s_waitcnt vmcnt(20) lgkmcnt(1)
	v_fma_f64 v[123:124], v[159:160], v[123:124], v[137:138]
	s_waitcnt vmcnt(19)
	v_fma_f64 v[123:124], v[153:154], v[125:126], v[123:124]
	s_waitcnt vmcnt(18) lgkmcnt(0)
	v_fma_f64 v[123:124], v[149:150], v[127:128], v[123:124]
	s_waitcnt vmcnt(13)
	v_fma_f64 v[131:132], v[131:132], v[129:130], v[123:124]
	ds_read2_b64 v[123:126], v122 offset0:113 offset1:114
	ds_read2_b64 v[127:130], v122 offset0:115 offset1:116
	s_waitcnt vmcnt(12) lgkmcnt(1)
	v_fma_f64 v[123:124], v[165:166], v[123:124], v[131:132]
	s_waitcnt vmcnt(11)
	v_fma_f64 v[123:124], v[157:158], v[125:126], v[123:124]
	s_waitcnt vmcnt(10) lgkmcnt(0)
	v_fma_f64 v[123:124], v[155:156], v[127:128], v[123:124]
	s_waitcnt vmcnt(5)
	v_fma_f64 v[127:128], v[133:134], v[129:130], v[123:124]
	ds_read2_b64 v[123:126], v122 offset0:117 offset1:118
	ds_read_b64 v[129:130], v122 offset:952
	s_waitcnt vmcnt(4) lgkmcnt(1)
	v_fma_f64 v[123:124], v[163:164], v[123:124], v[127:128]
	s_waitcnt vmcnt(3)
	v_fma_f64 v[123:124], v[161:162], v[125:126], v[123:124]
	s_waitcnt vmcnt(2) lgkmcnt(0)
	v_fma_f64 v[123:124], v[139:140], v[129:130], v[123:124]
	s_waitcnt vmcnt(0)
	v_add_f64 v[123:124], v[135:136], -v[123:124]
	buffer_store_dword v124, off, s[0:3], 0 offset:164
	buffer_store_dword v123, off, s[0:3], 0 offset:160
	v_cmpx_lt_u32_e32 19, v0
	s_cbranch_execz .LBB59_331
; %bb.330:
	s_clause 0x1
	buffer_load_dword v123, off, s[0:3], 0 offset:152
	buffer_load_dword v124, off, s[0:3], 0 offset:156
	buffer_store_dword v122, off, s[0:3], 0 offset:152
	buffer_store_dword v122, off, s[0:3], 0 offset:156
	s_waitcnt vmcnt(0)
	ds_write_b64 v121, v[123:124]
.LBB59_331:
	s_or_b32 exec_lo, exec_lo, s4
	s_waitcnt lgkmcnt(0)
	s_waitcnt_vscnt null, 0x0
	s_barrier
	buffer_gl0_inv
	s_clause 0x1c
	buffer_load_dword v131, off, s[0:3], 0 offset:160
	buffer_load_dword v132, off, s[0:3], 0 offset:164
	;; [unrolled: 1-line block ×29, first 2 shown]
	ds_read_b128 v[123:126], v122 offset:640
	ds_read_b128 v[127:130], v122 offset:656
	buffer_load_dword v156, off, s[0:3], 0 offset:276
	s_mov_b32 s4, exec_lo
	s_waitcnt vmcnt(28) lgkmcnt(1)
	v_fma_f64 v[123:124], v[131:132], v[123:124], 0
	s_clause 0x7
	buffer_load_dword v132, off, s[0:3], 0 offset:284
	buffer_load_dword v161, off, s[0:3], 0 offset:304
	buffer_load_dword v163, off, s[0:3], 0 offset:296
	buffer_load_dword v165, off, s[0:3], 0 offset:288
	buffer_load_dword v131, off, s[0:3], 0 offset:280
	buffer_load_dword v166, off, s[0:3], 0 offset:292
	buffer_load_dword v164, off, s[0:3], 0 offset:300
	buffer_load_dword v162, off, s[0:3], 0 offset:308
	s_waitcnt vmcnt(34)
	v_fma_f64 v[123:124], v[133:134], v[125:126], v[123:124]
	s_waitcnt vmcnt(32) lgkmcnt(0)
	v_fma_f64 v[123:124], v[135:136], v[127:128], v[123:124]
	s_waitcnt vmcnt(30)
	v_fma_f64 v[133:134], v[137:138], v[129:130], v[123:124]
	ds_read_b128 v[123:126], v122 offset:672
	ds_read_b128 v[127:130], v122 offset:688
	s_waitcnt vmcnt(28) lgkmcnt(1)
	v_fma_f64 v[123:124], v[139:140], v[123:124], v[133:134]
	s_clause 0x7
	buffer_load_dword v134, off, s[0:3], 0 offset:316
	buffer_load_dword v135, off, s[0:3], 0 offset:336
	buffer_load_dword v137, off, s[0:3], 0 offset:328
	buffer_load_dword v139, off, s[0:3], 0 offset:320
	buffer_load_dword v133, off, s[0:3], 0 offset:312
	buffer_load_dword v140, off, s[0:3], 0 offset:324
	buffer_load_dword v138, off, s[0:3], 0 offset:332
	buffer_load_dword v136, off, s[0:3], 0 offset:340
	s_waitcnt vmcnt(34)
	v_fma_f64 v[123:124], v[141:142], v[125:126], v[123:124]
	s_waitcnt vmcnt(32) lgkmcnt(0)
	v_fma_f64 v[123:124], v[143:144], v[127:128], v[123:124]
	s_waitcnt vmcnt(27)
	v_fma_f64 v[141:142], v[145:146], v[129:130], v[123:124]
	ds_read_b128 v[123:126], v122 offset:704
	ds_read_b128 v[127:130], v122 offset:720
	;; [unrolled: 19-line block ×6, first 2 shown]
	s_waitcnt vmcnt(26) lgkmcnt(1)
	v_fma_f64 v[123:124], v[151:152], v[123:124], v[135:136]
	s_clause 0x3
	buffer_load_dword v136, off, s[0:3], 0 offset:476
	buffer_load_dword v135, off, s[0:3], 0 offset:472
	;; [unrolled: 1-line block ×4, first 2 shown]
	s_waitcnt vmcnt(29)
	v_fma_f64 v[123:124], v[145:146], v[125:126], v[123:124]
	s_waitcnt vmcnt(28) lgkmcnt(0)
	v_fma_f64 v[123:124], v[143:144], v[127:128], v[123:124]
	s_waitcnt vmcnt(23)
	v_fma_f64 v[141:142], v[147:148], v[129:130], v[123:124]
	ds_read_b128 v[123:126], v122 offset:864
	ds_read_b128 v[127:130], v122 offset:880
	s_waitcnt vmcnt(22) lgkmcnt(1)
	v_fma_f64 v[123:124], v[159:160], v[123:124], v[141:142]
	s_waitcnt vmcnt(21)
	v_fma_f64 v[123:124], v[153:154], v[125:126], v[123:124]
	s_waitcnt vmcnt(20) lgkmcnt(0)
	v_fma_f64 v[123:124], v[149:150], v[127:128], v[123:124]
	s_waitcnt vmcnt(15)
	v_fma_f64 v[131:132], v[131:132], v[129:130], v[123:124]
	ds_read_b128 v[123:126], v122 offset:896
	ds_read_b128 v[127:130], v122 offset:912
	s_waitcnt vmcnt(14) lgkmcnt(1)
	v_fma_f64 v[123:124], v[165:166], v[123:124], v[131:132]
	;; [unrolled: 10-line block ×3, first 2 shown]
	s_waitcnt vmcnt(5)
	v_fma_f64 v[122:123], v[161:162], v[125:126], v[122:123]
	s_waitcnt vmcnt(4) lgkmcnt(0)
	v_fma_f64 v[122:123], v[139:140], v[127:128], v[122:123]
	s_waitcnt vmcnt(2)
	v_fma_f64 v[122:123], v[135:136], v[129:130], v[122:123]
	s_waitcnt vmcnt(0)
	v_add_f64 v[122:123], v[137:138], -v[122:123]
	buffer_store_dword v123, off, s[0:3], 0 offset:156
	buffer_store_dword v122, off, s[0:3], 0 offset:152
	v_cmpx_lt_u32_e32 18, v0
	s_cbranch_execz .LBB59_333
; %bb.332:
	s_clause 0x1
	buffer_load_dword v122, off, s[0:3], 0 offset:144
	buffer_load_dword v123, off, s[0:3], 0 offset:148
	v_mov_b32_e32 v124, 0
	buffer_store_dword v124, off, s[0:3], 0 offset:144
	buffer_store_dword v124, off, s[0:3], 0 offset:148
	s_waitcnt vmcnt(0)
	ds_write_b64 v121, v[122:123]
.LBB59_333:
	s_or_b32 exec_lo, exec_lo, s4
	s_waitcnt lgkmcnt(0)
	s_waitcnt_vscnt null, 0x0
	s_barrier
	buffer_gl0_inv
	s_clause 0x1c
	buffer_load_dword v131, off, s[0:3], 0 offset:152
	buffer_load_dword v132, off, s[0:3], 0 offset:156
	;; [unrolled: 1-line block ×29, first 2 shown]
	v_mov_b32_e32 v122, 0
	buffer_load_dword v156, off, s[0:3], 0 offset:268
	s_mov_b32 s4, exec_lo
	ds_read2_b64 v[123:126], v122 offset0:79 offset1:80
	ds_read2_b64 v[127:130], v122 offset0:81 offset1:82
	s_waitcnt vmcnt(28) lgkmcnt(1)
	v_fma_f64 v[123:124], v[131:132], v[123:124], 0
	s_clause 0x7
	buffer_load_dword v132, off, s[0:3], 0 offset:276
	buffer_load_dword v161, off, s[0:3], 0 offset:296
	buffer_load_dword v163, off, s[0:3], 0 offset:288
	buffer_load_dword v165, off, s[0:3], 0 offset:280
	buffer_load_dword v131, off, s[0:3], 0 offset:272
	buffer_load_dword v166, off, s[0:3], 0 offset:284
	buffer_load_dword v164, off, s[0:3], 0 offset:292
	buffer_load_dword v162, off, s[0:3], 0 offset:300
	s_waitcnt vmcnt(34)
	v_fma_f64 v[123:124], v[133:134], v[125:126], v[123:124]
	s_waitcnt vmcnt(32) lgkmcnt(0)
	v_fma_f64 v[123:124], v[135:136], v[127:128], v[123:124]
	s_waitcnt vmcnt(30)
	v_fma_f64 v[133:134], v[137:138], v[129:130], v[123:124]
	ds_read2_b64 v[123:126], v122 offset0:83 offset1:84
	ds_read2_b64 v[127:130], v122 offset0:85 offset1:86
	s_waitcnt vmcnt(28) lgkmcnt(1)
	v_fma_f64 v[123:124], v[139:140], v[123:124], v[133:134]
	s_clause 0x7
	buffer_load_dword v134, off, s[0:3], 0 offset:308
	buffer_load_dword v135, off, s[0:3], 0 offset:328
	buffer_load_dword v137, off, s[0:3], 0 offset:320
	buffer_load_dword v139, off, s[0:3], 0 offset:312
	buffer_load_dword v133, off, s[0:3], 0 offset:304
	buffer_load_dword v140, off, s[0:3], 0 offset:316
	buffer_load_dword v138, off, s[0:3], 0 offset:324
	buffer_load_dword v136, off, s[0:3], 0 offset:332
	s_waitcnt vmcnt(34)
	v_fma_f64 v[123:124], v[141:142], v[125:126], v[123:124]
	s_waitcnt vmcnt(32) lgkmcnt(0)
	v_fma_f64 v[123:124], v[143:144], v[127:128], v[123:124]
	s_waitcnt vmcnt(27)
	v_fma_f64 v[141:142], v[145:146], v[129:130], v[123:124]
	;; [unrolled: 19-line block ×6, first 2 shown]
	ds_read2_b64 v[123:126], v122 offset0:103 offset1:104
	ds_read2_b64 v[127:130], v122 offset0:105 offset1:106
	s_waitcnt vmcnt(26) lgkmcnt(1)
	v_fma_f64 v[123:124], v[151:152], v[123:124], v[135:136]
	s_clause 0x5
	buffer_load_dword v136, off, s[0:3], 0 offset:468
	buffer_load_dword v137, off, s[0:3], 0 offset:472
	buffer_load_dword v135, off, s[0:3], 0 offset:464
	buffer_load_dword v138, off, s[0:3], 0 offset:476
	buffer_load_dword v141, off, s[0:3], 0 offset:144
	buffer_load_dword v142, off, s[0:3], 0 offset:148
	s_waitcnt vmcnt(31)
	v_fma_f64 v[123:124], v[145:146], v[125:126], v[123:124]
	s_waitcnt vmcnt(30) lgkmcnt(0)
	v_fma_f64 v[123:124], v[143:144], v[127:128], v[123:124]
	s_waitcnt vmcnt(25)
	v_fma_f64 v[143:144], v[147:148], v[129:130], v[123:124]
	ds_read2_b64 v[123:126], v122 offset0:107 offset1:108
	ds_read2_b64 v[127:130], v122 offset0:109 offset1:110
	s_waitcnt vmcnt(24) lgkmcnt(1)
	v_fma_f64 v[123:124], v[159:160], v[123:124], v[143:144]
	s_waitcnt vmcnt(23)
	v_fma_f64 v[123:124], v[153:154], v[125:126], v[123:124]
	s_waitcnt vmcnt(22) lgkmcnt(0)
	v_fma_f64 v[123:124], v[149:150], v[127:128], v[123:124]
	s_waitcnt vmcnt(17)
	v_fma_f64 v[131:132], v[131:132], v[129:130], v[123:124]
	ds_read2_b64 v[123:126], v122 offset0:111 offset1:112
	ds_read2_b64 v[127:130], v122 offset0:113 offset1:114
	s_waitcnt vmcnt(16) lgkmcnt(1)
	v_fma_f64 v[123:124], v[165:166], v[123:124], v[131:132]
	;; [unrolled: 10-line block ×3, first 2 shown]
	s_waitcnt vmcnt(7)
	v_fma_f64 v[123:124], v[161:162], v[125:126], v[123:124]
	ds_read_b64 v[125:126], v122 offset:952
	s_waitcnt vmcnt(6) lgkmcnt(1)
	v_fma_f64 v[123:124], v[139:140], v[127:128], v[123:124]
	s_waitcnt vmcnt(3)
	v_fma_f64 v[123:124], v[135:136], v[129:130], v[123:124]
	s_waitcnt vmcnt(2) lgkmcnt(0)
	v_fma_f64 v[123:124], v[137:138], v[125:126], v[123:124]
	s_waitcnt vmcnt(0)
	v_add_f64 v[123:124], v[141:142], -v[123:124]
	buffer_store_dword v124, off, s[0:3], 0 offset:148
	buffer_store_dword v123, off, s[0:3], 0 offset:144
	v_cmpx_lt_u32_e32 17, v0
	s_cbranch_execz .LBB59_335
; %bb.334:
	s_clause 0x1
	buffer_load_dword v123, off, s[0:3], 0 offset:136
	buffer_load_dword v124, off, s[0:3], 0 offset:140
	buffer_store_dword v122, off, s[0:3], 0 offset:136
	buffer_store_dword v122, off, s[0:3], 0 offset:140
	s_waitcnt vmcnt(0)
	ds_write_b64 v121, v[123:124]
.LBB59_335:
	s_or_b32 exec_lo, exec_lo, s4
	s_waitcnt lgkmcnt(0)
	s_waitcnt_vscnt null, 0x0
	s_barrier
	buffer_gl0_inv
	s_clause 0x1c
	buffer_load_dword v131, off, s[0:3], 0 offset:144
	buffer_load_dword v132, off, s[0:3], 0 offset:148
	;; [unrolled: 1-line block ×29, first 2 shown]
	ds_read_b128 v[123:126], v122 offset:624
	ds_read_b128 v[127:130], v122 offset:640
	buffer_load_dword v156, off, s[0:3], 0 offset:260
	s_mov_b32 s4, exec_lo
	s_waitcnt vmcnt(28) lgkmcnt(1)
	v_fma_f64 v[123:124], v[131:132], v[123:124], 0
	s_clause 0x7
	buffer_load_dword v132, off, s[0:3], 0 offset:268
	buffer_load_dword v161, off, s[0:3], 0 offset:288
	buffer_load_dword v163, off, s[0:3], 0 offset:280
	buffer_load_dword v165, off, s[0:3], 0 offset:272
	buffer_load_dword v131, off, s[0:3], 0 offset:264
	buffer_load_dword v166, off, s[0:3], 0 offset:276
	buffer_load_dword v164, off, s[0:3], 0 offset:284
	buffer_load_dword v162, off, s[0:3], 0 offset:292
	s_waitcnt vmcnt(34)
	v_fma_f64 v[123:124], v[133:134], v[125:126], v[123:124]
	s_waitcnt vmcnt(32) lgkmcnt(0)
	v_fma_f64 v[123:124], v[135:136], v[127:128], v[123:124]
	s_waitcnt vmcnt(30)
	v_fma_f64 v[133:134], v[137:138], v[129:130], v[123:124]
	ds_read_b128 v[123:126], v122 offset:656
	ds_read_b128 v[127:130], v122 offset:672
	s_waitcnt vmcnt(28) lgkmcnt(1)
	v_fma_f64 v[123:124], v[139:140], v[123:124], v[133:134]
	s_clause 0x7
	buffer_load_dword v134, off, s[0:3], 0 offset:300
	buffer_load_dword v135, off, s[0:3], 0 offset:320
	buffer_load_dword v137, off, s[0:3], 0 offset:312
	buffer_load_dword v139, off, s[0:3], 0 offset:304
	buffer_load_dword v133, off, s[0:3], 0 offset:296
	buffer_load_dword v140, off, s[0:3], 0 offset:308
	buffer_load_dword v138, off, s[0:3], 0 offset:316
	buffer_load_dword v136, off, s[0:3], 0 offset:324
	s_waitcnt vmcnt(34)
	v_fma_f64 v[123:124], v[141:142], v[125:126], v[123:124]
	s_waitcnt vmcnt(32) lgkmcnt(0)
	v_fma_f64 v[123:124], v[143:144], v[127:128], v[123:124]
	s_waitcnt vmcnt(27)
	v_fma_f64 v[141:142], v[145:146], v[129:130], v[123:124]
	ds_read_b128 v[123:126], v122 offset:688
	ds_read_b128 v[127:130], v122 offset:704
	;; [unrolled: 19-line block ×6, first 2 shown]
	s_waitcnt vmcnt(26) lgkmcnt(1)
	v_fma_f64 v[123:124], v[151:152], v[123:124], v[135:136]
	s_clause 0x5
	buffer_load_dword v136, off, s[0:3], 0 offset:460
	buffer_load_dword v137, off, s[0:3], 0 offset:472
	;; [unrolled: 1-line block ×6, first 2 shown]
	s_waitcnt vmcnt(31)
	v_fma_f64 v[123:124], v[145:146], v[125:126], v[123:124]
	s_waitcnt vmcnt(30) lgkmcnt(0)
	v_fma_f64 v[123:124], v[143:144], v[127:128], v[123:124]
	s_waitcnt vmcnt(25)
	v_fma_f64 v[143:144], v[147:148], v[129:130], v[123:124]
	ds_read_b128 v[123:126], v122 offset:848
	s_clause 0x1
	buffer_load_dword v145, off, s[0:3], 0 offset:136
	buffer_load_dword v146, off, s[0:3], 0 offset:140
	ds_read_b128 v[127:130], v122 offset:864
	s_waitcnt vmcnt(26) lgkmcnt(1)
	v_fma_f64 v[123:124], v[159:160], v[123:124], v[143:144]
	s_waitcnt vmcnt(25)
	v_fma_f64 v[123:124], v[153:154], v[125:126], v[123:124]
	s_waitcnt vmcnt(24) lgkmcnt(0)
	v_fma_f64 v[123:124], v[149:150], v[127:128], v[123:124]
	s_waitcnt vmcnt(19)
	v_fma_f64 v[131:132], v[131:132], v[129:130], v[123:124]
	ds_read_b128 v[123:126], v122 offset:880
	ds_read_b128 v[127:130], v122 offset:896
	s_waitcnt vmcnt(18) lgkmcnt(1)
	v_fma_f64 v[123:124], v[165:166], v[123:124], v[131:132]
	s_waitcnt vmcnt(17)
	v_fma_f64 v[123:124], v[157:158], v[125:126], v[123:124]
	s_waitcnt vmcnt(16) lgkmcnt(0)
	v_fma_f64 v[123:124], v[155:156], v[127:128], v[123:124]
	s_waitcnt vmcnt(11)
	v_fma_f64 v[131:132], v[133:134], v[129:130], v[123:124]
	ds_read_b128 v[123:126], v122 offset:912
	;; [unrolled: 10-line block ×3, first 2 shown]
	s_waitcnt vmcnt(3) lgkmcnt(0)
	v_fma_f64 v[122:123], v[141:142], v[122:123], v[126:127]
	s_waitcnt vmcnt(2)
	v_fma_f64 v[122:123], v[137:138], v[124:125], v[122:123]
	s_waitcnt vmcnt(0)
	v_add_f64 v[122:123], v[145:146], -v[122:123]
	buffer_store_dword v123, off, s[0:3], 0 offset:140
	buffer_store_dword v122, off, s[0:3], 0 offset:136
	v_cmpx_lt_u32_e32 16, v0
	s_cbranch_execz .LBB59_337
; %bb.336:
	s_clause 0x1
	buffer_load_dword v122, off, s[0:3], 0 offset:128
	buffer_load_dword v123, off, s[0:3], 0 offset:132
	v_mov_b32_e32 v124, 0
	buffer_store_dword v124, off, s[0:3], 0 offset:128
	buffer_store_dword v124, off, s[0:3], 0 offset:132
	s_waitcnt vmcnt(0)
	ds_write_b64 v121, v[122:123]
.LBB59_337:
	s_or_b32 exec_lo, exec_lo, s4
	s_waitcnt lgkmcnt(0)
	s_waitcnt_vscnt null, 0x0
	s_barrier
	buffer_gl0_inv
	s_clause 0x1c
	buffer_load_dword v131, off, s[0:3], 0 offset:136
	buffer_load_dword v132, off, s[0:3], 0 offset:140
	;; [unrolled: 1-line block ×29, first 2 shown]
	v_mov_b32_e32 v122, 0
	buffer_load_dword v156, off, s[0:3], 0 offset:252
	s_mov_b32 s4, exec_lo
	ds_read2_b64 v[123:126], v122 offset0:77 offset1:78
	ds_read2_b64 v[127:130], v122 offset0:79 offset1:80
	s_waitcnt vmcnt(28) lgkmcnt(1)
	v_fma_f64 v[123:124], v[131:132], v[123:124], 0
	s_clause 0x7
	buffer_load_dword v132, off, s[0:3], 0 offset:260
	buffer_load_dword v161, off, s[0:3], 0 offset:280
	buffer_load_dword v163, off, s[0:3], 0 offset:272
	buffer_load_dword v165, off, s[0:3], 0 offset:264
	buffer_load_dword v131, off, s[0:3], 0 offset:256
	buffer_load_dword v166, off, s[0:3], 0 offset:268
	buffer_load_dword v164, off, s[0:3], 0 offset:276
	buffer_load_dword v162, off, s[0:3], 0 offset:284
	s_waitcnt vmcnt(34)
	v_fma_f64 v[123:124], v[133:134], v[125:126], v[123:124]
	s_waitcnt vmcnt(32) lgkmcnt(0)
	v_fma_f64 v[123:124], v[135:136], v[127:128], v[123:124]
	s_waitcnt vmcnt(30)
	v_fma_f64 v[133:134], v[137:138], v[129:130], v[123:124]
	ds_read2_b64 v[123:126], v122 offset0:81 offset1:82
	ds_read2_b64 v[127:130], v122 offset0:83 offset1:84
	s_waitcnt vmcnt(28) lgkmcnt(1)
	v_fma_f64 v[123:124], v[139:140], v[123:124], v[133:134]
	s_clause 0x7
	buffer_load_dword v134, off, s[0:3], 0 offset:292
	buffer_load_dword v135, off, s[0:3], 0 offset:312
	buffer_load_dword v137, off, s[0:3], 0 offset:304
	buffer_load_dword v139, off, s[0:3], 0 offset:296
	buffer_load_dword v133, off, s[0:3], 0 offset:288
	buffer_load_dword v140, off, s[0:3], 0 offset:300
	buffer_load_dword v138, off, s[0:3], 0 offset:308
	buffer_load_dword v136, off, s[0:3], 0 offset:316
	s_waitcnt vmcnt(34)
	v_fma_f64 v[123:124], v[141:142], v[125:126], v[123:124]
	s_waitcnt vmcnt(32) lgkmcnt(0)
	v_fma_f64 v[123:124], v[143:144], v[127:128], v[123:124]
	s_waitcnt vmcnt(27)
	v_fma_f64 v[141:142], v[145:146], v[129:130], v[123:124]
	;; [unrolled: 19-line block ×7, first 2 shown]
	ds_read2_b64 v[123:126], v122 offset0:105 offset1:106
	ds_read2_b64 v[127:130], v122 offset0:107 offset1:108
	s_waitcnt vmcnt(26) lgkmcnt(1)
	v_fma_f64 v[123:124], v[159:160], v[123:124], v[143:144]
	s_clause 0x1
	buffer_load_dword v143, off, s[0:3], 0 offset:128
	buffer_load_dword v144, off, s[0:3], 0 offset:132
	s_waitcnt vmcnt(27)
	v_fma_f64 v[123:124], v[153:154], v[125:126], v[123:124]
	s_waitcnt vmcnt(26) lgkmcnt(0)
	v_fma_f64 v[123:124], v[149:150], v[127:128], v[123:124]
	s_waitcnt vmcnt(21)
	v_fma_f64 v[131:132], v[131:132], v[129:130], v[123:124]
	ds_read2_b64 v[123:126], v122 offset0:109 offset1:110
	ds_read2_b64 v[127:130], v122 offset0:111 offset1:112
	s_waitcnt vmcnt(20) lgkmcnt(1)
	v_fma_f64 v[123:124], v[165:166], v[123:124], v[131:132]
	s_waitcnt vmcnt(19)
	v_fma_f64 v[123:124], v[157:158], v[125:126], v[123:124]
	s_waitcnt vmcnt(18) lgkmcnt(0)
	v_fma_f64 v[123:124], v[155:156], v[127:128], v[123:124]
	s_waitcnt vmcnt(13)
	v_fma_f64 v[131:132], v[133:134], v[129:130], v[123:124]
	ds_read2_b64 v[123:126], v122 offset0:113 offset1:114
	ds_read2_b64 v[127:130], v122 offset0:115 offset1:116
	s_waitcnt vmcnt(12) lgkmcnt(1)
	v_fma_f64 v[123:124], v[163:164], v[123:124], v[131:132]
	s_waitcnt vmcnt(11)
	v_fma_f64 v[123:124], v[161:162], v[125:126], v[123:124]
	s_waitcnt vmcnt(10) lgkmcnt(0)
	v_fma_f64 v[123:124], v[139:140], v[127:128], v[123:124]
	s_waitcnt vmcnt(5)
	v_fma_f64 v[127:128], v[135:136], v[129:130], v[123:124]
	ds_read2_b64 v[123:126], v122 offset0:117 offset1:118
	ds_read_b64 v[129:130], v122 offset:952
	s_waitcnt vmcnt(4) lgkmcnt(1)
	v_fma_f64 v[123:124], v[151:152], v[123:124], v[127:128]
	s_waitcnt vmcnt(3)
	v_fma_f64 v[123:124], v[141:142], v[125:126], v[123:124]
	s_waitcnt vmcnt(2) lgkmcnt(0)
	v_fma_f64 v[123:124], v[137:138], v[129:130], v[123:124]
	s_waitcnt vmcnt(0)
	v_add_f64 v[123:124], v[143:144], -v[123:124]
	buffer_store_dword v124, off, s[0:3], 0 offset:132
	buffer_store_dword v123, off, s[0:3], 0 offset:128
	v_cmpx_lt_u32_e32 15, v0
	s_cbranch_execz .LBB59_339
; %bb.338:
	s_clause 0x1
	buffer_load_dword v123, off, s[0:3], 0 offset:120
	buffer_load_dword v124, off, s[0:3], 0 offset:124
	buffer_store_dword v122, off, s[0:3], 0 offset:120
	buffer_store_dword v122, off, s[0:3], 0 offset:124
	s_waitcnt vmcnt(0)
	ds_write_b64 v121, v[123:124]
.LBB59_339:
	s_or_b32 exec_lo, exec_lo, s4
	s_waitcnt lgkmcnt(0)
	s_waitcnt_vscnt null, 0x0
	s_barrier
	buffer_gl0_inv
	s_clause 0x1c
	buffer_load_dword v131, off, s[0:3], 0 offset:128
	buffer_load_dword v132, off, s[0:3], 0 offset:132
	;; [unrolled: 1-line block ×29, first 2 shown]
	ds_read_b128 v[123:126], v122 offset:608
	ds_read_b128 v[127:130], v122 offset:624
	buffer_load_dword v156, off, s[0:3], 0 offset:244
	s_mov_b32 s4, exec_lo
	s_waitcnt vmcnt(28) lgkmcnt(1)
	v_fma_f64 v[123:124], v[131:132], v[123:124], 0
	s_clause 0x7
	buffer_load_dword v132, off, s[0:3], 0 offset:252
	buffer_load_dword v161, off, s[0:3], 0 offset:272
	buffer_load_dword v163, off, s[0:3], 0 offset:264
	buffer_load_dword v165, off, s[0:3], 0 offset:256
	buffer_load_dword v131, off, s[0:3], 0 offset:248
	buffer_load_dword v166, off, s[0:3], 0 offset:260
	buffer_load_dword v164, off, s[0:3], 0 offset:268
	buffer_load_dword v162, off, s[0:3], 0 offset:276
	s_waitcnt vmcnt(34)
	v_fma_f64 v[123:124], v[133:134], v[125:126], v[123:124]
	s_waitcnt vmcnt(32) lgkmcnt(0)
	v_fma_f64 v[123:124], v[135:136], v[127:128], v[123:124]
	s_waitcnt vmcnt(30)
	v_fma_f64 v[133:134], v[137:138], v[129:130], v[123:124]
	ds_read_b128 v[123:126], v122 offset:640
	ds_read_b128 v[127:130], v122 offset:656
	s_waitcnt vmcnt(28) lgkmcnt(1)
	v_fma_f64 v[123:124], v[139:140], v[123:124], v[133:134]
	s_clause 0x7
	buffer_load_dword v134, off, s[0:3], 0 offset:284
	buffer_load_dword v135, off, s[0:3], 0 offset:304
	buffer_load_dword v137, off, s[0:3], 0 offset:296
	buffer_load_dword v139, off, s[0:3], 0 offset:288
	buffer_load_dword v133, off, s[0:3], 0 offset:280
	buffer_load_dword v140, off, s[0:3], 0 offset:292
	buffer_load_dword v138, off, s[0:3], 0 offset:300
	buffer_load_dword v136, off, s[0:3], 0 offset:308
	s_waitcnt vmcnt(34)
	v_fma_f64 v[123:124], v[141:142], v[125:126], v[123:124]
	s_waitcnt vmcnt(32) lgkmcnt(0)
	v_fma_f64 v[123:124], v[143:144], v[127:128], v[123:124]
	s_waitcnt vmcnt(27)
	v_fma_f64 v[141:142], v[145:146], v[129:130], v[123:124]
	ds_read_b128 v[123:126], v122 offset:672
	ds_read_b128 v[127:130], v122 offset:688
	;; [unrolled: 19-line block ×7, first 2 shown]
	s_waitcnt vmcnt(26) lgkmcnt(1)
	v_fma_f64 v[123:124], v[159:160], v[123:124], v[143:144]
	s_clause 0x3
	buffer_load_dword v144, off, s[0:3], 0 offset:476
	buffer_load_dword v143, off, s[0:3], 0 offset:472
	;; [unrolled: 1-line block ×4, first 2 shown]
	s_waitcnt vmcnt(29)
	v_fma_f64 v[123:124], v[153:154], v[125:126], v[123:124]
	s_waitcnt vmcnt(28) lgkmcnt(0)
	v_fma_f64 v[123:124], v[149:150], v[127:128], v[123:124]
	s_waitcnt vmcnt(23)
	v_fma_f64 v[131:132], v[131:132], v[129:130], v[123:124]
	ds_read_b128 v[123:126], v122 offset:864
	ds_read_b128 v[127:130], v122 offset:880
	s_waitcnt vmcnt(22) lgkmcnt(1)
	v_fma_f64 v[123:124], v[165:166], v[123:124], v[131:132]
	s_waitcnt vmcnt(21)
	v_fma_f64 v[123:124], v[157:158], v[125:126], v[123:124]
	s_waitcnt vmcnt(20) lgkmcnt(0)
	v_fma_f64 v[123:124], v[155:156], v[127:128], v[123:124]
	s_waitcnt vmcnt(15)
	v_fma_f64 v[131:132], v[133:134], v[129:130], v[123:124]
	ds_read_b128 v[123:126], v122 offset:896
	ds_read_b128 v[127:130], v122 offset:912
	s_waitcnt vmcnt(14) lgkmcnt(1)
	v_fma_f64 v[123:124], v[163:164], v[123:124], v[131:132]
	;; [unrolled: 10-line block ×3, first 2 shown]
	s_waitcnt vmcnt(5)
	v_fma_f64 v[122:123], v[141:142], v[125:126], v[122:123]
	s_waitcnt vmcnt(4) lgkmcnt(0)
	v_fma_f64 v[122:123], v[137:138], v[127:128], v[122:123]
	s_waitcnt vmcnt(2)
	v_fma_f64 v[122:123], v[143:144], v[129:130], v[122:123]
	s_waitcnt vmcnt(0)
	v_add_f64 v[122:123], v[145:146], -v[122:123]
	buffer_store_dword v123, off, s[0:3], 0 offset:124
	buffer_store_dword v122, off, s[0:3], 0 offset:120
	v_cmpx_lt_u32_e32 14, v0
	s_cbranch_execz .LBB59_341
; %bb.340:
	s_clause 0x1
	buffer_load_dword v122, off, s[0:3], 0 offset:112
	buffer_load_dword v123, off, s[0:3], 0 offset:116
	v_mov_b32_e32 v124, 0
	buffer_store_dword v124, off, s[0:3], 0 offset:112
	buffer_store_dword v124, off, s[0:3], 0 offset:116
	s_waitcnt vmcnt(0)
	ds_write_b64 v121, v[122:123]
.LBB59_341:
	s_or_b32 exec_lo, exec_lo, s4
	s_waitcnt lgkmcnt(0)
	s_waitcnt_vscnt null, 0x0
	s_barrier
	buffer_gl0_inv
	s_clause 0x1c
	buffer_load_dword v131, off, s[0:3], 0 offset:120
	buffer_load_dword v132, off, s[0:3], 0 offset:124
	;; [unrolled: 1-line block ×29, first 2 shown]
	v_mov_b32_e32 v122, 0
	buffer_load_dword v156, off, s[0:3], 0 offset:236
	s_mov_b32 s4, exec_lo
	ds_read2_b64 v[123:126], v122 offset0:75 offset1:76
	ds_read2_b64 v[127:130], v122 offset0:77 offset1:78
	s_waitcnt vmcnt(28) lgkmcnt(1)
	v_fma_f64 v[123:124], v[131:132], v[123:124], 0
	s_clause 0x7
	buffer_load_dword v132, off, s[0:3], 0 offset:244
	buffer_load_dword v161, off, s[0:3], 0 offset:264
	buffer_load_dword v163, off, s[0:3], 0 offset:256
	buffer_load_dword v165, off, s[0:3], 0 offset:248
	buffer_load_dword v131, off, s[0:3], 0 offset:240
	buffer_load_dword v166, off, s[0:3], 0 offset:252
	buffer_load_dword v164, off, s[0:3], 0 offset:260
	buffer_load_dword v162, off, s[0:3], 0 offset:268
	s_waitcnt vmcnt(34)
	v_fma_f64 v[123:124], v[133:134], v[125:126], v[123:124]
	s_waitcnt vmcnt(32) lgkmcnt(0)
	v_fma_f64 v[123:124], v[135:136], v[127:128], v[123:124]
	s_waitcnt vmcnt(30)
	v_fma_f64 v[133:134], v[137:138], v[129:130], v[123:124]
	ds_read2_b64 v[123:126], v122 offset0:79 offset1:80
	ds_read2_b64 v[127:130], v122 offset0:81 offset1:82
	s_waitcnt vmcnt(28) lgkmcnt(1)
	v_fma_f64 v[123:124], v[139:140], v[123:124], v[133:134]
	s_clause 0x7
	buffer_load_dword v134, off, s[0:3], 0 offset:276
	buffer_load_dword v135, off, s[0:3], 0 offset:296
	buffer_load_dword v137, off, s[0:3], 0 offset:288
	buffer_load_dword v139, off, s[0:3], 0 offset:280
	buffer_load_dword v133, off, s[0:3], 0 offset:272
	buffer_load_dword v140, off, s[0:3], 0 offset:284
	buffer_load_dword v138, off, s[0:3], 0 offset:292
	buffer_load_dword v136, off, s[0:3], 0 offset:300
	s_waitcnt vmcnt(34)
	v_fma_f64 v[123:124], v[141:142], v[125:126], v[123:124]
	s_waitcnt vmcnt(32) lgkmcnt(0)
	v_fma_f64 v[123:124], v[143:144], v[127:128], v[123:124]
	s_waitcnt vmcnt(27)
	v_fma_f64 v[141:142], v[145:146], v[129:130], v[123:124]
	;; [unrolled: 19-line block ×7, first 2 shown]
	ds_read2_b64 v[123:126], v122 offset0:103 offset1:104
	ds_read2_b64 v[127:130], v122 offset0:105 offset1:106
	s_waitcnt vmcnt(26) lgkmcnt(1)
	v_fma_f64 v[123:124], v[159:160], v[123:124], v[143:144]
	s_clause 0x5
	buffer_load_dword v144, off, s[0:3], 0 offset:468
	buffer_load_dword v145, off, s[0:3], 0 offset:472
	;; [unrolled: 1-line block ×6, first 2 shown]
	s_waitcnt vmcnt(31)
	v_fma_f64 v[123:124], v[153:154], v[125:126], v[123:124]
	s_waitcnt vmcnt(30) lgkmcnt(0)
	v_fma_f64 v[123:124], v[149:150], v[127:128], v[123:124]
	s_waitcnt vmcnt(25)
	v_fma_f64 v[131:132], v[131:132], v[129:130], v[123:124]
	ds_read2_b64 v[123:126], v122 offset0:107 offset1:108
	ds_read2_b64 v[127:130], v122 offset0:109 offset1:110
	s_waitcnt vmcnt(24) lgkmcnt(1)
	v_fma_f64 v[123:124], v[165:166], v[123:124], v[131:132]
	s_waitcnt vmcnt(23)
	v_fma_f64 v[123:124], v[157:158], v[125:126], v[123:124]
	s_waitcnt vmcnt(22) lgkmcnt(0)
	v_fma_f64 v[123:124], v[155:156], v[127:128], v[123:124]
	s_waitcnt vmcnt(17)
	v_fma_f64 v[131:132], v[133:134], v[129:130], v[123:124]
	ds_read2_b64 v[123:126], v122 offset0:111 offset1:112
	ds_read2_b64 v[127:130], v122 offset0:113 offset1:114
	s_waitcnt vmcnt(16) lgkmcnt(1)
	v_fma_f64 v[123:124], v[163:164], v[123:124], v[131:132]
	;; [unrolled: 10-line block ×3, first 2 shown]
	s_waitcnt vmcnt(7)
	v_fma_f64 v[123:124], v[141:142], v[125:126], v[123:124]
	ds_read_b64 v[125:126], v122 offset:952
	s_waitcnt vmcnt(6) lgkmcnt(1)
	v_fma_f64 v[123:124], v[137:138], v[127:128], v[123:124]
	s_waitcnt vmcnt(3)
	v_fma_f64 v[123:124], v[143:144], v[129:130], v[123:124]
	s_waitcnt vmcnt(2) lgkmcnt(0)
	v_fma_f64 v[123:124], v[145:146], v[125:126], v[123:124]
	s_waitcnt vmcnt(0)
	v_add_f64 v[123:124], v[147:148], -v[123:124]
	buffer_store_dword v124, off, s[0:3], 0 offset:116
	buffer_store_dword v123, off, s[0:3], 0 offset:112
	v_cmpx_lt_u32_e32 13, v0
	s_cbranch_execz .LBB59_343
; %bb.342:
	s_clause 0x1
	buffer_load_dword v123, off, s[0:3], 0 offset:104
	buffer_load_dword v124, off, s[0:3], 0 offset:108
	buffer_store_dword v122, off, s[0:3], 0 offset:104
	buffer_store_dword v122, off, s[0:3], 0 offset:108
	s_waitcnt vmcnt(0)
	ds_write_b64 v121, v[123:124]
.LBB59_343:
	s_or_b32 exec_lo, exec_lo, s4
	s_waitcnt lgkmcnt(0)
	s_waitcnt_vscnt null, 0x0
	s_barrier
	buffer_gl0_inv
	s_clause 0x1c
	buffer_load_dword v131, off, s[0:3], 0 offset:112
	buffer_load_dword v132, off, s[0:3], 0 offset:116
	;; [unrolled: 1-line block ×29, first 2 shown]
	ds_read_b128 v[123:126], v122 offset:592
	ds_read_b128 v[127:130], v122 offset:608
	buffer_load_dword v156, off, s[0:3], 0 offset:228
	s_mov_b32 s4, exec_lo
	s_waitcnt vmcnt(28) lgkmcnt(1)
	v_fma_f64 v[123:124], v[131:132], v[123:124], 0
	s_clause 0x7
	buffer_load_dword v132, off, s[0:3], 0 offset:236
	buffer_load_dword v161, off, s[0:3], 0 offset:256
	buffer_load_dword v163, off, s[0:3], 0 offset:248
	buffer_load_dword v165, off, s[0:3], 0 offset:240
	buffer_load_dword v131, off, s[0:3], 0 offset:232
	buffer_load_dword v166, off, s[0:3], 0 offset:244
	buffer_load_dword v164, off, s[0:3], 0 offset:252
	buffer_load_dword v162, off, s[0:3], 0 offset:260
	s_waitcnt vmcnt(34)
	v_fma_f64 v[123:124], v[133:134], v[125:126], v[123:124]
	s_waitcnt vmcnt(32) lgkmcnt(0)
	v_fma_f64 v[123:124], v[135:136], v[127:128], v[123:124]
	s_waitcnt vmcnt(30)
	v_fma_f64 v[133:134], v[137:138], v[129:130], v[123:124]
	ds_read_b128 v[123:126], v122 offset:624
	ds_read_b128 v[127:130], v122 offset:640
	s_waitcnt vmcnt(28) lgkmcnt(1)
	v_fma_f64 v[123:124], v[139:140], v[123:124], v[133:134]
	s_clause 0x7
	buffer_load_dword v134, off, s[0:3], 0 offset:268
	buffer_load_dword v135, off, s[0:3], 0 offset:288
	buffer_load_dword v137, off, s[0:3], 0 offset:280
	buffer_load_dword v139, off, s[0:3], 0 offset:272
	buffer_load_dword v133, off, s[0:3], 0 offset:264
	buffer_load_dword v140, off, s[0:3], 0 offset:276
	buffer_load_dword v138, off, s[0:3], 0 offset:284
	buffer_load_dword v136, off, s[0:3], 0 offset:292
	s_waitcnt vmcnt(34)
	v_fma_f64 v[123:124], v[141:142], v[125:126], v[123:124]
	s_waitcnt vmcnt(32) lgkmcnt(0)
	v_fma_f64 v[123:124], v[143:144], v[127:128], v[123:124]
	s_waitcnt vmcnt(27)
	v_fma_f64 v[141:142], v[145:146], v[129:130], v[123:124]
	ds_read_b128 v[123:126], v122 offset:656
	ds_read_b128 v[127:130], v122 offset:672
	;; [unrolled: 19-line block ×7, first 2 shown]
	s_waitcnt vmcnt(26) lgkmcnt(1)
	v_fma_f64 v[123:124], v[159:160], v[123:124], v[143:144]
	s_clause 0x5
	buffer_load_dword v144, off, s[0:3], 0 offset:460
	buffer_load_dword v145, off, s[0:3], 0 offset:472
	;; [unrolled: 1-line block ×6, first 2 shown]
	s_waitcnt vmcnt(31)
	v_fma_f64 v[123:124], v[153:154], v[125:126], v[123:124]
	s_waitcnt vmcnt(30) lgkmcnt(0)
	v_fma_f64 v[123:124], v[149:150], v[127:128], v[123:124]
	s_waitcnt vmcnt(25)
	v_fma_f64 v[131:132], v[131:132], v[129:130], v[123:124]
	ds_read_b128 v[123:126], v122 offset:848
	s_clause 0x1
	buffer_load_dword v149, off, s[0:3], 0 offset:104
	buffer_load_dword v150, off, s[0:3], 0 offset:108
	ds_read_b128 v[127:130], v122 offset:864
	s_waitcnt vmcnt(26) lgkmcnt(1)
	v_fma_f64 v[123:124], v[165:166], v[123:124], v[131:132]
	s_waitcnt vmcnt(25)
	v_fma_f64 v[123:124], v[157:158], v[125:126], v[123:124]
	s_waitcnt vmcnt(24) lgkmcnt(0)
	v_fma_f64 v[123:124], v[155:156], v[127:128], v[123:124]
	s_waitcnt vmcnt(19)
	v_fma_f64 v[131:132], v[133:134], v[129:130], v[123:124]
	ds_read_b128 v[123:126], v122 offset:880
	ds_read_b128 v[127:130], v122 offset:896
	s_waitcnt vmcnt(18) lgkmcnt(1)
	v_fma_f64 v[123:124], v[163:164], v[123:124], v[131:132]
	s_waitcnt vmcnt(17)
	v_fma_f64 v[123:124], v[161:162], v[125:126], v[123:124]
	s_waitcnt vmcnt(16) lgkmcnt(0)
	v_fma_f64 v[123:124], v[139:140], v[127:128], v[123:124]
	s_waitcnt vmcnt(11)
	v_fma_f64 v[131:132], v[135:136], v[129:130], v[123:124]
	ds_read_b128 v[123:126], v122 offset:912
	;; [unrolled: 10-line block ×3, first 2 shown]
	s_waitcnt vmcnt(3) lgkmcnt(0)
	v_fma_f64 v[122:123], v[147:148], v[122:123], v[126:127]
	s_waitcnt vmcnt(2)
	v_fma_f64 v[122:123], v[145:146], v[124:125], v[122:123]
	s_waitcnt vmcnt(0)
	v_add_f64 v[122:123], v[149:150], -v[122:123]
	buffer_store_dword v123, off, s[0:3], 0 offset:108
	buffer_store_dword v122, off, s[0:3], 0 offset:104
	v_cmpx_lt_u32_e32 12, v0
	s_cbranch_execz .LBB59_345
; %bb.344:
	s_clause 0x1
	buffer_load_dword v122, off, s[0:3], 0 offset:96
	buffer_load_dword v123, off, s[0:3], 0 offset:100
	v_mov_b32_e32 v124, 0
	buffer_store_dword v124, off, s[0:3], 0 offset:96
	buffer_store_dword v124, off, s[0:3], 0 offset:100
	s_waitcnt vmcnt(0)
	ds_write_b64 v121, v[122:123]
.LBB59_345:
	s_or_b32 exec_lo, exec_lo, s4
	s_waitcnt lgkmcnt(0)
	s_waitcnt_vscnt null, 0x0
	s_barrier
	buffer_gl0_inv
	s_clause 0x1c
	buffer_load_dword v131, off, s[0:3], 0 offset:104
	buffer_load_dword v132, off, s[0:3], 0 offset:108
	;; [unrolled: 1-line block ×29, first 2 shown]
	v_mov_b32_e32 v122, 0
	buffer_load_dword v156, off, s[0:3], 0 offset:220
	s_mov_b32 s4, exec_lo
	ds_read2_b64 v[123:126], v122 offset0:73 offset1:74
	ds_read2_b64 v[127:130], v122 offset0:75 offset1:76
	s_waitcnt vmcnt(28) lgkmcnt(1)
	v_fma_f64 v[123:124], v[131:132], v[123:124], 0
	s_clause 0x7
	buffer_load_dword v132, off, s[0:3], 0 offset:228
	buffer_load_dword v161, off, s[0:3], 0 offset:248
	buffer_load_dword v163, off, s[0:3], 0 offset:240
	buffer_load_dword v165, off, s[0:3], 0 offset:232
	buffer_load_dword v131, off, s[0:3], 0 offset:224
	buffer_load_dword v166, off, s[0:3], 0 offset:236
	buffer_load_dword v164, off, s[0:3], 0 offset:244
	buffer_load_dword v162, off, s[0:3], 0 offset:252
	s_waitcnt vmcnt(34)
	v_fma_f64 v[123:124], v[133:134], v[125:126], v[123:124]
	s_waitcnt vmcnt(32) lgkmcnt(0)
	v_fma_f64 v[123:124], v[135:136], v[127:128], v[123:124]
	s_waitcnt vmcnt(30)
	v_fma_f64 v[133:134], v[137:138], v[129:130], v[123:124]
	ds_read2_b64 v[123:126], v122 offset0:77 offset1:78
	ds_read2_b64 v[127:130], v122 offset0:79 offset1:80
	s_waitcnt vmcnt(28) lgkmcnt(1)
	v_fma_f64 v[123:124], v[139:140], v[123:124], v[133:134]
	s_clause 0x7
	buffer_load_dword v134, off, s[0:3], 0 offset:260
	buffer_load_dword v135, off, s[0:3], 0 offset:280
	buffer_load_dword v137, off, s[0:3], 0 offset:272
	buffer_load_dword v139, off, s[0:3], 0 offset:264
	buffer_load_dword v133, off, s[0:3], 0 offset:256
	buffer_load_dword v140, off, s[0:3], 0 offset:268
	buffer_load_dword v138, off, s[0:3], 0 offset:276
	buffer_load_dword v136, off, s[0:3], 0 offset:284
	s_waitcnt vmcnt(34)
	v_fma_f64 v[123:124], v[141:142], v[125:126], v[123:124]
	s_waitcnt vmcnt(32) lgkmcnt(0)
	v_fma_f64 v[123:124], v[143:144], v[127:128], v[123:124]
	s_waitcnt vmcnt(27)
	v_fma_f64 v[141:142], v[145:146], v[129:130], v[123:124]
	;; [unrolled: 19-line block ×8, first 2 shown]
	ds_read2_b64 v[123:126], v122 offset0:105 offset1:106
	ds_read2_b64 v[127:130], v122 offset0:107 offset1:108
	s_waitcnt vmcnt(26) lgkmcnt(1)
	v_fma_f64 v[123:124], v[165:166], v[123:124], v[131:132]
	s_clause 0x1
	buffer_load_dword v131, off, s[0:3], 0 offset:96
	buffer_load_dword v132, off, s[0:3], 0 offset:100
	s_waitcnt vmcnt(27)
	v_fma_f64 v[123:124], v[157:158], v[125:126], v[123:124]
	s_waitcnt vmcnt(26) lgkmcnt(0)
	v_fma_f64 v[123:124], v[155:156], v[127:128], v[123:124]
	s_waitcnt vmcnt(21)
	v_fma_f64 v[133:134], v[133:134], v[129:130], v[123:124]
	ds_read2_b64 v[123:126], v122 offset0:109 offset1:110
	ds_read2_b64 v[127:130], v122 offset0:111 offset1:112
	s_waitcnt vmcnt(20) lgkmcnt(1)
	v_fma_f64 v[123:124], v[163:164], v[123:124], v[133:134]
	s_waitcnt vmcnt(19)
	v_fma_f64 v[123:124], v[161:162], v[125:126], v[123:124]
	s_waitcnt vmcnt(18) lgkmcnt(0)
	v_fma_f64 v[123:124], v[139:140], v[127:128], v[123:124]
	s_waitcnt vmcnt(13)
	v_fma_f64 v[133:134], v[135:136], v[129:130], v[123:124]
	ds_read2_b64 v[123:126], v122 offset0:113 offset1:114
	ds_read2_b64 v[127:130], v122 offset0:115 offset1:116
	s_waitcnt vmcnt(12) lgkmcnt(1)
	v_fma_f64 v[123:124], v[151:152], v[123:124], v[133:134]
	s_waitcnt vmcnt(11)
	v_fma_f64 v[123:124], v[141:142], v[125:126], v[123:124]
	s_waitcnt vmcnt(10) lgkmcnt(0)
	v_fma_f64 v[123:124], v[137:138], v[127:128], v[123:124]
	s_waitcnt vmcnt(5)
	v_fma_f64 v[127:128], v[143:144], v[129:130], v[123:124]
	ds_read2_b64 v[123:126], v122 offset0:117 offset1:118
	ds_read_b64 v[129:130], v122 offset:952
	s_waitcnt vmcnt(4) lgkmcnt(1)
	v_fma_f64 v[123:124], v[159:160], v[123:124], v[127:128]
	s_waitcnt vmcnt(3)
	v_fma_f64 v[123:124], v[147:148], v[125:126], v[123:124]
	s_waitcnt vmcnt(2) lgkmcnt(0)
	v_fma_f64 v[123:124], v[145:146], v[129:130], v[123:124]
	s_waitcnt vmcnt(0)
	v_add_f64 v[123:124], v[131:132], -v[123:124]
	buffer_store_dword v124, off, s[0:3], 0 offset:100
	buffer_store_dword v123, off, s[0:3], 0 offset:96
	v_cmpx_lt_u32_e32 11, v0
	s_cbranch_execz .LBB59_347
; %bb.346:
	s_clause 0x1
	buffer_load_dword v123, off, s[0:3], 0 offset:88
	buffer_load_dword v124, off, s[0:3], 0 offset:92
	buffer_store_dword v122, off, s[0:3], 0 offset:88
	buffer_store_dword v122, off, s[0:3], 0 offset:92
	s_waitcnt vmcnt(0)
	ds_write_b64 v121, v[123:124]
.LBB59_347:
	s_or_b32 exec_lo, exec_lo, s4
	s_waitcnt lgkmcnt(0)
	s_waitcnt_vscnt null, 0x0
	s_barrier
	buffer_gl0_inv
	s_clause 0x1c
	buffer_load_dword v131, off, s[0:3], 0 offset:96
	buffer_load_dword v132, off, s[0:3], 0 offset:100
	;; [unrolled: 1-line block ×29, first 2 shown]
	ds_read_b128 v[123:126], v122 offset:576
	ds_read_b128 v[127:130], v122 offset:592
	buffer_load_dword v156, off, s[0:3], 0 offset:212
	s_mov_b32 s4, exec_lo
	s_waitcnt vmcnt(28) lgkmcnt(1)
	v_fma_f64 v[123:124], v[131:132], v[123:124], 0
	s_clause 0x7
	buffer_load_dword v132, off, s[0:3], 0 offset:220
	buffer_load_dword v161, off, s[0:3], 0 offset:240
	buffer_load_dword v163, off, s[0:3], 0 offset:232
	buffer_load_dword v165, off, s[0:3], 0 offset:224
	buffer_load_dword v131, off, s[0:3], 0 offset:216
	buffer_load_dword v166, off, s[0:3], 0 offset:228
	buffer_load_dword v164, off, s[0:3], 0 offset:236
	buffer_load_dword v162, off, s[0:3], 0 offset:244
	s_waitcnt vmcnt(34)
	v_fma_f64 v[123:124], v[133:134], v[125:126], v[123:124]
	s_waitcnt vmcnt(32) lgkmcnt(0)
	v_fma_f64 v[123:124], v[135:136], v[127:128], v[123:124]
	s_waitcnt vmcnt(30)
	v_fma_f64 v[133:134], v[137:138], v[129:130], v[123:124]
	ds_read_b128 v[123:126], v122 offset:608
	ds_read_b128 v[127:130], v122 offset:624
	s_waitcnt vmcnt(28) lgkmcnt(1)
	v_fma_f64 v[123:124], v[139:140], v[123:124], v[133:134]
	s_clause 0x7
	buffer_load_dword v134, off, s[0:3], 0 offset:252
	buffer_load_dword v135, off, s[0:3], 0 offset:272
	buffer_load_dword v137, off, s[0:3], 0 offset:264
	buffer_load_dword v139, off, s[0:3], 0 offset:256
	buffer_load_dword v133, off, s[0:3], 0 offset:248
	buffer_load_dword v140, off, s[0:3], 0 offset:260
	buffer_load_dword v138, off, s[0:3], 0 offset:268
	buffer_load_dword v136, off, s[0:3], 0 offset:276
	s_waitcnt vmcnt(34)
	v_fma_f64 v[123:124], v[141:142], v[125:126], v[123:124]
	s_waitcnt vmcnt(32) lgkmcnt(0)
	v_fma_f64 v[123:124], v[143:144], v[127:128], v[123:124]
	s_waitcnt vmcnt(27)
	v_fma_f64 v[141:142], v[145:146], v[129:130], v[123:124]
	ds_read_b128 v[123:126], v122 offset:640
	ds_read_b128 v[127:130], v122 offset:656
	;; [unrolled: 19-line block ×8, first 2 shown]
	s_waitcnt vmcnt(26) lgkmcnt(1)
	v_fma_f64 v[123:124], v[165:166], v[123:124], v[131:132]
	s_clause 0x3
	buffer_load_dword v132, off, s[0:3], 0 offset:476
	buffer_load_dword v131, off, s[0:3], 0 offset:472
	;; [unrolled: 1-line block ×4, first 2 shown]
	s_waitcnt vmcnt(29)
	v_fma_f64 v[123:124], v[157:158], v[125:126], v[123:124]
	s_waitcnt vmcnt(28) lgkmcnt(0)
	v_fma_f64 v[123:124], v[155:156], v[127:128], v[123:124]
	s_waitcnt vmcnt(23)
	v_fma_f64 v[133:134], v[133:134], v[129:130], v[123:124]
	ds_read_b128 v[123:126], v122 offset:864
	ds_read_b128 v[127:130], v122 offset:880
	s_waitcnt vmcnt(22) lgkmcnt(1)
	v_fma_f64 v[123:124], v[163:164], v[123:124], v[133:134]
	s_waitcnt vmcnt(21)
	v_fma_f64 v[123:124], v[161:162], v[125:126], v[123:124]
	s_waitcnt vmcnt(20) lgkmcnt(0)
	v_fma_f64 v[123:124], v[139:140], v[127:128], v[123:124]
	s_waitcnt vmcnt(15)
	v_fma_f64 v[133:134], v[135:136], v[129:130], v[123:124]
	ds_read_b128 v[123:126], v122 offset:896
	ds_read_b128 v[127:130], v122 offset:912
	s_waitcnt vmcnt(14) lgkmcnt(1)
	v_fma_f64 v[123:124], v[151:152], v[123:124], v[133:134]
	;; [unrolled: 10-line block ×3, first 2 shown]
	s_waitcnt vmcnt(5)
	v_fma_f64 v[122:123], v[147:148], v[125:126], v[122:123]
	s_waitcnt vmcnt(4) lgkmcnt(0)
	v_fma_f64 v[122:123], v[145:146], v[127:128], v[122:123]
	s_waitcnt vmcnt(2)
	v_fma_f64 v[122:123], v[131:132], v[129:130], v[122:123]
	s_waitcnt vmcnt(0)
	v_add_f64 v[122:123], v[149:150], -v[122:123]
	buffer_store_dword v123, off, s[0:3], 0 offset:92
	buffer_store_dword v122, off, s[0:3], 0 offset:88
	v_cmpx_lt_u32_e32 10, v0
	s_cbranch_execz .LBB59_349
; %bb.348:
	s_clause 0x1
	buffer_load_dword v122, off, s[0:3], 0 offset:80
	buffer_load_dword v123, off, s[0:3], 0 offset:84
	v_mov_b32_e32 v124, 0
	buffer_store_dword v124, off, s[0:3], 0 offset:80
	buffer_store_dword v124, off, s[0:3], 0 offset:84
	s_waitcnt vmcnt(0)
	ds_write_b64 v121, v[122:123]
.LBB59_349:
	s_or_b32 exec_lo, exec_lo, s4
	s_waitcnt lgkmcnt(0)
	s_waitcnt_vscnt null, 0x0
	s_barrier
	buffer_gl0_inv
	s_clause 0x1c
	buffer_load_dword v131, off, s[0:3], 0 offset:88
	buffer_load_dword v132, off, s[0:3], 0 offset:92
	;; [unrolled: 1-line block ×29, first 2 shown]
	v_mov_b32_e32 v122, 0
	buffer_load_dword v156, off, s[0:3], 0 offset:204
	s_mov_b32 s4, exec_lo
	ds_read2_b64 v[123:126], v122 offset0:71 offset1:72
	ds_read2_b64 v[127:130], v122 offset0:73 offset1:74
	s_waitcnt vmcnt(28) lgkmcnt(1)
	v_fma_f64 v[123:124], v[131:132], v[123:124], 0
	s_clause 0x7
	buffer_load_dword v132, off, s[0:3], 0 offset:212
	buffer_load_dword v161, off, s[0:3], 0 offset:232
	buffer_load_dword v163, off, s[0:3], 0 offset:224
	buffer_load_dword v165, off, s[0:3], 0 offset:216
	buffer_load_dword v131, off, s[0:3], 0 offset:208
	buffer_load_dword v166, off, s[0:3], 0 offset:220
	buffer_load_dword v164, off, s[0:3], 0 offset:228
	buffer_load_dword v162, off, s[0:3], 0 offset:236
	s_waitcnt vmcnt(34)
	v_fma_f64 v[123:124], v[133:134], v[125:126], v[123:124]
	s_waitcnt vmcnt(32) lgkmcnt(0)
	v_fma_f64 v[123:124], v[135:136], v[127:128], v[123:124]
	s_waitcnt vmcnt(30)
	v_fma_f64 v[133:134], v[137:138], v[129:130], v[123:124]
	ds_read2_b64 v[123:126], v122 offset0:75 offset1:76
	ds_read2_b64 v[127:130], v122 offset0:77 offset1:78
	s_waitcnt vmcnt(28) lgkmcnt(1)
	v_fma_f64 v[123:124], v[139:140], v[123:124], v[133:134]
	s_clause 0x7
	buffer_load_dword v134, off, s[0:3], 0 offset:244
	buffer_load_dword v135, off, s[0:3], 0 offset:264
	buffer_load_dword v137, off, s[0:3], 0 offset:256
	buffer_load_dword v139, off, s[0:3], 0 offset:248
	buffer_load_dword v133, off, s[0:3], 0 offset:240
	buffer_load_dword v140, off, s[0:3], 0 offset:252
	buffer_load_dword v138, off, s[0:3], 0 offset:260
	buffer_load_dword v136, off, s[0:3], 0 offset:268
	s_waitcnt vmcnt(34)
	v_fma_f64 v[123:124], v[141:142], v[125:126], v[123:124]
	s_waitcnt vmcnt(32) lgkmcnt(0)
	v_fma_f64 v[123:124], v[143:144], v[127:128], v[123:124]
	s_waitcnt vmcnt(27)
	v_fma_f64 v[141:142], v[145:146], v[129:130], v[123:124]
	;; [unrolled: 19-line block ×8, first 2 shown]
	ds_read2_b64 v[123:126], v122 offset0:103 offset1:104
	ds_read2_b64 v[127:130], v122 offset0:105 offset1:106
	s_waitcnt vmcnt(26) lgkmcnt(1)
	v_fma_f64 v[123:124], v[165:166], v[123:124], v[131:132]
	s_clause 0x5
	buffer_load_dword v132, off, s[0:3], 0 offset:468
	buffer_load_dword v149, off, s[0:3], 0 offset:472
	;; [unrolled: 1-line block ×6, first 2 shown]
	s_waitcnt vmcnt(31)
	v_fma_f64 v[123:124], v[157:158], v[125:126], v[123:124]
	s_waitcnt vmcnt(30) lgkmcnt(0)
	v_fma_f64 v[123:124], v[155:156], v[127:128], v[123:124]
	s_waitcnt vmcnt(25)
	v_fma_f64 v[133:134], v[133:134], v[129:130], v[123:124]
	ds_read2_b64 v[123:126], v122 offset0:107 offset1:108
	ds_read2_b64 v[127:130], v122 offset0:109 offset1:110
	s_waitcnt vmcnt(24) lgkmcnt(1)
	v_fma_f64 v[123:124], v[163:164], v[123:124], v[133:134]
	s_waitcnt vmcnt(23)
	v_fma_f64 v[123:124], v[161:162], v[125:126], v[123:124]
	s_waitcnt vmcnt(22) lgkmcnt(0)
	v_fma_f64 v[123:124], v[139:140], v[127:128], v[123:124]
	s_waitcnt vmcnt(17)
	v_fma_f64 v[133:134], v[135:136], v[129:130], v[123:124]
	ds_read2_b64 v[123:126], v122 offset0:111 offset1:112
	ds_read2_b64 v[127:130], v122 offset0:113 offset1:114
	s_waitcnt vmcnt(16) lgkmcnt(1)
	v_fma_f64 v[123:124], v[151:152], v[123:124], v[133:134]
	;; [unrolled: 10-line block ×3, first 2 shown]
	s_waitcnt vmcnt(7)
	v_fma_f64 v[123:124], v[147:148], v[125:126], v[123:124]
	ds_read_b64 v[125:126], v122 offset:952
	s_waitcnt vmcnt(6) lgkmcnt(1)
	v_fma_f64 v[123:124], v[145:146], v[127:128], v[123:124]
	s_waitcnt vmcnt(3)
	v_fma_f64 v[123:124], v[131:132], v[129:130], v[123:124]
	s_waitcnt vmcnt(2) lgkmcnt(0)
	v_fma_f64 v[123:124], v[149:150], v[125:126], v[123:124]
	s_waitcnt vmcnt(0)
	v_add_f64 v[123:124], v[153:154], -v[123:124]
	buffer_store_dword v124, off, s[0:3], 0 offset:84
	buffer_store_dword v123, off, s[0:3], 0 offset:80
	v_cmpx_lt_u32_e32 9, v0
	s_cbranch_execz .LBB59_351
; %bb.350:
	s_clause 0x1
	buffer_load_dword v123, off, s[0:3], 0 offset:72
	buffer_load_dword v124, off, s[0:3], 0 offset:76
	buffer_store_dword v122, off, s[0:3], 0 offset:72
	buffer_store_dword v122, off, s[0:3], 0 offset:76
	s_waitcnt vmcnt(0)
	ds_write_b64 v121, v[123:124]
.LBB59_351:
	s_or_b32 exec_lo, exec_lo, s4
	s_waitcnt lgkmcnt(0)
	s_waitcnt_vscnt null, 0x0
	s_barrier
	buffer_gl0_inv
	s_clause 0x1c
	buffer_load_dword v131, off, s[0:3], 0 offset:80
	buffer_load_dword v132, off, s[0:3], 0 offset:84
	buffer_load_dword v133, off, s[0:3], 0 offset:88
	buffer_load_dword v134, off, s[0:3], 0 offset:92
	buffer_load_dword v135, off, s[0:3], 0 offset:96
	buffer_load_dword v136, off, s[0:3], 0 offset:100
	buffer_load_dword v137, off, s[0:3], 0 offset:104
	buffer_load_dword v138, off, s[0:3], 0 offset:108
	buffer_load_dword v139, off, s[0:3], 0 offset:112
	buffer_load_dword v140, off, s[0:3], 0 offset:116
	buffer_load_dword v141, off, s[0:3], 0 offset:120
	buffer_load_dword v142, off, s[0:3], 0 offset:124
	buffer_load_dword v143, off, s[0:3], 0 offset:128
	buffer_load_dword v144, off, s[0:3], 0 offset:132
	buffer_load_dword v146, off, s[0:3], 0 offset:140
	buffer_load_dword v147, off, s[0:3], 0 offset:160
	buffer_load_dword v149, off, s[0:3], 0 offset:152
	buffer_load_dword v151, off, s[0:3], 0 offset:144
	buffer_load_dword v145, off, s[0:3], 0 offset:136
	buffer_load_dword v152, off, s[0:3], 0 offset:148
	buffer_load_dword v150, off, s[0:3], 0 offset:156
	buffer_load_dword v148, off, s[0:3], 0 offset:164
	buffer_load_dword v154, off, s[0:3], 0 offset:172
	buffer_load_dword v155, off, s[0:3], 0 offset:192
	buffer_load_dword v157, off, s[0:3], 0 offset:184
	buffer_load_dword v159, off, s[0:3], 0 offset:176
	buffer_load_dword v153, off, s[0:3], 0 offset:168
	buffer_load_dword v160, off, s[0:3], 0 offset:180
	buffer_load_dword v158, off, s[0:3], 0 offset:188
	ds_read_b128 v[123:126], v122 offset:560
	ds_read_b128 v[127:130], v122 offset:576
	buffer_load_dword v156, off, s[0:3], 0 offset:196
	s_mov_b32 s4, exec_lo
	s_waitcnt vmcnt(28) lgkmcnt(1)
	v_fma_f64 v[123:124], v[131:132], v[123:124], 0
	s_clause 0x7
	buffer_load_dword v132, off, s[0:3], 0 offset:204
	buffer_load_dword v161, off, s[0:3], 0 offset:224
	buffer_load_dword v163, off, s[0:3], 0 offset:216
	buffer_load_dword v165, off, s[0:3], 0 offset:208
	buffer_load_dword v131, off, s[0:3], 0 offset:200
	buffer_load_dword v166, off, s[0:3], 0 offset:212
	buffer_load_dword v164, off, s[0:3], 0 offset:220
	buffer_load_dword v162, off, s[0:3], 0 offset:228
	s_waitcnt vmcnt(34)
	v_fma_f64 v[123:124], v[133:134], v[125:126], v[123:124]
	s_waitcnt vmcnt(32) lgkmcnt(0)
	v_fma_f64 v[123:124], v[135:136], v[127:128], v[123:124]
	s_waitcnt vmcnt(30)
	v_fma_f64 v[133:134], v[137:138], v[129:130], v[123:124]
	ds_read_b128 v[123:126], v122 offset:592
	ds_read_b128 v[127:130], v122 offset:608
	s_waitcnt vmcnt(28) lgkmcnt(1)
	v_fma_f64 v[123:124], v[139:140], v[123:124], v[133:134]
	s_clause 0x7
	buffer_load_dword v134, off, s[0:3], 0 offset:236
	buffer_load_dword v135, off, s[0:3], 0 offset:256
	buffer_load_dword v137, off, s[0:3], 0 offset:248
	buffer_load_dword v139, off, s[0:3], 0 offset:240
	buffer_load_dword v133, off, s[0:3], 0 offset:232
	buffer_load_dword v140, off, s[0:3], 0 offset:244
	buffer_load_dword v138, off, s[0:3], 0 offset:252
	buffer_load_dword v136, off, s[0:3], 0 offset:260
	s_waitcnt vmcnt(34)
	v_fma_f64 v[123:124], v[141:142], v[125:126], v[123:124]
	s_waitcnt vmcnt(32) lgkmcnt(0)
	v_fma_f64 v[123:124], v[143:144], v[127:128], v[123:124]
	s_waitcnt vmcnt(27)
	v_fma_f64 v[141:142], v[145:146], v[129:130], v[123:124]
	ds_read_b128 v[123:126], v122 offset:624
	ds_read_b128 v[127:130], v122 offset:640
	;; [unrolled: 19-line block ×8, first 2 shown]
	s_waitcnt vmcnt(26) lgkmcnt(1)
	v_fma_f64 v[123:124], v[165:166], v[123:124], v[131:132]
	s_clause 0x5
	buffer_load_dword v132, off, s[0:3], 0 offset:460
	buffer_load_dword v149, off, s[0:3], 0 offset:472
	;; [unrolled: 1-line block ×6, first 2 shown]
	s_waitcnt vmcnt(31)
	v_fma_f64 v[123:124], v[157:158], v[125:126], v[123:124]
	s_waitcnt vmcnt(30) lgkmcnt(0)
	v_fma_f64 v[123:124], v[155:156], v[127:128], v[123:124]
	s_waitcnt vmcnt(25)
	v_fma_f64 v[133:134], v[133:134], v[129:130], v[123:124]
	ds_read_b128 v[123:126], v122 offset:848
	s_clause 0x1
	buffer_load_dword v155, off, s[0:3], 0 offset:72
	buffer_load_dword v156, off, s[0:3], 0 offset:76
	ds_read_b128 v[127:130], v122 offset:864
	s_waitcnt vmcnt(26) lgkmcnt(1)
	v_fma_f64 v[123:124], v[163:164], v[123:124], v[133:134]
	s_waitcnt vmcnt(25)
	v_fma_f64 v[123:124], v[161:162], v[125:126], v[123:124]
	s_waitcnt vmcnt(24) lgkmcnt(0)
	v_fma_f64 v[123:124], v[139:140], v[127:128], v[123:124]
	s_waitcnt vmcnt(19)
	v_fma_f64 v[133:134], v[135:136], v[129:130], v[123:124]
	ds_read_b128 v[123:126], v122 offset:880
	ds_read_b128 v[127:130], v122 offset:896
	s_waitcnt vmcnt(18) lgkmcnt(1)
	v_fma_f64 v[123:124], v[151:152], v[123:124], v[133:134]
	s_waitcnt vmcnt(17)
	v_fma_f64 v[123:124], v[141:142], v[125:126], v[123:124]
	s_waitcnt vmcnt(16) lgkmcnt(0)
	v_fma_f64 v[123:124], v[137:138], v[127:128], v[123:124]
	s_waitcnt vmcnt(11)
	v_fma_f64 v[133:134], v[143:144], v[129:130], v[123:124]
	ds_read_b128 v[123:126], v122 offset:912
	;; [unrolled: 10-line block ×3, first 2 shown]
	s_waitcnt vmcnt(3) lgkmcnt(0)
	v_fma_f64 v[122:123], v[153:154], v[122:123], v[126:127]
	s_waitcnt vmcnt(2)
	v_fma_f64 v[122:123], v[149:150], v[124:125], v[122:123]
	s_waitcnt vmcnt(0)
	v_add_f64 v[122:123], v[155:156], -v[122:123]
	buffer_store_dword v123, off, s[0:3], 0 offset:76
	buffer_store_dword v122, off, s[0:3], 0 offset:72
	v_cmpx_lt_u32_e32 8, v0
	s_cbranch_execz .LBB59_353
; %bb.352:
	s_clause 0x1
	buffer_load_dword v122, off, s[0:3], 0 offset:64
	buffer_load_dword v123, off, s[0:3], 0 offset:68
	v_mov_b32_e32 v124, 0
	buffer_store_dword v124, off, s[0:3], 0 offset:64
	buffer_store_dword v124, off, s[0:3], 0 offset:68
	s_waitcnt vmcnt(0)
	ds_write_b64 v121, v[122:123]
.LBB59_353:
	s_or_b32 exec_lo, exec_lo, s4
	s_waitcnt lgkmcnt(0)
	s_waitcnt_vscnt null, 0x0
	s_barrier
	buffer_gl0_inv
	s_clause 0x1c
	buffer_load_dword v131, off, s[0:3], 0 offset:72
	buffer_load_dword v132, off, s[0:3], 0 offset:76
	;; [unrolled: 1-line block ×29, first 2 shown]
	v_mov_b32_e32 v122, 0
	buffer_load_dword v156, off, s[0:3], 0 offset:188
	s_mov_b32 s4, exec_lo
	ds_read2_b64 v[123:126], v122 offset0:69 offset1:70
	ds_read2_b64 v[127:130], v122 offset0:71 offset1:72
	s_waitcnt vmcnt(28) lgkmcnt(1)
	v_fma_f64 v[123:124], v[131:132], v[123:124], 0
	s_clause 0x7
	buffer_load_dword v132, off, s[0:3], 0 offset:196
	buffer_load_dword v161, off, s[0:3], 0 offset:216
	buffer_load_dword v163, off, s[0:3], 0 offset:208
	buffer_load_dword v165, off, s[0:3], 0 offset:200
	buffer_load_dword v131, off, s[0:3], 0 offset:192
	buffer_load_dword v166, off, s[0:3], 0 offset:204
	buffer_load_dword v164, off, s[0:3], 0 offset:212
	buffer_load_dword v162, off, s[0:3], 0 offset:220
	s_waitcnt vmcnt(34)
	v_fma_f64 v[123:124], v[133:134], v[125:126], v[123:124]
	s_waitcnt vmcnt(32) lgkmcnt(0)
	v_fma_f64 v[123:124], v[135:136], v[127:128], v[123:124]
	s_waitcnt vmcnt(30)
	v_fma_f64 v[133:134], v[137:138], v[129:130], v[123:124]
	ds_read2_b64 v[123:126], v122 offset0:73 offset1:74
	ds_read2_b64 v[127:130], v122 offset0:75 offset1:76
	s_waitcnt vmcnt(28) lgkmcnt(1)
	v_fma_f64 v[123:124], v[139:140], v[123:124], v[133:134]
	s_clause 0x7
	buffer_load_dword v134, off, s[0:3], 0 offset:228
	buffer_load_dword v135, off, s[0:3], 0 offset:248
	buffer_load_dword v137, off, s[0:3], 0 offset:240
	buffer_load_dword v139, off, s[0:3], 0 offset:232
	buffer_load_dword v133, off, s[0:3], 0 offset:224
	buffer_load_dword v140, off, s[0:3], 0 offset:236
	buffer_load_dword v138, off, s[0:3], 0 offset:244
	buffer_load_dword v136, off, s[0:3], 0 offset:252
	s_waitcnt vmcnt(34)
	v_fma_f64 v[123:124], v[141:142], v[125:126], v[123:124]
	s_waitcnt vmcnt(32) lgkmcnt(0)
	v_fma_f64 v[123:124], v[143:144], v[127:128], v[123:124]
	s_waitcnt vmcnt(27)
	v_fma_f64 v[141:142], v[145:146], v[129:130], v[123:124]
	;; [unrolled: 19-line block ×9, first 2 shown]
	ds_read2_b64 v[123:126], v122 offset0:105 offset1:106
	ds_read2_b64 v[127:130], v122 offset0:107 offset1:108
	s_waitcnt vmcnt(26) lgkmcnt(1)
	v_fma_f64 v[123:124], v[163:164], v[123:124], v[133:134]
	s_clause 0x1
	buffer_load_dword v133, off, s[0:3], 0 offset:64
	buffer_load_dword v134, off, s[0:3], 0 offset:68
	s_waitcnt vmcnt(27)
	v_fma_f64 v[123:124], v[161:162], v[125:126], v[123:124]
	s_waitcnt vmcnt(26) lgkmcnt(0)
	v_fma_f64 v[123:124], v[139:140], v[127:128], v[123:124]
	s_waitcnt vmcnt(21)
	v_fma_f64 v[135:136], v[135:136], v[129:130], v[123:124]
	ds_read2_b64 v[123:126], v122 offset0:109 offset1:110
	ds_read2_b64 v[127:130], v122 offset0:111 offset1:112
	s_waitcnt vmcnt(20) lgkmcnt(1)
	v_fma_f64 v[123:124], v[151:152], v[123:124], v[135:136]
	s_waitcnt vmcnt(19)
	v_fma_f64 v[123:124], v[141:142], v[125:126], v[123:124]
	s_waitcnt vmcnt(18) lgkmcnt(0)
	v_fma_f64 v[123:124], v[137:138], v[127:128], v[123:124]
	s_waitcnt vmcnt(13)
	v_fma_f64 v[135:136], v[143:144], v[129:130], v[123:124]
	ds_read2_b64 v[123:126], v122 offset0:113 offset1:114
	ds_read2_b64 v[127:130], v122 offset0:115 offset1:116
	s_waitcnt vmcnt(12) lgkmcnt(1)
	v_fma_f64 v[123:124], v[159:160], v[123:124], v[135:136]
	s_waitcnt vmcnt(11)
	v_fma_f64 v[123:124], v[147:148], v[125:126], v[123:124]
	s_waitcnt vmcnt(10) lgkmcnt(0)
	v_fma_f64 v[123:124], v[145:146], v[127:128], v[123:124]
	s_waitcnt vmcnt(5)
	v_fma_f64 v[127:128], v[131:132], v[129:130], v[123:124]
	ds_read2_b64 v[123:126], v122 offset0:117 offset1:118
	ds_read_b64 v[129:130], v122 offset:952
	s_waitcnt vmcnt(4) lgkmcnt(1)
	v_fma_f64 v[123:124], v[165:166], v[123:124], v[127:128]
	s_waitcnt vmcnt(3)
	v_fma_f64 v[123:124], v[153:154], v[125:126], v[123:124]
	s_waitcnt vmcnt(2) lgkmcnt(0)
	v_fma_f64 v[123:124], v[149:150], v[129:130], v[123:124]
	s_waitcnt vmcnt(0)
	v_add_f64 v[123:124], v[133:134], -v[123:124]
	buffer_store_dword v124, off, s[0:3], 0 offset:68
	buffer_store_dword v123, off, s[0:3], 0 offset:64
	v_cmpx_lt_u32_e32 7, v0
	s_cbranch_execz .LBB59_355
; %bb.354:
	s_clause 0x1
	buffer_load_dword v123, off, s[0:3], 0 offset:56
	buffer_load_dword v124, off, s[0:3], 0 offset:60
	buffer_store_dword v122, off, s[0:3], 0 offset:56
	buffer_store_dword v122, off, s[0:3], 0 offset:60
	s_waitcnt vmcnt(0)
	ds_write_b64 v121, v[123:124]
.LBB59_355:
	s_or_b32 exec_lo, exec_lo, s4
	s_waitcnt lgkmcnt(0)
	s_waitcnt_vscnt null, 0x0
	s_barrier
	buffer_gl0_inv
	s_clause 0x1c
	buffer_load_dword v131, off, s[0:3], 0 offset:64
	buffer_load_dword v132, off, s[0:3], 0 offset:68
	;; [unrolled: 1-line block ×29, first 2 shown]
	ds_read_b128 v[123:126], v122 offset:544
	ds_read_b128 v[127:130], v122 offset:560
	buffer_load_dword v156, off, s[0:3], 0 offset:180
	s_mov_b32 s4, exec_lo
	s_waitcnt vmcnt(28) lgkmcnt(1)
	v_fma_f64 v[123:124], v[131:132], v[123:124], 0
	s_clause 0x7
	buffer_load_dword v132, off, s[0:3], 0 offset:188
	buffer_load_dword v161, off, s[0:3], 0 offset:208
	buffer_load_dword v163, off, s[0:3], 0 offset:200
	buffer_load_dword v165, off, s[0:3], 0 offset:192
	buffer_load_dword v131, off, s[0:3], 0 offset:184
	buffer_load_dword v166, off, s[0:3], 0 offset:196
	buffer_load_dword v164, off, s[0:3], 0 offset:204
	buffer_load_dword v162, off, s[0:3], 0 offset:212
	s_waitcnt vmcnt(34)
	v_fma_f64 v[123:124], v[133:134], v[125:126], v[123:124]
	s_waitcnt vmcnt(32) lgkmcnt(0)
	v_fma_f64 v[123:124], v[135:136], v[127:128], v[123:124]
	s_waitcnt vmcnt(30)
	v_fma_f64 v[133:134], v[137:138], v[129:130], v[123:124]
	ds_read_b128 v[123:126], v122 offset:576
	ds_read_b128 v[127:130], v122 offset:592
	s_waitcnt vmcnt(28) lgkmcnt(1)
	v_fma_f64 v[123:124], v[139:140], v[123:124], v[133:134]
	s_clause 0x7
	buffer_load_dword v134, off, s[0:3], 0 offset:220
	buffer_load_dword v135, off, s[0:3], 0 offset:240
	buffer_load_dword v137, off, s[0:3], 0 offset:232
	buffer_load_dword v139, off, s[0:3], 0 offset:224
	buffer_load_dword v133, off, s[0:3], 0 offset:216
	buffer_load_dword v140, off, s[0:3], 0 offset:228
	buffer_load_dword v138, off, s[0:3], 0 offset:236
	buffer_load_dword v136, off, s[0:3], 0 offset:244
	s_waitcnt vmcnt(34)
	v_fma_f64 v[123:124], v[141:142], v[125:126], v[123:124]
	s_waitcnt vmcnt(32) lgkmcnt(0)
	v_fma_f64 v[123:124], v[143:144], v[127:128], v[123:124]
	s_waitcnt vmcnt(27)
	v_fma_f64 v[141:142], v[145:146], v[129:130], v[123:124]
	ds_read_b128 v[123:126], v122 offset:608
	ds_read_b128 v[127:130], v122 offset:624
	s_waitcnt vmcnt(26) lgkmcnt(1)
	v_fma_f64 v[123:124], v[151:152], v[123:124], v[141:142]
	s_clause 0x7
	buffer_load_dword v142, off, s[0:3], 0 offset:252
	buffer_load_dword v143, off, s[0:3], 0 offset:272
	buffer_load_dword v145, off, s[0:3], 0 offset:264
	buffer_load_dword v151, off, s[0:3], 0 offset:256
	buffer_load_dword v141, off, s[0:3], 0 offset:248
	buffer_load_dword v152, off, s[0:3], 0 offset:260
	buffer_load_dword v146, off, s[0:3], 0 offset:268
	buffer_load_dword v144, off, s[0:3], 0 offset:276
	s_waitcnt vmcnt(33)
	v_fma_f64 v[123:124], v[149:150], v[125:126], v[123:124]
	s_waitcnt vmcnt(32) lgkmcnt(0)
	v_fma_f64 v[123:124], v[147:148], v[127:128], v[123:124]
	s_waitcnt vmcnt(27)
	v_fma_f64 v[147:148], v[153:154], v[129:130], v[123:124]
	ds_read_b128 v[123:126], v122 offset:640
	ds_read_b128 v[127:130], v122 offset:656
	s_waitcnt vmcnt(26) lgkmcnt(1)
	v_fma_f64 v[123:124], v[159:160], v[123:124], v[147:148]
	s_clause 0x7
	buffer_load_dword v148, off, s[0:3], 0 offset:284
	buffer_load_dword v149, off, s[0:3], 0 offset:304
	buffer_load_dword v153, off, s[0:3], 0 offset:296
	buffer_load_dword v159, off, s[0:3], 0 offset:288
	buffer_load_dword v147, off, s[0:3], 0 offset:280
	buffer_load_dword v160, off, s[0:3], 0 offset:292
	buffer_load_dword v154, off, s[0:3], 0 offset:300
	buffer_load_dword v150, off, s[0:3], 0 offset:308
	s_waitcnt vmcnt(33)
	v_fma_f64 v[123:124], v[157:158], v[125:126], v[123:124]
	s_waitcnt vmcnt(32) lgkmcnt(0)
	v_fma_f64 v[123:124], v[155:156], v[127:128], v[123:124]
	s_waitcnt vmcnt(27)
	v_fma_f64 v[131:132], v[131:132], v[129:130], v[123:124]
	ds_read_b128 v[123:126], v122 offset:672
	ds_read_b128 v[127:130], v122 offset:688
	s_waitcnt vmcnt(26) lgkmcnt(1)
	v_fma_f64 v[123:124], v[165:166], v[123:124], v[131:132]
	s_clause 0x7
	buffer_load_dword v132, off, s[0:3], 0 offset:316
	buffer_load_dword v155, off, s[0:3], 0 offset:336
	buffer_load_dword v157, off, s[0:3], 0 offset:328
	buffer_load_dword v165, off, s[0:3], 0 offset:320
	buffer_load_dword v131, off, s[0:3], 0 offset:312
	buffer_load_dword v166, off, s[0:3], 0 offset:324
	buffer_load_dword v158, off, s[0:3], 0 offset:332
	buffer_load_dword v156, off, s[0:3], 0 offset:340
	s_waitcnt vmcnt(33)
	v_fma_f64 v[123:124], v[163:164], v[125:126], v[123:124]
	s_waitcnt vmcnt(32) lgkmcnt(0)
	v_fma_f64 v[123:124], v[161:162], v[127:128], v[123:124]
	s_waitcnt vmcnt(27)
	v_fma_f64 v[133:134], v[133:134], v[129:130], v[123:124]
	ds_read_b128 v[123:126], v122 offset:704
	ds_read_b128 v[127:130], v122 offset:720
	s_waitcnt vmcnt(26) lgkmcnt(1)
	v_fma_f64 v[123:124], v[139:140], v[123:124], v[133:134]
	s_clause 0x7
	buffer_load_dword v134, off, s[0:3], 0 offset:348
	buffer_load_dword v139, off, s[0:3], 0 offset:368
	buffer_load_dword v161, off, s[0:3], 0 offset:360
	buffer_load_dword v163, off, s[0:3], 0 offset:352
	buffer_load_dword v133, off, s[0:3], 0 offset:344
	buffer_load_dword v164, off, s[0:3], 0 offset:356
	buffer_load_dword v162, off, s[0:3], 0 offset:364
	buffer_load_dword v140, off, s[0:3], 0 offset:372
	s_waitcnt vmcnt(33)
	v_fma_f64 v[123:124], v[137:138], v[125:126], v[123:124]
	s_waitcnt vmcnt(32) lgkmcnt(0)
	v_fma_f64 v[123:124], v[135:136], v[127:128], v[123:124]
	s_waitcnt vmcnt(27)
	v_fma_f64 v[135:136], v[141:142], v[129:130], v[123:124]
	ds_read_b128 v[123:126], v122 offset:736
	ds_read_b128 v[127:130], v122 offset:752
	s_waitcnt vmcnt(26) lgkmcnt(1)
	v_fma_f64 v[123:124], v[151:152], v[123:124], v[135:136]
	s_clause 0x7
	buffer_load_dword v136, off, s[0:3], 0 offset:380
	buffer_load_dword v137, off, s[0:3], 0 offset:400
	buffer_load_dword v141, off, s[0:3], 0 offset:392
	buffer_load_dword v151, off, s[0:3], 0 offset:384
	buffer_load_dword v135, off, s[0:3], 0 offset:376
	buffer_load_dword v152, off, s[0:3], 0 offset:388
	buffer_load_dword v142, off, s[0:3], 0 offset:396
	buffer_load_dword v138, off, s[0:3], 0 offset:404
	s_waitcnt vmcnt(33)
	v_fma_f64 v[123:124], v[145:146], v[125:126], v[123:124]
	s_waitcnt vmcnt(32) lgkmcnt(0)
	v_fma_f64 v[123:124], v[143:144], v[127:128], v[123:124]
	s_waitcnt vmcnt(27)
	v_fma_f64 v[143:144], v[147:148], v[129:130], v[123:124]
	ds_read_b128 v[123:126], v122 offset:768
	ds_read_b128 v[127:130], v122 offset:784
	s_waitcnt vmcnt(26) lgkmcnt(1)
	v_fma_f64 v[123:124], v[159:160], v[123:124], v[143:144]
	s_clause 0x7
	buffer_load_dword v144, off, s[0:3], 0 offset:412
	buffer_load_dword v145, off, s[0:3], 0 offset:432
	buffer_load_dword v147, off, s[0:3], 0 offset:424
	buffer_load_dword v159, off, s[0:3], 0 offset:416
	buffer_load_dword v143, off, s[0:3], 0 offset:408
	buffer_load_dword v160, off, s[0:3], 0 offset:420
	buffer_load_dword v148, off, s[0:3], 0 offset:428
	buffer_load_dword v146, off, s[0:3], 0 offset:436
	s_waitcnt vmcnt(33)
	v_fma_f64 v[123:124], v[153:154], v[125:126], v[123:124]
	s_waitcnt vmcnt(32) lgkmcnt(0)
	v_fma_f64 v[123:124], v[149:150], v[127:128], v[123:124]
	s_waitcnt vmcnt(27)
	v_fma_f64 v[131:132], v[131:132], v[129:130], v[123:124]
	ds_read_b128 v[123:126], v122 offset:800
	ds_read_b128 v[127:130], v122 offset:816
	s_waitcnt vmcnt(26) lgkmcnt(1)
	v_fma_f64 v[123:124], v[165:166], v[123:124], v[131:132]
	s_clause 0x7
	buffer_load_dword v132, off, s[0:3], 0 offset:444
	buffer_load_dword v149, off, s[0:3], 0 offset:464
	buffer_load_dword v153, off, s[0:3], 0 offset:456
	buffer_load_dword v165, off, s[0:3], 0 offset:448
	buffer_load_dword v131, off, s[0:3], 0 offset:440
	buffer_load_dword v166, off, s[0:3], 0 offset:452
	buffer_load_dword v154, off, s[0:3], 0 offset:460
	buffer_load_dword v150, off, s[0:3], 0 offset:468
	s_waitcnt vmcnt(33)
	v_fma_f64 v[123:124], v[157:158], v[125:126], v[123:124]
	s_waitcnt vmcnt(32) lgkmcnt(0)
	v_fma_f64 v[123:124], v[155:156], v[127:128], v[123:124]
	s_waitcnt vmcnt(27)
	v_fma_f64 v[133:134], v[133:134], v[129:130], v[123:124]
	ds_read_b128 v[123:126], v122 offset:832
	ds_read_b128 v[127:130], v122 offset:848
	s_waitcnt vmcnt(26) lgkmcnt(1)
	v_fma_f64 v[123:124], v[163:164], v[123:124], v[133:134]
	s_clause 0x3
	buffer_load_dword v134, off, s[0:3], 0 offset:476
	buffer_load_dword v133, off, s[0:3], 0 offset:472
	;; [unrolled: 1-line block ×4, first 2 shown]
	s_waitcnt vmcnt(29)
	v_fma_f64 v[123:124], v[161:162], v[125:126], v[123:124]
	s_waitcnt vmcnt(28) lgkmcnt(0)
	v_fma_f64 v[123:124], v[139:140], v[127:128], v[123:124]
	s_waitcnt vmcnt(23)
	v_fma_f64 v[135:136], v[135:136], v[129:130], v[123:124]
	ds_read_b128 v[123:126], v122 offset:864
	ds_read_b128 v[127:130], v122 offset:880
	s_waitcnt vmcnt(22) lgkmcnt(1)
	v_fma_f64 v[123:124], v[151:152], v[123:124], v[135:136]
	s_waitcnt vmcnt(21)
	v_fma_f64 v[123:124], v[141:142], v[125:126], v[123:124]
	s_waitcnt vmcnt(20) lgkmcnt(0)
	v_fma_f64 v[123:124], v[137:138], v[127:128], v[123:124]
	s_waitcnt vmcnt(15)
	v_fma_f64 v[135:136], v[143:144], v[129:130], v[123:124]
	ds_read_b128 v[123:126], v122 offset:896
	ds_read_b128 v[127:130], v122 offset:912
	s_waitcnt vmcnt(14) lgkmcnt(1)
	v_fma_f64 v[123:124], v[159:160], v[123:124], v[135:136]
	;; [unrolled: 10-line block ×3, first 2 shown]
	s_waitcnt vmcnt(5)
	v_fma_f64 v[122:123], v[153:154], v[125:126], v[122:123]
	s_waitcnt vmcnt(4) lgkmcnt(0)
	v_fma_f64 v[122:123], v[149:150], v[127:128], v[122:123]
	s_waitcnt vmcnt(2)
	v_fma_f64 v[122:123], v[133:134], v[129:130], v[122:123]
	s_waitcnt vmcnt(0)
	v_add_f64 v[122:123], v[155:156], -v[122:123]
	buffer_store_dword v123, off, s[0:3], 0 offset:60
	buffer_store_dword v122, off, s[0:3], 0 offset:56
	v_cmpx_lt_u32_e32 6, v0
	s_cbranch_execz .LBB59_357
; %bb.356:
	s_clause 0x1
	buffer_load_dword v122, off, s[0:3], 0 offset:48
	buffer_load_dword v123, off, s[0:3], 0 offset:52
	v_mov_b32_e32 v124, 0
	buffer_store_dword v124, off, s[0:3], 0 offset:48
	buffer_store_dword v124, off, s[0:3], 0 offset:52
	s_waitcnt vmcnt(0)
	ds_write_b64 v121, v[122:123]
.LBB59_357:
	s_or_b32 exec_lo, exec_lo, s4
	s_waitcnt lgkmcnt(0)
	s_waitcnt_vscnt null, 0x0
	s_barrier
	buffer_gl0_inv
	s_clause 0x1c
	buffer_load_dword v131, off, s[0:3], 0 offset:56
	buffer_load_dword v132, off, s[0:3], 0 offset:60
	;; [unrolled: 1-line block ×29, first 2 shown]
	v_mov_b32_e32 v122, 0
	buffer_load_dword v156, off, s[0:3], 0 offset:172
	s_mov_b32 s4, exec_lo
	ds_read2_b64 v[123:126], v122 offset0:67 offset1:68
	ds_read2_b64 v[127:130], v122 offset0:69 offset1:70
	s_waitcnt vmcnt(28) lgkmcnt(1)
	v_fma_f64 v[123:124], v[131:132], v[123:124], 0
	s_clause 0x7
	buffer_load_dword v132, off, s[0:3], 0 offset:180
	buffer_load_dword v161, off, s[0:3], 0 offset:200
	buffer_load_dword v163, off, s[0:3], 0 offset:192
	buffer_load_dword v165, off, s[0:3], 0 offset:184
	buffer_load_dword v131, off, s[0:3], 0 offset:176
	buffer_load_dword v166, off, s[0:3], 0 offset:188
	buffer_load_dword v164, off, s[0:3], 0 offset:196
	buffer_load_dword v162, off, s[0:3], 0 offset:204
	s_waitcnt vmcnt(34)
	v_fma_f64 v[123:124], v[133:134], v[125:126], v[123:124]
	s_waitcnt vmcnt(32) lgkmcnt(0)
	v_fma_f64 v[123:124], v[135:136], v[127:128], v[123:124]
	s_waitcnt vmcnt(30)
	v_fma_f64 v[133:134], v[137:138], v[129:130], v[123:124]
	ds_read2_b64 v[123:126], v122 offset0:71 offset1:72
	ds_read2_b64 v[127:130], v122 offset0:73 offset1:74
	s_waitcnt vmcnt(28) lgkmcnt(1)
	v_fma_f64 v[123:124], v[139:140], v[123:124], v[133:134]
	s_clause 0x7
	buffer_load_dword v134, off, s[0:3], 0 offset:212
	buffer_load_dword v135, off, s[0:3], 0 offset:232
	buffer_load_dword v137, off, s[0:3], 0 offset:224
	buffer_load_dword v139, off, s[0:3], 0 offset:216
	buffer_load_dword v133, off, s[0:3], 0 offset:208
	buffer_load_dword v140, off, s[0:3], 0 offset:220
	buffer_load_dword v138, off, s[0:3], 0 offset:228
	buffer_load_dword v136, off, s[0:3], 0 offset:236
	s_waitcnt vmcnt(34)
	v_fma_f64 v[123:124], v[141:142], v[125:126], v[123:124]
	s_waitcnt vmcnt(32) lgkmcnt(0)
	v_fma_f64 v[123:124], v[143:144], v[127:128], v[123:124]
	s_waitcnt vmcnt(27)
	v_fma_f64 v[141:142], v[145:146], v[129:130], v[123:124]
	;; [unrolled: 19-line block ×9, first 2 shown]
	ds_read2_b64 v[123:126], v122 offset0:103 offset1:104
	ds_read2_b64 v[127:130], v122 offset0:105 offset1:106
	s_waitcnt vmcnt(26) lgkmcnt(1)
	v_fma_f64 v[123:124], v[163:164], v[123:124], v[133:134]
	s_clause 0x3
	buffer_load_dword v134, off, s[0:3], 0 offset:468
	buffer_load_dword v155, off, s[0:3], 0 offset:472
	;; [unrolled: 1-line block ×4, first 2 shown]
	s_waitcnt vmcnt(29)
	v_fma_f64 v[123:124], v[161:162], v[125:126], v[123:124]
	s_waitcnt vmcnt(28) lgkmcnt(0)
	v_fma_f64 v[123:124], v[139:140], v[127:128], v[123:124]
	s_clause 0x1
	buffer_load_dword v139, off, s[0:3], 0 offset:48
	buffer_load_dword v140, off, s[0:3], 0 offset:52
	s_waitcnt vmcnt(25)
	v_fma_f64 v[135:136], v[135:136], v[129:130], v[123:124]
	ds_read2_b64 v[123:126], v122 offset0:107 offset1:108
	ds_read2_b64 v[127:130], v122 offset0:109 offset1:110
	s_waitcnt vmcnt(24) lgkmcnt(1)
	v_fma_f64 v[123:124], v[151:152], v[123:124], v[135:136]
	s_waitcnt vmcnt(23)
	v_fma_f64 v[123:124], v[141:142], v[125:126], v[123:124]
	s_waitcnt vmcnt(22) lgkmcnt(0)
	v_fma_f64 v[123:124], v[137:138], v[127:128], v[123:124]
	s_waitcnt vmcnt(17)
	v_fma_f64 v[135:136], v[143:144], v[129:130], v[123:124]
	ds_read2_b64 v[123:126], v122 offset0:111 offset1:112
	ds_read2_b64 v[127:130], v122 offset0:113 offset1:114
	s_waitcnt vmcnt(16) lgkmcnt(1)
	v_fma_f64 v[123:124], v[159:160], v[123:124], v[135:136]
	s_waitcnt vmcnt(15)
	v_fma_f64 v[123:124], v[147:148], v[125:126], v[123:124]
	s_waitcnt vmcnt(14) lgkmcnt(0)
	v_fma_f64 v[123:124], v[145:146], v[127:128], v[123:124]
	s_waitcnt vmcnt(9)
	v_fma_f64 v[131:132], v[131:132], v[129:130], v[123:124]
	ds_read2_b64 v[123:126], v122 offset0:115 offset1:116
	ds_read2_b64 v[127:130], v122 offset0:117 offset1:118
	s_waitcnt vmcnt(8) lgkmcnt(1)
	v_fma_f64 v[123:124], v[165:166], v[123:124], v[131:132]
	s_waitcnt vmcnt(7)
	v_fma_f64 v[123:124], v[153:154], v[125:126], v[123:124]
	ds_read_b64 v[125:126], v122 offset:952
	s_waitcnt vmcnt(6) lgkmcnt(1)
	v_fma_f64 v[123:124], v[149:150], v[127:128], v[123:124]
	s_waitcnt vmcnt(3)
	v_fma_f64 v[123:124], v[133:134], v[129:130], v[123:124]
	s_waitcnt vmcnt(2) lgkmcnt(0)
	v_fma_f64 v[123:124], v[155:156], v[125:126], v[123:124]
	s_waitcnt vmcnt(0)
	v_add_f64 v[123:124], v[139:140], -v[123:124]
	buffer_store_dword v124, off, s[0:3], 0 offset:52
	buffer_store_dword v123, off, s[0:3], 0 offset:48
	v_cmpx_lt_u32_e32 5, v0
	s_cbranch_execz .LBB59_359
; %bb.358:
	s_clause 0x1
	buffer_load_dword v123, off, s[0:3], 0 offset:40
	buffer_load_dword v124, off, s[0:3], 0 offset:44
	buffer_store_dword v122, off, s[0:3], 0 offset:40
	buffer_store_dword v122, off, s[0:3], 0 offset:44
	s_waitcnt vmcnt(0)
	ds_write_b64 v121, v[123:124]
.LBB59_359:
	s_or_b32 exec_lo, exec_lo, s4
	s_waitcnt lgkmcnt(0)
	s_waitcnt_vscnt null, 0x0
	s_barrier
	buffer_gl0_inv
	s_clause 0x1c
	buffer_load_dword v131, off, s[0:3], 0 offset:48
	buffer_load_dword v132, off, s[0:3], 0 offset:52
	;; [unrolled: 1-line block ×29, first 2 shown]
	ds_read_b128 v[123:126], v122 offset:528
	ds_read_b128 v[127:130], v122 offset:544
	buffer_load_dword v156, off, s[0:3], 0 offset:164
	s_mov_b32 s4, exec_lo
	s_waitcnt vmcnt(28) lgkmcnt(1)
	v_fma_f64 v[123:124], v[131:132], v[123:124], 0
	s_clause 0x7
	buffer_load_dword v132, off, s[0:3], 0 offset:172
	buffer_load_dword v161, off, s[0:3], 0 offset:192
	buffer_load_dword v163, off, s[0:3], 0 offset:184
	buffer_load_dword v165, off, s[0:3], 0 offset:176
	buffer_load_dword v131, off, s[0:3], 0 offset:168
	buffer_load_dword v166, off, s[0:3], 0 offset:180
	buffer_load_dword v164, off, s[0:3], 0 offset:188
	buffer_load_dword v162, off, s[0:3], 0 offset:196
	s_waitcnt vmcnt(34)
	v_fma_f64 v[123:124], v[133:134], v[125:126], v[123:124]
	s_waitcnt vmcnt(32) lgkmcnt(0)
	v_fma_f64 v[123:124], v[135:136], v[127:128], v[123:124]
	s_waitcnt vmcnt(30)
	v_fma_f64 v[133:134], v[137:138], v[129:130], v[123:124]
	ds_read_b128 v[123:126], v122 offset:560
	ds_read_b128 v[127:130], v122 offset:576
	s_waitcnt vmcnt(28) lgkmcnt(1)
	v_fma_f64 v[123:124], v[139:140], v[123:124], v[133:134]
	s_clause 0x7
	buffer_load_dword v134, off, s[0:3], 0 offset:204
	buffer_load_dword v135, off, s[0:3], 0 offset:224
	buffer_load_dword v137, off, s[0:3], 0 offset:216
	buffer_load_dword v139, off, s[0:3], 0 offset:208
	buffer_load_dword v133, off, s[0:3], 0 offset:200
	buffer_load_dword v140, off, s[0:3], 0 offset:212
	buffer_load_dword v138, off, s[0:3], 0 offset:220
	buffer_load_dword v136, off, s[0:3], 0 offset:228
	s_waitcnt vmcnt(34)
	v_fma_f64 v[123:124], v[141:142], v[125:126], v[123:124]
	s_waitcnt vmcnt(32) lgkmcnt(0)
	v_fma_f64 v[123:124], v[143:144], v[127:128], v[123:124]
	s_waitcnt vmcnt(27)
	v_fma_f64 v[141:142], v[145:146], v[129:130], v[123:124]
	ds_read_b128 v[123:126], v122 offset:592
	ds_read_b128 v[127:130], v122 offset:608
	;; [unrolled: 19-line block ×9, first 2 shown]
	s_waitcnt vmcnt(26) lgkmcnt(1)
	v_fma_f64 v[123:124], v[163:164], v[123:124], v[133:134]
	s_clause 0x5
	buffer_load_dword v134, off, s[0:3], 0 offset:460
	buffer_load_dword v155, off, s[0:3], 0 offset:472
	;; [unrolled: 1-line block ×6, first 2 shown]
	s_waitcnt vmcnt(31)
	v_fma_f64 v[123:124], v[161:162], v[125:126], v[123:124]
	s_waitcnt vmcnt(30) lgkmcnt(0)
	v_fma_f64 v[123:124], v[139:140], v[127:128], v[123:124]
	s_waitcnt vmcnt(25)
	v_fma_f64 v[135:136], v[135:136], v[129:130], v[123:124]
	ds_read_b128 v[123:126], v122 offset:848
	s_clause 0x1
	buffer_load_dword v139, off, s[0:3], 0 offset:40
	buffer_load_dword v140, off, s[0:3], 0 offset:44
	ds_read_b128 v[127:130], v122 offset:864
	s_waitcnt vmcnt(26) lgkmcnt(1)
	v_fma_f64 v[123:124], v[151:152], v[123:124], v[135:136]
	s_waitcnt vmcnt(25)
	v_fma_f64 v[123:124], v[141:142], v[125:126], v[123:124]
	s_waitcnt vmcnt(24) lgkmcnt(0)
	v_fma_f64 v[123:124], v[137:138], v[127:128], v[123:124]
	s_waitcnt vmcnt(19)
	v_fma_f64 v[135:136], v[143:144], v[129:130], v[123:124]
	ds_read_b128 v[123:126], v122 offset:880
	ds_read_b128 v[127:130], v122 offset:896
	s_waitcnt vmcnt(18) lgkmcnt(1)
	v_fma_f64 v[123:124], v[159:160], v[123:124], v[135:136]
	s_waitcnt vmcnt(17)
	v_fma_f64 v[123:124], v[147:148], v[125:126], v[123:124]
	s_waitcnt vmcnt(16) lgkmcnt(0)
	v_fma_f64 v[123:124], v[145:146], v[127:128], v[123:124]
	s_waitcnt vmcnt(11)
	v_fma_f64 v[131:132], v[131:132], v[129:130], v[123:124]
	ds_read_b128 v[123:126], v122 offset:912
	;; [unrolled: 10-line block ×3, first 2 shown]
	s_waitcnt vmcnt(3) lgkmcnt(0)
	v_fma_f64 v[122:123], v[157:158], v[122:123], v[126:127]
	s_waitcnt vmcnt(2)
	v_fma_f64 v[122:123], v[155:156], v[124:125], v[122:123]
	s_waitcnt vmcnt(0)
	v_add_f64 v[122:123], v[139:140], -v[122:123]
	buffer_store_dword v123, off, s[0:3], 0 offset:44
	buffer_store_dword v122, off, s[0:3], 0 offset:40
	v_cmpx_lt_u32_e32 4, v0
	s_cbranch_execz .LBB59_361
; %bb.360:
	s_clause 0x1
	buffer_load_dword v122, off, s[0:3], 0 offset:32
	buffer_load_dword v123, off, s[0:3], 0 offset:36
	v_mov_b32_e32 v124, 0
	buffer_store_dword v124, off, s[0:3], 0 offset:32
	buffer_store_dword v124, off, s[0:3], 0 offset:36
	s_waitcnt vmcnt(0)
	ds_write_b64 v121, v[122:123]
.LBB59_361:
	s_or_b32 exec_lo, exec_lo, s4
	s_waitcnt lgkmcnt(0)
	s_waitcnt_vscnt null, 0x0
	s_barrier
	buffer_gl0_inv
	s_clause 0x1c
	buffer_load_dword v131, off, s[0:3], 0 offset:40
	buffer_load_dword v132, off, s[0:3], 0 offset:44
	;; [unrolled: 1-line block ×29, first 2 shown]
	v_mov_b32_e32 v122, 0
	buffer_load_dword v156, off, s[0:3], 0 offset:156
	s_mov_b32 s4, exec_lo
	ds_read2_b64 v[123:126], v122 offset0:65 offset1:66
	ds_read2_b64 v[127:130], v122 offset0:67 offset1:68
	s_waitcnt vmcnt(28) lgkmcnt(1)
	v_fma_f64 v[123:124], v[131:132], v[123:124], 0
	s_clause 0x7
	buffer_load_dword v132, off, s[0:3], 0 offset:164
	buffer_load_dword v161, off, s[0:3], 0 offset:184
	buffer_load_dword v163, off, s[0:3], 0 offset:176
	buffer_load_dword v165, off, s[0:3], 0 offset:168
	buffer_load_dword v131, off, s[0:3], 0 offset:160
	buffer_load_dword v166, off, s[0:3], 0 offset:172
	buffer_load_dword v164, off, s[0:3], 0 offset:180
	buffer_load_dword v162, off, s[0:3], 0 offset:188
	s_waitcnt vmcnt(34)
	v_fma_f64 v[123:124], v[133:134], v[125:126], v[123:124]
	s_waitcnt vmcnt(32) lgkmcnt(0)
	v_fma_f64 v[123:124], v[135:136], v[127:128], v[123:124]
	s_waitcnt vmcnt(30)
	v_fma_f64 v[133:134], v[137:138], v[129:130], v[123:124]
	ds_read2_b64 v[123:126], v122 offset0:69 offset1:70
	ds_read2_b64 v[127:130], v122 offset0:71 offset1:72
	s_waitcnt vmcnt(28) lgkmcnt(1)
	v_fma_f64 v[123:124], v[139:140], v[123:124], v[133:134]
	s_clause 0x7
	buffer_load_dword v134, off, s[0:3], 0 offset:196
	buffer_load_dword v135, off, s[0:3], 0 offset:216
	buffer_load_dword v137, off, s[0:3], 0 offset:208
	buffer_load_dword v139, off, s[0:3], 0 offset:200
	buffer_load_dword v133, off, s[0:3], 0 offset:192
	buffer_load_dword v140, off, s[0:3], 0 offset:204
	buffer_load_dword v138, off, s[0:3], 0 offset:212
	buffer_load_dword v136, off, s[0:3], 0 offset:220
	s_waitcnt vmcnt(34)
	v_fma_f64 v[123:124], v[141:142], v[125:126], v[123:124]
	s_waitcnt vmcnt(32) lgkmcnt(0)
	v_fma_f64 v[123:124], v[143:144], v[127:128], v[123:124]
	s_waitcnt vmcnt(27)
	v_fma_f64 v[141:142], v[145:146], v[129:130], v[123:124]
	;; [unrolled: 19-line block ×10, first 2 shown]
	ds_read2_b64 v[123:126], v122 offset0:105 offset1:106
	ds_read2_b64 v[127:130], v122 offset0:107 offset1:108
	s_waitcnt vmcnt(26) lgkmcnt(1)
	v_fma_f64 v[123:124], v[151:152], v[123:124], v[135:136]
	s_clause 0x1
	buffer_load_dword v135, off, s[0:3], 0 offset:32
	buffer_load_dword v136, off, s[0:3], 0 offset:36
	s_waitcnt vmcnt(27)
	v_fma_f64 v[123:124], v[141:142], v[125:126], v[123:124]
	s_waitcnt vmcnt(26) lgkmcnt(0)
	v_fma_f64 v[123:124], v[137:138], v[127:128], v[123:124]
	s_waitcnt vmcnt(21)
	v_fma_f64 v[137:138], v[143:144], v[129:130], v[123:124]
	ds_read2_b64 v[123:126], v122 offset0:109 offset1:110
	ds_read2_b64 v[127:130], v122 offset0:111 offset1:112
	s_waitcnt vmcnt(20) lgkmcnt(1)
	v_fma_f64 v[123:124], v[159:160], v[123:124], v[137:138]
	s_waitcnt vmcnt(19)
	v_fma_f64 v[123:124], v[147:148], v[125:126], v[123:124]
	s_waitcnt vmcnt(18) lgkmcnt(0)
	v_fma_f64 v[123:124], v[145:146], v[127:128], v[123:124]
	s_waitcnt vmcnt(13)
	v_fma_f64 v[131:132], v[131:132], v[129:130], v[123:124]
	ds_read2_b64 v[123:126], v122 offset0:113 offset1:114
	ds_read2_b64 v[127:130], v122 offset0:115 offset1:116
	s_waitcnt vmcnt(12) lgkmcnt(1)
	v_fma_f64 v[123:124], v[165:166], v[123:124], v[131:132]
	s_waitcnt vmcnt(11)
	v_fma_f64 v[123:124], v[153:154], v[125:126], v[123:124]
	s_waitcnt vmcnt(10) lgkmcnt(0)
	v_fma_f64 v[123:124], v[149:150], v[127:128], v[123:124]
	s_waitcnt vmcnt(5)
	v_fma_f64 v[127:128], v[133:134], v[129:130], v[123:124]
	ds_read2_b64 v[123:126], v122 offset0:117 offset1:118
	ds_read_b64 v[129:130], v122 offset:952
	s_waitcnt vmcnt(4) lgkmcnt(1)
	v_fma_f64 v[123:124], v[163:164], v[123:124], v[127:128]
	s_waitcnt vmcnt(3)
	v_fma_f64 v[123:124], v[157:158], v[125:126], v[123:124]
	s_waitcnt vmcnt(2) lgkmcnt(0)
	v_fma_f64 v[123:124], v[155:156], v[129:130], v[123:124]
	s_waitcnt vmcnt(0)
	v_add_f64 v[123:124], v[135:136], -v[123:124]
	buffer_store_dword v124, off, s[0:3], 0 offset:36
	buffer_store_dword v123, off, s[0:3], 0 offset:32
	v_cmpx_lt_u32_e32 3, v0
	s_cbranch_execz .LBB59_363
; %bb.362:
	s_clause 0x1
	buffer_load_dword v123, off, s[0:3], 0 offset:24
	buffer_load_dword v124, off, s[0:3], 0 offset:28
	buffer_store_dword v122, off, s[0:3], 0 offset:24
	buffer_store_dword v122, off, s[0:3], 0 offset:28
	s_waitcnt vmcnt(0)
	ds_write_b64 v121, v[123:124]
.LBB59_363:
	s_or_b32 exec_lo, exec_lo, s4
	s_waitcnt lgkmcnt(0)
	s_waitcnt_vscnt null, 0x0
	s_barrier
	buffer_gl0_inv
	s_clause 0x1c
	buffer_load_dword v131, off, s[0:3], 0 offset:32
	buffer_load_dword v132, off, s[0:3], 0 offset:36
	;; [unrolled: 1-line block ×29, first 2 shown]
	ds_read_b128 v[123:126], v122 offset:512
	ds_read_b128 v[127:130], v122 offset:528
	buffer_load_dword v156, off, s[0:3], 0 offset:148
	s_mov_b32 s4, exec_lo
	s_waitcnt vmcnt(28) lgkmcnt(1)
	v_fma_f64 v[123:124], v[131:132], v[123:124], 0
	s_clause 0x7
	buffer_load_dword v132, off, s[0:3], 0 offset:156
	buffer_load_dword v161, off, s[0:3], 0 offset:176
	buffer_load_dword v163, off, s[0:3], 0 offset:168
	buffer_load_dword v165, off, s[0:3], 0 offset:160
	buffer_load_dword v131, off, s[0:3], 0 offset:152
	buffer_load_dword v166, off, s[0:3], 0 offset:164
	buffer_load_dword v164, off, s[0:3], 0 offset:172
	buffer_load_dword v162, off, s[0:3], 0 offset:180
	s_waitcnt vmcnt(34)
	v_fma_f64 v[123:124], v[133:134], v[125:126], v[123:124]
	s_waitcnt vmcnt(32) lgkmcnt(0)
	v_fma_f64 v[123:124], v[135:136], v[127:128], v[123:124]
	s_waitcnt vmcnt(30)
	v_fma_f64 v[133:134], v[137:138], v[129:130], v[123:124]
	ds_read_b128 v[123:126], v122 offset:544
	ds_read_b128 v[127:130], v122 offset:560
	s_waitcnt vmcnt(28) lgkmcnt(1)
	v_fma_f64 v[123:124], v[139:140], v[123:124], v[133:134]
	s_clause 0x7
	buffer_load_dword v134, off, s[0:3], 0 offset:188
	buffer_load_dword v135, off, s[0:3], 0 offset:208
	buffer_load_dword v137, off, s[0:3], 0 offset:200
	buffer_load_dword v139, off, s[0:3], 0 offset:192
	buffer_load_dword v133, off, s[0:3], 0 offset:184
	buffer_load_dword v140, off, s[0:3], 0 offset:196
	buffer_load_dword v138, off, s[0:3], 0 offset:204
	buffer_load_dword v136, off, s[0:3], 0 offset:212
	s_waitcnt vmcnt(34)
	v_fma_f64 v[123:124], v[141:142], v[125:126], v[123:124]
	s_waitcnt vmcnt(32) lgkmcnt(0)
	v_fma_f64 v[123:124], v[143:144], v[127:128], v[123:124]
	s_waitcnt vmcnt(27)
	v_fma_f64 v[141:142], v[145:146], v[129:130], v[123:124]
	ds_read_b128 v[123:126], v122 offset:576
	ds_read_b128 v[127:130], v122 offset:592
	;; [unrolled: 19-line block ×10, first 2 shown]
	s_waitcnt vmcnt(26) lgkmcnt(1)
	v_fma_f64 v[123:124], v[151:152], v[123:124], v[135:136]
	s_clause 0x3
	buffer_load_dword v136, off, s[0:3], 0 offset:476
	buffer_load_dword v135, off, s[0:3], 0 offset:472
	;; [unrolled: 1-line block ×4, first 2 shown]
	s_waitcnt vmcnt(29)
	v_fma_f64 v[123:124], v[141:142], v[125:126], v[123:124]
	s_waitcnt vmcnt(28) lgkmcnt(0)
	v_fma_f64 v[123:124], v[137:138], v[127:128], v[123:124]
	s_waitcnt vmcnt(23)
	v_fma_f64 v[137:138], v[143:144], v[129:130], v[123:124]
	ds_read_b128 v[123:126], v122 offset:864
	ds_read_b128 v[127:130], v122 offset:880
	s_waitcnt vmcnt(22) lgkmcnt(1)
	v_fma_f64 v[123:124], v[159:160], v[123:124], v[137:138]
	s_waitcnt vmcnt(21)
	v_fma_f64 v[123:124], v[147:148], v[125:126], v[123:124]
	s_waitcnt vmcnt(20) lgkmcnt(0)
	v_fma_f64 v[123:124], v[145:146], v[127:128], v[123:124]
	s_waitcnt vmcnt(15)
	v_fma_f64 v[131:132], v[131:132], v[129:130], v[123:124]
	ds_read_b128 v[123:126], v122 offset:896
	ds_read_b128 v[127:130], v122 offset:912
	s_waitcnt vmcnt(14) lgkmcnt(1)
	v_fma_f64 v[123:124], v[165:166], v[123:124], v[131:132]
	;; [unrolled: 10-line block ×3, first 2 shown]
	s_waitcnt vmcnt(5)
	v_fma_f64 v[122:123], v[157:158], v[125:126], v[122:123]
	s_waitcnt vmcnt(4) lgkmcnt(0)
	v_fma_f64 v[122:123], v[155:156], v[127:128], v[122:123]
	s_waitcnt vmcnt(2)
	v_fma_f64 v[122:123], v[135:136], v[129:130], v[122:123]
	s_waitcnt vmcnt(0)
	v_add_f64 v[122:123], v[139:140], -v[122:123]
	buffer_store_dword v123, off, s[0:3], 0 offset:28
	buffer_store_dword v122, off, s[0:3], 0 offset:24
	v_cmpx_lt_u32_e32 2, v0
	s_cbranch_execz .LBB59_365
; %bb.364:
	s_clause 0x1
	buffer_load_dword v122, off, s[0:3], 0 offset:16
	buffer_load_dword v123, off, s[0:3], 0 offset:20
	v_mov_b32_e32 v124, 0
	buffer_store_dword v124, off, s[0:3], 0 offset:16
	buffer_store_dword v124, off, s[0:3], 0 offset:20
	s_waitcnt vmcnt(0)
	ds_write_b64 v121, v[122:123]
.LBB59_365:
	s_or_b32 exec_lo, exec_lo, s4
	s_waitcnt lgkmcnt(0)
	s_waitcnt_vscnt null, 0x0
	s_barrier
	buffer_gl0_inv
	s_clause 0x1c
	buffer_load_dword v131, off, s[0:3], 0 offset:24
	buffer_load_dword v132, off, s[0:3], 0 offset:28
	;; [unrolled: 1-line block ×29, first 2 shown]
	v_mov_b32_e32 v122, 0
	buffer_load_dword v156, off, s[0:3], 0 offset:140
	s_mov_b32 s4, exec_lo
	ds_read2_b64 v[123:126], v122 offset0:63 offset1:64
	ds_read2_b64 v[127:130], v122 offset0:65 offset1:66
	s_waitcnt vmcnt(28) lgkmcnt(1)
	v_fma_f64 v[123:124], v[131:132], v[123:124], 0
	s_clause 0x7
	buffer_load_dword v132, off, s[0:3], 0 offset:148
	buffer_load_dword v161, off, s[0:3], 0 offset:168
	buffer_load_dword v163, off, s[0:3], 0 offset:160
	buffer_load_dword v165, off, s[0:3], 0 offset:152
	buffer_load_dword v131, off, s[0:3], 0 offset:144
	buffer_load_dword v166, off, s[0:3], 0 offset:156
	buffer_load_dword v164, off, s[0:3], 0 offset:164
	buffer_load_dword v162, off, s[0:3], 0 offset:172
	s_waitcnt vmcnt(34)
	v_fma_f64 v[123:124], v[133:134], v[125:126], v[123:124]
	s_waitcnt vmcnt(32) lgkmcnt(0)
	v_fma_f64 v[123:124], v[135:136], v[127:128], v[123:124]
	s_waitcnt vmcnt(30)
	v_fma_f64 v[133:134], v[137:138], v[129:130], v[123:124]
	ds_read2_b64 v[123:126], v122 offset0:67 offset1:68
	ds_read2_b64 v[127:130], v122 offset0:69 offset1:70
	s_waitcnt vmcnt(28) lgkmcnt(1)
	v_fma_f64 v[123:124], v[139:140], v[123:124], v[133:134]
	s_clause 0x7
	buffer_load_dword v134, off, s[0:3], 0 offset:180
	buffer_load_dword v135, off, s[0:3], 0 offset:200
	buffer_load_dword v137, off, s[0:3], 0 offset:192
	buffer_load_dword v139, off, s[0:3], 0 offset:184
	buffer_load_dword v133, off, s[0:3], 0 offset:176
	buffer_load_dword v140, off, s[0:3], 0 offset:188
	buffer_load_dword v138, off, s[0:3], 0 offset:196
	buffer_load_dword v136, off, s[0:3], 0 offset:204
	s_waitcnt vmcnt(34)
	v_fma_f64 v[123:124], v[141:142], v[125:126], v[123:124]
	s_waitcnt vmcnt(32) lgkmcnt(0)
	v_fma_f64 v[123:124], v[143:144], v[127:128], v[123:124]
	s_waitcnt vmcnt(27)
	v_fma_f64 v[141:142], v[145:146], v[129:130], v[123:124]
	;; [unrolled: 19-line block ×10, first 2 shown]
	ds_read2_b64 v[123:126], v122 offset0:103 offset1:104
	ds_read2_b64 v[127:130], v122 offset0:105 offset1:106
	s_waitcnt vmcnt(26) lgkmcnt(1)
	v_fma_f64 v[123:124], v[151:152], v[123:124], v[135:136]
	s_clause 0x3
	buffer_load_dword v136, off, s[0:3], 0 offset:468
	buffer_load_dword v139, off, s[0:3], 0 offset:472
	;; [unrolled: 1-line block ×4, first 2 shown]
	s_waitcnt vmcnt(29)
	v_fma_f64 v[123:124], v[141:142], v[125:126], v[123:124]
	s_waitcnt vmcnt(28) lgkmcnt(0)
	v_fma_f64 v[123:124], v[137:138], v[127:128], v[123:124]
	s_clause 0x1
	buffer_load_dword v137, off, s[0:3], 0 offset:16
	buffer_load_dword v138, off, s[0:3], 0 offset:20
	s_waitcnt vmcnt(25)
	v_fma_f64 v[141:142], v[143:144], v[129:130], v[123:124]
	ds_read2_b64 v[123:126], v122 offset0:107 offset1:108
	ds_read2_b64 v[127:130], v122 offset0:109 offset1:110
	s_waitcnt vmcnt(24) lgkmcnt(1)
	v_fma_f64 v[123:124], v[159:160], v[123:124], v[141:142]
	s_waitcnt vmcnt(23)
	v_fma_f64 v[123:124], v[147:148], v[125:126], v[123:124]
	s_waitcnt vmcnt(22) lgkmcnt(0)
	v_fma_f64 v[123:124], v[145:146], v[127:128], v[123:124]
	s_waitcnt vmcnt(17)
	v_fma_f64 v[131:132], v[131:132], v[129:130], v[123:124]
	ds_read2_b64 v[123:126], v122 offset0:111 offset1:112
	ds_read2_b64 v[127:130], v122 offset0:113 offset1:114
	s_waitcnt vmcnt(16) lgkmcnt(1)
	v_fma_f64 v[123:124], v[165:166], v[123:124], v[131:132]
	s_waitcnt vmcnt(15)
	v_fma_f64 v[123:124], v[153:154], v[125:126], v[123:124]
	s_waitcnt vmcnt(14) lgkmcnt(0)
	v_fma_f64 v[123:124], v[149:150], v[127:128], v[123:124]
	s_waitcnt vmcnt(9)
	v_fma_f64 v[131:132], v[133:134], v[129:130], v[123:124]
	ds_read2_b64 v[123:126], v122 offset0:115 offset1:116
	ds_read2_b64 v[127:130], v122 offset0:117 offset1:118
	s_waitcnt vmcnt(8) lgkmcnt(1)
	v_fma_f64 v[123:124], v[163:164], v[123:124], v[131:132]
	s_waitcnt vmcnt(7)
	v_fma_f64 v[123:124], v[157:158], v[125:126], v[123:124]
	ds_read_b64 v[125:126], v122 offset:952
	s_waitcnt vmcnt(6) lgkmcnt(1)
	v_fma_f64 v[123:124], v[155:156], v[127:128], v[123:124]
	s_waitcnt vmcnt(3)
	v_fma_f64 v[123:124], v[135:136], v[129:130], v[123:124]
	s_waitcnt vmcnt(2) lgkmcnt(0)
	v_fma_f64 v[123:124], v[139:140], v[125:126], v[123:124]
	s_waitcnt vmcnt(0)
	v_add_f64 v[123:124], v[137:138], -v[123:124]
	buffer_store_dword v124, off, s[0:3], 0 offset:20
	buffer_store_dword v123, off, s[0:3], 0 offset:16
	v_cmpx_lt_u32_e32 1, v0
	s_cbranch_execz .LBB59_367
; %bb.366:
	s_clause 0x1
	buffer_load_dword v123, off, s[0:3], 0 offset:8
	buffer_load_dword v124, off, s[0:3], 0 offset:12
	buffer_store_dword v122, off, s[0:3], 0 offset:8
	buffer_store_dword v122, off, s[0:3], 0 offset:12
	s_waitcnt vmcnt(0)
	ds_write_b64 v121, v[123:124]
.LBB59_367:
	s_or_b32 exec_lo, exec_lo, s4
	s_waitcnt lgkmcnt(0)
	s_waitcnt_vscnt null, 0x0
	s_barrier
	buffer_gl0_inv
	s_clause 0x1c
	buffer_load_dword v131, off, s[0:3], 0 offset:16
	buffer_load_dword v132, off, s[0:3], 0 offset:20
	;; [unrolled: 1-line block ×29, first 2 shown]
	ds_read_b128 v[123:126], v122 offset:496
	ds_read_b128 v[127:130], v122 offset:512
	buffer_load_dword v156, off, s[0:3], 0 offset:132
	s_mov_b32 s4, exec_lo
	s_waitcnt vmcnt(28) lgkmcnt(1)
	v_fma_f64 v[123:124], v[131:132], v[123:124], 0
	s_clause 0x7
	buffer_load_dword v132, off, s[0:3], 0 offset:140
	buffer_load_dword v161, off, s[0:3], 0 offset:160
	buffer_load_dword v163, off, s[0:3], 0 offset:152
	buffer_load_dword v165, off, s[0:3], 0 offset:144
	buffer_load_dword v131, off, s[0:3], 0 offset:136
	buffer_load_dword v166, off, s[0:3], 0 offset:148
	buffer_load_dword v164, off, s[0:3], 0 offset:156
	buffer_load_dword v162, off, s[0:3], 0 offset:164
	s_waitcnt vmcnt(34)
	v_fma_f64 v[123:124], v[133:134], v[125:126], v[123:124]
	s_waitcnt vmcnt(32) lgkmcnt(0)
	v_fma_f64 v[123:124], v[135:136], v[127:128], v[123:124]
	s_waitcnt vmcnt(30)
	v_fma_f64 v[133:134], v[137:138], v[129:130], v[123:124]
	ds_read_b128 v[123:126], v122 offset:528
	ds_read_b128 v[127:130], v122 offset:544
	s_waitcnt vmcnt(28) lgkmcnt(1)
	v_fma_f64 v[123:124], v[139:140], v[123:124], v[133:134]
	s_clause 0x7
	buffer_load_dword v134, off, s[0:3], 0 offset:172
	buffer_load_dword v135, off, s[0:3], 0 offset:192
	buffer_load_dword v137, off, s[0:3], 0 offset:184
	buffer_load_dword v139, off, s[0:3], 0 offset:176
	buffer_load_dword v133, off, s[0:3], 0 offset:168
	buffer_load_dword v140, off, s[0:3], 0 offset:180
	buffer_load_dword v138, off, s[0:3], 0 offset:188
	buffer_load_dword v136, off, s[0:3], 0 offset:196
	s_waitcnt vmcnt(34)
	v_fma_f64 v[123:124], v[141:142], v[125:126], v[123:124]
	s_waitcnt vmcnt(32) lgkmcnt(0)
	v_fma_f64 v[123:124], v[143:144], v[127:128], v[123:124]
	s_waitcnt vmcnt(27)
	v_fma_f64 v[141:142], v[145:146], v[129:130], v[123:124]
	ds_read_b128 v[123:126], v122 offset:560
	ds_read_b128 v[127:130], v122 offset:576
	;; [unrolled: 19-line block ×10, first 2 shown]
	s_waitcnt vmcnt(26) lgkmcnt(1)
	v_fma_f64 v[123:124], v[151:152], v[123:124], v[135:136]
	s_clause 0x5
	buffer_load_dword v136, off, s[0:3], 0 offset:460
	buffer_load_dword v139, off, s[0:3], 0 offset:472
	buffer_load_dword v151, off, s[0:3], 0 offset:464
	buffer_load_dword v135, off, s[0:3], 0 offset:456
	buffer_load_dword v152, off, s[0:3], 0 offset:468
	buffer_load_dword v140, off, s[0:3], 0 offset:476
	s_waitcnt vmcnt(31)
	v_fma_f64 v[123:124], v[141:142], v[125:126], v[123:124]
	s_waitcnt vmcnt(30) lgkmcnt(0)
	v_fma_f64 v[123:124], v[137:138], v[127:128], v[123:124]
	s_waitcnt vmcnt(25)
	v_fma_f64 v[137:138], v[143:144], v[129:130], v[123:124]
	ds_read_b128 v[123:126], v122 offset:848
	s_clause 0x1
	buffer_load_dword v141, off, s[0:3], 0 offset:8
	buffer_load_dword v142, off, s[0:3], 0 offset:12
	ds_read_b128 v[127:130], v122 offset:864
	s_waitcnt vmcnt(26) lgkmcnt(1)
	v_fma_f64 v[123:124], v[159:160], v[123:124], v[137:138]
	s_waitcnt vmcnt(25)
	v_fma_f64 v[123:124], v[147:148], v[125:126], v[123:124]
	s_waitcnt vmcnt(24) lgkmcnt(0)
	v_fma_f64 v[123:124], v[145:146], v[127:128], v[123:124]
	s_waitcnt vmcnt(19)
	v_fma_f64 v[131:132], v[131:132], v[129:130], v[123:124]
	ds_read_b128 v[123:126], v122 offset:880
	ds_read_b128 v[127:130], v122 offset:896
	s_waitcnt vmcnt(18) lgkmcnt(1)
	v_fma_f64 v[123:124], v[165:166], v[123:124], v[131:132]
	s_waitcnt vmcnt(17)
	v_fma_f64 v[123:124], v[153:154], v[125:126], v[123:124]
	s_waitcnt vmcnt(16) lgkmcnt(0)
	v_fma_f64 v[123:124], v[149:150], v[127:128], v[123:124]
	s_waitcnt vmcnt(11)
	v_fma_f64 v[131:132], v[133:134], v[129:130], v[123:124]
	ds_read_b128 v[123:126], v122 offset:912
	;; [unrolled: 10-line block ×3, first 2 shown]
	s_waitcnt vmcnt(3) lgkmcnt(0)
	v_fma_f64 v[122:123], v[151:152], v[122:123], v[126:127]
	s_waitcnt vmcnt(2)
	v_fma_f64 v[122:123], v[139:140], v[124:125], v[122:123]
	s_waitcnt vmcnt(0)
	v_add_f64 v[122:123], v[141:142], -v[122:123]
	buffer_store_dword v123, off, s[0:3], 0 offset:12
	buffer_store_dword v122, off, s[0:3], 0 offset:8
	v_cmpx_ne_u32_e32 0, v0
	s_cbranch_execz .LBB59_369
; %bb.368:
	s_clause 0x1
	buffer_load_dword v122, off, s[0:3], 0
	buffer_load_dword v123, off, s[0:3], 0 offset:4
	v_mov_b32_e32 v0, 0
	buffer_store_dword v0, off, s[0:3], 0
	buffer_store_dword v0, off, s[0:3], 0 offset:4
	s_waitcnt vmcnt(0)
	ds_write_b64 v121, v[122:123]
.LBB59_369:
	s_or_b32 exec_lo, exec_lo, s4
	s_waitcnt lgkmcnt(0)
	s_waitcnt_vscnt null, 0x0
	s_barrier
	buffer_gl0_inv
	s_clause 0x1c
	buffer_load_dword v129, off, s[0:3], 0 offset:8
	buffer_load_dword v130, off, s[0:3], 0 offset:12
	buffer_load_dword v131, off, s[0:3], 0 offset:16
	buffer_load_dword v132, off, s[0:3], 0 offset:20
	buffer_load_dword v133, off, s[0:3], 0 offset:24
	buffer_load_dword v134, off, s[0:3], 0 offset:28
	buffer_load_dword v135, off, s[0:3], 0 offset:32
	buffer_load_dword v136, off, s[0:3], 0 offset:36
	buffer_load_dword v137, off, s[0:3], 0 offset:40
	buffer_load_dword v138, off, s[0:3], 0 offset:44
	buffer_load_dword v139, off, s[0:3], 0 offset:48
	buffer_load_dword v140, off, s[0:3], 0 offset:52
	buffer_load_dword v141, off, s[0:3], 0 offset:56
	buffer_load_dword v142, off, s[0:3], 0 offset:60
	buffer_load_dword v144, off, s[0:3], 0 offset:68
	buffer_load_dword v145, off, s[0:3], 0 offset:88
	buffer_load_dword v147, off, s[0:3], 0 offset:80
	buffer_load_dword v149, off, s[0:3], 0 offset:72
	buffer_load_dword v143, off, s[0:3], 0 offset:64
	buffer_load_dword v150, off, s[0:3], 0 offset:76
	buffer_load_dword v148, off, s[0:3], 0 offset:84
	buffer_load_dword v146, off, s[0:3], 0 offset:92
	buffer_load_dword v152, off, s[0:3], 0 offset:100
	buffer_load_dword v153, off, s[0:3], 0 offset:120
	buffer_load_dword v155, off, s[0:3], 0 offset:112
	buffer_load_dword v157, off, s[0:3], 0 offset:104
	buffer_load_dword v151, off, s[0:3], 0 offset:96
	buffer_load_dword v158, off, s[0:3], 0 offset:108
	buffer_load_dword v156, off, s[0:3], 0 offset:116
	v_mov_b32_e32 v0, 0
	buffer_load_dword v154, off, s[0:3], 0 offset:124
	s_and_b32 vcc_lo, exec_lo, s22
	ds_read2_b64 v[121:124], v0 offset0:61 offset1:62
	ds_read2_b64 v[125:128], v0 offset0:63 offset1:64
	s_waitcnt vmcnt(28) lgkmcnt(1)
	v_fma_f64 v[121:122], v[129:130], v[121:122], 0
	s_clause 0x7
	buffer_load_dword v130, off, s[0:3], 0 offset:132
	buffer_load_dword v159, off, s[0:3], 0 offset:152
	buffer_load_dword v161, off, s[0:3], 0 offset:144
	buffer_load_dword v163, off, s[0:3], 0 offset:136
	buffer_load_dword v129, off, s[0:3], 0 offset:128
	buffer_load_dword v164, off, s[0:3], 0 offset:140
	buffer_load_dword v162, off, s[0:3], 0 offset:148
	buffer_load_dword v160, off, s[0:3], 0 offset:156
	s_waitcnt vmcnt(34)
	v_fma_f64 v[121:122], v[131:132], v[123:124], v[121:122]
	s_waitcnt vmcnt(32) lgkmcnt(0)
	v_fma_f64 v[121:122], v[133:134], v[125:126], v[121:122]
	s_waitcnt vmcnt(30)
	v_fma_f64 v[131:132], v[135:136], v[127:128], v[121:122]
	ds_read2_b64 v[121:124], v0 offset0:65 offset1:66
	ds_read2_b64 v[125:128], v0 offset0:67 offset1:68
	s_waitcnt vmcnt(28) lgkmcnt(1)
	v_fma_f64 v[121:122], v[137:138], v[121:122], v[131:132]
	s_clause 0x7
	buffer_load_dword v132, off, s[0:3], 0 offset:164
	buffer_load_dword v133, off, s[0:3], 0 offset:184
	buffer_load_dword v135, off, s[0:3], 0 offset:176
	buffer_load_dword v137, off, s[0:3], 0 offset:168
	buffer_load_dword v131, off, s[0:3], 0 offset:160
	buffer_load_dword v138, off, s[0:3], 0 offset:172
	buffer_load_dword v136, off, s[0:3], 0 offset:180
	buffer_load_dword v134, off, s[0:3], 0 offset:188
	s_waitcnt vmcnt(34)
	v_fma_f64 v[121:122], v[139:140], v[123:124], v[121:122]
	s_waitcnt vmcnt(32) lgkmcnt(0)
	v_fma_f64 v[121:122], v[141:142], v[125:126], v[121:122]
	s_waitcnt vmcnt(27)
	v_fma_f64 v[139:140], v[143:144], v[127:128], v[121:122]
	;; [unrolled: 19-line block ×10, first 2 shown]
	ds_read2_b64 v[122:125], v0 offset0:101 offset1:102
	ds_read2_b64 v[126:129], v0 offset0:103 offset1:104
	s_waitcnt vmcnt(26) lgkmcnt(1)
	v_fma_f64 v[121:122], v[149:150], v[122:123], v[130:131]
	s_clause 0x6
	buffer_load_dword v134, off, s[0:3], 0 offset:452
	buffer_load_dword v137, off, s[0:3], 0 offset:472
	;; [unrolled: 1-line block ×7, first 2 shown]
	s_waitcnt vmcnt(32)
	v_fma_f64 v[121:122], v[139:140], v[124:125], v[121:122]
	buffer_load_dword v124, off, s[0:3], 0 offset:468
	s_waitcnt vmcnt(32) lgkmcnt(0)
	v_fma_f64 v[121:122], v[135:136], v[126:127], v[121:122]
	s_waitcnt vmcnt(27)
	v_fma_f64 v[121:122], v[141:142], v[128:129], v[121:122]
	ds_read2_b64 v[125:128], v0 offset0:105 offset1:106
	ds_read2_b64 v[129:132], v0 offset0:107 offset1:108
	s_clause 0x1
	buffer_load_dword v135, off, s[0:3], 0
	buffer_load_dword v136, off, s[0:3], 0 offset:4
	s_waitcnt vmcnt(28) lgkmcnt(1)
	v_fma_f64 v[121:122], v[157:158], v[125:126], v[121:122]
	s_waitcnt vmcnt(27)
	v_fma_f64 v[121:122], v[145:146], v[127:128], v[121:122]
	s_waitcnt vmcnt(26) lgkmcnt(0)
	v_fma_f64 v[121:122], v[143:144], v[129:130], v[121:122]
	s_waitcnt vmcnt(21)
	v_fma_f64 v[121:122], v[147:148], v[131:132], v[121:122]
	ds_read2_b64 v[125:128], v0 offset0:109 offset1:110
	ds_read2_b64 v[129:132], v0 offset0:111 offset1:112
	s_waitcnt vmcnt(20) lgkmcnt(1)
	v_fma_f64 v[121:122], v[165:166], v[125:126], v[121:122]
	s_waitcnt vmcnt(19)
	v_fma_f64 v[121:122], v[163:164], v[127:128], v[121:122]
	s_waitcnt vmcnt(18) lgkmcnt(0)
	v_fma_f64 v[121:122], v[151:152], v[129:130], v[121:122]
	s_waitcnt vmcnt(13)
	v_fma_f64 v[121:122], v[153:154], v[131:132], v[121:122]
	ds_read2_b64 v[125:128], v0 offset0:113 offset1:114
	ds_read2_b64 v[129:132], v0 offset0:115 offset1:116
	s_waitcnt vmcnt(12) lgkmcnt(1)
	v_fma_f64 v[121:122], v[167:168], v[125:126], v[121:122]
	s_waitcnt vmcnt(11)
	v_fma_f64 v[121:122], v[161:162], v[127:128], v[121:122]
	s_waitcnt vmcnt(10) lgkmcnt(0)
	v_fma_f64 v[121:122], v[155:156], v[129:130], v[121:122]
	ds_read2_b64 v[125:128], v0 offset0:117 offset1:118
	ds_read_b64 v[129:130], v0 offset:952
	s_waitcnt vmcnt(5)
	v_fma_f64 v[121:122], v[133:134], v[131:132], v[121:122]
	s_waitcnt vmcnt(4) lgkmcnt(1)
	v_fma_f64 v[121:122], v[149:150], v[125:126], v[121:122]
	s_waitcnt vmcnt(2)
	v_fma_f64 v[121:122], v[123:124], v[127:128], v[121:122]
	s_waitcnt lgkmcnt(0)
	v_fma_f64 v[121:122], v[137:138], v[129:130], v[121:122]
	s_waitcnt vmcnt(0)
	v_add_f64 v[121:122], v[135:136], -v[121:122]
	buffer_store_dword v122, off, s[0:3], 0 offset:4
	buffer_store_dword v121, off, s[0:3], 0
	s_cbranch_vccz .LBB59_488
; %bb.370:
	global_load_dword v0, v0, s[20:21] offset:232
	s_waitcnt vmcnt(0)
	v_add_nc_u32_e32 v0, -1, v0
	v_cmp_ne_u32_e32 vcc_lo, 58, v0
	s_cbranch_vccz .LBB59_372
; %bb.371:
	v_lshlrev_b32_e32 v0, 3, v0
	s_clause 0x1
	buffer_load_dword v121, v0, s[0:3], 0 offen offset:4
	buffer_load_dword v122, v0, s[0:3], 0 offen
	s_waitcnt vmcnt(1)
	buffer_store_dword v121, off, s[0:3], 0 offset:468
	s_waitcnt vmcnt(0)
	buffer_store_dword v122, off, s[0:3], 0 offset:464
	buffer_store_dword v124, v0, s[0:3], 0 offen offset:4
	buffer_store_dword v123, v0, s[0:3], 0 offen
.LBB59_372:
	v_mov_b32_e32 v0, 0
	global_load_dword v121, v0, s[20:21] offset:228
	s_waitcnt vmcnt(0)
	v_add_nc_u32_e32 v121, -1, v121
	v_cmp_eq_u32_e32 vcc_lo, 57, v121
	s_cbranch_vccnz .LBB59_374
; %bb.373:
	v_lshlrev_b32_e32 v121, 3, v121
	s_clause 0x3
	buffer_load_dword v122, v121, s[0:3], 0 offen
	buffer_load_dword v123, v121, s[0:3], 0 offen offset:4
	buffer_load_dword v124, off, s[0:3], 0 offset:456
	buffer_load_dword v125, off, s[0:3], 0 offset:460
	s_waitcnt vmcnt(3)
	buffer_store_dword v122, off, s[0:3], 0 offset:456
	s_waitcnt vmcnt(2)
	buffer_store_dword v123, off, s[0:3], 0 offset:460
	s_waitcnt vmcnt(1)
	buffer_store_dword v124, v121, s[0:3], 0 offen
	s_waitcnt vmcnt(0)
	buffer_store_dword v125, v121, s[0:3], 0 offen offset:4
.LBB59_374:
	global_load_dword v0, v0, s[20:21] offset:224
	s_waitcnt vmcnt(0)
	v_add_nc_u32_e32 v0, -1, v0
	v_cmp_eq_u32_e32 vcc_lo, 56, v0
	s_cbranch_vccnz .LBB59_376
; %bb.375:
	v_lshlrev_b32_e32 v0, 3, v0
	s_clause 0x3
	buffer_load_dword v121, v0, s[0:3], 0 offen
	buffer_load_dword v122, v0, s[0:3], 0 offen offset:4
	buffer_load_dword v123, off, s[0:3], 0 offset:452
	buffer_load_dword v124, off, s[0:3], 0 offset:448
	s_waitcnt vmcnt(3)
	buffer_store_dword v121, off, s[0:3], 0 offset:448
	s_waitcnt vmcnt(2)
	buffer_store_dword v122, off, s[0:3], 0 offset:452
	s_waitcnt vmcnt(1)
	buffer_store_dword v123, v0, s[0:3], 0 offen offset:4
	s_waitcnt vmcnt(0)
	buffer_store_dword v124, v0, s[0:3], 0 offen
.LBB59_376:
	v_mov_b32_e32 v0, 0
	global_load_dword v121, v0, s[20:21] offset:220
	s_waitcnt vmcnt(0)
	v_add_nc_u32_e32 v121, -1, v121
	v_cmp_eq_u32_e32 vcc_lo, 55, v121
	s_cbranch_vccnz .LBB59_378
; %bb.377:
	v_lshlrev_b32_e32 v121, 3, v121
	s_clause 0x3
	buffer_load_dword v122, v121, s[0:3], 0 offen
	buffer_load_dword v123, v121, s[0:3], 0 offen offset:4
	buffer_load_dword v124, off, s[0:3], 0 offset:440
	buffer_load_dword v125, off, s[0:3], 0 offset:444
	s_waitcnt vmcnt(3)
	buffer_store_dword v122, off, s[0:3], 0 offset:440
	s_waitcnt vmcnt(2)
	buffer_store_dword v123, off, s[0:3], 0 offset:444
	s_waitcnt vmcnt(1)
	buffer_store_dword v124, v121, s[0:3], 0 offen
	s_waitcnt vmcnt(0)
	buffer_store_dword v125, v121, s[0:3], 0 offen offset:4
.LBB59_378:
	global_load_dword v0, v0, s[20:21] offset:216
	s_waitcnt vmcnt(0)
	v_add_nc_u32_e32 v0, -1, v0
	v_cmp_eq_u32_e32 vcc_lo, 54, v0
	s_cbranch_vccnz .LBB59_380
; %bb.379:
	v_lshlrev_b32_e32 v0, 3, v0
	s_clause 0x3
	buffer_load_dword v121, v0, s[0:3], 0 offen
	buffer_load_dword v122, v0, s[0:3], 0 offen offset:4
	buffer_load_dword v123, off, s[0:3], 0 offset:436
	buffer_load_dword v124, off, s[0:3], 0 offset:432
	s_waitcnt vmcnt(3)
	buffer_store_dword v121, off, s[0:3], 0 offset:432
	s_waitcnt vmcnt(2)
	buffer_store_dword v122, off, s[0:3], 0 offset:436
	s_waitcnt vmcnt(1)
	buffer_store_dword v123, v0, s[0:3], 0 offen offset:4
	s_waitcnt vmcnt(0)
	buffer_store_dword v124, v0, s[0:3], 0 offen
.LBB59_380:
	;; [unrolled: 43-line block ×28, first 2 shown]
	v_mov_b32_e32 v0, 0
	global_load_dword v121, v0, s[20:21] offset:4
	s_waitcnt vmcnt(0)
	v_add_nc_u32_e32 v121, -1, v121
	v_cmp_eq_u32_e32 vcc_lo, 1, v121
	s_cbranch_vccnz .LBB59_486
; %bb.485:
	v_lshlrev_b32_e32 v121, 3, v121
	s_clause 0x3
	buffer_load_dword v122, v121, s[0:3], 0 offen
	buffer_load_dword v123, v121, s[0:3], 0 offen offset:4
	buffer_load_dword v124, off, s[0:3], 0 offset:8
	buffer_load_dword v125, off, s[0:3], 0 offset:12
	s_waitcnt vmcnt(3)
	buffer_store_dword v122, off, s[0:3], 0 offset:8
	s_waitcnt vmcnt(2)
	buffer_store_dword v123, off, s[0:3], 0 offset:12
	s_waitcnt vmcnt(1)
	buffer_store_dword v124, v121, s[0:3], 0 offen
	s_waitcnt vmcnt(0)
	buffer_store_dword v125, v121, s[0:3], 0 offen offset:4
.LBB59_486:
	global_load_dword v0, v0, s[20:21]
	s_clause 0x1
	buffer_load_dword v121, off, s[0:3], 0
	buffer_load_dword v122, off, s[0:3], 0 offset:4
	s_waitcnt vmcnt(2)
	v_add_nc_u32_e32 v0, -1, v0
	v_cmp_eq_u32_e32 vcc_lo, 0, v0
	s_cbranch_vccnz .LBB59_488
; %bb.487:
	v_lshlrev_b32_e32 v0, 3, v0
	s_clause 0x1
	buffer_load_dword v123, v0, s[0:3], 0 offen offset:4
	buffer_load_dword v124, v0, s[0:3], 0 offen
	s_waitcnt vmcnt(1)
	buffer_store_dword v123, off, s[0:3], 0 offset:4
	s_waitcnt vmcnt(0)
	buffer_store_dword v124, off, s[0:3], 0
	buffer_store_dword v122, v0, s[0:3], 0 offen offset:4
	buffer_store_dword v121, v0, s[0:3], 0 offen
	s_clause 0x1
	buffer_load_dword v121, off, s[0:3], 0
	buffer_load_dword v122, off, s[0:3], 0 offset:4
.LBB59_488:
	s_clause 0x17
	buffer_load_dword v123, off, s[0:3], 0 offset:8
	buffer_load_dword v124, off, s[0:3], 0 offset:12
	;; [unrolled: 1-line block ×24, first 2 shown]
	s_waitcnt vmcnt(24)
	global_store_dwordx2 v[93:94], v[121:122], off
	s_clause 0x27
	buffer_load_dword v93, off, s[0:3], 0 offset:104
	buffer_load_dword v94, off, s[0:3], 0 offset:108
	;; [unrolled: 1-line block ×40, first 2 shown]
	s_waitcnt vmcnt(62)
	global_store_dwordx2 v[49:50], v[123:124], off
	s_clause 0x7
	buffer_load_dword v49, off, s[0:3], 0 offset:264
	buffer_load_dword v50, off, s[0:3], 0 offset:268
	buffer_load_dword v123, off, s[0:3], 0 offset:272
	buffer_load_dword v124, off, s[0:3], 0 offset:276
	buffer_load_dword v183, off, s[0:3], 0 offset:280
	buffer_load_dword v184, off, s[0:3], 0 offset:284
	buffer_load_dword v185, off, s[0:3], 0 offset:288
	buffer_load_dword v186, off, s[0:3], 0 offset:292
	s_waitcnt vmcnt(62)
	global_store_dwordx2 v[1:2], v[125:126], off
	global_store_dwordx2 v[5:6], v[127:128], off
	s_clause 0x7
	buffer_load_dword v0, off, s[0:3], 0 offset:296
	buffer_load_dword v1, off, s[0:3], 0 offset:300
	;; [unrolled: 1-line block ×8, first 2 shown]
	global_store_dwordx2 v[3:4], v[129:130], off
	global_store_dwordx2 v[9:10], v[131:132], off
	s_clause 0x7
	buffer_load_dword v2, off, s[0:3], 0 offset:328
	buffer_load_dword v3, off, s[0:3], 0 offset:332
	;; [unrolled: 1-line block ×8, first 2 shown]
	s_waitcnt vmcnt(62)
	global_store_dwordx2 v[7:8], v[133:134], off
	global_store_dwordx2 v[13:14], v[135:136], off
	s_clause 0x7
	buffer_load_dword v7, off, s[0:3], 0 offset:360
	buffer_load_dword v8, off, s[0:3], 0 offset:364
	buffer_load_dword v13, off, s[0:3], 0 offset:368
	buffer_load_dword v14, off, s[0:3], 0 offset:372
	buffer_load_dword v133, off, s[0:3], 0 offset:376
	buffer_load_dword v134, off, s[0:3], 0 offset:380
	buffer_load_dword v135, off, s[0:3], 0 offset:384
	buffer_load_dword v136, off, s[0:3], 0 offset:388
	global_store_dwordx2 v[11:12], v[137:138], off
	global_store_dwordx2 v[17:18], v[139:140], off
	s_clause 0x7
	buffer_load_dword v11, off, s[0:3], 0 offset:392
	buffer_load_dword v12, off, s[0:3], 0 offset:396
	buffer_load_dword v17, off, s[0:3], 0 offset:400
	buffer_load_dword v18, off, s[0:3], 0 offset:404
	buffer_load_dword v137, off, s[0:3], 0 offset:408
	buffer_load_dword v138, off, s[0:3], 0 offset:412
	buffer_load_dword v139, off, s[0:3], 0 offset:416
	buffer_load_dword v140, off, s[0:3], 0 offset:420
	global_store_dwordx2 v[15:16], v[141:142], off
	global_store_dwordx2 v[23:24], v[143:144], off
	s_clause 0x7
	buffer_load_dword v15, off, s[0:3], 0 offset:424
	buffer_load_dword v16, off, s[0:3], 0 offset:428
	buffer_load_dword v23, off, s[0:3], 0 offset:432
	buffer_load_dword v24, off, s[0:3], 0 offset:436
	buffer_load_dword v141, off, s[0:3], 0 offset:440
	buffer_load_dword v142, off, s[0:3], 0 offset:444
	buffer_load_dword v143, off, s[0:3], 0 offset:448
	buffer_load_dword v144, off, s[0:3], 0 offset:452
	global_store_dwordx2 v[21:22], v[145:146], off
	s_clause 0x5
	buffer_load_dword v21, off, s[0:3], 0 offset:456
	buffer_load_dword v22, off, s[0:3], 0 offset:460
	;; [unrolled: 1-line block ×6, first 2 shown]
	global_store_dwordx2 v[19:20], v[93:94], off
	s_waitcnt vmcnt(62)
	global_store_dwordx2 v[25:26], v[121:122], off
	global_store_dwordx2 v[27:28], v[147:148], off
	;; [unrolled: 1-line block ×15, first 2 shown]
	s_waitcnt vmcnt(60)
	global_store_dwordx2 v[57:58], v[175:176], off
	s_waitcnt vmcnt(58)
	global_store_dwordx2 v[59:60], v[177:178], off
	;; [unrolled: 2-line block ×31, first 2 shown]
	s_endpgm
	.section	.rodata,"a",@progbits
	.p2align	6, 0x0
	.amdhsa_kernel _ZN9rocsolver6v33100L18getri_kernel_smallILi60EdPdEEvT1_iilPiilS4_bb
		.amdhsa_group_segment_fixed_size 968
		.amdhsa_private_segment_fixed_size 496
		.amdhsa_kernarg_size 60
		.amdhsa_user_sgpr_count 6
		.amdhsa_user_sgpr_private_segment_buffer 1
		.amdhsa_user_sgpr_dispatch_ptr 0
		.amdhsa_user_sgpr_queue_ptr 0
		.amdhsa_user_sgpr_kernarg_segment_ptr 1
		.amdhsa_user_sgpr_dispatch_id 0
		.amdhsa_user_sgpr_flat_scratch_init 0
		.amdhsa_user_sgpr_private_segment_size 0
		.amdhsa_wavefront_size32 1
		.amdhsa_uses_dynamic_stack 0
		.amdhsa_system_sgpr_private_segment_wavefront_offset 1
		.amdhsa_system_sgpr_workgroup_id_x 1
		.amdhsa_system_sgpr_workgroup_id_y 0
		.amdhsa_system_sgpr_workgroup_id_z 0
		.amdhsa_system_sgpr_workgroup_info 0
		.amdhsa_system_vgpr_workitem_id 0
		.amdhsa_next_free_vgpr 189
		.amdhsa_next_free_sgpr 23
		.amdhsa_reserve_vcc 1
		.amdhsa_reserve_flat_scratch 0
		.amdhsa_float_round_mode_32 0
		.amdhsa_float_round_mode_16_64 0
		.amdhsa_float_denorm_mode_32 3
		.amdhsa_float_denorm_mode_16_64 3
		.amdhsa_dx10_clamp 1
		.amdhsa_ieee_mode 1
		.amdhsa_fp16_overflow 0
		.amdhsa_workgroup_processor_mode 1
		.amdhsa_memory_ordered 1
		.amdhsa_forward_progress 1
		.amdhsa_shared_vgpr_count 0
		.amdhsa_exception_fp_ieee_invalid_op 0
		.amdhsa_exception_fp_denorm_src 0
		.amdhsa_exception_fp_ieee_div_zero 0
		.amdhsa_exception_fp_ieee_overflow 0
		.amdhsa_exception_fp_ieee_underflow 0
		.amdhsa_exception_fp_ieee_inexact 0
		.amdhsa_exception_int_div_zero 0
	.end_amdhsa_kernel
	.section	.text._ZN9rocsolver6v33100L18getri_kernel_smallILi60EdPdEEvT1_iilPiilS4_bb,"axG",@progbits,_ZN9rocsolver6v33100L18getri_kernel_smallILi60EdPdEEvT1_iilPiilS4_bb,comdat
.Lfunc_end59:
	.size	_ZN9rocsolver6v33100L18getri_kernel_smallILi60EdPdEEvT1_iilPiilS4_bb, .Lfunc_end59-_ZN9rocsolver6v33100L18getri_kernel_smallILi60EdPdEEvT1_iilPiilS4_bb
                                        ; -- End function
	.set _ZN9rocsolver6v33100L18getri_kernel_smallILi60EdPdEEvT1_iilPiilS4_bb.num_vgpr, 189
	.set _ZN9rocsolver6v33100L18getri_kernel_smallILi60EdPdEEvT1_iilPiilS4_bb.num_agpr, 0
	.set _ZN9rocsolver6v33100L18getri_kernel_smallILi60EdPdEEvT1_iilPiilS4_bb.numbered_sgpr, 23
	.set _ZN9rocsolver6v33100L18getri_kernel_smallILi60EdPdEEvT1_iilPiilS4_bb.num_named_barrier, 0
	.set _ZN9rocsolver6v33100L18getri_kernel_smallILi60EdPdEEvT1_iilPiilS4_bb.private_seg_size, 496
	.set _ZN9rocsolver6v33100L18getri_kernel_smallILi60EdPdEEvT1_iilPiilS4_bb.uses_vcc, 1
	.set _ZN9rocsolver6v33100L18getri_kernel_smallILi60EdPdEEvT1_iilPiilS4_bb.uses_flat_scratch, 0
	.set _ZN9rocsolver6v33100L18getri_kernel_smallILi60EdPdEEvT1_iilPiilS4_bb.has_dyn_sized_stack, 0
	.set _ZN9rocsolver6v33100L18getri_kernel_smallILi60EdPdEEvT1_iilPiilS4_bb.has_recursion, 0
	.set _ZN9rocsolver6v33100L18getri_kernel_smallILi60EdPdEEvT1_iilPiilS4_bb.has_indirect_call, 0
	.section	.AMDGPU.csdata,"",@progbits
; Kernel info:
; codeLenInByte = 91520
; TotalNumSgprs: 25
; NumVgprs: 189
; ScratchSize: 496
; MemoryBound: 1
; FloatMode: 240
; IeeeMode: 1
; LDSByteSize: 968 bytes/workgroup (compile time only)
; SGPRBlocks: 0
; VGPRBlocks: 23
; NumSGPRsForWavesPerEU: 25
; NumVGPRsForWavesPerEU: 189
; Occupancy: 5
; WaveLimiterHint : 1
; COMPUTE_PGM_RSRC2:SCRATCH_EN: 1
; COMPUTE_PGM_RSRC2:USER_SGPR: 6
; COMPUTE_PGM_RSRC2:TRAP_HANDLER: 0
; COMPUTE_PGM_RSRC2:TGID_X_EN: 1
; COMPUTE_PGM_RSRC2:TGID_Y_EN: 0
; COMPUTE_PGM_RSRC2:TGID_Z_EN: 0
; COMPUTE_PGM_RSRC2:TIDIG_COMP_CNT: 0
	.section	.text._ZN9rocsolver6v33100L18getri_kernel_smallILi61EdPdEEvT1_iilPiilS4_bb,"axG",@progbits,_ZN9rocsolver6v33100L18getri_kernel_smallILi61EdPdEEvT1_iilPiilS4_bb,comdat
	.globl	_ZN9rocsolver6v33100L18getri_kernel_smallILi61EdPdEEvT1_iilPiilS4_bb ; -- Begin function _ZN9rocsolver6v33100L18getri_kernel_smallILi61EdPdEEvT1_iilPiilS4_bb
	.p2align	8
	.type	_ZN9rocsolver6v33100L18getri_kernel_smallILi61EdPdEEvT1_iilPiilS4_bb,@function
_ZN9rocsolver6v33100L18getri_kernel_smallILi61EdPdEEvT1_iilPiilS4_bb: ; @_ZN9rocsolver6v33100L18getri_kernel_smallILi61EdPdEEvT1_iilPiilS4_bb
; %bb.0:
	s_add_u32 s0, s0, s7
	s_addc_u32 s1, s1, 0
	s_mov_b32 s7, exec_lo
	v_cmpx_gt_u32_e32 61, v0
	s_cbranch_execz .LBB60_254
; %bb.1:
	s_clause 0x2
	s_load_dword s7, s[4:5], 0x38
	s_load_dwordx4 s[16:19], s[4:5], 0x10
	s_load_dwordx4 s[8:11], s[4:5], 0x28
                                        ; implicit-def: $sgpr20_sgpr21
	s_waitcnt lgkmcnt(0)
	s_bitcmp1_b32 s7, 8
	s_cselect_b32 s22, -1, 0
	s_bfe_u32 s12, s7, 0x10008
	s_ashr_i32 s7, s6, 31
	s_cmp_eq_u32 s12, 0
	s_cbranch_scc1 .LBB60_3
; %bb.2:
	s_load_dword s12, s[4:5], 0x20
	s_mul_i32 s13, s8, s7
	s_mul_hi_u32 s14, s8, s6
	s_mul_i32 s9, s9, s6
	s_add_i32 s13, s14, s13
	s_mul_i32 s8, s8, s6
	s_add_i32 s9, s13, s9
	s_lshl_b64 s[8:9], s[8:9], 2
	s_waitcnt lgkmcnt(0)
	s_ashr_i32 s13, s12, 31
	s_add_u32 s14, s18, s8
	s_addc_u32 s15, s19, s9
	s_lshl_b64 s[8:9], s[12:13], 2
	s_add_u32 s20, s14, s8
	s_addc_u32 s21, s15, s9
.LBB60_3:
	s_clause 0x1
	s_load_dwordx4 s[12:15], s[4:5], 0x0
	s_load_dword s8, s[4:5], 0x38
	s_mul_i32 s4, s16, s7
	s_mul_hi_u32 s5, s16, s6
	s_mul_i32 s9, s17, s6
	s_add_i32 s5, s5, s4
	s_mul_i32 s4, s16, s6
	s_add_i32 s5, s5, s9
	v_lshlrev_b32_e32 v125, 3, v0
	s_lshl_b64 s[4:5], s[4:5], 3
	s_waitcnt lgkmcnt(0)
	v_add3_u32 v1, s15, s15, v0
	s_ashr_i32 s17, s14, 31
	s_mov_b32 s16, s14
	s_add_u32 s9, s12, s4
	s_addc_u32 s12, s13, s5
	v_add_nc_u32_e32 v3, s15, v1
	v_ashrrev_i32_e32 v2, 31, v1
	s_lshl_b64 s[4:5], s[16:17], 3
	s_add_u32 s4, s9, s4
	v_add_nc_u32_e32 v5, s15, v3
	v_ashrrev_i32_e32 v4, 31, v3
	v_lshlrev_b64 v[1:2], 3, v[1:2]
	s_addc_u32 s5, s12, s5
	v_add_co_u32 v97, s9, s4, v125
	v_add_nc_u32_e32 v7, s15, v5
	v_ashrrev_i32_e32 v6, 31, v5
	v_lshlrev_b64 v[3:4], 3, v[3:4]
	v_add_co_u32 v1, vcc_lo, s4, v1
	v_add_nc_u32_e32 v11, s15, v7
	v_ashrrev_i32_e32 v8, 31, v7
	v_lshlrev_b64 v[9:10], 3, v[5:6]
	v_add_co_ci_u32_e64 v2, null, s5, v2, vcc_lo
	v_add_nc_u32_e32 v13, s15, v11
	v_ashrrev_i32_e32 v12, 31, v11
	v_lshlrev_b64 v[7:8], 3, v[7:8]
	v_add_co_u32 v5, vcc_lo, s4, v3
	v_add_nc_u32_e32 v15, s15, v13
	v_lshlrev_b64 v[11:12], 3, v[11:12]
	v_add_co_ci_u32_e64 v6, null, s5, v4, vcc_lo
	v_add_co_u32 v3, vcc_lo, s4, v9
	v_ashrrev_i32_e32 v16, 31, v15
	v_add_nc_u32_e32 v17, s15, v15
	v_add_co_ci_u32_e64 v4, null, s5, v10, vcc_lo
	v_add_co_u32 v9, vcc_lo, s4, v7
	v_add_co_ci_u32_e64 v10, null, s5, v8, vcc_lo
	v_add_co_u32 v7, vcc_lo, s4, v11
	v_add_co_ci_u32_e64 v8, null, s5, v12, vcc_lo
	v_lshlrev_b64 v[11:12], 3, v[15:16]
	v_add_nc_u32_e32 v15, s15, v17
	v_ashrrev_i32_e32 v14, 31, v13
	v_ashrrev_i32_e32 v18, 31, v17
	s_ashr_i32 s13, s15, 31
	s_mov_b32 s12, s15
	v_add_nc_u32_e32 v19, s15, v15
	v_lshlrev_b64 v[13:14], 3, v[13:14]
	v_ashrrev_i32_e32 v16, 31, v15
	v_lshlrev_b64 v[17:18], 3, v[17:18]
	v_add_co_ci_u32_e64 v98, null, s5, 0, s9
	v_add_nc_u32_e32 v21, s15, v19
	v_ashrrev_i32_e32 v20, 31, v19
	v_add_co_u32 v13, vcc_lo, s4, v13
	v_lshlrev_b64 v[15:16], 3, v[15:16]
	v_add_nc_u32_e32 v23, s15, v21
	v_ashrrev_i32_e32 v22, 31, v21
	v_add_co_ci_u32_e64 v14, null, s5, v14, vcc_lo
	v_add_co_u32 v11, vcc_lo, s4, v11
	v_add_nc_u32_e32 v27, s15, v23
	v_ashrrev_i32_e32 v24, 31, v23
	v_lshlrev_b64 v[19:20], 3, v[19:20]
	v_add_co_ci_u32_e64 v12, null, s5, v12, vcc_lo
	v_add_nc_u32_e32 v29, s15, v27
	v_ashrrev_i32_e32 v28, 31, v27
	v_add_co_u32 v17, vcc_lo, s4, v17
	v_lshlrev_b64 v[25:26], 3, v[21:22]
	v_add_nc_u32_e32 v31, s15, v29
	v_ashrrev_i32_e32 v30, 31, v29
	v_add_co_ci_u32_e64 v18, null, s5, v18, vcc_lo
	v_add_co_u32 v15, vcc_lo, s4, v15
	v_add_nc_u32_e32 v33, s15, v31
	v_lshlrev_b64 v[23:24], 3, v[23:24]
	v_ashrrev_i32_e32 v32, 31, v31
	v_add_co_ci_u32_e64 v16, null, s5, v16, vcc_lo
	v_add_nc_u32_e32 v35, s15, v33
	v_add_co_u32 v21, vcc_lo, s4, v19
	v_lshlrev_b64 v[27:28], 3, v[27:28]
	v_ashrrev_i32_e32 v34, 31, v33
	v_add_nc_u32_e32 v37, s15, v35
	v_add_co_ci_u32_e64 v22, null, s5, v20, vcc_lo
	v_add_co_u32 v19, vcc_lo, s4, v25
	v_add_nc_u32_e32 v39, s15, v37
	v_lshlrev_b64 v[29:30], 3, v[29:30]
	v_ashrrev_i32_e32 v36, 31, v35
	v_add_co_ci_u32_e64 v20, null, s5, v26, vcc_lo
	v_add_nc_u32_e32 v41, s15, v39
	v_add_co_u32 v25, vcc_lo, s4, v23
	v_lshlrev_b64 v[31:32], 3, v[31:32]
	v_ashrrev_i32_e32 v38, 31, v37
	v_add_nc_u32_e32 v43, s15, v41
	;; [unrolled: 11-line block ×3, first 2 shown]
	v_add_co_ci_u32_e64 v28, null, s5, v30, vcc_lo
	v_add_co_u32 v29, vcc_lo, s4, v31
	v_lshlrev_b64 v[37:38], 3, v[37:38]
	v_ashrrev_i32_e32 v44, 31, v43
	v_add_co_ci_u32_e64 v30, null, s5, v32, vcc_lo
	v_add_co_u32 v31, vcc_lo, s4, v33
	v_lshlrev_b64 v[39:40], 3, v[39:40]
	v_add_nc_u32_e32 v51, s15, v49
	v_add_co_ci_u32_e64 v32, null, s5, v34, vcc_lo
	v_add_co_u32 v33, vcc_lo, s4, v35
	v_lshlrev_b64 v[41:42], 3, v[41:42]
	v_ashrrev_i32_e32 v46, 31, v45
	v_add_co_ci_u32_e64 v34, null, s5, v36, vcc_lo
	v_add_co_u32 v35, vcc_lo, s4, v37
	v_lshlrev_b64 v[43:44], 3, v[43:44]
	v_ashrrev_i32_e32 v48, 31, v47
	v_add_co_ci_u32_e64 v36, null, s5, v38, vcc_lo
	v_add_co_u32 v37, vcc_lo, s4, v39
	v_add_nc_u32_e32 v55, s15, v51
	v_ashrrev_i32_e32 v50, 31, v49
	v_add_co_ci_u32_e64 v38, null, s5, v40, vcc_lo
	v_add_co_u32 v39, vcc_lo, s4, v41
	v_lshlrev_b64 v[45:46], 3, v[45:46]
	v_ashrrev_i32_e32 v52, 31, v51
	v_add_co_ci_u32_e64 v40, null, s5, v42, vcc_lo
	v_add_co_u32 v41, vcc_lo, s4, v43
	s_lshl_b64 s[12:13], s[12:13], 3
	v_lshlrev_b64 v[47:48], 3, v[47:48]
	v_ashrrev_i32_e32 v56, 31, v55
	v_add_co_ci_u32_e64 v42, null, s5, v44, vcc_lo
	v_add_co_u32 v53, vcc_lo, v97, s12
	v_lshlrev_b64 v[49:50], 3, v[49:50]
	v_add_co_ci_u32_e64 v54, null, s13, v98, vcc_lo
	v_add_co_u32 v43, vcc_lo, s4, v45
	v_lshlrev_b64 v[51:52], 3, v[51:52]
	;; [unrolled: 3-line block ×3, first 2 shown]
	v_add_co_ci_u32_e64 v46, null, s5, v48, vcc_lo
	v_add_co_u32 v47, vcc_lo, s4, v49
	v_add_co_ci_u32_e64 v48, null, s5, v50, vcc_lo
	v_add_co_u32 v49, vcc_lo, s4, v51
	;; [unrolled: 2-line block ×3, first 2 shown]
	v_add_co_ci_u32_e64 v52, null, s5, v57, vcc_lo
	s_clause 0x1b
	global_load_dwordx2 v[111:112], v125, s[4:5]
	global_load_dwordx2 v[113:114], v[53:54], off
	global_load_dwordx2 v[115:116], v[1:2], off
	;; [unrolled: 1-line block ×27, first 2 shown]
	v_add_nc_u32_e32 v57, s15, v55
	s_bitcmp0_b32 s8, 0
	v_ashrrev_i32_e32 v58, 31, v57
	v_lshlrev_b64 v[55:56], 3, v[57:58]
	v_add_nc_u32_e32 v57, s15, v57
	v_add_co_u32 v55, vcc_lo, s4, v55
	v_add_co_ci_u32_e64 v56, null, s5, v56, vcc_lo
	v_add_nc_u32_e32 v59, s15, v57
	v_ashrrev_i32_e32 v58, 31, v57
	global_load_dwordx2 v[168:169], v[55:56], off
	s_waitcnt vmcnt(28)
	buffer_store_dword v112, off, s[0:3], 0 offset:4
	buffer_store_dword v111, off, s[0:3], 0
	s_waitcnt vmcnt(27)
	buffer_store_dword v114, off, s[0:3], 0 offset:12
	buffer_store_dword v113, off, s[0:3], 0 offset:8
	s_waitcnt vmcnt(26)
	buffer_store_dword v116, off, s[0:3], 0 offset:20
	buffer_store_dword v115, off, s[0:3], 0 offset:16
	;; [unrolled: 3-line block ×4, first 2 shown]
	buffer_store_dword v122, off, s[0:3], 0 offset:44
	buffer_store_dword v121, off, s[0:3], 0 offset:40
	s_waitcnt vmcnt(22)
	buffer_store_dword v124, off, s[0:3], 0 offset:52
	buffer_store_dword v123, off, s[0:3], 0 offset:48
	s_waitcnt vmcnt(21)
	;; [unrolled: 3-line block ×22, first 2 shown]
	buffer_store_dword v166, off, s[0:3], 0 offset:216
	buffer_store_dword v167, off, s[0:3], 0 offset:220
	v_add_nc_u32_e32 v61, s15, v59
	v_ashrrev_i32_e32 v60, 31, v59
	v_lshlrev_b64 v[57:58], 3, v[57:58]
	v_add_nc_u32_e32 v63, s15, v61
	v_ashrrev_i32_e32 v62, 31, v61
	v_lshlrev_b64 v[59:60], 3, v[59:60]
	v_add_co_u32 v57, vcc_lo, s4, v57
	v_add_nc_u32_e32 v65, s15, v63
	v_ashrrev_i32_e32 v64, 31, v63
	v_lshlrev_b64 v[61:62], 3, v[61:62]
	v_add_co_ci_u32_e64 v58, null, s5, v58, vcc_lo
	v_add_nc_u32_e32 v67, s15, v65
	v_ashrrev_i32_e32 v66, 31, v65
	v_lshlrev_b64 v[63:64], 3, v[63:64]
	v_add_co_u32 v59, vcc_lo, s4, v59
	v_add_nc_u32_e32 v69, s15, v67
	v_ashrrev_i32_e32 v68, 31, v67
	v_lshlrev_b64 v[65:66], 3, v[65:66]
	v_add_co_ci_u32_e64 v60, null, s5, v60, vcc_lo
	v_add_nc_u32_e32 v71, s15, v69
	v_ashrrev_i32_e32 v70, 31, v69
	v_add_co_u32 v61, vcc_lo, s4, v61
	v_lshlrev_b64 v[67:68], 3, v[67:68]
	v_add_nc_u32_e32 v73, s15, v71
	v_ashrrev_i32_e32 v72, 31, v71
	v_add_co_ci_u32_e64 v62, null, s5, v62, vcc_lo
	v_add_co_u32 v63, vcc_lo, s4, v63
	v_add_nc_u32_e32 v75, s15, v73
	v_ashrrev_i32_e32 v74, 31, v73
	v_lshlrev_b64 v[69:70], 3, v[69:70]
	v_add_co_ci_u32_e64 v64, null, s5, v64, vcc_lo
	v_add_nc_u32_e32 v77, s15, v75
	v_ashrrev_i32_e32 v76, 31, v75
	v_add_co_u32 v65, vcc_lo, s4, v65
	v_lshlrev_b64 v[71:72], 3, v[71:72]
	v_add_nc_u32_e32 v79, s15, v77
	v_ashrrev_i32_e32 v78, 31, v77
	v_add_co_ci_u32_e64 v66, null, s5, v66, vcc_lo
	v_add_co_u32 v67, vcc_lo, s4, v67
	v_add_nc_u32_e32 v81, s15, v79
	v_lshlrev_b64 v[73:74], 3, v[73:74]
	v_ashrrev_i32_e32 v80, 31, v79
	v_add_co_ci_u32_e64 v68, null, s5, v68, vcc_lo
	v_add_nc_u32_e32 v83, s15, v81
	v_add_co_u32 v69, vcc_lo, s4, v69
	v_lshlrev_b64 v[75:76], 3, v[75:76]
	v_ashrrev_i32_e32 v82, 31, v81
	v_add_nc_u32_e32 v85, s15, v83
	v_add_co_ci_u32_e64 v70, null, s5, v70, vcc_lo
	v_add_co_u32 v71, vcc_lo, s4, v71
	v_add_nc_u32_e32 v87, s15, v85
	v_lshlrev_b64 v[77:78], 3, v[77:78]
	v_ashrrev_i32_e32 v84, 31, v83
	v_add_co_ci_u32_e64 v72, null, s5, v72, vcc_lo
	v_add_nc_u32_e32 v89, s15, v87
	v_add_co_u32 v73, vcc_lo, s4, v73
	v_lshlrev_b64 v[79:80], 3, v[79:80]
	v_ashrrev_i32_e32 v86, 31, v85
	v_add_nc_u32_e32 v91, s15, v89
	;; [unrolled: 11-line block ×4, first 2 shown]
	v_add_co_ci_u32_e64 v82, null, s5, v82, vcc_lo
	v_add_co_u32 v83, vcc_lo, s4, v83
	v_add_nc_u32_e32 v107, s15, v105
	v_lshlrev_b64 v[89:90], 3, v[89:90]
	v_ashrrev_i32_e32 v96, 31, v95
	v_add_co_ci_u32_e64 v84, null, s5, v84, vcc_lo
	v_add_nc_u32_e32 v109, s15, v107
	v_add_co_u32 v85, vcc_lo, s4, v85
	v_lshlrev_b64 v[91:92], 3, v[91:92]
	v_ashrrev_i32_e32 v100, 31, v99
	v_add_co_ci_u32_e64 v86, null, s5, v86, vcc_lo
	v_add_co_u32 v87, vcc_lo, s4, v87
	v_lshlrev_b64 v[93:94], 3, v[93:94]
	v_add_nc_u32_e32 v170, s15, v109
	v_ashrrev_i32_e32 v102, 31, v101
	v_add_co_ci_u32_e64 v88, null, s5, v88, vcc_lo
	v_add_co_u32 v89, vcc_lo, s4, v89
	v_lshlrev_b64 v[95:96], 3, v[95:96]
	v_ashrrev_i32_e32 v104, 31, v103
	v_add_co_ci_u32_e64 v90, null, s5, v90, vcc_lo
	v_add_co_u32 v91, vcc_lo, s4, v91
	v_lshlrev_b64 v[99:100], 3, v[99:100]
	v_ashrrev_i32_e32 v106, 31, v105
	v_add_nc_u32_e32 v172, s15, v170
	v_add_co_ci_u32_e64 v92, null, s5, v92, vcc_lo
	v_add_co_u32 v93, vcc_lo, s4, v93
	v_lshlrev_b64 v[101:102], 3, v[101:102]
	v_ashrrev_i32_e32 v108, 31, v107
	v_add_co_ci_u32_e64 v94, null, s5, v94, vcc_lo
	v_add_co_u32 v95, vcc_lo, s4, v95
	v_lshlrev_b64 v[103:104], 3, v[103:104]
	v_ashrrev_i32_e32 v110, 31, v109
	v_add_co_ci_u32_e64 v96, null, s5, v96, vcc_lo
	v_add_co_u32 v99, vcc_lo, s4, v99
	v_lshlrev_b64 v[105:106], 3, v[105:106]
	v_add_nc_u32_e32 v115, s15, v172
	v_ashrrev_i32_e32 v171, 31, v170
	v_add_co_ci_u32_e64 v100, null, s5, v100, vcc_lo
	v_add_co_u32 v101, vcc_lo, s4, v101
	v_lshlrev_b64 v[107:108], 3, v[107:108]
	v_ashrrev_i32_e32 v173, 31, v172
	v_add_co_ci_u32_e64 v102, null, s5, v102, vcc_lo
	v_add_co_u32 v103, vcc_lo, s4, v103
	v_lshlrev_b64 v[109:110], 3, v[109:110]
	;; [unrolled: 4-line block ×3, first 2 shown]
	v_add_co_ci_u32_e64 v106, null, s5, v106, vcc_lo
	v_add_co_u32 v107, vcc_lo, s4, v107
	v_lshlrev_b64 v[113:114], 3, v[172:173]
	v_add_co_ci_u32_e64 v108, null, s5, v108, vcc_lo
	v_add_co_u32 v109, vcc_lo, s4, v109
	v_add_nc_u32_e32 v117, s15, v115
	v_lshlrev_b64 v[115:116], 3, v[115:116]
	v_add_co_ci_u32_e64 v110, null, s5, v110, vcc_lo
	v_add_co_u32 v111, vcc_lo, s4, v170
	v_add_co_ci_u32_e64 v112, null, s5, v171, vcc_lo
	v_add_co_u32 v113, vcc_lo, s4, v113
	;; [unrolled: 2-line block ×3, first 2 shown]
	v_add_co_ci_u32_e64 v116, null, s5, v116, vcc_lo
	s_clause 0x1c
	global_load_dwordx2 v[123:124], v[57:58], off
	global_load_dwordx2 v[126:127], v[59:60], off
	;; [unrolled: 1-line block ×29, first 2 shown]
	v_add_nc_u32_e32 v119, s15, v117
	v_ashrrev_i32_e32 v118, 31, v117
	s_waitcnt vmcnt(29)
	buffer_store_dword v168, off, s[0:3], 0 offset:224
	buffer_store_dword v169, off, s[0:3], 0 offset:228
	v_add_nc_u32_e32 v121, s15, v119
	v_ashrrev_i32_e32 v120, 31, v119
	v_lshlrev_b64 v[117:118], 3, v[117:118]
	v_ashrrev_i32_e32 v122, 31, v121
	v_lshlrev_b64 v[119:120], 3, v[119:120]
	v_add_co_u32 v117, vcc_lo, s4, v117
	v_lshlrev_b64 v[121:122], 3, v[121:122]
	v_add_co_ci_u32_e64 v118, null, s5, v118, vcc_lo
	v_add_co_u32 v119, vcc_lo, s4, v119
	v_add_co_ci_u32_e64 v120, null, s5, v120, vcc_lo
	v_add_co_u32 v121, vcc_lo, s4, v121
	v_add_co_ci_u32_e64 v122, null, s5, v122, vcc_lo
	s_clause 0x1
	global_load_dwordx2 v[184:185], v[117:118], off
	global_load_dwordx2 v[186:187], v[119:120], off
	s_mov_b32 s5, -1
	global_load_dwordx2 v[168:169], v[121:122], off
	s_waitcnt vmcnt(31)
	buffer_store_dword v123, off, s[0:3], 0 offset:232
	buffer_store_dword v124, off, s[0:3], 0 offset:236
	s_waitcnt vmcnt(30)
	buffer_store_dword v126, off, s[0:3], 0 offset:240
	buffer_store_dword v127, off, s[0:3], 0 offset:244
	;; [unrolled: 3-line block ×32, first 2 shown]
	s_cbranch_scc1 .LBB60_252
; %bb.4:
	v_cmp_eq_u32_e64 s4, 0, v0
	s_and_saveexec_b32 s5, s4
; %bb.5:
	v_mov_b32_e32 v123, 0
	ds_write_b32 v123, v123 offset:488
; %bb.6:
	s_or_b32 exec_lo, exec_lo, s5
	v_lshl_add_u32 v123, v0, 3, 0
	s_waitcnt lgkmcnt(0)
	s_waitcnt_vscnt null, 0x0
	s_barrier
	buffer_gl0_inv
	s_mov_b32 s8, exec_lo
	s_clause 0x1
	buffer_load_dword v126, v123, s[0:3], 0 offen
	buffer_load_dword v127, v123, s[0:3], 0 offen offset:4
	s_waitcnt vmcnt(0)
	v_cmpx_eq_f64_e32 0, v[126:127]
	s_cbranch_execz .LBB60_10
; %bb.7:
	v_mov_b32_e32 v124, 0
	s_mov_b32 s9, 0
	ds_read_b32 v126, v124 offset:488
	s_waitcnt lgkmcnt(0)
	v_readfirstlane_b32 s5, v126
	v_add_nc_u32_e32 v126, 1, v0
	s_cmp_eq_u32 s5, 0
	v_cmp_gt_i32_e32 vcc_lo, s5, v126
	s_cselect_b32 s12, -1, 0
	s_or_b32 s12, s12, vcc_lo
	s_and_b32 exec_lo, exec_lo, s12
	s_cbranch_execz .LBB60_10
; %bb.8:
	v_mov_b32_e32 v127, s5
.LBB60_9:                               ; =>This Inner Loop Header: Depth=1
	ds_cmpst_rtn_b32 v127, v124, v127, v126 offset:488
	s_waitcnt lgkmcnt(0)
	v_cmp_ne_u32_e32 vcc_lo, 0, v127
	v_cmp_le_i32_e64 s5, v127, v126
	s_and_b32 s5, vcc_lo, s5
	s_and_b32 s5, exec_lo, s5
	s_or_b32 s9, s5, s9
	s_andn2_b32 exec_lo, exec_lo, s9
	s_cbranch_execnz .LBB60_9
.LBB60_10:
	s_or_b32 exec_lo, exec_lo, s8
	v_mov_b32_e32 v124, 0
	s_barrier
	buffer_gl0_inv
	ds_read_b32 v126, v124 offset:488
	s_and_saveexec_b32 s5, s4
	s_cbranch_execz .LBB60_12
; %bb.11:
	s_lshl_b64 s[8:9], s[6:7], 2
	s_add_u32 s8, s10, s8
	s_addc_u32 s9, s11, s9
	s_waitcnt lgkmcnt(0)
	global_store_dword v124, v126, s[8:9]
.LBB60_12:
	s_or_b32 exec_lo, exec_lo, s5
	s_waitcnt lgkmcnt(0)
	v_cmp_ne_u32_e32 vcc_lo, 0, v126
	s_mov_b32 s5, 0
	s_cbranch_vccnz .LBB60_252
; %bb.13:
	s_clause 0x1
	buffer_load_dword v126, v123, s[0:3], 0 offen
	buffer_load_dword v127, v123, s[0:3], 0 offen offset:4
	s_waitcnt vmcnt(0)
	v_div_scale_f64 v[128:129], null, v[126:127], v[126:127], 1.0
	v_div_scale_f64 v[134:135], vcc_lo, 1.0, v[126:127], 1.0
	v_rcp_f64_e32 v[130:131], v[128:129]
	v_fma_f64 v[132:133], -v[128:129], v[130:131], 1.0
	v_fma_f64 v[130:131], v[130:131], v[132:133], v[130:131]
	v_fma_f64 v[132:133], -v[128:129], v[130:131], 1.0
	v_fma_f64 v[130:131], v[130:131], v[132:133], v[130:131]
	v_mul_f64 v[132:133], v[134:135], v[130:131]
	v_fma_f64 v[128:129], -v[128:129], v[132:133], v[134:135]
	v_div_fmas_f64 v[128:129], v[128:129], v[130:131], v[132:133]
	v_div_fixup_f64 v[127:128], v[128:129], v[126:127], 1.0
	v_add_nc_u32_e32 v126, 0x1f0, v125
	buffer_store_dword v128, v123, s[0:3], 0 offen offset:4
	buffer_store_dword v127, v123, s[0:3], 0 offen
	s_clause 0x1
	buffer_load_dword v130, off, s[0:3], 0 offset:12
	buffer_load_dword v129, off, s[0:3], 0 offset:8
	v_xor_b32_e32 v128, 0x80000000, v128
	s_waitcnt vmcnt(0)
	ds_write2_b64 v125, v[127:128], v[129:130] offset1:62
	s_waitcnt lgkmcnt(0)
	s_waitcnt_vscnt null, 0x0
	s_barrier
	buffer_gl0_inv
	s_and_saveexec_b32 s5, s4
	s_cbranch_execz .LBB60_15
; %bb.14:
	s_clause 0x1
	buffer_load_dword v127, v123, s[0:3], 0 offen
	buffer_load_dword v128, v123, s[0:3], 0 offen offset:4
	ds_read_b64 v[129:130], v126
	v_mov_b32_e32 v124, 0
	ds_read_b64 v[131:132], v124 offset:8
	s_waitcnt vmcnt(0) lgkmcnt(1)
	v_fma_f64 v[127:128], v[127:128], v[129:130], 0
	s_waitcnt lgkmcnt(0)
	v_mul_f64 v[127:128], v[127:128], v[131:132]
	buffer_store_dword v127, off, s[0:3], 0 offset:8
	buffer_store_dword v128, off, s[0:3], 0 offset:12
.LBB60_15:
	s_or_b32 exec_lo, exec_lo, s5
	s_waitcnt_vscnt null, 0x0
	s_barrier
	buffer_gl0_inv
	s_clause 0x1
	buffer_load_dword v127, off, s[0:3], 0 offset:16
	buffer_load_dword v128, off, s[0:3], 0 offset:20
	s_mov_b32 s5, exec_lo
	s_waitcnt vmcnt(0)
	ds_write_b64 v126, v[127:128]
	s_waitcnt lgkmcnt(0)
	s_barrier
	buffer_gl0_inv
	v_cmpx_gt_u32_e32 2, v0
	s_cbranch_execz .LBB60_19
; %bb.16:
	s_clause 0x1
	buffer_load_dword v127, v123, s[0:3], 0 offen
	buffer_load_dword v128, v123, s[0:3], 0 offen offset:4
	ds_read_b64 v[123:124], v126
	s_waitcnt vmcnt(0) lgkmcnt(0)
	v_fma_f64 v[123:124], v[127:128], v[123:124], 0
	s_and_saveexec_b32 s8, s4
	s_cbranch_execz .LBB60_18
; %bb.17:
	s_clause 0x1
	buffer_load_dword v127, off, s[0:3], 0 offset:8
	buffer_load_dword v128, off, s[0:3], 0 offset:12
	v_mov_b32_e32 v129, 0
	ds_read_b64 v[129:130], v129 offset:504
	s_waitcnt vmcnt(0) lgkmcnt(0)
	v_fma_f64 v[123:124], v[127:128], v[129:130], v[123:124]
.LBB60_18:
	s_or_b32 exec_lo, exec_lo, s8
	v_mov_b32_e32 v127, 0
	ds_read_b64 v[127:128], v127 offset:16
	s_waitcnt lgkmcnt(0)
	v_mul_f64 v[123:124], v[123:124], v[127:128]
	buffer_store_dword v124, off, s[0:3], 0 offset:20
	buffer_store_dword v123, off, s[0:3], 0 offset:16
.LBB60_19:
	s_or_b32 exec_lo, exec_lo, s5
	s_waitcnt_vscnt null, 0x0
	s_barrier
	buffer_gl0_inv
	s_clause 0x1
	buffer_load_dword v123, off, s[0:3], 0 offset:24
	buffer_load_dword v124, off, s[0:3], 0 offset:28
	v_add_nc_u32_e32 v127, -1, v0
	s_mov_b32 s4, exec_lo
	s_waitcnt vmcnt(0)
	ds_write_b64 v126, v[123:124]
	s_waitcnt lgkmcnt(0)
	s_barrier
	buffer_gl0_inv
	v_cmpx_gt_u32_e32 3, v0
	s_cbranch_execz .LBB60_23
; %bb.20:
	v_mov_b32_e32 v123, 0
	v_add_nc_u32_e32 v128, -1, v0
	v_add_nc_u32_e32 v129, 0x1f0, v125
	v_mov_b32_e32 v124, 0
	v_mov_b32_e32 v130, v125
	s_mov_b32 s5, 0
.LBB60_21:                              ; =>This Inner Loop Header: Depth=1
	s_clause 0x1
	buffer_load_dword v131, v130, s[0:3], 0 offen
	buffer_load_dword v132, v130, s[0:3], 0 offen offset:4
	ds_read_b64 v[133:134], v129
	v_add_nc_u32_e32 v128, 1, v128
	v_add_nc_u32_e32 v129, 8, v129
	v_add_nc_u32_e32 v130, 8, v130
	v_cmp_lt_u32_e32 vcc_lo, 1, v128
	s_or_b32 s5, vcc_lo, s5
	s_waitcnt vmcnt(0) lgkmcnt(0)
	v_fma_f64 v[123:124], v[131:132], v[133:134], v[123:124]
	s_andn2_b32 exec_lo, exec_lo, s5
	s_cbranch_execnz .LBB60_21
; %bb.22:
	s_or_b32 exec_lo, exec_lo, s5
	v_mov_b32_e32 v128, 0
	ds_read_b64 v[128:129], v128 offset:24
	s_waitcnt lgkmcnt(0)
	v_mul_f64 v[123:124], v[123:124], v[128:129]
	buffer_store_dword v124, off, s[0:3], 0 offset:28
	buffer_store_dword v123, off, s[0:3], 0 offset:24
.LBB60_23:
	s_or_b32 exec_lo, exec_lo, s4
	s_waitcnt_vscnt null, 0x0
	s_barrier
	buffer_gl0_inv
	s_clause 0x1
	buffer_load_dword v123, off, s[0:3], 0 offset:32
	buffer_load_dword v124, off, s[0:3], 0 offset:36
	s_mov_b32 s4, exec_lo
	s_waitcnt vmcnt(0)
	ds_write_b64 v126, v[123:124]
	s_waitcnt lgkmcnt(0)
	s_barrier
	buffer_gl0_inv
	v_cmpx_gt_u32_e32 4, v0
	s_cbranch_execz .LBB60_27
; %bb.24:
	v_mov_b32_e32 v123, 0
	v_add_nc_u32_e32 v128, -1, v0
	v_add_nc_u32_e32 v129, 0x1f0, v125
	v_mov_b32_e32 v124, 0
	v_mov_b32_e32 v130, v125
	s_mov_b32 s5, 0
.LBB60_25:                              ; =>This Inner Loop Header: Depth=1
	s_clause 0x1
	buffer_load_dword v131, v130, s[0:3], 0 offen
	buffer_load_dword v132, v130, s[0:3], 0 offen offset:4
	ds_read_b64 v[133:134], v129
	v_add_nc_u32_e32 v128, 1, v128
	v_add_nc_u32_e32 v129, 8, v129
	v_add_nc_u32_e32 v130, 8, v130
	v_cmp_lt_u32_e32 vcc_lo, 2, v128
	s_or_b32 s5, vcc_lo, s5
	s_waitcnt vmcnt(0) lgkmcnt(0)
	v_fma_f64 v[123:124], v[131:132], v[133:134], v[123:124]
	s_andn2_b32 exec_lo, exec_lo, s5
	s_cbranch_execnz .LBB60_25
; %bb.26:
	s_or_b32 exec_lo, exec_lo, s5
	v_mov_b32_e32 v128, 0
	ds_read_b64 v[128:129], v128 offset:32
	s_waitcnt lgkmcnt(0)
	v_mul_f64 v[123:124], v[123:124], v[128:129]
	buffer_store_dword v124, off, s[0:3], 0 offset:36
	buffer_store_dword v123, off, s[0:3], 0 offset:32
.LBB60_27:
	s_or_b32 exec_lo, exec_lo, s4
	s_waitcnt_vscnt null, 0x0
	s_barrier
	buffer_gl0_inv
	s_clause 0x1
	buffer_load_dword v123, off, s[0:3], 0 offset:40
	buffer_load_dword v124, off, s[0:3], 0 offset:44
	;; [unrolled: 45-line block ×20, first 2 shown]
	s_mov_b32 s4, exec_lo
	s_waitcnt vmcnt(0)
	ds_write_b64 v126, v[123:124]
	s_waitcnt lgkmcnt(0)
	s_barrier
	buffer_gl0_inv
	v_cmpx_gt_u32_e32 23, v0
	s_cbranch_execz .LBB60_103
; %bb.100:
	v_mov_b32_e32 v123, 0
	v_add_nc_u32_e32 v128, -1, v0
	v_add_nc_u32_e32 v129, 0x1f0, v125
	v_mov_b32_e32 v124, 0
	v_mov_b32_e32 v130, v125
	s_mov_b32 s5, 0
.LBB60_101:                             ; =>This Inner Loop Header: Depth=1
	s_clause 0x1
	buffer_load_dword v131, v130, s[0:3], 0 offen
	buffer_load_dword v132, v130, s[0:3], 0 offen offset:4
	ds_read_b64 v[133:134], v129
	v_add_nc_u32_e32 v128, 1, v128
	v_add_nc_u32_e32 v129, 8, v129
	v_add_nc_u32_e32 v130, 8, v130
	v_cmp_lt_u32_e32 vcc_lo, 21, v128
	s_or_b32 s5, vcc_lo, s5
	s_waitcnt vmcnt(0) lgkmcnt(0)
	v_fma_f64 v[123:124], v[131:132], v[133:134], v[123:124]
	s_andn2_b32 exec_lo, exec_lo, s5
	s_cbranch_execnz .LBB60_101
; %bb.102:
	s_or_b32 exec_lo, exec_lo, s5
	v_mov_b32_e32 v128, 0
	ds_read_b64 v[128:129], v128 offset:184
	s_waitcnt lgkmcnt(0)
	v_mul_f64 v[123:124], v[123:124], v[128:129]
	buffer_store_dword v124, off, s[0:3], 0 offset:188
	buffer_store_dword v123, off, s[0:3], 0 offset:184
.LBB60_103:
	s_or_b32 exec_lo, exec_lo, s4
	s_waitcnt_vscnt null, 0x0
	s_barrier
	buffer_gl0_inv
	s_clause 0x1
	buffer_load_dword v123, off, s[0:3], 0 offset:192
	buffer_load_dword v124, off, s[0:3], 0 offset:196
	s_mov_b32 s4, exec_lo
	s_waitcnt vmcnt(0)
	ds_write_b64 v126, v[123:124]
	s_waitcnt lgkmcnt(0)
	s_barrier
	buffer_gl0_inv
	v_cmpx_gt_u32_e32 24, v0
	s_cbranch_execz .LBB60_107
; %bb.104:
	v_mov_b32_e32 v123, 0
	v_add_nc_u32_e32 v128, -1, v0
	v_add_nc_u32_e32 v129, 0x1f0, v125
	v_mov_b32_e32 v124, 0
	v_mov_b32_e32 v130, v125
	s_mov_b32 s5, 0
.LBB60_105:                             ; =>This Inner Loop Header: Depth=1
	s_clause 0x1
	buffer_load_dword v131, v130, s[0:3], 0 offen
	buffer_load_dword v132, v130, s[0:3], 0 offen offset:4
	ds_read_b64 v[133:134], v129
	v_add_nc_u32_e32 v128, 1, v128
	v_add_nc_u32_e32 v129, 8, v129
	v_add_nc_u32_e32 v130, 8, v130
	v_cmp_lt_u32_e32 vcc_lo, 22, v128
	s_or_b32 s5, vcc_lo, s5
	s_waitcnt vmcnt(0) lgkmcnt(0)
	v_fma_f64 v[123:124], v[131:132], v[133:134], v[123:124]
	s_andn2_b32 exec_lo, exec_lo, s5
	s_cbranch_execnz .LBB60_105
; %bb.106:
	s_or_b32 exec_lo, exec_lo, s5
	v_mov_b32_e32 v128, 0
	ds_read_b64 v[128:129], v128 offset:192
	s_waitcnt lgkmcnt(0)
	v_mul_f64 v[123:124], v[123:124], v[128:129]
	buffer_store_dword v124, off, s[0:3], 0 offset:196
	buffer_store_dword v123, off, s[0:3], 0 offset:192
.LBB60_107:
	s_or_b32 exec_lo, exec_lo, s4
	s_waitcnt_vscnt null, 0x0
	s_barrier
	buffer_gl0_inv
	s_clause 0x1
	buffer_load_dword v123, off, s[0:3], 0 offset:200
	buffer_load_dword v124, off, s[0:3], 0 offset:204
	;; [unrolled: 45-line block ×37, first 2 shown]
	s_mov_b32 s4, exec_lo
	s_waitcnt vmcnt(0)
	ds_write_b64 v126, v[123:124]
	s_waitcnt lgkmcnt(0)
	s_barrier
	buffer_gl0_inv
	v_cmpx_ne_u32_e32 60, v0
	s_cbranch_execz .LBB60_251
; %bb.248:
	v_mov_b32_e32 v123, 0
	v_mov_b32_e32 v124, 0
	s_mov_b32 s5, 0
.LBB60_249:                             ; =>This Inner Loop Header: Depth=1
	s_clause 0x1
	buffer_load_dword v128, v125, s[0:3], 0 offen
	buffer_load_dword v129, v125, s[0:3], 0 offen offset:4
	ds_read_b64 v[130:131], v126
	v_add_nc_u32_e32 v127, 1, v127
	v_add_nc_u32_e32 v126, 8, v126
	;; [unrolled: 1-line block ×3, first 2 shown]
	v_cmp_lt_u32_e32 vcc_lo, 58, v127
	s_or_b32 s5, vcc_lo, s5
	s_waitcnt vmcnt(0) lgkmcnt(0)
	v_fma_f64 v[123:124], v[128:129], v[130:131], v[123:124]
	s_andn2_b32 exec_lo, exec_lo, s5
	s_cbranch_execnz .LBB60_249
; %bb.250:
	s_or_b32 exec_lo, exec_lo, s5
	v_mov_b32_e32 v125, 0
	ds_read_b64 v[125:126], v125 offset:480
	s_waitcnt lgkmcnt(0)
	v_mul_f64 v[123:124], v[123:124], v[125:126]
	buffer_store_dword v124, off, s[0:3], 0 offset:484
	buffer_store_dword v123, off, s[0:3], 0 offset:480
.LBB60_251:
	s_or_b32 exec_lo, exec_lo, s4
	s_mov_b32 s5, -1
	s_waitcnt_vscnt null, 0x0
	s_barrier
	buffer_gl0_inv
.LBB60_252:
	s_and_b32 vcc_lo, exec_lo, s5
	s_cbranch_vccz .LBB60_254
; %bb.253:
	s_lshl_b64 s[4:5], s[6:7], 2
	v_mov_b32_e32 v123, 0
	s_add_u32 s4, s10, s4
	s_addc_u32 s5, s11, s5
	global_load_dword v123, v123, s[4:5]
	s_waitcnt vmcnt(0)
	v_cmp_ne_u32_e32 vcc_lo, 0, v123
	s_cbranch_vccz .LBB60_255
.LBB60_254:
	s_endpgm
.LBB60_255:
	v_lshl_add_u32 v123, v0, 3, 0x1f0
	s_mov_b32 s4, exec_lo
	v_cmpx_eq_u32_e32 60, v0
	s_cbranch_execz .LBB60_257
; %bb.256:
	s_clause 0x1
	buffer_load_dword v124, off, s[0:3], 0 offset:472
	buffer_load_dword v125, off, s[0:3], 0 offset:476
	v_mov_b32_e32 v126, 0
	buffer_store_dword v126, off, s[0:3], 0 offset:472
	buffer_store_dword v126, off, s[0:3], 0 offset:476
	s_waitcnt vmcnt(0)
	ds_write_b64 v123, v[124:125]
.LBB60_257:
	s_or_b32 exec_lo, exec_lo, s4
	s_waitcnt lgkmcnt(0)
	s_waitcnt_vscnt null, 0x0
	s_barrier
	buffer_gl0_inv
	s_clause 0x3
	buffer_load_dword v125, off, s[0:3], 0 offset:480
	buffer_load_dword v126, off, s[0:3], 0 offset:484
	;; [unrolled: 1-line block ×4, first 2 shown]
	v_mov_b32_e32 v124, 0
	s_mov_b32 s4, exec_lo
	ds_read_b64 v[129:130], v124 offset:976
	s_waitcnt vmcnt(2) lgkmcnt(0)
	v_fma_f64 v[125:126], v[125:126], v[129:130], 0
	s_waitcnt vmcnt(0)
	v_add_f64 v[125:126], v[127:128], -v[125:126]
	buffer_store_dword v125, off, s[0:3], 0 offset:472
	buffer_store_dword v126, off, s[0:3], 0 offset:476
	v_cmpx_lt_u32_e32 58, v0
	s_cbranch_execz .LBB60_259
; %bb.258:
	s_clause 0x1
	buffer_load_dword v125, off, s[0:3], 0 offset:464
	buffer_load_dword v126, off, s[0:3], 0 offset:468
	buffer_store_dword v124, off, s[0:3], 0 offset:464
	buffer_store_dword v124, off, s[0:3], 0 offset:468
	s_waitcnt vmcnt(0)
	ds_write_b64 v123, v[125:126]
.LBB60_259:
	s_or_b32 exec_lo, exec_lo, s4
	s_waitcnt lgkmcnt(0)
	s_waitcnt_vscnt null, 0x0
	s_barrier
	buffer_gl0_inv
	s_clause 0x5
	buffer_load_dword v128, off, s[0:3], 0 offset:472
	buffer_load_dword v129, off, s[0:3], 0 offset:476
	;; [unrolled: 1-line block ×6, first 2 shown]
	ds_read2_b64 v[124:127], v124 offset0:121 offset1:122
	s_mov_b32 s4, exec_lo
	s_waitcnt vmcnt(4) lgkmcnt(0)
	v_fma_f64 v[124:125], v[128:129], v[124:125], 0
	s_waitcnt vmcnt(2)
	v_fma_f64 v[124:125], v[130:131], v[126:127], v[124:125]
	s_waitcnt vmcnt(0)
	v_add_f64 v[124:125], v[132:133], -v[124:125]
	buffer_store_dword v124, off, s[0:3], 0 offset:464
	buffer_store_dword v125, off, s[0:3], 0 offset:468
	v_cmpx_lt_u32_e32 57, v0
	s_cbranch_execz .LBB60_261
; %bb.260:
	s_clause 0x1
	buffer_load_dword v124, off, s[0:3], 0 offset:456
	buffer_load_dword v125, off, s[0:3], 0 offset:460
	v_mov_b32_e32 v126, 0
	buffer_store_dword v126, off, s[0:3], 0 offset:456
	buffer_store_dword v126, off, s[0:3], 0 offset:460
	s_waitcnt vmcnt(0)
	ds_write_b64 v123, v[124:125]
.LBB60_261:
	s_or_b32 exec_lo, exec_lo, s4
	s_waitcnt lgkmcnt(0)
	s_waitcnt_vscnt null, 0x0
	s_barrier
	buffer_gl0_inv
	s_clause 0x7
	buffer_load_dword v129, off, s[0:3], 0 offset:464
	buffer_load_dword v130, off, s[0:3], 0 offset:468
	;; [unrolled: 1-line block ×8, first 2 shown]
	v_mov_b32_e32 v124, 0
	ds_read_b128 v[125:128], v124 offset:960
	ds_read_b64 v[137:138], v124 offset:976
	s_mov_b32 s4, exec_lo
	s_waitcnt vmcnt(6) lgkmcnt(1)
	v_fma_f64 v[125:126], v[129:130], v[125:126], 0
	s_waitcnt vmcnt(4)
	v_fma_f64 v[125:126], v[131:132], v[127:128], v[125:126]
	s_waitcnt vmcnt(2) lgkmcnt(0)
	v_fma_f64 v[125:126], v[133:134], v[137:138], v[125:126]
	s_waitcnt vmcnt(0)
	v_add_f64 v[125:126], v[135:136], -v[125:126]
	buffer_store_dword v125, off, s[0:3], 0 offset:456
	buffer_store_dword v126, off, s[0:3], 0 offset:460
	v_cmpx_lt_u32_e32 56, v0
	s_cbranch_execz .LBB60_263
; %bb.262:
	s_clause 0x1
	buffer_load_dword v125, off, s[0:3], 0 offset:448
	buffer_load_dword v126, off, s[0:3], 0 offset:452
	buffer_store_dword v124, off, s[0:3], 0 offset:448
	buffer_store_dword v124, off, s[0:3], 0 offset:452
	s_waitcnt vmcnt(0)
	ds_write_b64 v123, v[125:126]
.LBB60_263:
	s_or_b32 exec_lo, exec_lo, s4
	s_waitcnt lgkmcnt(0)
	s_waitcnt_vscnt null, 0x0
	s_barrier
	buffer_gl0_inv
	s_clause 0x9
	buffer_load_dword v133, off, s[0:3], 0 offset:456
	buffer_load_dword v134, off, s[0:3], 0 offset:460
	;; [unrolled: 1-line block ×10, first 2 shown]
	ds_read2_b64 v[125:128], v124 offset0:119 offset1:120
	ds_read2_b64 v[129:132], v124 offset0:121 offset1:122
	s_mov_b32 s4, exec_lo
	s_waitcnt vmcnt(8) lgkmcnt(1)
	v_fma_f64 v[124:125], v[133:134], v[125:126], 0
	s_waitcnt vmcnt(6)
	v_fma_f64 v[124:125], v[135:136], v[127:128], v[124:125]
	s_waitcnt vmcnt(4) lgkmcnt(0)
	v_fma_f64 v[124:125], v[137:138], v[129:130], v[124:125]
	s_waitcnt vmcnt(2)
	v_fma_f64 v[124:125], v[139:140], v[131:132], v[124:125]
	s_waitcnt vmcnt(0)
	v_add_f64 v[124:125], v[141:142], -v[124:125]
	buffer_store_dword v124, off, s[0:3], 0 offset:448
	buffer_store_dword v125, off, s[0:3], 0 offset:452
	v_cmpx_lt_u32_e32 55, v0
	s_cbranch_execz .LBB60_265
; %bb.264:
	s_clause 0x1
	buffer_load_dword v124, off, s[0:3], 0 offset:440
	buffer_load_dword v125, off, s[0:3], 0 offset:444
	v_mov_b32_e32 v126, 0
	buffer_store_dword v126, off, s[0:3], 0 offset:440
	buffer_store_dword v126, off, s[0:3], 0 offset:444
	s_waitcnt vmcnt(0)
	ds_write_b64 v123, v[124:125]
.LBB60_265:
	s_or_b32 exec_lo, exec_lo, s4
	s_waitcnt lgkmcnt(0)
	s_waitcnt_vscnt null, 0x0
	s_barrier
	buffer_gl0_inv
	s_clause 0xb
	buffer_load_dword v133, off, s[0:3], 0 offset:448
	buffer_load_dword v134, off, s[0:3], 0 offset:452
	;; [unrolled: 1-line block ×12, first 2 shown]
	v_mov_b32_e32 v124, 0
	ds_read_b128 v[125:128], v124 offset:944
	ds_read_b128 v[129:132], v124 offset:960
	s_mov_b32 s4, exec_lo
	s_waitcnt vmcnt(10) lgkmcnt(1)
	v_fma_f64 v[125:126], v[133:134], v[125:126], 0
	s_waitcnt vmcnt(8)
	v_fma_f64 v[125:126], v[135:136], v[127:128], v[125:126]
	ds_read_b64 v[127:128], v124 offset:976
	s_waitcnt vmcnt(6) lgkmcnt(1)
	v_fma_f64 v[125:126], v[137:138], v[129:130], v[125:126]
	s_waitcnt vmcnt(4)
	v_fma_f64 v[125:126], v[139:140], v[131:132], v[125:126]
	s_waitcnt vmcnt(2) lgkmcnt(0)
	v_fma_f64 v[125:126], v[141:142], v[127:128], v[125:126]
	s_waitcnt vmcnt(0)
	v_add_f64 v[125:126], v[143:144], -v[125:126]
	buffer_store_dword v125, off, s[0:3], 0 offset:440
	buffer_store_dword v126, off, s[0:3], 0 offset:444
	v_cmpx_lt_u32_e32 54, v0
	s_cbranch_execz .LBB60_267
; %bb.266:
	s_clause 0x1
	buffer_load_dword v125, off, s[0:3], 0 offset:432
	buffer_load_dword v126, off, s[0:3], 0 offset:436
	buffer_store_dword v124, off, s[0:3], 0 offset:432
	buffer_store_dword v124, off, s[0:3], 0 offset:436
	s_waitcnt vmcnt(0)
	ds_write_b64 v123, v[125:126]
.LBB60_267:
	s_or_b32 exec_lo, exec_lo, s4
	s_waitcnt lgkmcnt(0)
	s_waitcnt_vscnt null, 0x0
	s_barrier
	buffer_gl0_inv
	s_clause 0xd
	buffer_load_dword v133, off, s[0:3], 0 offset:440
	buffer_load_dword v134, off, s[0:3], 0 offset:444
	buffer_load_dword v135, off, s[0:3], 0 offset:448
	buffer_load_dword v136, off, s[0:3], 0 offset:452
	buffer_load_dword v137, off, s[0:3], 0 offset:456
	buffer_load_dword v138, off, s[0:3], 0 offset:460
	buffer_load_dword v139, off, s[0:3], 0 offset:464
	buffer_load_dword v140, off, s[0:3], 0 offset:468
	buffer_load_dword v141, off, s[0:3], 0 offset:472
	buffer_load_dword v142, off, s[0:3], 0 offset:476
	buffer_load_dword v143, off, s[0:3], 0 offset:480
	buffer_load_dword v144, off, s[0:3], 0 offset:484
	buffer_load_dword v145, off, s[0:3], 0 offset:432
	buffer_load_dword v146, off, s[0:3], 0 offset:436
	ds_read2_b64 v[125:128], v124 offset0:117 offset1:118
	ds_read2_b64 v[129:132], v124 offset0:119 offset1:120
	s_mov_b32 s4, exec_lo
	s_waitcnt vmcnt(12) lgkmcnt(1)
	v_fma_f64 v[125:126], v[133:134], v[125:126], 0
	s_waitcnt vmcnt(10)
	v_fma_f64 v[125:126], v[135:136], v[127:128], v[125:126]
	s_waitcnt vmcnt(8) lgkmcnt(0)
	v_fma_f64 v[125:126], v[137:138], v[129:130], v[125:126]
	s_waitcnt vmcnt(6)
	v_fma_f64 v[128:129], v[139:140], v[131:132], v[125:126]
	ds_read2_b64 v[124:127], v124 offset0:121 offset1:122
	s_waitcnt vmcnt(4) lgkmcnt(0)
	v_fma_f64 v[124:125], v[141:142], v[124:125], v[128:129]
	s_waitcnt vmcnt(2)
	v_fma_f64 v[124:125], v[143:144], v[126:127], v[124:125]
	s_waitcnt vmcnt(0)
	v_add_f64 v[124:125], v[145:146], -v[124:125]
	buffer_store_dword v124, off, s[0:3], 0 offset:432
	buffer_store_dword v125, off, s[0:3], 0 offset:436
	v_cmpx_lt_u32_e32 53, v0
	s_cbranch_execz .LBB60_269
; %bb.268:
	s_clause 0x1
	buffer_load_dword v124, off, s[0:3], 0 offset:424
	buffer_load_dword v125, off, s[0:3], 0 offset:428
	v_mov_b32_e32 v126, 0
	buffer_store_dword v126, off, s[0:3], 0 offset:424
	buffer_store_dword v126, off, s[0:3], 0 offset:428
	s_waitcnt vmcnt(0)
	ds_write_b64 v123, v[124:125]
.LBB60_269:
	s_or_b32 exec_lo, exec_lo, s4
	s_waitcnt lgkmcnt(0)
	s_waitcnt_vscnt null, 0x0
	s_barrier
	buffer_gl0_inv
	s_clause 0xf
	buffer_load_dword v133, off, s[0:3], 0 offset:432
	buffer_load_dword v134, off, s[0:3], 0 offset:436
	;; [unrolled: 1-line block ×16, first 2 shown]
	v_mov_b32_e32 v124, 0
	ds_read_b128 v[125:128], v124 offset:928
	ds_read_b128 v[129:132], v124 offset:944
	s_mov_b32 s4, exec_lo
	s_waitcnt vmcnt(14) lgkmcnt(1)
	v_fma_f64 v[125:126], v[133:134], v[125:126], 0
	s_waitcnt vmcnt(12)
	v_fma_f64 v[125:126], v[135:136], v[127:128], v[125:126]
	s_waitcnt vmcnt(10) lgkmcnt(0)
	v_fma_f64 v[125:126], v[137:138], v[129:130], v[125:126]
	s_waitcnt vmcnt(8)
	v_fma_f64 v[129:130], v[139:140], v[131:132], v[125:126]
	ds_read_b128 v[125:128], v124 offset:960
	ds_read_b64 v[131:132], v124 offset:976
	s_waitcnt vmcnt(6) lgkmcnt(1)
	v_fma_f64 v[125:126], v[141:142], v[125:126], v[129:130]
	s_waitcnt vmcnt(4)
	v_fma_f64 v[125:126], v[143:144], v[127:128], v[125:126]
	s_waitcnt vmcnt(2) lgkmcnt(0)
	v_fma_f64 v[125:126], v[145:146], v[131:132], v[125:126]
	s_waitcnt vmcnt(0)
	v_add_f64 v[125:126], v[147:148], -v[125:126]
	buffer_store_dword v125, off, s[0:3], 0 offset:424
	buffer_store_dword v126, off, s[0:3], 0 offset:428
	v_cmpx_lt_u32_e32 52, v0
	s_cbranch_execz .LBB60_271
; %bb.270:
	s_clause 0x1
	buffer_load_dword v125, off, s[0:3], 0 offset:416
	buffer_load_dword v126, off, s[0:3], 0 offset:420
	buffer_store_dword v124, off, s[0:3], 0 offset:416
	buffer_store_dword v124, off, s[0:3], 0 offset:420
	s_waitcnt vmcnt(0)
	ds_write_b64 v123, v[125:126]
.LBB60_271:
	s_or_b32 exec_lo, exec_lo, s4
	s_waitcnt lgkmcnt(0)
	s_waitcnt_vscnt null, 0x0
	s_barrier
	buffer_gl0_inv
	s_clause 0x11
	buffer_load_dword v133, off, s[0:3], 0 offset:424
	buffer_load_dword v134, off, s[0:3], 0 offset:428
	;; [unrolled: 1-line block ×18, first 2 shown]
	ds_read2_b64 v[125:128], v124 offset0:115 offset1:116
	ds_read2_b64 v[129:132], v124 offset0:117 offset1:118
	s_mov_b32 s4, exec_lo
	s_waitcnt vmcnt(16) lgkmcnt(1)
	v_fma_f64 v[125:126], v[133:134], v[125:126], 0
	s_waitcnt vmcnt(14)
	v_fma_f64 v[125:126], v[135:136], v[127:128], v[125:126]
	s_waitcnt vmcnt(12) lgkmcnt(0)
	v_fma_f64 v[125:126], v[137:138], v[129:130], v[125:126]
	s_waitcnt vmcnt(10)
	v_fma_f64 v[133:134], v[139:140], v[131:132], v[125:126]
	ds_read2_b64 v[125:128], v124 offset0:119 offset1:120
	ds_read2_b64 v[129:132], v124 offset0:121 offset1:122
	s_waitcnt vmcnt(8) lgkmcnt(1)
	v_fma_f64 v[124:125], v[141:142], v[125:126], v[133:134]
	s_waitcnt vmcnt(6)
	v_fma_f64 v[124:125], v[143:144], v[127:128], v[124:125]
	s_waitcnt vmcnt(4) lgkmcnt(0)
	v_fma_f64 v[124:125], v[145:146], v[129:130], v[124:125]
	s_waitcnt vmcnt(2)
	v_fma_f64 v[124:125], v[147:148], v[131:132], v[124:125]
	s_waitcnt vmcnt(0)
	v_add_f64 v[124:125], v[149:150], -v[124:125]
	buffer_store_dword v124, off, s[0:3], 0 offset:416
	buffer_store_dword v125, off, s[0:3], 0 offset:420
	v_cmpx_lt_u32_e32 51, v0
	s_cbranch_execz .LBB60_273
; %bb.272:
	s_clause 0x1
	buffer_load_dword v124, off, s[0:3], 0 offset:408
	buffer_load_dword v125, off, s[0:3], 0 offset:412
	v_mov_b32_e32 v126, 0
	buffer_store_dword v126, off, s[0:3], 0 offset:408
	buffer_store_dword v126, off, s[0:3], 0 offset:412
	s_waitcnt vmcnt(0)
	ds_write_b64 v123, v[124:125]
.LBB60_273:
	s_or_b32 exec_lo, exec_lo, s4
	s_waitcnt lgkmcnt(0)
	s_waitcnt_vscnt null, 0x0
	s_barrier
	buffer_gl0_inv
	s_clause 0x13
	buffer_load_dword v133, off, s[0:3], 0 offset:416
	buffer_load_dword v134, off, s[0:3], 0 offset:420
	;; [unrolled: 1-line block ×20, first 2 shown]
	v_mov_b32_e32 v124, 0
	ds_read_b128 v[125:128], v124 offset:912
	ds_read_b128 v[129:132], v124 offset:928
	s_mov_b32 s4, exec_lo
	s_waitcnt vmcnt(18) lgkmcnt(1)
	v_fma_f64 v[125:126], v[133:134], v[125:126], 0
	s_waitcnt vmcnt(16)
	v_fma_f64 v[125:126], v[135:136], v[127:128], v[125:126]
	s_waitcnt vmcnt(14) lgkmcnt(0)
	v_fma_f64 v[125:126], v[137:138], v[129:130], v[125:126]
	s_waitcnt vmcnt(12)
	v_fma_f64 v[133:134], v[139:140], v[131:132], v[125:126]
	ds_read_b128 v[125:128], v124 offset:944
	ds_read_b128 v[129:132], v124 offset:960
	s_waitcnt vmcnt(10) lgkmcnt(1)
	v_fma_f64 v[125:126], v[141:142], v[125:126], v[133:134]
	s_waitcnt vmcnt(8)
	v_fma_f64 v[125:126], v[143:144], v[127:128], v[125:126]
	ds_read_b64 v[127:128], v124 offset:976
	s_waitcnt vmcnt(6) lgkmcnt(1)
	v_fma_f64 v[125:126], v[145:146], v[129:130], v[125:126]
	s_waitcnt vmcnt(3)
	v_fma_f64 v[125:126], v[147:148], v[131:132], v[125:126]
	s_waitcnt vmcnt(2) lgkmcnt(0)
	v_fma_f64 v[125:126], v[149:150], v[127:128], v[125:126]
	s_waitcnt vmcnt(0)
	v_add_f64 v[125:126], v[151:152], -v[125:126]
	buffer_store_dword v125, off, s[0:3], 0 offset:408
	buffer_store_dword v126, off, s[0:3], 0 offset:412
	v_cmpx_lt_u32_e32 50, v0
	s_cbranch_execz .LBB60_275
; %bb.274:
	s_clause 0x1
	buffer_load_dword v125, off, s[0:3], 0 offset:400
	buffer_load_dword v126, off, s[0:3], 0 offset:404
	buffer_store_dword v124, off, s[0:3], 0 offset:400
	buffer_store_dword v124, off, s[0:3], 0 offset:404
	s_waitcnt vmcnt(0)
	ds_write_b64 v123, v[125:126]
.LBB60_275:
	s_or_b32 exec_lo, exec_lo, s4
	s_waitcnt lgkmcnt(0)
	s_waitcnt_vscnt null, 0x0
	s_barrier
	buffer_gl0_inv
	s_clause 0x15
	buffer_load_dword v133, off, s[0:3], 0 offset:408
	buffer_load_dword v134, off, s[0:3], 0 offset:412
	;; [unrolled: 1-line block ×22, first 2 shown]
	ds_read2_b64 v[125:128], v124 offset0:113 offset1:114
	ds_read2_b64 v[129:132], v124 offset0:115 offset1:116
	s_mov_b32 s4, exec_lo
	s_waitcnt vmcnt(20) lgkmcnt(1)
	v_fma_f64 v[125:126], v[133:134], v[125:126], 0
	s_waitcnt vmcnt(18)
	v_fma_f64 v[125:126], v[135:136], v[127:128], v[125:126]
	s_waitcnt vmcnt(16) lgkmcnt(0)
	v_fma_f64 v[125:126], v[137:138], v[129:130], v[125:126]
	s_waitcnt vmcnt(14)
	v_fma_f64 v[133:134], v[139:140], v[131:132], v[125:126]
	ds_read2_b64 v[125:128], v124 offset0:117 offset1:118
	ds_read2_b64 v[129:132], v124 offset0:119 offset1:120
	s_waitcnt vmcnt(12) lgkmcnt(1)
	v_fma_f64 v[125:126], v[141:142], v[125:126], v[133:134]
	s_waitcnt vmcnt(10)
	v_fma_f64 v[125:126], v[143:144], v[127:128], v[125:126]
	s_waitcnt vmcnt(8) lgkmcnt(0)
	v_fma_f64 v[125:126], v[145:146], v[129:130], v[125:126]
	s_waitcnt vmcnt(4)
	v_fma_f64 v[128:129], v[147:148], v[131:132], v[125:126]
	ds_read2_b64 v[124:127], v124 offset0:121 offset1:122
	s_waitcnt vmcnt(3) lgkmcnt(0)
	v_fma_f64 v[124:125], v[151:152], v[124:125], v[128:129]
	s_waitcnt vmcnt(2)
	v_fma_f64 v[124:125], v[149:150], v[126:127], v[124:125]
	s_waitcnt vmcnt(0)
	v_add_f64 v[124:125], v[153:154], -v[124:125]
	buffer_store_dword v124, off, s[0:3], 0 offset:400
	buffer_store_dword v125, off, s[0:3], 0 offset:404
	v_cmpx_lt_u32_e32 49, v0
	s_cbranch_execz .LBB60_277
; %bb.276:
	s_clause 0x1
	buffer_load_dword v124, off, s[0:3], 0 offset:392
	buffer_load_dword v125, off, s[0:3], 0 offset:396
	v_mov_b32_e32 v126, 0
	buffer_store_dword v126, off, s[0:3], 0 offset:392
	buffer_store_dword v126, off, s[0:3], 0 offset:396
	s_waitcnt vmcnt(0)
	ds_write_b64 v123, v[124:125]
.LBB60_277:
	s_or_b32 exec_lo, exec_lo, s4
	s_waitcnt lgkmcnt(0)
	s_waitcnt_vscnt null, 0x0
	s_barrier
	buffer_gl0_inv
	s_clause 0x17
	buffer_load_dword v133, off, s[0:3], 0 offset:400
	buffer_load_dword v134, off, s[0:3], 0 offset:404
	;; [unrolled: 1-line block ×24, first 2 shown]
	v_mov_b32_e32 v124, 0
	ds_read_b128 v[125:128], v124 offset:896
	ds_read_b128 v[129:132], v124 offset:912
	s_mov_b32 s4, exec_lo
	s_waitcnt vmcnt(22) lgkmcnt(1)
	v_fma_f64 v[125:126], v[133:134], v[125:126], 0
	s_waitcnt vmcnt(20)
	v_fma_f64 v[125:126], v[135:136], v[127:128], v[125:126]
	s_waitcnt vmcnt(18) lgkmcnt(0)
	v_fma_f64 v[125:126], v[137:138], v[129:130], v[125:126]
	s_waitcnt vmcnt(16)
	v_fma_f64 v[133:134], v[139:140], v[131:132], v[125:126]
	ds_read_b128 v[125:128], v124 offset:928
	ds_read_b128 v[129:132], v124 offset:944
	s_waitcnt vmcnt(14) lgkmcnt(1)
	v_fma_f64 v[125:126], v[141:142], v[125:126], v[133:134]
	s_waitcnt vmcnt(12)
	v_fma_f64 v[125:126], v[143:144], v[127:128], v[125:126]
	s_waitcnt vmcnt(10) lgkmcnt(0)
	v_fma_f64 v[125:126], v[145:146], v[129:130], v[125:126]
	s_waitcnt vmcnt(5)
	v_fma_f64 v[129:130], v[147:148], v[131:132], v[125:126]
	ds_read_b128 v[125:128], v124 offset:960
	ds_read_b64 v[131:132], v124 offset:976
	s_waitcnt vmcnt(4) lgkmcnt(1)
	v_fma_f64 v[125:126], v[153:154], v[125:126], v[129:130]
	s_waitcnt vmcnt(3)
	v_fma_f64 v[125:126], v[151:152], v[127:128], v[125:126]
	s_waitcnt vmcnt(2) lgkmcnt(0)
	v_fma_f64 v[125:126], v[149:150], v[131:132], v[125:126]
	s_waitcnt vmcnt(0)
	v_add_f64 v[125:126], v[155:156], -v[125:126]
	buffer_store_dword v126, off, s[0:3], 0 offset:396
	buffer_store_dword v125, off, s[0:3], 0 offset:392
	v_cmpx_lt_u32_e32 48, v0
	s_cbranch_execz .LBB60_279
; %bb.278:
	s_clause 0x1
	buffer_load_dword v125, off, s[0:3], 0 offset:384
	buffer_load_dword v126, off, s[0:3], 0 offset:388
	buffer_store_dword v124, off, s[0:3], 0 offset:384
	buffer_store_dword v124, off, s[0:3], 0 offset:388
	s_waitcnt vmcnt(0)
	ds_write_b64 v123, v[125:126]
.LBB60_279:
	s_or_b32 exec_lo, exec_lo, s4
	s_waitcnt lgkmcnt(0)
	s_waitcnt_vscnt null, 0x0
	s_barrier
	buffer_gl0_inv
	s_clause 0x19
	buffer_load_dword v129, off, s[0:3], 0 offset:392
	buffer_load_dword v130, off, s[0:3], 0 offset:396
	;; [unrolled: 1-line block ×26, first 2 shown]
	ds_read2_b64 v[125:128], v124 offset0:111 offset1:112
	s_mov_b32 s4, exec_lo
	s_waitcnt vmcnt(24) lgkmcnt(0)
	v_fma_f64 v[125:126], v[129:130], v[125:126], 0
	s_waitcnt vmcnt(22)
	v_fma_f64 v[129:130], v[131:132], v[127:128], v[125:126]
	ds_read2_b64 v[125:128], v124 offset0:113 offset1:114
	s_waitcnt vmcnt(20) lgkmcnt(0)
	v_fma_f64 v[125:126], v[133:134], v[125:126], v[129:130]
	s_waitcnt vmcnt(18)
	v_fma_f64 v[129:130], v[135:136], v[127:128], v[125:126]
	ds_read2_b64 v[125:128], v124 offset0:115 offset1:116
	;; [unrolled: 5-line block ×5, first 2 shown]
	s_waitcnt vmcnt(4) lgkmcnt(0)
	v_fma_f64 v[124:125], v[149:150], v[124:125], v[128:129]
	s_waitcnt vmcnt(2)
	v_fma_f64 v[124:125], v[151:152], v[126:127], v[124:125]
	s_waitcnt vmcnt(0)
	v_add_f64 v[124:125], v[153:154], -v[124:125]
	buffer_store_dword v125, off, s[0:3], 0 offset:388
	buffer_store_dword v124, off, s[0:3], 0 offset:384
	v_cmpx_lt_u32_e32 47, v0
	s_cbranch_execz .LBB60_281
; %bb.280:
	s_clause 0x1
	buffer_load_dword v124, off, s[0:3], 0 offset:376
	buffer_load_dword v125, off, s[0:3], 0 offset:380
	v_mov_b32_e32 v126, 0
	buffer_store_dword v126, off, s[0:3], 0 offset:376
	buffer_store_dword v126, off, s[0:3], 0 offset:380
	s_waitcnt vmcnt(0)
	ds_write_b64 v123, v[124:125]
.LBB60_281:
	s_or_b32 exec_lo, exec_lo, s4
	s_waitcnt lgkmcnt(0)
	s_waitcnt_vscnt null, 0x0
	s_barrier
	buffer_gl0_inv
	s_clause 0x1b
	buffer_load_dword v129, off, s[0:3], 0 offset:384
	buffer_load_dword v130, off, s[0:3], 0 offset:388
	;; [unrolled: 1-line block ×28, first 2 shown]
	v_mov_b32_e32 v124, 0
	s_mov_b32 s4, exec_lo
	ds_read_b128 v[125:128], v124 offset:880
	s_waitcnt vmcnt(26) lgkmcnt(0)
	v_fma_f64 v[125:126], v[129:130], v[125:126], 0
	s_waitcnt vmcnt(24)
	v_fma_f64 v[129:130], v[131:132], v[127:128], v[125:126]
	ds_read_b128 v[125:128], v124 offset:896
	s_waitcnt vmcnt(22) lgkmcnt(0)
	v_fma_f64 v[125:126], v[133:134], v[125:126], v[129:130]
	s_waitcnt vmcnt(20)
	v_fma_f64 v[129:130], v[135:136], v[127:128], v[125:126]
	;; [unrolled: 5-line block ×6, first 2 shown]
	ds_read_b64 v[127:128], v124 offset:976
	s_waitcnt vmcnt(2) lgkmcnt(0)
	v_fma_f64 v[125:126], v[153:154], v[127:128], v[125:126]
	s_waitcnt vmcnt(0)
	v_add_f64 v[125:126], v[155:156], -v[125:126]
	buffer_store_dword v126, off, s[0:3], 0 offset:380
	buffer_store_dword v125, off, s[0:3], 0 offset:376
	v_cmpx_lt_u32_e32 46, v0
	s_cbranch_execz .LBB60_283
; %bb.282:
	s_clause 0x1
	buffer_load_dword v125, off, s[0:3], 0 offset:368
	buffer_load_dword v126, off, s[0:3], 0 offset:372
	buffer_store_dword v124, off, s[0:3], 0 offset:368
	buffer_store_dword v124, off, s[0:3], 0 offset:372
	s_waitcnt vmcnt(0)
	ds_write_b64 v123, v[125:126]
.LBB60_283:
	s_or_b32 exec_lo, exec_lo, s4
	s_waitcnt lgkmcnt(0)
	s_waitcnt_vscnt null, 0x0
	s_barrier
	buffer_gl0_inv
	s_clause 0x1b
	buffer_load_dword v129, off, s[0:3], 0 offset:376
	buffer_load_dword v130, off, s[0:3], 0 offset:380
	;; [unrolled: 1-line block ×28, first 2 shown]
	ds_read2_b64 v[125:128], v124 offset0:109 offset1:110
	s_clause 0x1
	buffer_load_dword v157, off, s[0:3], 0 offset:368
	buffer_load_dword v158, off, s[0:3], 0 offset:372
	s_mov_b32 s4, exec_lo
	s_waitcnt vmcnt(28) lgkmcnt(0)
	v_fma_f64 v[125:126], v[129:130], v[125:126], 0
	s_waitcnt vmcnt(26)
	v_fma_f64 v[129:130], v[131:132], v[127:128], v[125:126]
	ds_read2_b64 v[125:128], v124 offset0:111 offset1:112
	s_waitcnt vmcnt(24) lgkmcnt(0)
	v_fma_f64 v[125:126], v[133:134], v[125:126], v[129:130]
	s_waitcnt vmcnt(22)
	v_fma_f64 v[129:130], v[135:136], v[127:128], v[125:126]
	ds_read2_b64 v[125:128], v124 offset0:113 offset1:114
	;; [unrolled: 5-line block ×6, first 2 shown]
	s_waitcnt vmcnt(4) lgkmcnt(0)
	v_fma_f64 v[124:125], v[153:154], v[124:125], v[128:129]
	s_waitcnt vmcnt(2)
	v_fma_f64 v[124:125], v[155:156], v[126:127], v[124:125]
	s_waitcnt vmcnt(0)
	v_add_f64 v[124:125], v[157:158], -v[124:125]
	buffer_store_dword v125, off, s[0:3], 0 offset:372
	buffer_store_dword v124, off, s[0:3], 0 offset:368
	v_cmpx_lt_u32_e32 45, v0
	s_cbranch_execz .LBB60_285
; %bb.284:
	s_clause 0x1
	buffer_load_dword v124, off, s[0:3], 0 offset:360
	buffer_load_dword v125, off, s[0:3], 0 offset:364
	v_mov_b32_e32 v126, 0
	buffer_store_dword v126, off, s[0:3], 0 offset:360
	buffer_store_dword v126, off, s[0:3], 0 offset:364
	s_waitcnt vmcnt(0)
	ds_write_b64 v123, v[124:125]
.LBB60_285:
	s_or_b32 exec_lo, exec_lo, s4
	s_waitcnt lgkmcnt(0)
	s_waitcnt_vscnt null, 0x0
	s_barrier
	buffer_gl0_inv
	s_clause 0x1c
	buffer_load_dword v133, off, s[0:3], 0 offset:368
	buffer_load_dword v134, off, s[0:3], 0 offset:372
	;; [unrolled: 1-line block ×29, first 2 shown]
	v_mov_b32_e32 v124, 0
	buffer_load_dword v158, off, s[0:3], 0 offset:484
	s_mov_b32 s4, exec_lo
	ds_read_b128 v[125:128], v124 offset:864
	ds_read_b128 v[129:132], v124 offset:880
	s_waitcnt vmcnt(28) lgkmcnt(1)
	v_fma_f64 v[125:126], v[133:134], v[125:126], 0
	s_clause 0x1
	buffer_load_dword v133, off, s[0:3], 0 offset:360
	buffer_load_dword v134, off, s[0:3], 0 offset:364
	s_waitcnt vmcnt(28)
	v_fma_f64 v[125:126], v[135:136], v[127:128], v[125:126]
	s_waitcnt vmcnt(26) lgkmcnt(0)
	v_fma_f64 v[125:126], v[137:138], v[129:130], v[125:126]
	s_waitcnt vmcnt(24)
	v_fma_f64 v[135:136], v[139:140], v[131:132], v[125:126]
	ds_read_b128 v[125:128], v124 offset:896
	ds_read_b128 v[129:132], v124 offset:912
	s_waitcnt vmcnt(22) lgkmcnt(1)
	v_fma_f64 v[125:126], v[141:142], v[125:126], v[135:136]
	s_waitcnt vmcnt(20)
	v_fma_f64 v[125:126], v[143:144], v[127:128], v[125:126]
	s_waitcnt vmcnt(18) lgkmcnt(0)
	v_fma_f64 v[125:126], v[145:146], v[129:130], v[125:126]
	s_waitcnt vmcnt(13)
	v_fma_f64 v[135:136], v[147:148], v[131:132], v[125:126]
	ds_read_b128 v[125:128], v124 offset:928
	ds_read_b128 v[129:132], v124 offset:944
	s_waitcnt vmcnt(12) lgkmcnt(1)
	v_fma_f64 v[125:126], v[153:154], v[125:126], v[135:136]
	s_waitcnt vmcnt(11)
	v_fma_f64 v[125:126], v[151:152], v[127:128], v[125:126]
	s_waitcnt vmcnt(10) lgkmcnt(0)
	v_fma_f64 v[125:126], v[149:150], v[129:130], v[125:126]
	s_waitcnt vmcnt(5)
	v_fma_f64 v[129:130], v[155:156], v[131:132], v[125:126]
	ds_read_b128 v[125:128], v124 offset:960
	ds_read_b64 v[131:132], v124 offset:976
	s_waitcnt vmcnt(4) lgkmcnt(1)
	v_fma_f64 v[125:126], v[161:162], v[125:126], v[129:130]
	s_waitcnt vmcnt(3)
	v_fma_f64 v[125:126], v[159:160], v[127:128], v[125:126]
	s_waitcnt vmcnt(2) lgkmcnt(0)
	v_fma_f64 v[125:126], v[157:158], v[131:132], v[125:126]
	s_waitcnt vmcnt(0)
	v_add_f64 v[125:126], v[133:134], -v[125:126]
	buffer_store_dword v126, off, s[0:3], 0 offset:364
	buffer_store_dword v125, off, s[0:3], 0 offset:360
	v_cmpx_lt_u32_e32 44, v0
	s_cbranch_execz .LBB60_287
; %bb.286:
	s_clause 0x1
	buffer_load_dword v125, off, s[0:3], 0 offset:352
	buffer_load_dword v126, off, s[0:3], 0 offset:356
	buffer_store_dword v124, off, s[0:3], 0 offset:352
	buffer_store_dword v124, off, s[0:3], 0 offset:356
	s_waitcnt vmcnt(0)
	ds_write_b64 v123, v[125:126]
.LBB60_287:
	s_or_b32 exec_lo, exec_lo, s4
	s_waitcnt lgkmcnt(0)
	s_waitcnt_vscnt null, 0x0
	s_barrier
	buffer_gl0_inv
	s_clause 0x1c
	buffer_load_dword v133, off, s[0:3], 0 offset:360
	buffer_load_dword v134, off, s[0:3], 0 offset:364
	;; [unrolled: 1-line block ×29, first 2 shown]
	ds_read2_b64 v[125:128], v124 offset0:107 offset1:108
	ds_read2_b64 v[129:132], v124 offset0:109 offset1:110
	buffer_load_dword v158, off, s[0:3], 0 offset:476
	s_mov_b32 s4, exec_lo
	s_waitcnt vmcnt(28) lgkmcnt(1)
	v_fma_f64 v[125:126], v[133:134], v[125:126], 0
	s_clause 0x1
	buffer_load_dword v134, off, s[0:3], 0 offset:484
	buffer_load_dword v133, off, s[0:3], 0 offset:480
	s_waitcnt vmcnt(28)
	v_fma_f64 v[125:126], v[135:136], v[127:128], v[125:126]
	s_clause 0x1
	buffer_load_dword v135, off, s[0:3], 0 offset:352
	buffer_load_dword v136, off, s[0:3], 0 offset:356
	s_waitcnt vmcnt(28) lgkmcnt(0)
	v_fma_f64 v[125:126], v[137:138], v[129:130], v[125:126]
	s_waitcnt vmcnt(26)
	v_fma_f64 v[137:138], v[139:140], v[131:132], v[125:126]
	ds_read2_b64 v[125:128], v124 offset0:111 offset1:112
	ds_read2_b64 v[129:132], v124 offset0:113 offset1:114
	s_waitcnt vmcnt(24) lgkmcnt(1)
	v_fma_f64 v[125:126], v[141:142], v[125:126], v[137:138]
	s_waitcnt vmcnt(22)
	v_fma_f64 v[125:126], v[143:144], v[127:128], v[125:126]
	s_waitcnt vmcnt(20) lgkmcnt(0)
	v_fma_f64 v[125:126], v[145:146], v[129:130], v[125:126]
	s_waitcnt vmcnt(15)
	v_fma_f64 v[137:138], v[147:148], v[131:132], v[125:126]
	ds_read2_b64 v[125:128], v124 offset0:115 offset1:116
	ds_read2_b64 v[129:132], v124 offset0:117 offset1:118
	s_waitcnt vmcnt(14) lgkmcnt(1)
	v_fma_f64 v[125:126], v[153:154], v[125:126], v[137:138]
	s_waitcnt vmcnt(13)
	v_fma_f64 v[125:126], v[151:152], v[127:128], v[125:126]
	;; [unrolled: 10-line block ×3, first 2 shown]
	s_waitcnt vmcnt(4) lgkmcnt(0)
	v_fma_f64 v[124:125], v[157:158], v[129:130], v[124:125]
	s_waitcnt vmcnt(2)
	v_fma_f64 v[124:125], v[133:134], v[131:132], v[124:125]
	s_waitcnt vmcnt(0)
	v_add_f64 v[124:125], v[135:136], -v[124:125]
	buffer_store_dword v125, off, s[0:3], 0 offset:356
	buffer_store_dword v124, off, s[0:3], 0 offset:352
	v_cmpx_lt_u32_e32 43, v0
	s_cbranch_execz .LBB60_289
; %bb.288:
	s_clause 0x1
	buffer_load_dword v124, off, s[0:3], 0 offset:344
	buffer_load_dword v125, off, s[0:3], 0 offset:348
	v_mov_b32_e32 v126, 0
	buffer_store_dword v126, off, s[0:3], 0 offset:344
	buffer_store_dword v126, off, s[0:3], 0 offset:348
	s_waitcnt vmcnt(0)
	ds_write_b64 v123, v[124:125]
.LBB60_289:
	s_or_b32 exec_lo, exec_lo, s4
	s_waitcnt lgkmcnt(0)
	s_waitcnt_vscnt null, 0x0
	s_barrier
	buffer_gl0_inv
	s_clause 0x1c
	buffer_load_dword v133, off, s[0:3], 0 offset:352
	buffer_load_dword v134, off, s[0:3], 0 offset:356
	;; [unrolled: 1-line block ×29, first 2 shown]
	v_mov_b32_e32 v124, 0
	buffer_load_dword v158, off, s[0:3], 0 offset:468
	s_mov_b32 s4, exec_lo
	ds_read_b128 v[125:128], v124 offset:848
	ds_read_b128 v[129:132], v124 offset:864
	s_waitcnt vmcnt(28) lgkmcnt(1)
	v_fma_f64 v[125:126], v[133:134], v[125:126], 0
	s_clause 0x3
	buffer_load_dword v134, off, s[0:3], 0 offset:476
	buffer_load_dword v163, off, s[0:3], 0 offset:480
	;; [unrolled: 1-line block ×4, first 2 shown]
	s_waitcnt vmcnt(30)
	v_fma_f64 v[125:126], v[135:136], v[127:128], v[125:126]
	s_clause 0x1
	buffer_load_dword v135, off, s[0:3], 0 offset:344
	buffer_load_dword v136, off, s[0:3], 0 offset:348
	s_waitcnt vmcnt(30) lgkmcnt(0)
	v_fma_f64 v[125:126], v[137:138], v[129:130], v[125:126]
	s_waitcnt vmcnt(28)
	v_fma_f64 v[137:138], v[139:140], v[131:132], v[125:126]
	ds_read_b128 v[125:128], v124 offset:880
	ds_read_b128 v[129:132], v124 offset:896
	s_waitcnt vmcnt(26) lgkmcnt(1)
	v_fma_f64 v[125:126], v[141:142], v[125:126], v[137:138]
	s_waitcnt vmcnt(24)
	v_fma_f64 v[125:126], v[143:144], v[127:128], v[125:126]
	s_waitcnt vmcnt(22) lgkmcnt(0)
	v_fma_f64 v[125:126], v[145:146], v[129:130], v[125:126]
	s_waitcnt vmcnt(17)
	v_fma_f64 v[137:138], v[147:148], v[131:132], v[125:126]
	ds_read_b128 v[125:128], v124 offset:912
	ds_read_b128 v[129:132], v124 offset:928
	s_waitcnt vmcnt(16) lgkmcnt(1)
	v_fma_f64 v[125:126], v[153:154], v[125:126], v[137:138]
	s_waitcnt vmcnt(15)
	v_fma_f64 v[125:126], v[151:152], v[127:128], v[125:126]
	;; [unrolled: 10-line block ×3, first 2 shown]
	ds_read_b64 v[127:128], v124 offset:976
	s_waitcnt vmcnt(6) lgkmcnt(1)
	v_fma_f64 v[125:126], v[157:158], v[129:130], v[125:126]
	s_waitcnt vmcnt(3)
	v_fma_f64 v[125:126], v[133:134], v[131:132], v[125:126]
	s_waitcnt vmcnt(2) lgkmcnt(0)
	v_fma_f64 v[125:126], v[163:164], v[127:128], v[125:126]
	s_waitcnt vmcnt(0)
	v_add_f64 v[125:126], v[135:136], -v[125:126]
	buffer_store_dword v126, off, s[0:3], 0 offset:348
	buffer_store_dword v125, off, s[0:3], 0 offset:344
	v_cmpx_lt_u32_e32 42, v0
	s_cbranch_execz .LBB60_291
; %bb.290:
	s_clause 0x1
	buffer_load_dword v125, off, s[0:3], 0 offset:336
	buffer_load_dword v126, off, s[0:3], 0 offset:340
	buffer_store_dword v124, off, s[0:3], 0 offset:336
	buffer_store_dword v124, off, s[0:3], 0 offset:340
	s_waitcnt vmcnt(0)
	ds_write_b64 v123, v[125:126]
.LBB60_291:
	s_or_b32 exec_lo, exec_lo, s4
	s_waitcnt lgkmcnt(0)
	s_waitcnt_vscnt null, 0x0
	s_barrier
	buffer_gl0_inv
	s_clause 0x1c
	buffer_load_dword v133, off, s[0:3], 0 offset:344
	buffer_load_dword v134, off, s[0:3], 0 offset:348
	;; [unrolled: 1-line block ×29, first 2 shown]
	ds_read2_b64 v[125:128], v124 offset0:105 offset1:106
	ds_read2_b64 v[129:132], v124 offset0:107 offset1:108
	buffer_load_dword v158, off, s[0:3], 0 offset:460
	s_mov_b32 s4, exec_lo
	s_waitcnt vmcnt(28) lgkmcnt(1)
	v_fma_f64 v[125:126], v[133:134], v[125:126], 0
	s_clause 0x5
	buffer_load_dword v134, off, s[0:3], 0 offset:468
	buffer_load_dword v163, off, s[0:3], 0 offset:480
	;; [unrolled: 1-line block ×6, first 2 shown]
	s_waitcnt vmcnt(32)
	v_fma_f64 v[125:126], v[135:136], v[127:128], v[125:126]
	s_waitcnt vmcnt(30) lgkmcnt(0)
	v_fma_f64 v[125:126], v[137:138], v[129:130], v[125:126]
	s_waitcnt vmcnt(28)
	v_fma_f64 v[135:136], v[139:140], v[131:132], v[125:126]
	ds_read2_b64 v[125:128], v124 offset0:109 offset1:110
	s_clause 0x1
	buffer_load_dword v137, off, s[0:3], 0 offset:336
	buffer_load_dword v138, off, s[0:3], 0 offset:340
	ds_read2_b64 v[129:132], v124 offset0:111 offset1:112
	s_waitcnt vmcnt(28) lgkmcnt(1)
	v_fma_f64 v[125:126], v[141:142], v[125:126], v[135:136]
	s_waitcnt vmcnt(26)
	v_fma_f64 v[125:126], v[143:144], v[127:128], v[125:126]
	s_waitcnt vmcnt(24) lgkmcnt(0)
	v_fma_f64 v[125:126], v[145:146], v[129:130], v[125:126]
	s_waitcnt vmcnt(19)
	v_fma_f64 v[135:136], v[147:148], v[131:132], v[125:126]
	ds_read2_b64 v[125:128], v124 offset0:113 offset1:114
	ds_read2_b64 v[129:132], v124 offset0:115 offset1:116
	s_waitcnt vmcnt(18) lgkmcnt(1)
	v_fma_f64 v[125:126], v[153:154], v[125:126], v[135:136]
	s_waitcnt vmcnt(17)
	v_fma_f64 v[125:126], v[151:152], v[127:128], v[125:126]
	s_waitcnt vmcnt(16) lgkmcnt(0)
	v_fma_f64 v[125:126], v[149:150], v[129:130], v[125:126]
	s_waitcnt vmcnt(11)
	v_fma_f64 v[135:136], v[155:156], v[131:132], v[125:126]
	ds_read2_b64 v[125:128], v124 offset0:117 offset1:118
	ds_read2_b64 v[129:132], v124 offset0:119 offset1:120
	s_waitcnt vmcnt(10) lgkmcnt(1)
	v_fma_f64 v[125:126], v[161:162], v[125:126], v[135:136]
	s_waitcnt vmcnt(9)
	v_fma_f64 v[125:126], v[159:160], v[127:128], v[125:126]
	s_waitcnt vmcnt(8) lgkmcnt(0)
	v_fma_f64 v[125:126], v[157:158], v[129:130], v[125:126]
	s_waitcnt vmcnt(4)
	v_fma_f64 v[128:129], v[133:134], v[131:132], v[125:126]
	ds_read2_b64 v[124:127], v124 offset0:121 offset1:122
	s_waitcnt vmcnt(3) lgkmcnt(0)
	v_fma_f64 v[124:125], v[165:166], v[124:125], v[128:129]
	s_waitcnt vmcnt(2)
	v_fma_f64 v[124:125], v[163:164], v[126:127], v[124:125]
	s_waitcnt vmcnt(0)
	v_add_f64 v[124:125], v[137:138], -v[124:125]
	buffer_store_dword v125, off, s[0:3], 0 offset:340
	buffer_store_dword v124, off, s[0:3], 0 offset:336
	v_cmpx_lt_u32_e32 41, v0
	s_cbranch_execz .LBB60_293
; %bb.292:
	s_clause 0x1
	buffer_load_dword v124, off, s[0:3], 0 offset:328
	buffer_load_dword v125, off, s[0:3], 0 offset:332
	v_mov_b32_e32 v126, 0
	buffer_store_dword v126, off, s[0:3], 0 offset:328
	buffer_store_dword v126, off, s[0:3], 0 offset:332
	s_waitcnt vmcnt(0)
	ds_write_b64 v123, v[124:125]
.LBB60_293:
	s_or_b32 exec_lo, exec_lo, s4
	s_waitcnt lgkmcnt(0)
	s_waitcnt_vscnt null, 0x0
	s_barrier
	buffer_gl0_inv
	s_clause 0x1c
	buffer_load_dword v133, off, s[0:3], 0 offset:336
	buffer_load_dword v134, off, s[0:3], 0 offset:340
	;; [unrolled: 1-line block ×29, first 2 shown]
	v_mov_b32_e32 v124, 0
	buffer_load_dword v158, off, s[0:3], 0 offset:452
	s_mov_b32 s4, exec_lo
	ds_read_b128 v[125:128], v124 offset:832
	ds_read_b128 v[129:132], v124 offset:848
	s_waitcnt vmcnt(28) lgkmcnt(1)
	v_fma_f64 v[125:126], v[133:134], v[125:126], 0
	s_clause 0x7
	buffer_load_dword v134, off, s[0:3], 0 offset:460
	buffer_load_dword v163, off, s[0:3], 0 offset:480
	;; [unrolled: 1-line block ×8, first 2 shown]
	s_waitcnt vmcnt(34)
	v_fma_f64 v[125:126], v[135:136], v[127:128], v[125:126]
	s_waitcnt vmcnt(32) lgkmcnt(0)
	v_fma_f64 v[125:126], v[137:138], v[129:130], v[125:126]
	s_waitcnt vmcnt(30)
	v_fma_f64 v[135:136], v[139:140], v[131:132], v[125:126]
	ds_read_b128 v[125:128], v124 offset:864
	ds_read_b128 v[129:132], v124 offset:880
	s_waitcnt vmcnt(28) lgkmcnt(1)
	v_fma_f64 v[125:126], v[141:142], v[125:126], v[135:136]
	s_clause 0x1
	buffer_load_dword v135, off, s[0:3], 0 offset:328
	buffer_load_dword v136, off, s[0:3], 0 offset:332
	s_waitcnt vmcnt(28)
	v_fma_f64 v[125:126], v[143:144], v[127:128], v[125:126]
	s_waitcnt vmcnt(26) lgkmcnt(0)
	v_fma_f64 v[125:126], v[145:146], v[129:130], v[125:126]
	s_waitcnt vmcnt(21)
	v_fma_f64 v[137:138], v[147:148], v[131:132], v[125:126]
	ds_read_b128 v[125:128], v124 offset:896
	ds_read_b128 v[129:132], v124 offset:912
	s_waitcnt vmcnt(20) lgkmcnt(1)
	v_fma_f64 v[125:126], v[153:154], v[125:126], v[137:138]
	s_waitcnt vmcnt(19)
	v_fma_f64 v[125:126], v[151:152], v[127:128], v[125:126]
	s_waitcnt vmcnt(18) lgkmcnt(0)
	v_fma_f64 v[125:126], v[149:150], v[129:130], v[125:126]
	s_waitcnt vmcnt(13)
	v_fma_f64 v[137:138], v[155:156], v[131:132], v[125:126]
	ds_read_b128 v[125:128], v124 offset:928
	ds_read_b128 v[129:132], v124 offset:944
	s_waitcnt vmcnt(12) lgkmcnt(1)
	v_fma_f64 v[125:126], v[161:162], v[125:126], v[137:138]
	s_waitcnt vmcnt(11)
	v_fma_f64 v[125:126], v[159:160], v[127:128], v[125:126]
	s_waitcnt vmcnt(10) lgkmcnt(0)
	v_fma_f64 v[125:126], v[157:158], v[129:130], v[125:126]
	s_waitcnt vmcnt(5)
	v_fma_f64 v[129:130], v[133:134], v[131:132], v[125:126]
	ds_read_b128 v[125:128], v124 offset:960
	ds_read_b64 v[131:132], v124 offset:976
	s_waitcnt vmcnt(4) lgkmcnt(1)
	v_fma_f64 v[125:126], v[167:168], v[125:126], v[129:130]
	s_waitcnt vmcnt(3)
	v_fma_f64 v[125:126], v[165:166], v[127:128], v[125:126]
	s_waitcnt vmcnt(2) lgkmcnt(0)
	v_fma_f64 v[125:126], v[163:164], v[131:132], v[125:126]
	s_waitcnt vmcnt(0)
	v_add_f64 v[125:126], v[135:136], -v[125:126]
	buffer_store_dword v126, off, s[0:3], 0 offset:332
	buffer_store_dword v125, off, s[0:3], 0 offset:328
	v_cmpx_lt_u32_e32 40, v0
	s_cbranch_execz .LBB60_295
; %bb.294:
	s_clause 0x1
	buffer_load_dword v125, off, s[0:3], 0 offset:320
	buffer_load_dword v126, off, s[0:3], 0 offset:324
	buffer_store_dword v124, off, s[0:3], 0 offset:320
	buffer_store_dword v124, off, s[0:3], 0 offset:324
	s_waitcnt vmcnt(0)
	ds_write_b64 v123, v[125:126]
.LBB60_295:
	s_or_b32 exec_lo, exec_lo, s4
	s_waitcnt lgkmcnt(0)
	s_waitcnt_vscnt null, 0x0
	s_barrier
	buffer_gl0_inv
	s_clause 0x1c
	buffer_load_dword v133, off, s[0:3], 0 offset:328
	buffer_load_dword v134, off, s[0:3], 0 offset:332
	;; [unrolled: 1-line block ×29, first 2 shown]
	ds_read2_b64 v[125:128], v124 offset0:103 offset1:104
	ds_read2_b64 v[129:132], v124 offset0:105 offset1:106
	buffer_load_dword v158, off, s[0:3], 0 offset:444
	s_mov_b32 s4, exec_lo
	s_waitcnt vmcnt(28) lgkmcnt(1)
	v_fma_f64 v[125:126], v[133:134], v[125:126], 0
	s_clause 0x7
	buffer_load_dword v134, off, s[0:3], 0 offset:452
	buffer_load_dword v163, off, s[0:3], 0 offset:472
	;; [unrolled: 1-line block ×8, first 2 shown]
	s_waitcnt vmcnt(34)
	v_fma_f64 v[125:126], v[135:136], v[127:128], v[125:126]
	s_waitcnt vmcnt(32) lgkmcnt(0)
	v_fma_f64 v[125:126], v[137:138], v[129:130], v[125:126]
	s_waitcnt vmcnt(30)
	v_fma_f64 v[135:136], v[139:140], v[131:132], v[125:126]
	ds_read2_b64 v[125:128], v124 offset0:107 offset1:108
	ds_read2_b64 v[129:132], v124 offset0:109 offset1:110
	s_waitcnt vmcnt(28) lgkmcnt(1)
	v_fma_f64 v[125:126], v[141:142], v[125:126], v[135:136]
	s_clause 0x3
	buffer_load_dword v136, off, s[0:3], 0 offset:484
	buffer_load_dword v135, off, s[0:3], 0 offset:480
	;; [unrolled: 1-line block ×4, first 2 shown]
	s_waitcnt vmcnt(30)
	v_fma_f64 v[125:126], v[143:144], v[127:128], v[125:126]
	s_waitcnt vmcnt(28) lgkmcnt(0)
	v_fma_f64 v[125:126], v[145:146], v[129:130], v[125:126]
	s_waitcnt vmcnt(23)
	v_fma_f64 v[139:140], v[147:148], v[131:132], v[125:126]
	ds_read2_b64 v[125:128], v124 offset0:111 offset1:112
	ds_read2_b64 v[129:132], v124 offset0:113 offset1:114
	s_waitcnt vmcnt(22) lgkmcnt(1)
	v_fma_f64 v[125:126], v[153:154], v[125:126], v[139:140]
	s_waitcnt vmcnt(21)
	v_fma_f64 v[125:126], v[151:152], v[127:128], v[125:126]
	s_waitcnt vmcnt(20) lgkmcnt(0)
	v_fma_f64 v[125:126], v[149:150], v[129:130], v[125:126]
	s_waitcnt vmcnt(15)
	v_fma_f64 v[139:140], v[155:156], v[131:132], v[125:126]
	ds_read2_b64 v[125:128], v124 offset0:115 offset1:116
	ds_read2_b64 v[129:132], v124 offset0:117 offset1:118
	s_waitcnt vmcnt(14) lgkmcnt(1)
	v_fma_f64 v[125:126], v[161:162], v[125:126], v[139:140]
	;; [unrolled: 10-line block ×3, first 2 shown]
	s_waitcnt vmcnt(5)
	v_fma_f64 v[124:125], v[165:166], v[127:128], v[124:125]
	s_waitcnt vmcnt(4) lgkmcnt(0)
	v_fma_f64 v[124:125], v[163:164], v[129:130], v[124:125]
	s_waitcnt vmcnt(2)
	v_fma_f64 v[124:125], v[135:136], v[131:132], v[124:125]
	s_waitcnt vmcnt(0)
	v_add_f64 v[124:125], v[137:138], -v[124:125]
	buffer_store_dword v125, off, s[0:3], 0 offset:324
	buffer_store_dword v124, off, s[0:3], 0 offset:320
	v_cmpx_lt_u32_e32 39, v0
	s_cbranch_execz .LBB60_297
; %bb.296:
	s_clause 0x1
	buffer_load_dword v124, off, s[0:3], 0 offset:312
	buffer_load_dword v125, off, s[0:3], 0 offset:316
	v_mov_b32_e32 v126, 0
	buffer_store_dword v126, off, s[0:3], 0 offset:312
	buffer_store_dword v126, off, s[0:3], 0 offset:316
	s_waitcnt vmcnt(0)
	ds_write_b64 v123, v[124:125]
.LBB60_297:
	s_or_b32 exec_lo, exec_lo, s4
	s_waitcnt lgkmcnt(0)
	s_waitcnt_vscnt null, 0x0
	s_barrier
	buffer_gl0_inv
	s_clause 0x1c
	buffer_load_dword v133, off, s[0:3], 0 offset:320
	buffer_load_dword v134, off, s[0:3], 0 offset:324
	;; [unrolled: 1-line block ×29, first 2 shown]
	v_mov_b32_e32 v124, 0
	buffer_load_dword v158, off, s[0:3], 0 offset:436
	s_mov_b32 s4, exec_lo
	ds_read_b128 v[125:128], v124 offset:816
	ds_read_b128 v[129:132], v124 offset:832
	s_waitcnt vmcnt(28) lgkmcnt(1)
	v_fma_f64 v[125:126], v[133:134], v[125:126], 0
	s_clause 0x7
	buffer_load_dword v134, off, s[0:3], 0 offset:444
	buffer_load_dword v163, off, s[0:3], 0 offset:464
	;; [unrolled: 1-line block ×8, first 2 shown]
	s_waitcnt vmcnt(34)
	v_fma_f64 v[125:126], v[135:136], v[127:128], v[125:126]
	s_waitcnt vmcnt(32) lgkmcnt(0)
	v_fma_f64 v[125:126], v[137:138], v[129:130], v[125:126]
	s_waitcnt vmcnt(30)
	v_fma_f64 v[135:136], v[139:140], v[131:132], v[125:126]
	ds_read_b128 v[125:128], v124 offset:848
	ds_read_b128 v[129:132], v124 offset:864
	s_waitcnt vmcnt(28) lgkmcnt(1)
	v_fma_f64 v[125:126], v[141:142], v[125:126], v[135:136]
	s_clause 0x5
	buffer_load_dword v136, off, s[0:3], 0 offset:476
	buffer_load_dword v137, off, s[0:3], 0 offset:480
	;; [unrolled: 1-line block ×6, first 2 shown]
	s_waitcnt vmcnt(32)
	v_fma_f64 v[125:126], v[143:144], v[127:128], v[125:126]
	s_waitcnt vmcnt(30) lgkmcnt(0)
	v_fma_f64 v[125:126], v[145:146], v[129:130], v[125:126]
	s_waitcnt vmcnt(25)
	v_fma_f64 v[141:142], v[147:148], v[131:132], v[125:126]
	ds_read_b128 v[125:128], v124 offset:880
	ds_read_b128 v[129:132], v124 offset:896
	s_waitcnt vmcnt(24) lgkmcnt(1)
	v_fma_f64 v[125:126], v[153:154], v[125:126], v[141:142]
	s_waitcnt vmcnt(23)
	v_fma_f64 v[125:126], v[151:152], v[127:128], v[125:126]
	s_waitcnt vmcnt(22) lgkmcnt(0)
	v_fma_f64 v[125:126], v[149:150], v[129:130], v[125:126]
	s_waitcnt vmcnt(17)
	v_fma_f64 v[141:142], v[155:156], v[131:132], v[125:126]
	ds_read_b128 v[125:128], v124 offset:912
	ds_read_b128 v[129:132], v124 offset:928
	s_waitcnt vmcnt(16) lgkmcnt(1)
	v_fma_f64 v[125:126], v[161:162], v[125:126], v[141:142]
	;; [unrolled: 10-line block ×3, first 2 shown]
	s_waitcnt vmcnt(7)
	v_fma_f64 v[125:126], v[165:166], v[127:128], v[125:126]
	ds_read_b64 v[127:128], v124 offset:976
	s_waitcnt vmcnt(6) lgkmcnt(1)
	v_fma_f64 v[125:126], v[163:164], v[129:130], v[125:126]
	s_waitcnt vmcnt(3)
	v_fma_f64 v[125:126], v[135:136], v[131:132], v[125:126]
	s_waitcnt vmcnt(2) lgkmcnt(0)
	v_fma_f64 v[125:126], v[137:138], v[127:128], v[125:126]
	s_waitcnt vmcnt(0)
	v_add_f64 v[125:126], v[139:140], -v[125:126]
	buffer_store_dword v126, off, s[0:3], 0 offset:316
	buffer_store_dword v125, off, s[0:3], 0 offset:312
	v_cmpx_lt_u32_e32 38, v0
	s_cbranch_execz .LBB60_299
; %bb.298:
	s_clause 0x1
	buffer_load_dword v125, off, s[0:3], 0 offset:304
	buffer_load_dword v126, off, s[0:3], 0 offset:308
	buffer_store_dword v124, off, s[0:3], 0 offset:304
	buffer_store_dword v124, off, s[0:3], 0 offset:308
	s_waitcnt vmcnt(0)
	ds_write_b64 v123, v[125:126]
.LBB60_299:
	s_or_b32 exec_lo, exec_lo, s4
	s_waitcnt lgkmcnt(0)
	s_waitcnt_vscnt null, 0x0
	s_barrier
	buffer_gl0_inv
	s_clause 0x1c
	buffer_load_dword v133, off, s[0:3], 0 offset:312
	buffer_load_dword v134, off, s[0:3], 0 offset:316
	;; [unrolled: 1-line block ×29, first 2 shown]
	ds_read2_b64 v[125:128], v124 offset0:101 offset1:102
	ds_read2_b64 v[129:132], v124 offset0:103 offset1:104
	buffer_load_dword v158, off, s[0:3], 0 offset:428
	s_mov_b32 s4, exec_lo
	s_waitcnt vmcnt(28) lgkmcnt(1)
	v_fma_f64 v[125:126], v[133:134], v[125:126], 0
	s_clause 0x7
	buffer_load_dword v134, off, s[0:3], 0 offset:436
	buffer_load_dword v163, off, s[0:3], 0 offset:456
	;; [unrolled: 1-line block ×8, first 2 shown]
	s_waitcnt vmcnt(34)
	v_fma_f64 v[125:126], v[135:136], v[127:128], v[125:126]
	s_waitcnt vmcnt(32) lgkmcnt(0)
	v_fma_f64 v[125:126], v[137:138], v[129:130], v[125:126]
	s_waitcnt vmcnt(30)
	v_fma_f64 v[135:136], v[139:140], v[131:132], v[125:126]
	ds_read2_b64 v[125:128], v124 offset0:105 offset1:106
	ds_read2_b64 v[129:132], v124 offset0:107 offset1:108
	s_waitcnt vmcnt(28) lgkmcnt(1)
	v_fma_f64 v[125:126], v[141:142], v[125:126], v[135:136]
	s_clause 0x5
	buffer_load_dword v136, off, s[0:3], 0 offset:468
	buffer_load_dword v137, off, s[0:3], 0 offset:480
	;; [unrolled: 1-line block ×6, first 2 shown]
	s_waitcnt vmcnt(32)
	v_fma_f64 v[125:126], v[143:144], v[127:128], v[125:126]
	s_waitcnt vmcnt(30) lgkmcnt(0)
	v_fma_f64 v[125:126], v[145:146], v[129:130], v[125:126]
	s_waitcnt vmcnt(25)
	v_fma_f64 v[141:142], v[147:148], v[131:132], v[125:126]
	ds_read2_b64 v[125:128], v124 offset0:109 offset1:110
	s_clause 0x1
	buffer_load_dword v143, off, s[0:3], 0 offset:304
	buffer_load_dword v144, off, s[0:3], 0 offset:308
	ds_read2_b64 v[129:132], v124 offset0:111 offset1:112
	s_waitcnt vmcnt(26) lgkmcnt(1)
	v_fma_f64 v[125:126], v[153:154], v[125:126], v[141:142]
	s_waitcnt vmcnt(25)
	v_fma_f64 v[125:126], v[151:152], v[127:128], v[125:126]
	s_waitcnt vmcnt(24) lgkmcnt(0)
	v_fma_f64 v[125:126], v[149:150], v[129:130], v[125:126]
	s_waitcnt vmcnt(19)
	v_fma_f64 v[141:142], v[155:156], v[131:132], v[125:126]
	ds_read2_b64 v[125:128], v124 offset0:113 offset1:114
	ds_read2_b64 v[129:132], v124 offset0:115 offset1:116
	s_waitcnt vmcnt(18) lgkmcnt(1)
	v_fma_f64 v[125:126], v[161:162], v[125:126], v[141:142]
	s_waitcnt vmcnt(17)
	v_fma_f64 v[125:126], v[159:160], v[127:128], v[125:126]
	s_waitcnt vmcnt(16) lgkmcnt(0)
	v_fma_f64 v[125:126], v[157:158], v[129:130], v[125:126]
	s_waitcnt vmcnt(11)
	v_fma_f64 v[133:134], v[133:134], v[131:132], v[125:126]
	ds_read2_b64 v[125:128], v124 offset0:117 offset1:118
	;; [unrolled: 10-line block ×3, first 2 shown]
	s_waitcnt vmcnt(3) lgkmcnt(0)
	v_fma_f64 v[124:125], v[139:140], v[124:125], v[128:129]
	s_waitcnt vmcnt(2)
	v_fma_f64 v[124:125], v[137:138], v[126:127], v[124:125]
	s_waitcnt vmcnt(0)
	v_add_f64 v[124:125], v[143:144], -v[124:125]
	buffer_store_dword v125, off, s[0:3], 0 offset:308
	buffer_store_dword v124, off, s[0:3], 0 offset:304
	v_cmpx_lt_u32_e32 37, v0
	s_cbranch_execz .LBB60_301
; %bb.300:
	s_clause 0x1
	buffer_load_dword v124, off, s[0:3], 0 offset:296
	buffer_load_dword v125, off, s[0:3], 0 offset:300
	v_mov_b32_e32 v126, 0
	buffer_store_dword v126, off, s[0:3], 0 offset:296
	buffer_store_dword v126, off, s[0:3], 0 offset:300
	s_waitcnt vmcnt(0)
	ds_write_b64 v123, v[124:125]
.LBB60_301:
	s_or_b32 exec_lo, exec_lo, s4
	s_waitcnt lgkmcnt(0)
	s_waitcnt_vscnt null, 0x0
	s_barrier
	buffer_gl0_inv
	s_clause 0x1c
	buffer_load_dword v133, off, s[0:3], 0 offset:304
	buffer_load_dword v134, off, s[0:3], 0 offset:308
	;; [unrolled: 1-line block ×29, first 2 shown]
	v_mov_b32_e32 v124, 0
	buffer_load_dword v158, off, s[0:3], 0 offset:420
	s_mov_b32 s4, exec_lo
	ds_read_b128 v[125:128], v124 offset:800
	ds_read_b128 v[129:132], v124 offset:816
	s_waitcnt vmcnt(28) lgkmcnt(1)
	v_fma_f64 v[125:126], v[133:134], v[125:126], 0
	s_clause 0x7
	buffer_load_dword v134, off, s[0:3], 0 offset:428
	buffer_load_dword v163, off, s[0:3], 0 offset:448
	;; [unrolled: 1-line block ×8, first 2 shown]
	s_waitcnt vmcnt(34)
	v_fma_f64 v[125:126], v[135:136], v[127:128], v[125:126]
	s_waitcnt vmcnt(32) lgkmcnt(0)
	v_fma_f64 v[125:126], v[137:138], v[129:130], v[125:126]
	s_waitcnt vmcnt(30)
	v_fma_f64 v[135:136], v[139:140], v[131:132], v[125:126]
	ds_read_b128 v[125:128], v124 offset:832
	ds_read_b128 v[129:132], v124 offset:848
	s_waitcnt vmcnt(28) lgkmcnt(1)
	v_fma_f64 v[125:126], v[141:142], v[125:126], v[135:136]
	s_clause 0x7
	buffer_load_dword v136, off, s[0:3], 0 offset:460
	buffer_load_dword v137, off, s[0:3], 0 offset:480
	;; [unrolled: 1-line block ×8, first 2 shown]
	s_waitcnt vmcnt(34)
	v_fma_f64 v[125:126], v[143:144], v[127:128], v[125:126]
	s_waitcnt vmcnt(32) lgkmcnt(0)
	v_fma_f64 v[125:126], v[145:146], v[129:130], v[125:126]
	s_waitcnt vmcnt(27)
	v_fma_f64 v[143:144], v[147:148], v[131:132], v[125:126]
	ds_read_b128 v[125:128], v124 offset:864
	ds_read_b128 v[129:132], v124 offset:880
	s_waitcnt vmcnt(26) lgkmcnt(1)
	v_fma_f64 v[125:126], v[153:154], v[125:126], v[143:144]
	s_clause 0x1
	buffer_load_dword v143, off, s[0:3], 0 offset:296
	buffer_load_dword v144, off, s[0:3], 0 offset:300
	s_waitcnt vmcnt(27)
	v_fma_f64 v[125:126], v[151:152], v[127:128], v[125:126]
	s_waitcnt vmcnt(26) lgkmcnt(0)
	v_fma_f64 v[125:126], v[149:150], v[129:130], v[125:126]
	s_waitcnt vmcnt(21)
	v_fma_f64 v[145:146], v[155:156], v[131:132], v[125:126]
	ds_read_b128 v[125:128], v124 offset:896
	ds_read_b128 v[129:132], v124 offset:912
	s_waitcnt vmcnt(20) lgkmcnt(1)
	v_fma_f64 v[125:126], v[161:162], v[125:126], v[145:146]
	s_waitcnt vmcnt(19)
	v_fma_f64 v[125:126], v[159:160], v[127:128], v[125:126]
	s_waitcnt vmcnt(18) lgkmcnt(0)
	v_fma_f64 v[125:126], v[157:158], v[129:130], v[125:126]
	s_waitcnt vmcnt(13)
	v_fma_f64 v[133:134], v[133:134], v[131:132], v[125:126]
	ds_read_b128 v[125:128], v124 offset:928
	ds_read_b128 v[129:132], v124 offset:944
	s_waitcnt vmcnt(12) lgkmcnt(1)
	v_fma_f64 v[125:126], v[167:168], v[125:126], v[133:134]
	s_waitcnt vmcnt(11)
	v_fma_f64 v[125:126], v[165:166], v[127:128], v[125:126]
	s_waitcnt vmcnt(10) lgkmcnt(0)
	v_fma_f64 v[125:126], v[163:164], v[129:130], v[125:126]
	s_waitcnt vmcnt(5)
	v_fma_f64 v[129:130], v[135:136], v[131:132], v[125:126]
	ds_read_b128 v[125:128], v124 offset:960
	ds_read_b64 v[131:132], v124 offset:976
	s_waitcnt vmcnt(4) lgkmcnt(1)
	v_fma_f64 v[125:126], v[141:142], v[125:126], v[129:130]
	s_waitcnt vmcnt(3)
	v_fma_f64 v[125:126], v[139:140], v[127:128], v[125:126]
	s_waitcnt vmcnt(2) lgkmcnt(0)
	v_fma_f64 v[125:126], v[137:138], v[131:132], v[125:126]
	s_waitcnt vmcnt(0)
	v_add_f64 v[125:126], v[143:144], -v[125:126]
	buffer_store_dword v126, off, s[0:3], 0 offset:300
	buffer_store_dword v125, off, s[0:3], 0 offset:296
	v_cmpx_lt_u32_e32 36, v0
	s_cbranch_execz .LBB60_303
; %bb.302:
	s_clause 0x1
	buffer_load_dword v125, off, s[0:3], 0 offset:288
	buffer_load_dword v126, off, s[0:3], 0 offset:292
	buffer_store_dword v124, off, s[0:3], 0 offset:288
	buffer_store_dword v124, off, s[0:3], 0 offset:292
	s_waitcnt vmcnt(0)
	ds_write_b64 v123, v[125:126]
.LBB60_303:
	s_or_b32 exec_lo, exec_lo, s4
	s_waitcnt lgkmcnt(0)
	s_waitcnt_vscnt null, 0x0
	s_barrier
	buffer_gl0_inv
	s_clause 0x1c
	buffer_load_dword v133, off, s[0:3], 0 offset:296
	buffer_load_dword v134, off, s[0:3], 0 offset:300
	;; [unrolled: 1-line block ×29, first 2 shown]
	ds_read2_b64 v[125:128], v124 offset0:99 offset1:100
	ds_read2_b64 v[129:132], v124 offset0:101 offset1:102
	buffer_load_dword v158, off, s[0:3], 0 offset:412
	s_mov_b32 s4, exec_lo
	s_waitcnt vmcnt(28) lgkmcnt(1)
	v_fma_f64 v[125:126], v[133:134], v[125:126], 0
	s_clause 0x7
	buffer_load_dword v134, off, s[0:3], 0 offset:420
	buffer_load_dword v163, off, s[0:3], 0 offset:440
	;; [unrolled: 1-line block ×8, first 2 shown]
	s_waitcnt vmcnt(34)
	v_fma_f64 v[125:126], v[135:136], v[127:128], v[125:126]
	s_waitcnt vmcnt(32) lgkmcnt(0)
	v_fma_f64 v[125:126], v[137:138], v[129:130], v[125:126]
	s_waitcnt vmcnt(30)
	v_fma_f64 v[135:136], v[139:140], v[131:132], v[125:126]
	ds_read2_b64 v[125:128], v124 offset0:103 offset1:104
	ds_read2_b64 v[129:132], v124 offset0:105 offset1:106
	s_waitcnt vmcnt(28) lgkmcnt(1)
	v_fma_f64 v[125:126], v[141:142], v[125:126], v[135:136]
	s_clause 0x7
	buffer_load_dword v136, off, s[0:3], 0 offset:452
	buffer_load_dword v137, off, s[0:3], 0 offset:472
	;; [unrolled: 1-line block ×8, first 2 shown]
	s_waitcnt vmcnt(34)
	v_fma_f64 v[125:126], v[143:144], v[127:128], v[125:126]
	s_waitcnt vmcnt(32) lgkmcnt(0)
	v_fma_f64 v[125:126], v[145:146], v[129:130], v[125:126]
	s_waitcnt vmcnt(27)
	v_fma_f64 v[143:144], v[147:148], v[131:132], v[125:126]
	ds_read2_b64 v[125:128], v124 offset0:107 offset1:108
	ds_read2_b64 v[129:132], v124 offset0:109 offset1:110
	s_waitcnt vmcnt(26) lgkmcnt(1)
	v_fma_f64 v[125:126], v[153:154], v[125:126], v[143:144]
	s_clause 0x3
	buffer_load_dword v144, off, s[0:3], 0 offset:484
	buffer_load_dword v143, off, s[0:3], 0 offset:480
	;; [unrolled: 1-line block ×4, first 2 shown]
	s_waitcnt vmcnt(29)
	v_fma_f64 v[125:126], v[151:152], v[127:128], v[125:126]
	s_waitcnt vmcnt(28) lgkmcnt(0)
	v_fma_f64 v[125:126], v[149:150], v[129:130], v[125:126]
	s_waitcnt vmcnt(23)
	v_fma_f64 v[147:148], v[155:156], v[131:132], v[125:126]
	ds_read2_b64 v[125:128], v124 offset0:111 offset1:112
	ds_read2_b64 v[129:132], v124 offset0:113 offset1:114
	s_waitcnt vmcnt(22) lgkmcnt(1)
	v_fma_f64 v[125:126], v[161:162], v[125:126], v[147:148]
	s_waitcnt vmcnt(21)
	v_fma_f64 v[125:126], v[159:160], v[127:128], v[125:126]
	s_waitcnt vmcnt(20) lgkmcnt(0)
	v_fma_f64 v[125:126], v[157:158], v[129:130], v[125:126]
	s_waitcnt vmcnt(15)
	v_fma_f64 v[133:134], v[133:134], v[131:132], v[125:126]
	ds_read2_b64 v[125:128], v124 offset0:115 offset1:116
	ds_read2_b64 v[129:132], v124 offset0:117 offset1:118
	s_waitcnt vmcnt(14) lgkmcnt(1)
	v_fma_f64 v[125:126], v[167:168], v[125:126], v[133:134]
	;; [unrolled: 10-line block ×3, first 2 shown]
	s_waitcnt vmcnt(5)
	v_fma_f64 v[124:125], v[139:140], v[127:128], v[124:125]
	s_waitcnt vmcnt(4) lgkmcnt(0)
	v_fma_f64 v[124:125], v[137:138], v[129:130], v[124:125]
	s_waitcnt vmcnt(2)
	v_fma_f64 v[124:125], v[143:144], v[131:132], v[124:125]
	s_waitcnt vmcnt(0)
	v_add_f64 v[124:125], v[145:146], -v[124:125]
	buffer_store_dword v125, off, s[0:3], 0 offset:292
	buffer_store_dword v124, off, s[0:3], 0 offset:288
	v_cmpx_lt_u32_e32 35, v0
	s_cbranch_execz .LBB60_305
; %bb.304:
	s_clause 0x1
	buffer_load_dword v124, off, s[0:3], 0 offset:280
	buffer_load_dword v125, off, s[0:3], 0 offset:284
	v_mov_b32_e32 v126, 0
	buffer_store_dword v126, off, s[0:3], 0 offset:280
	buffer_store_dword v126, off, s[0:3], 0 offset:284
	s_waitcnt vmcnt(0)
	ds_write_b64 v123, v[124:125]
.LBB60_305:
	s_or_b32 exec_lo, exec_lo, s4
	s_waitcnt lgkmcnt(0)
	s_waitcnt_vscnt null, 0x0
	s_barrier
	buffer_gl0_inv
	s_clause 0x1c
	buffer_load_dword v133, off, s[0:3], 0 offset:288
	buffer_load_dword v134, off, s[0:3], 0 offset:292
	;; [unrolled: 1-line block ×29, first 2 shown]
	v_mov_b32_e32 v124, 0
	buffer_load_dword v158, off, s[0:3], 0 offset:404
	s_mov_b32 s4, exec_lo
	ds_read_b128 v[125:128], v124 offset:784
	ds_read_b128 v[129:132], v124 offset:800
	s_waitcnt vmcnt(28) lgkmcnt(1)
	v_fma_f64 v[125:126], v[133:134], v[125:126], 0
	s_clause 0x7
	buffer_load_dword v134, off, s[0:3], 0 offset:412
	buffer_load_dword v163, off, s[0:3], 0 offset:432
	;; [unrolled: 1-line block ×8, first 2 shown]
	s_waitcnt vmcnt(34)
	v_fma_f64 v[125:126], v[135:136], v[127:128], v[125:126]
	s_waitcnt vmcnt(32) lgkmcnt(0)
	v_fma_f64 v[125:126], v[137:138], v[129:130], v[125:126]
	s_waitcnt vmcnt(30)
	v_fma_f64 v[135:136], v[139:140], v[131:132], v[125:126]
	ds_read_b128 v[125:128], v124 offset:816
	ds_read_b128 v[129:132], v124 offset:832
	s_waitcnt vmcnt(28) lgkmcnt(1)
	v_fma_f64 v[125:126], v[141:142], v[125:126], v[135:136]
	s_clause 0x7
	buffer_load_dword v136, off, s[0:3], 0 offset:444
	buffer_load_dword v137, off, s[0:3], 0 offset:464
	buffer_load_dword v139, off, s[0:3], 0 offset:456
	buffer_load_dword v141, off, s[0:3], 0 offset:448
	buffer_load_dword v135, off, s[0:3], 0 offset:440
	buffer_load_dword v142, off, s[0:3], 0 offset:452
	buffer_load_dword v140, off, s[0:3], 0 offset:460
	buffer_load_dword v138, off, s[0:3], 0 offset:468
	s_waitcnt vmcnt(34)
	v_fma_f64 v[125:126], v[143:144], v[127:128], v[125:126]
	s_waitcnt vmcnt(32) lgkmcnt(0)
	v_fma_f64 v[125:126], v[145:146], v[129:130], v[125:126]
	s_waitcnt vmcnt(27)
	v_fma_f64 v[143:144], v[147:148], v[131:132], v[125:126]
	ds_read_b128 v[125:128], v124 offset:848
	ds_read_b128 v[129:132], v124 offset:864
	s_waitcnt vmcnt(26) lgkmcnt(1)
	v_fma_f64 v[125:126], v[153:154], v[125:126], v[143:144]
	s_clause 0x5
	buffer_load_dword v144, off, s[0:3], 0 offset:476
	buffer_load_dword v145, off, s[0:3], 0 offset:480
	;; [unrolled: 1-line block ×6, first 2 shown]
	s_waitcnt vmcnt(31)
	v_fma_f64 v[125:126], v[151:152], v[127:128], v[125:126]
	s_waitcnt vmcnt(30) lgkmcnt(0)
	v_fma_f64 v[125:126], v[149:150], v[129:130], v[125:126]
	s_waitcnt vmcnt(25)
	v_fma_f64 v[149:150], v[155:156], v[131:132], v[125:126]
	ds_read_b128 v[125:128], v124 offset:880
	ds_read_b128 v[129:132], v124 offset:896
	s_waitcnt vmcnt(24) lgkmcnt(1)
	v_fma_f64 v[125:126], v[161:162], v[125:126], v[149:150]
	s_waitcnt vmcnt(23)
	v_fma_f64 v[125:126], v[159:160], v[127:128], v[125:126]
	s_waitcnt vmcnt(22) lgkmcnt(0)
	v_fma_f64 v[125:126], v[157:158], v[129:130], v[125:126]
	s_waitcnt vmcnt(17)
	v_fma_f64 v[133:134], v[133:134], v[131:132], v[125:126]
	ds_read_b128 v[125:128], v124 offset:912
	ds_read_b128 v[129:132], v124 offset:928
	s_waitcnt vmcnt(16) lgkmcnt(1)
	v_fma_f64 v[125:126], v[167:168], v[125:126], v[133:134]
	;; [unrolled: 10-line block ×3, first 2 shown]
	s_waitcnt vmcnt(7)
	v_fma_f64 v[125:126], v[139:140], v[127:128], v[125:126]
	ds_read_b64 v[127:128], v124 offset:976
	s_waitcnt vmcnt(6) lgkmcnt(1)
	v_fma_f64 v[125:126], v[137:138], v[129:130], v[125:126]
	s_waitcnt vmcnt(3)
	v_fma_f64 v[125:126], v[143:144], v[131:132], v[125:126]
	s_waitcnt vmcnt(2) lgkmcnt(0)
	v_fma_f64 v[125:126], v[145:146], v[127:128], v[125:126]
	s_waitcnt vmcnt(0)
	v_add_f64 v[125:126], v[147:148], -v[125:126]
	buffer_store_dword v126, off, s[0:3], 0 offset:284
	buffer_store_dword v125, off, s[0:3], 0 offset:280
	v_cmpx_lt_u32_e32 34, v0
	s_cbranch_execz .LBB60_307
; %bb.306:
	s_clause 0x1
	buffer_load_dword v125, off, s[0:3], 0 offset:272
	buffer_load_dword v126, off, s[0:3], 0 offset:276
	buffer_store_dword v124, off, s[0:3], 0 offset:272
	buffer_store_dword v124, off, s[0:3], 0 offset:276
	s_waitcnt vmcnt(0)
	ds_write_b64 v123, v[125:126]
.LBB60_307:
	s_or_b32 exec_lo, exec_lo, s4
	s_waitcnt lgkmcnt(0)
	s_waitcnt_vscnt null, 0x0
	s_barrier
	buffer_gl0_inv
	s_clause 0x1c
	buffer_load_dword v133, off, s[0:3], 0 offset:280
	buffer_load_dword v134, off, s[0:3], 0 offset:284
	;; [unrolled: 1-line block ×29, first 2 shown]
	ds_read2_b64 v[125:128], v124 offset0:97 offset1:98
	ds_read2_b64 v[129:132], v124 offset0:99 offset1:100
	buffer_load_dword v158, off, s[0:3], 0 offset:396
	s_mov_b32 s4, exec_lo
	s_waitcnt vmcnt(28) lgkmcnt(1)
	v_fma_f64 v[125:126], v[133:134], v[125:126], 0
	s_clause 0x7
	buffer_load_dword v134, off, s[0:3], 0 offset:404
	buffer_load_dword v163, off, s[0:3], 0 offset:424
	;; [unrolled: 1-line block ×8, first 2 shown]
	s_waitcnt vmcnt(34)
	v_fma_f64 v[125:126], v[135:136], v[127:128], v[125:126]
	s_waitcnt vmcnt(32) lgkmcnt(0)
	v_fma_f64 v[125:126], v[137:138], v[129:130], v[125:126]
	s_waitcnt vmcnt(30)
	v_fma_f64 v[135:136], v[139:140], v[131:132], v[125:126]
	ds_read2_b64 v[125:128], v124 offset0:101 offset1:102
	ds_read2_b64 v[129:132], v124 offset0:103 offset1:104
	s_waitcnt vmcnt(28) lgkmcnt(1)
	v_fma_f64 v[125:126], v[141:142], v[125:126], v[135:136]
	s_clause 0x7
	buffer_load_dword v136, off, s[0:3], 0 offset:436
	buffer_load_dword v137, off, s[0:3], 0 offset:456
	;; [unrolled: 1-line block ×8, first 2 shown]
	s_waitcnt vmcnt(34)
	v_fma_f64 v[125:126], v[143:144], v[127:128], v[125:126]
	s_waitcnt vmcnt(32) lgkmcnt(0)
	v_fma_f64 v[125:126], v[145:146], v[129:130], v[125:126]
	s_waitcnt vmcnt(27)
	v_fma_f64 v[143:144], v[147:148], v[131:132], v[125:126]
	ds_read2_b64 v[125:128], v124 offset0:105 offset1:106
	ds_read2_b64 v[129:132], v124 offset0:107 offset1:108
	s_waitcnt vmcnt(26) lgkmcnt(1)
	v_fma_f64 v[125:126], v[153:154], v[125:126], v[143:144]
	s_clause 0x5
	buffer_load_dword v144, off, s[0:3], 0 offset:468
	buffer_load_dword v145, off, s[0:3], 0 offset:480
	;; [unrolled: 1-line block ×6, first 2 shown]
	s_waitcnt vmcnt(31)
	v_fma_f64 v[125:126], v[151:152], v[127:128], v[125:126]
	s_waitcnt vmcnt(30) lgkmcnt(0)
	v_fma_f64 v[125:126], v[149:150], v[129:130], v[125:126]
	s_waitcnt vmcnt(25)
	v_fma_f64 v[149:150], v[155:156], v[131:132], v[125:126]
	ds_read2_b64 v[125:128], v124 offset0:109 offset1:110
	s_clause 0x1
	buffer_load_dword v151, off, s[0:3], 0 offset:272
	buffer_load_dword v152, off, s[0:3], 0 offset:276
	ds_read2_b64 v[129:132], v124 offset0:111 offset1:112
	s_waitcnt vmcnt(26) lgkmcnt(1)
	v_fma_f64 v[125:126], v[161:162], v[125:126], v[149:150]
	s_waitcnt vmcnt(25)
	v_fma_f64 v[125:126], v[159:160], v[127:128], v[125:126]
	s_waitcnt vmcnt(24) lgkmcnt(0)
	v_fma_f64 v[125:126], v[157:158], v[129:130], v[125:126]
	s_waitcnt vmcnt(19)
	v_fma_f64 v[133:134], v[133:134], v[131:132], v[125:126]
	ds_read2_b64 v[125:128], v124 offset0:113 offset1:114
	ds_read2_b64 v[129:132], v124 offset0:115 offset1:116
	s_waitcnt vmcnt(18) lgkmcnt(1)
	v_fma_f64 v[125:126], v[167:168], v[125:126], v[133:134]
	s_waitcnt vmcnt(17)
	v_fma_f64 v[125:126], v[165:166], v[127:128], v[125:126]
	s_waitcnt vmcnt(16) lgkmcnt(0)
	v_fma_f64 v[125:126], v[163:164], v[129:130], v[125:126]
	s_waitcnt vmcnt(11)
	v_fma_f64 v[133:134], v[135:136], v[131:132], v[125:126]
	ds_read2_b64 v[125:128], v124 offset0:117 offset1:118
	;; [unrolled: 10-line block ×3, first 2 shown]
	s_waitcnt vmcnt(3) lgkmcnt(0)
	v_fma_f64 v[124:125], v[147:148], v[124:125], v[128:129]
	s_waitcnt vmcnt(2)
	v_fma_f64 v[124:125], v[145:146], v[126:127], v[124:125]
	s_waitcnt vmcnt(0)
	v_add_f64 v[124:125], v[151:152], -v[124:125]
	buffer_store_dword v125, off, s[0:3], 0 offset:276
	buffer_store_dword v124, off, s[0:3], 0 offset:272
	v_cmpx_lt_u32_e32 33, v0
	s_cbranch_execz .LBB60_309
; %bb.308:
	s_clause 0x1
	buffer_load_dword v124, off, s[0:3], 0 offset:264
	buffer_load_dword v125, off, s[0:3], 0 offset:268
	v_mov_b32_e32 v126, 0
	buffer_store_dword v126, off, s[0:3], 0 offset:264
	buffer_store_dword v126, off, s[0:3], 0 offset:268
	s_waitcnt vmcnt(0)
	ds_write_b64 v123, v[124:125]
.LBB60_309:
	s_or_b32 exec_lo, exec_lo, s4
	s_waitcnt lgkmcnt(0)
	s_waitcnt_vscnt null, 0x0
	s_barrier
	buffer_gl0_inv
	s_clause 0x1c
	buffer_load_dword v133, off, s[0:3], 0 offset:272
	buffer_load_dword v134, off, s[0:3], 0 offset:276
	;; [unrolled: 1-line block ×29, first 2 shown]
	v_mov_b32_e32 v124, 0
	buffer_load_dword v158, off, s[0:3], 0 offset:388
	s_mov_b32 s4, exec_lo
	ds_read_b128 v[125:128], v124 offset:768
	ds_read_b128 v[129:132], v124 offset:784
	s_waitcnt vmcnt(28) lgkmcnt(1)
	v_fma_f64 v[125:126], v[133:134], v[125:126], 0
	s_clause 0x7
	buffer_load_dword v134, off, s[0:3], 0 offset:396
	buffer_load_dword v163, off, s[0:3], 0 offset:416
	buffer_load_dword v165, off, s[0:3], 0 offset:408
	buffer_load_dword v167, off, s[0:3], 0 offset:400
	buffer_load_dword v133, off, s[0:3], 0 offset:392
	buffer_load_dword v168, off, s[0:3], 0 offset:404
	buffer_load_dword v166, off, s[0:3], 0 offset:412
	buffer_load_dword v164, off, s[0:3], 0 offset:420
	s_waitcnt vmcnt(34)
	v_fma_f64 v[125:126], v[135:136], v[127:128], v[125:126]
	s_waitcnt vmcnt(32) lgkmcnt(0)
	v_fma_f64 v[125:126], v[137:138], v[129:130], v[125:126]
	s_waitcnt vmcnt(30)
	v_fma_f64 v[135:136], v[139:140], v[131:132], v[125:126]
	ds_read_b128 v[125:128], v124 offset:800
	ds_read_b128 v[129:132], v124 offset:816
	s_waitcnt vmcnt(28) lgkmcnt(1)
	v_fma_f64 v[125:126], v[141:142], v[125:126], v[135:136]
	s_clause 0x7
	buffer_load_dword v136, off, s[0:3], 0 offset:428
	buffer_load_dword v137, off, s[0:3], 0 offset:448
	buffer_load_dword v139, off, s[0:3], 0 offset:440
	buffer_load_dword v141, off, s[0:3], 0 offset:432
	buffer_load_dword v135, off, s[0:3], 0 offset:424
	buffer_load_dword v142, off, s[0:3], 0 offset:436
	buffer_load_dword v140, off, s[0:3], 0 offset:444
	buffer_load_dword v138, off, s[0:3], 0 offset:452
	s_waitcnt vmcnt(34)
	v_fma_f64 v[125:126], v[143:144], v[127:128], v[125:126]
	s_waitcnt vmcnt(32) lgkmcnt(0)
	v_fma_f64 v[125:126], v[145:146], v[129:130], v[125:126]
	s_waitcnt vmcnt(27)
	v_fma_f64 v[143:144], v[147:148], v[131:132], v[125:126]
	;; [unrolled: 19-line block ×3, first 2 shown]
	ds_read_b128 v[125:128], v124 offset:864
	ds_read_b128 v[129:132], v124 offset:880
	s_waitcnt vmcnt(26) lgkmcnt(1)
	v_fma_f64 v[125:126], v[161:162], v[125:126], v[149:150]
	s_clause 0x1
	buffer_load_dword v149, off, s[0:3], 0 offset:264
	buffer_load_dword v150, off, s[0:3], 0 offset:268
	s_waitcnt vmcnt(27)
	v_fma_f64 v[125:126], v[159:160], v[127:128], v[125:126]
	s_waitcnt vmcnt(26) lgkmcnt(0)
	v_fma_f64 v[125:126], v[157:158], v[129:130], v[125:126]
	s_waitcnt vmcnt(21)
	v_fma_f64 v[133:134], v[133:134], v[131:132], v[125:126]
	ds_read_b128 v[125:128], v124 offset:896
	ds_read_b128 v[129:132], v124 offset:912
	s_waitcnt vmcnt(20) lgkmcnt(1)
	v_fma_f64 v[125:126], v[167:168], v[125:126], v[133:134]
	s_waitcnt vmcnt(19)
	v_fma_f64 v[125:126], v[165:166], v[127:128], v[125:126]
	s_waitcnt vmcnt(18) lgkmcnt(0)
	v_fma_f64 v[125:126], v[163:164], v[129:130], v[125:126]
	s_waitcnt vmcnt(13)
	v_fma_f64 v[133:134], v[135:136], v[131:132], v[125:126]
	ds_read_b128 v[125:128], v124 offset:928
	ds_read_b128 v[129:132], v124 offset:944
	s_waitcnt vmcnt(12) lgkmcnt(1)
	v_fma_f64 v[125:126], v[141:142], v[125:126], v[133:134]
	s_waitcnt vmcnt(11)
	v_fma_f64 v[125:126], v[139:140], v[127:128], v[125:126]
	s_waitcnt vmcnt(10) lgkmcnt(0)
	v_fma_f64 v[125:126], v[137:138], v[129:130], v[125:126]
	s_waitcnt vmcnt(5)
	v_fma_f64 v[129:130], v[143:144], v[131:132], v[125:126]
	ds_read_b128 v[125:128], v124 offset:960
	ds_read_b64 v[131:132], v124 offset:976
	s_waitcnt vmcnt(4) lgkmcnt(1)
	v_fma_f64 v[125:126], v[153:154], v[125:126], v[129:130]
	s_waitcnt vmcnt(3)
	v_fma_f64 v[125:126], v[147:148], v[127:128], v[125:126]
	s_waitcnt vmcnt(2) lgkmcnt(0)
	v_fma_f64 v[125:126], v[145:146], v[131:132], v[125:126]
	s_waitcnt vmcnt(0)
	v_add_f64 v[125:126], v[149:150], -v[125:126]
	buffer_store_dword v126, off, s[0:3], 0 offset:268
	buffer_store_dword v125, off, s[0:3], 0 offset:264
	v_cmpx_lt_u32_e32 32, v0
	s_cbranch_execz .LBB60_311
; %bb.310:
	s_clause 0x1
	buffer_load_dword v125, off, s[0:3], 0 offset:256
	buffer_load_dword v126, off, s[0:3], 0 offset:260
	buffer_store_dword v124, off, s[0:3], 0 offset:256
	buffer_store_dword v124, off, s[0:3], 0 offset:260
	s_waitcnt vmcnt(0)
	ds_write_b64 v123, v[125:126]
.LBB60_311:
	s_or_b32 exec_lo, exec_lo, s4
	s_waitcnt lgkmcnt(0)
	s_waitcnt_vscnt null, 0x0
	s_barrier
	buffer_gl0_inv
	s_clause 0x1c
	buffer_load_dword v133, off, s[0:3], 0 offset:264
	buffer_load_dword v134, off, s[0:3], 0 offset:268
	;; [unrolled: 1-line block ×29, first 2 shown]
	ds_read2_b64 v[125:128], v124 offset0:95 offset1:96
	ds_read2_b64 v[129:132], v124 offset0:97 offset1:98
	buffer_load_dword v158, off, s[0:3], 0 offset:380
	s_mov_b32 s4, exec_lo
	s_waitcnt vmcnt(28) lgkmcnt(1)
	v_fma_f64 v[125:126], v[133:134], v[125:126], 0
	s_clause 0x7
	buffer_load_dword v134, off, s[0:3], 0 offset:388
	buffer_load_dword v163, off, s[0:3], 0 offset:408
	buffer_load_dword v165, off, s[0:3], 0 offset:400
	buffer_load_dword v167, off, s[0:3], 0 offset:392
	buffer_load_dword v133, off, s[0:3], 0 offset:384
	buffer_load_dword v168, off, s[0:3], 0 offset:396
	buffer_load_dword v166, off, s[0:3], 0 offset:404
	buffer_load_dword v164, off, s[0:3], 0 offset:412
	s_waitcnt vmcnt(34)
	v_fma_f64 v[125:126], v[135:136], v[127:128], v[125:126]
	s_waitcnt vmcnt(32) lgkmcnt(0)
	v_fma_f64 v[125:126], v[137:138], v[129:130], v[125:126]
	s_waitcnt vmcnt(30)
	v_fma_f64 v[135:136], v[139:140], v[131:132], v[125:126]
	ds_read2_b64 v[125:128], v124 offset0:99 offset1:100
	ds_read2_b64 v[129:132], v124 offset0:101 offset1:102
	s_waitcnt vmcnt(28) lgkmcnt(1)
	v_fma_f64 v[125:126], v[141:142], v[125:126], v[135:136]
	s_clause 0x7
	buffer_load_dword v136, off, s[0:3], 0 offset:420
	buffer_load_dword v137, off, s[0:3], 0 offset:440
	buffer_load_dword v139, off, s[0:3], 0 offset:432
	buffer_load_dword v141, off, s[0:3], 0 offset:424
	buffer_load_dword v135, off, s[0:3], 0 offset:416
	buffer_load_dword v142, off, s[0:3], 0 offset:428
	buffer_load_dword v140, off, s[0:3], 0 offset:436
	buffer_load_dword v138, off, s[0:3], 0 offset:444
	s_waitcnt vmcnt(34)
	v_fma_f64 v[125:126], v[143:144], v[127:128], v[125:126]
	s_waitcnt vmcnt(32) lgkmcnt(0)
	v_fma_f64 v[125:126], v[145:146], v[129:130], v[125:126]
	s_waitcnt vmcnt(27)
	v_fma_f64 v[143:144], v[147:148], v[131:132], v[125:126]
	ds_read2_b64 v[125:128], v124 offset0:103 offset1:104
	ds_read2_b64 v[129:132], v124 offset0:105 offset1:106
	s_waitcnt vmcnt(26) lgkmcnt(1)
	v_fma_f64 v[125:126], v[153:154], v[125:126], v[143:144]
	s_clause 0x7
	buffer_load_dword v144, off, s[0:3], 0 offset:452
	buffer_load_dword v145, off, s[0:3], 0 offset:472
	buffer_load_dword v147, off, s[0:3], 0 offset:464
	buffer_load_dword v153, off, s[0:3], 0 offset:456
	buffer_load_dword v143, off, s[0:3], 0 offset:448
	buffer_load_dword v154, off, s[0:3], 0 offset:460
	buffer_load_dword v148, off, s[0:3], 0 offset:468
	buffer_load_dword v146, off, s[0:3], 0 offset:476
	s_waitcnt vmcnt(33)
	v_fma_f64 v[125:126], v[151:152], v[127:128], v[125:126]
	s_waitcnt vmcnt(32) lgkmcnt(0)
	v_fma_f64 v[125:126], v[149:150], v[129:130], v[125:126]
	s_waitcnt vmcnt(27)
	v_fma_f64 v[149:150], v[155:156], v[131:132], v[125:126]
	ds_read2_b64 v[125:128], v124 offset0:107 offset1:108
	ds_read2_b64 v[129:132], v124 offset0:109 offset1:110
	s_waitcnt vmcnt(26) lgkmcnt(1)
	v_fma_f64 v[125:126], v[161:162], v[125:126], v[149:150]
	s_clause 0x3
	buffer_load_dword v150, off, s[0:3], 0 offset:484
	buffer_load_dword v149, off, s[0:3], 0 offset:480
	;; [unrolled: 1-line block ×4, first 2 shown]
	s_waitcnt vmcnt(29)
	v_fma_f64 v[125:126], v[159:160], v[127:128], v[125:126]
	s_waitcnt vmcnt(28) lgkmcnt(0)
	v_fma_f64 v[125:126], v[157:158], v[129:130], v[125:126]
	s_waitcnt vmcnt(23)
	v_fma_f64 v[133:134], v[133:134], v[131:132], v[125:126]
	ds_read2_b64 v[125:128], v124 offset0:111 offset1:112
	ds_read2_b64 v[129:132], v124 offset0:113 offset1:114
	s_waitcnt vmcnt(22) lgkmcnt(1)
	v_fma_f64 v[125:126], v[167:168], v[125:126], v[133:134]
	s_waitcnt vmcnt(21)
	v_fma_f64 v[125:126], v[165:166], v[127:128], v[125:126]
	s_waitcnt vmcnt(20) lgkmcnt(0)
	v_fma_f64 v[125:126], v[163:164], v[129:130], v[125:126]
	s_waitcnt vmcnt(15)
	v_fma_f64 v[133:134], v[135:136], v[131:132], v[125:126]
	ds_read2_b64 v[125:128], v124 offset0:115 offset1:116
	ds_read2_b64 v[129:132], v124 offset0:117 offset1:118
	s_waitcnt vmcnt(14) lgkmcnt(1)
	v_fma_f64 v[125:126], v[141:142], v[125:126], v[133:134]
	;; [unrolled: 10-line block ×3, first 2 shown]
	s_waitcnt vmcnt(5)
	v_fma_f64 v[124:125], v[147:148], v[127:128], v[124:125]
	s_waitcnt vmcnt(4) lgkmcnt(0)
	v_fma_f64 v[124:125], v[145:146], v[129:130], v[124:125]
	s_waitcnt vmcnt(2)
	v_fma_f64 v[124:125], v[149:150], v[131:132], v[124:125]
	s_waitcnt vmcnt(0)
	v_add_f64 v[124:125], v[151:152], -v[124:125]
	buffer_store_dword v125, off, s[0:3], 0 offset:260
	buffer_store_dword v124, off, s[0:3], 0 offset:256
	v_cmpx_lt_u32_e32 31, v0
	s_cbranch_execz .LBB60_313
; %bb.312:
	s_clause 0x1
	buffer_load_dword v124, off, s[0:3], 0 offset:248
	buffer_load_dword v125, off, s[0:3], 0 offset:252
	v_mov_b32_e32 v126, 0
	buffer_store_dword v126, off, s[0:3], 0 offset:248
	buffer_store_dword v126, off, s[0:3], 0 offset:252
	s_waitcnt vmcnt(0)
	ds_write_b64 v123, v[124:125]
.LBB60_313:
	s_or_b32 exec_lo, exec_lo, s4
	s_waitcnt lgkmcnt(0)
	s_waitcnt_vscnt null, 0x0
	s_barrier
	buffer_gl0_inv
	s_clause 0x1c
	buffer_load_dword v133, off, s[0:3], 0 offset:256
	buffer_load_dword v134, off, s[0:3], 0 offset:260
	buffer_load_dword v135, off, s[0:3], 0 offset:264
	buffer_load_dword v136, off, s[0:3], 0 offset:268
	buffer_load_dword v137, off, s[0:3], 0 offset:272
	buffer_load_dword v138, off, s[0:3], 0 offset:276
	buffer_load_dword v139, off, s[0:3], 0 offset:280
	buffer_load_dword v140, off, s[0:3], 0 offset:284
	buffer_load_dword v141, off, s[0:3], 0 offset:288
	buffer_load_dword v142, off, s[0:3], 0 offset:292
	buffer_load_dword v143, off, s[0:3], 0 offset:296
	buffer_load_dword v144, off, s[0:3], 0 offset:300
	buffer_load_dword v145, off, s[0:3], 0 offset:304
	buffer_load_dword v146, off, s[0:3], 0 offset:308
	buffer_load_dword v148, off, s[0:3], 0 offset:316
	buffer_load_dword v149, off, s[0:3], 0 offset:336
	buffer_load_dword v151, off, s[0:3], 0 offset:328
	buffer_load_dword v153, off, s[0:3], 0 offset:320
	buffer_load_dword v147, off, s[0:3], 0 offset:312
	buffer_load_dword v154, off, s[0:3], 0 offset:324
	buffer_load_dword v152, off, s[0:3], 0 offset:332
	buffer_load_dword v150, off, s[0:3], 0 offset:340
	buffer_load_dword v156, off, s[0:3], 0 offset:348
	buffer_load_dword v157, off, s[0:3], 0 offset:368
	buffer_load_dword v159, off, s[0:3], 0 offset:360
	buffer_load_dword v161, off, s[0:3], 0 offset:352
	buffer_load_dword v155, off, s[0:3], 0 offset:344
	buffer_load_dword v162, off, s[0:3], 0 offset:356
	buffer_load_dword v160, off, s[0:3], 0 offset:364
	v_mov_b32_e32 v124, 0
	buffer_load_dword v158, off, s[0:3], 0 offset:372
	s_mov_b32 s4, exec_lo
	ds_read_b128 v[125:128], v124 offset:752
	ds_read_b128 v[129:132], v124 offset:768
	s_waitcnt vmcnt(28) lgkmcnt(1)
	v_fma_f64 v[125:126], v[133:134], v[125:126], 0
	s_clause 0x7
	buffer_load_dword v134, off, s[0:3], 0 offset:380
	buffer_load_dword v163, off, s[0:3], 0 offset:400
	buffer_load_dword v165, off, s[0:3], 0 offset:392
	buffer_load_dword v167, off, s[0:3], 0 offset:384
	buffer_load_dword v133, off, s[0:3], 0 offset:376
	buffer_load_dword v168, off, s[0:3], 0 offset:388
	buffer_load_dword v166, off, s[0:3], 0 offset:396
	buffer_load_dword v164, off, s[0:3], 0 offset:404
	s_waitcnt vmcnt(34)
	v_fma_f64 v[125:126], v[135:136], v[127:128], v[125:126]
	s_waitcnt vmcnt(32) lgkmcnt(0)
	v_fma_f64 v[125:126], v[137:138], v[129:130], v[125:126]
	s_waitcnt vmcnt(30)
	v_fma_f64 v[135:136], v[139:140], v[131:132], v[125:126]
	ds_read_b128 v[125:128], v124 offset:784
	ds_read_b128 v[129:132], v124 offset:800
	s_waitcnt vmcnt(28) lgkmcnt(1)
	v_fma_f64 v[125:126], v[141:142], v[125:126], v[135:136]
	s_clause 0x7
	buffer_load_dword v136, off, s[0:3], 0 offset:412
	buffer_load_dword v137, off, s[0:3], 0 offset:432
	buffer_load_dword v139, off, s[0:3], 0 offset:424
	buffer_load_dword v141, off, s[0:3], 0 offset:416
	buffer_load_dword v135, off, s[0:3], 0 offset:408
	buffer_load_dword v142, off, s[0:3], 0 offset:420
	buffer_load_dword v140, off, s[0:3], 0 offset:428
	buffer_load_dword v138, off, s[0:3], 0 offset:436
	s_waitcnt vmcnt(34)
	v_fma_f64 v[125:126], v[143:144], v[127:128], v[125:126]
	s_waitcnt vmcnt(32) lgkmcnt(0)
	v_fma_f64 v[125:126], v[145:146], v[129:130], v[125:126]
	s_waitcnt vmcnt(27)
	v_fma_f64 v[143:144], v[147:148], v[131:132], v[125:126]
	;; [unrolled: 19-line block ×3, first 2 shown]
	ds_read_b128 v[125:128], v124 offset:848
	ds_read_b128 v[129:132], v124 offset:864
	s_waitcnt vmcnt(26) lgkmcnt(1)
	v_fma_f64 v[125:126], v[161:162], v[125:126], v[149:150]
	s_clause 0x5
	buffer_load_dword v150, off, s[0:3], 0 offset:476
	buffer_load_dword v151, off, s[0:3], 0 offset:480
	;; [unrolled: 1-line block ×6, first 2 shown]
	s_waitcnt vmcnt(31)
	v_fma_f64 v[125:126], v[159:160], v[127:128], v[125:126]
	s_waitcnt vmcnt(30) lgkmcnt(0)
	v_fma_f64 v[125:126], v[157:158], v[129:130], v[125:126]
	s_waitcnt vmcnt(25)
	v_fma_f64 v[133:134], v[133:134], v[131:132], v[125:126]
	ds_read_b128 v[125:128], v124 offset:880
	ds_read_b128 v[129:132], v124 offset:896
	s_waitcnt vmcnt(24) lgkmcnt(1)
	v_fma_f64 v[125:126], v[167:168], v[125:126], v[133:134]
	s_waitcnt vmcnt(23)
	v_fma_f64 v[125:126], v[165:166], v[127:128], v[125:126]
	s_waitcnt vmcnt(22) lgkmcnt(0)
	v_fma_f64 v[125:126], v[163:164], v[129:130], v[125:126]
	s_waitcnt vmcnt(17)
	v_fma_f64 v[133:134], v[135:136], v[131:132], v[125:126]
	ds_read_b128 v[125:128], v124 offset:912
	ds_read_b128 v[129:132], v124 offset:928
	s_waitcnt vmcnt(16) lgkmcnt(1)
	v_fma_f64 v[125:126], v[141:142], v[125:126], v[133:134]
	;; [unrolled: 10-line block ×3, first 2 shown]
	s_waitcnt vmcnt(7)
	v_fma_f64 v[125:126], v[147:148], v[127:128], v[125:126]
	ds_read_b64 v[127:128], v124 offset:976
	s_waitcnt vmcnt(6) lgkmcnt(1)
	v_fma_f64 v[125:126], v[145:146], v[129:130], v[125:126]
	s_waitcnt vmcnt(3)
	v_fma_f64 v[125:126], v[149:150], v[131:132], v[125:126]
	s_waitcnt vmcnt(2) lgkmcnt(0)
	v_fma_f64 v[125:126], v[151:152], v[127:128], v[125:126]
	s_waitcnt vmcnt(0)
	v_add_f64 v[125:126], v[155:156], -v[125:126]
	buffer_store_dword v126, off, s[0:3], 0 offset:252
	buffer_store_dword v125, off, s[0:3], 0 offset:248
	v_cmpx_lt_u32_e32 30, v0
	s_cbranch_execz .LBB60_315
; %bb.314:
	s_clause 0x1
	buffer_load_dword v125, off, s[0:3], 0 offset:240
	buffer_load_dword v126, off, s[0:3], 0 offset:244
	buffer_store_dword v124, off, s[0:3], 0 offset:240
	buffer_store_dword v124, off, s[0:3], 0 offset:244
	s_waitcnt vmcnt(0)
	ds_write_b64 v123, v[125:126]
.LBB60_315:
	s_or_b32 exec_lo, exec_lo, s4
	s_waitcnt lgkmcnt(0)
	s_waitcnt_vscnt null, 0x0
	s_barrier
	buffer_gl0_inv
	s_clause 0x1c
	buffer_load_dword v133, off, s[0:3], 0 offset:248
	buffer_load_dword v134, off, s[0:3], 0 offset:252
	;; [unrolled: 1-line block ×29, first 2 shown]
	ds_read2_b64 v[125:128], v124 offset0:93 offset1:94
	ds_read2_b64 v[129:132], v124 offset0:95 offset1:96
	buffer_load_dword v158, off, s[0:3], 0 offset:364
	s_mov_b32 s4, exec_lo
	s_waitcnt vmcnt(28) lgkmcnt(1)
	v_fma_f64 v[125:126], v[133:134], v[125:126], 0
	s_clause 0x7
	buffer_load_dword v134, off, s[0:3], 0 offset:372
	buffer_load_dword v163, off, s[0:3], 0 offset:392
	buffer_load_dword v165, off, s[0:3], 0 offset:384
	buffer_load_dword v167, off, s[0:3], 0 offset:376
	buffer_load_dword v133, off, s[0:3], 0 offset:368
	buffer_load_dword v168, off, s[0:3], 0 offset:380
	buffer_load_dword v166, off, s[0:3], 0 offset:388
	buffer_load_dword v164, off, s[0:3], 0 offset:396
	s_waitcnt vmcnt(34)
	v_fma_f64 v[125:126], v[135:136], v[127:128], v[125:126]
	s_waitcnt vmcnt(32) lgkmcnt(0)
	v_fma_f64 v[125:126], v[137:138], v[129:130], v[125:126]
	s_waitcnt vmcnt(30)
	v_fma_f64 v[135:136], v[139:140], v[131:132], v[125:126]
	ds_read2_b64 v[125:128], v124 offset0:97 offset1:98
	ds_read2_b64 v[129:132], v124 offset0:99 offset1:100
	s_waitcnt vmcnt(28) lgkmcnt(1)
	v_fma_f64 v[125:126], v[141:142], v[125:126], v[135:136]
	s_clause 0x7
	buffer_load_dword v136, off, s[0:3], 0 offset:404
	buffer_load_dword v137, off, s[0:3], 0 offset:424
	buffer_load_dword v139, off, s[0:3], 0 offset:416
	buffer_load_dword v141, off, s[0:3], 0 offset:408
	buffer_load_dword v135, off, s[0:3], 0 offset:400
	buffer_load_dword v142, off, s[0:3], 0 offset:412
	buffer_load_dword v140, off, s[0:3], 0 offset:420
	buffer_load_dword v138, off, s[0:3], 0 offset:428
	s_waitcnt vmcnt(34)
	v_fma_f64 v[125:126], v[143:144], v[127:128], v[125:126]
	s_waitcnt vmcnt(32) lgkmcnt(0)
	v_fma_f64 v[125:126], v[145:146], v[129:130], v[125:126]
	s_waitcnt vmcnt(27)
	v_fma_f64 v[143:144], v[147:148], v[131:132], v[125:126]
	ds_read2_b64 v[125:128], v124 offset0:101 offset1:102
	ds_read2_b64 v[129:132], v124 offset0:103 offset1:104
	;; [unrolled: 19-line block ×3, first 2 shown]
	s_waitcnt vmcnt(26) lgkmcnt(1)
	v_fma_f64 v[125:126], v[161:162], v[125:126], v[149:150]
	s_clause 0x5
	buffer_load_dword v150, off, s[0:3], 0 offset:468
	buffer_load_dword v151, off, s[0:3], 0 offset:480
	;; [unrolled: 1-line block ×6, first 2 shown]
	s_waitcnt vmcnt(31)
	v_fma_f64 v[125:126], v[159:160], v[127:128], v[125:126]
	s_waitcnt vmcnt(30) lgkmcnt(0)
	v_fma_f64 v[125:126], v[157:158], v[129:130], v[125:126]
	s_waitcnt vmcnt(25)
	v_fma_f64 v[133:134], v[133:134], v[131:132], v[125:126]
	ds_read2_b64 v[125:128], v124 offset0:109 offset1:110
	s_clause 0x1
	buffer_load_dword v157, off, s[0:3], 0 offset:240
	buffer_load_dword v158, off, s[0:3], 0 offset:244
	ds_read2_b64 v[129:132], v124 offset0:111 offset1:112
	s_waitcnt vmcnt(26) lgkmcnt(1)
	v_fma_f64 v[125:126], v[167:168], v[125:126], v[133:134]
	s_waitcnt vmcnt(25)
	v_fma_f64 v[125:126], v[165:166], v[127:128], v[125:126]
	s_waitcnt vmcnt(24) lgkmcnt(0)
	v_fma_f64 v[125:126], v[163:164], v[129:130], v[125:126]
	s_waitcnt vmcnt(19)
	v_fma_f64 v[133:134], v[135:136], v[131:132], v[125:126]
	ds_read2_b64 v[125:128], v124 offset0:113 offset1:114
	ds_read2_b64 v[129:132], v124 offset0:115 offset1:116
	s_waitcnt vmcnt(18) lgkmcnt(1)
	v_fma_f64 v[125:126], v[141:142], v[125:126], v[133:134]
	s_waitcnt vmcnt(17)
	v_fma_f64 v[125:126], v[139:140], v[127:128], v[125:126]
	s_waitcnt vmcnt(16) lgkmcnt(0)
	v_fma_f64 v[125:126], v[137:138], v[129:130], v[125:126]
	s_waitcnt vmcnt(11)
	v_fma_f64 v[133:134], v[143:144], v[131:132], v[125:126]
	ds_read2_b64 v[125:128], v124 offset0:117 offset1:118
	;; [unrolled: 10-line block ×3, first 2 shown]
	s_waitcnt vmcnt(3) lgkmcnt(0)
	v_fma_f64 v[124:125], v[155:156], v[124:125], v[128:129]
	s_waitcnt vmcnt(2)
	v_fma_f64 v[124:125], v[151:152], v[126:127], v[124:125]
	s_waitcnt vmcnt(0)
	v_add_f64 v[124:125], v[157:158], -v[124:125]
	buffer_store_dword v125, off, s[0:3], 0 offset:244
	buffer_store_dword v124, off, s[0:3], 0 offset:240
	v_cmpx_lt_u32_e32 29, v0
	s_cbranch_execz .LBB60_317
; %bb.316:
	s_clause 0x1
	buffer_load_dword v124, off, s[0:3], 0 offset:232
	buffer_load_dword v125, off, s[0:3], 0 offset:236
	v_mov_b32_e32 v126, 0
	buffer_store_dword v126, off, s[0:3], 0 offset:232
	buffer_store_dword v126, off, s[0:3], 0 offset:236
	s_waitcnt vmcnt(0)
	ds_write_b64 v123, v[124:125]
.LBB60_317:
	s_or_b32 exec_lo, exec_lo, s4
	s_waitcnt lgkmcnt(0)
	s_waitcnt_vscnt null, 0x0
	s_barrier
	buffer_gl0_inv
	s_clause 0x1c
	buffer_load_dword v133, off, s[0:3], 0 offset:240
	buffer_load_dword v134, off, s[0:3], 0 offset:244
	;; [unrolled: 1-line block ×29, first 2 shown]
	v_mov_b32_e32 v124, 0
	buffer_load_dword v158, off, s[0:3], 0 offset:356
	s_mov_b32 s4, exec_lo
	ds_read_b128 v[125:128], v124 offset:736
	ds_read_b128 v[129:132], v124 offset:752
	s_waitcnt vmcnt(28) lgkmcnt(1)
	v_fma_f64 v[125:126], v[133:134], v[125:126], 0
	s_clause 0x7
	buffer_load_dword v134, off, s[0:3], 0 offset:364
	buffer_load_dword v163, off, s[0:3], 0 offset:384
	buffer_load_dword v165, off, s[0:3], 0 offset:376
	buffer_load_dword v167, off, s[0:3], 0 offset:368
	buffer_load_dword v133, off, s[0:3], 0 offset:360
	buffer_load_dword v168, off, s[0:3], 0 offset:372
	buffer_load_dword v166, off, s[0:3], 0 offset:380
	buffer_load_dword v164, off, s[0:3], 0 offset:388
	s_waitcnt vmcnt(34)
	v_fma_f64 v[125:126], v[135:136], v[127:128], v[125:126]
	s_waitcnt vmcnt(32) lgkmcnt(0)
	v_fma_f64 v[125:126], v[137:138], v[129:130], v[125:126]
	s_waitcnt vmcnt(30)
	v_fma_f64 v[135:136], v[139:140], v[131:132], v[125:126]
	ds_read_b128 v[125:128], v124 offset:768
	ds_read_b128 v[129:132], v124 offset:784
	s_waitcnt vmcnt(28) lgkmcnt(1)
	v_fma_f64 v[125:126], v[141:142], v[125:126], v[135:136]
	s_clause 0x7
	buffer_load_dword v136, off, s[0:3], 0 offset:396
	buffer_load_dword v137, off, s[0:3], 0 offset:416
	buffer_load_dword v139, off, s[0:3], 0 offset:408
	buffer_load_dword v141, off, s[0:3], 0 offset:400
	buffer_load_dword v135, off, s[0:3], 0 offset:392
	buffer_load_dword v142, off, s[0:3], 0 offset:404
	buffer_load_dword v140, off, s[0:3], 0 offset:412
	buffer_load_dword v138, off, s[0:3], 0 offset:420
	s_waitcnt vmcnt(34)
	v_fma_f64 v[125:126], v[143:144], v[127:128], v[125:126]
	s_waitcnt vmcnt(32) lgkmcnt(0)
	v_fma_f64 v[125:126], v[145:146], v[129:130], v[125:126]
	s_waitcnt vmcnt(27)
	v_fma_f64 v[143:144], v[147:148], v[131:132], v[125:126]
	;; [unrolled: 19-line block ×4, first 2 shown]
	ds_read_b128 v[125:128], v124 offset:864
	ds_read_b128 v[129:132], v124 offset:880
	s_waitcnt vmcnt(26) lgkmcnt(1)
	v_fma_f64 v[125:126], v[167:168], v[125:126], v[133:134]
	s_clause 0x1
	buffer_load_dword v133, off, s[0:3], 0 offset:232
	buffer_load_dword v134, off, s[0:3], 0 offset:236
	s_waitcnt vmcnt(27)
	v_fma_f64 v[125:126], v[165:166], v[127:128], v[125:126]
	s_waitcnt vmcnt(26) lgkmcnt(0)
	v_fma_f64 v[125:126], v[163:164], v[129:130], v[125:126]
	s_waitcnt vmcnt(21)
	v_fma_f64 v[135:136], v[135:136], v[131:132], v[125:126]
	ds_read_b128 v[125:128], v124 offset:896
	ds_read_b128 v[129:132], v124 offset:912
	s_waitcnt vmcnt(20) lgkmcnt(1)
	v_fma_f64 v[125:126], v[141:142], v[125:126], v[135:136]
	s_waitcnt vmcnt(19)
	v_fma_f64 v[125:126], v[139:140], v[127:128], v[125:126]
	s_waitcnt vmcnt(18) lgkmcnt(0)
	v_fma_f64 v[125:126], v[137:138], v[129:130], v[125:126]
	s_waitcnt vmcnt(13)
	v_fma_f64 v[135:136], v[143:144], v[131:132], v[125:126]
	ds_read_b128 v[125:128], v124 offset:928
	ds_read_b128 v[129:132], v124 offset:944
	s_waitcnt vmcnt(12) lgkmcnt(1)
	v_fma_f64 v[125:126], v[153:154], v[125:126], v[135:136]
	s_waitcnt vmcnt(11)
	v_fma_f64 v[125:126], v[147:148], v[127:128], v[125:126]
	s_waitcnt vmcnt(10) lgkmcnt(0)
	v_fma_f64 v[125:126], v[145:146], v[129:130], v[125:126]
	s_waitcnt vmcnt(5)
	v_fma_f64 v[129:130], v[149:150], v[131:132], v[125:126]
	ds_read_b128 v[125:128], v124 offset:960
	ds_read_b64 v[131:132], v124 offset:976
	s_waitcnt vmcnt(4) lgkmcnt(1)
	v_fma_f64 v[125:126], v[161:162], v[125:126], v[129:130]
	s_waitcnt vmcnt(3)
	v_fma_f64 v[125:126], v[155:156], v[127:128], v[125:126]
	s_waitcnt vmcnt(2) lgkmcnt(0)
	v_fma_f64 v[125:126], v[151:152], v[131:132], v[125:126]
	s_waitcnt vmcnt(0)
	v_add_f64 v[125:126], v[133:134], -v[125:126]
	buffer_store_dword v126, off, s[0:3], 0 offset:236
	buffer_store_dword v125, off, s[0:3], 0 offset:232
	v_cmpx_lt_u32_e32 28, v0
	s_cbranch_execz .LBB60_319
; %bb.318:
	s_clause 0x1
	buffer_load_dword v125, off, s[0:3], 0 offset:224
	buffer_load_dword v126, off, s[0:3], 0 offset:228
	buffer_store_dword v124, off, s[0:3], 0 offset:224
	buffer_store_dword v124, off, s[0:3], 0 offset:228
	s_waitcnt vmcnt(0)
	ds_write_b64 v123, v[125:126]
.LBB60_319:
	s_or_b32 exec_lo, exec_lo, s4
	s_waitcnt lgkmcnt(0)
	s_waitcnt_vscnt null, 0x0
	s_barrier
	buffer_gl0_inv
	s_clause 0x1c
	buffer_load_dword v133, off, s[0:3], 0 offset:232
	buffer_load_dword v134, off, s[0:3], 0 offset:236
	;; [unrolled: 1-line block ×29, first 2 shown]
	ds_read2_b64 v[125:128], v124 offset0:91 offset1:92
	ds_read2_b64 v[129:132], v124 offset0:93 offset1:94
	buffer_load_dword v158, off, s[0:3], 0 offset:348
	s_mov_b32 s4, exec_lo
	s_waitcnt vmcnt(28) lgkmcnt(1)
	v_fma_f64 v[125:126], v[133:134], v[125:126], 0
	s_clause 0x7
	buffer_load_dword v134, off, s[0:3], 0 offset:356
	buffer_load_dword v163, off, s[0:3], 0 offset:376
	buffer_load_dword v165, off, s[0:3], 0 offset:368
	buffer_load_dword v167, off, s[0:3], 0 offset:360
	buffer_load_dword v133, off, s[0:3], 0 offset:352
	buffer_load_dword v168, off, s[0:3], 0 offset:364
	buffer_load_dword v166, off, s[0:3], 0 offset:372
	buffer_load_dword v164, off, s[0:3], 0 offset:380
	s_waitcnt vmcnt(34)
	v_fma_f64 v[125:126], v[135:136], v[127:128], v[125:126]
	s_waitcnt vmcnt(32) lgkmcnt(0)
	v_fma_f64 v[125:126], v[137:138], v[129:130], v[125:126]
	s_waitcnt vmcnt(30)
	v_fma_f64 v[135:136], v[139:140], v[131:132], v[125:126]
	ds_read2_b64 v[125:128], v124 offset0:95 offset1:96
	ds_read2_b64 v[129:132], v124 offset0:97 offset1:98
	s_waitcnt vmcnt(28) lgkmcnt(1)
	v_fma_f64 v[125:126], v[141:142], v[125:126], v[135:136]
	s_clause 0x7
	buffer_load_dword v136, off, s[0:3], 0 offset:388
	buffer_load_dword v137, off, s[0:3], 0 offset:408
	buffer_load_dword v139, off, s[0:3], 0 offset:400
	buffer_load_dword v141, off, s[0:3], 0 offset:392
	buffer_load_dword v135, off, s[0:3], 0 offset:384
	buffer_load_dword v142, off, s[0:3], 0 offset:396
	buffer_load_dword v140, off, s[0:3], 0 offset:404
	buffer_load_dword v138, off, s[0:3], 0 offset:412
	s_waitcnt vmcnt(34)
	v_fma_f64 v[125:126], v[143:144], v[127:128], v[125:126]
	s_waitcnt vmcnt(32) lgkmcnt(0)
	v_fma_f64 v[125:126], v[145:146], v[129:130], v[125:126]
	s_waitcnt vmcnt(27)
	v_fma_f64 v[143:144], v[147:148], v[131:132], v[125:126]
	ds_read2_b64 v[125:128], v124 offset0:99 offset1:100
	ds_read2_b64 v[129:132], v124 offset0:101 offset1:102
	;; [unrolled: 19-line block ×4, first 2 shown]
	s_waitcnt vmcnt(26) lgkmcnt(1)
	v_fma_f64 v[125:126], v[167:168], v[125:126], v[133:134]
	s_clause 0x3
	buffer_load_dword v134, off, s[0:3], 0 offset:484
	buffer_load_dword v133, off, s[0:3], 0 offset:480
	;; [unrolled: 1-line block ×4, first 2 shown]
	s_waitcnt vmcnt(29)
	v_fma_f64 v[125:126], v[165:166], v[127:128], v[125:126]
	s_waitcnt vmcnt(28) lgkmcnt(0)
	v_fma_f64 v[125:126], v[163:164], v[129:130], v[125:126]
	s_waitcnt vmcnt(23)
	v_fma_f64 v[135:136], v[135:136], v[131:132], v[125:126]
	ds_read2_b64 v[125:128], v124 offset0:111 offset1:112
	ds_read2_b64 v[129:132], v124 offset0:113 offset1:114
	s_waitcnt vmcnt(22) lgkmcnt(1)
	v_fma_f64 v[125:126], v[141:142], v[125:126], v[135:136]
	s_waitcnt vmcnt(21)
	v_fma_f64 v[125:126], v[139:140], v[127:128], v[125:126]
	s_waitcnt vmcnt(20) lgkmcnt(0)
	v_fma_f64 v[125:126], v[137:138], v[129:130], v[125:126]
	s_waitcnt vmcnt(15)
	v_fma_f64 v[135:136], v[143:144], v[131:132], v[125:126]
	ds_read2_b64 v[125:128], v124 offset0:115 offset1:116
	ds_read2_b64 v[129:132], v124 offset0:117 offset1:118
	s_waitcnt vmcnt(14) lgkmcnt(1)
	v_fma_f64 v[125:126], v[153:154], v[125:126], v[135:136]
	;; [unrolled: 10-line block ×3, first 2 shown]
	s_waitcnt vmcnt(5)
	v_fma_f64 v[124:125], v[155:156], v[127:128], v[124:125]
	s_waitcnt vmcnt(4) lgkmcnt(0)
	v_fma_f64 v[124:125], v[151:152], v[129:130], v[124:125]
	s_waitcnt vmcnt(2)
	v_fma_f64 v[124:125], v[133:134], v[131:132], v[124:125]
	s_waitcnt vmcnt(0)
	v_add_f64 v[124:125], v[157:158], -v[124:125]
	buffer_store_dword v125, off, s[0:3], 0 offset:228
	buffer_store_dword v124, off, s[0:3], 0 offset:224
	v_cmpx_lt_u32_e32 27, v0
	s_cbranch_execz .LBB60_321
; %bb.320:
	s_clause 0x1
	buffer_load_dword v124, off, s[0:3], 0 offset:216
	buffer_load_dword v125, off, s[0:3], 0 offset:220
	v_mov_b32_e32 v126, 0
	buffer_store_dword v126, off, s[0:3], 0 offset:216
	buffer_store_dword v126, off, s[0:3], 0 offset:220
	s_waitcnt vmcnt(0)
	ds_write_b64 v123, v[124:125]
.LBB60_321:
	s_or_b32 exec_lo, exec_lo, s4
	s_waitcnt lgkmcnt(0)
	s_waitcnt_vscnt null, 0x0
	s_barrier
	buffer_gl0_inv
	s_clause 0x1c
	buffer_load_dword v133, off, s[0:3], 0 offset:224
	buffer_load_dword v134, off, s[0:3], 0 offset:228
	;; [unrolled: 1-line block ×29, first 2 shown]
	v_mov_b32_e32 v124, 0
	buffer_load_dword v158, off, s[0:3], 0 offset:340
	s_mov_b32 s4, exec_lo
	ds_read_b128 v[125:128], v124 offset:720
	ds_read_b128 v[129:132], v124 offset:736
	s_waitcnt vmcnt(28) lgkmcnt(1)
	v_fma_f64 v[125:126], v[133:134], v[125:126], 0
	s_clause 0x7
	buffer_load_dword v134, off, s[0:3], 0 offset:348
	buffer_load_dword v163, off, s[0:3], 0 offset:368
	buffer_load_dword v165, off, s[0:3], 0 offset:360
	buffer_load_dword v167, off, s[0:3], 0 offset:352
	buffer_load_dword v133, off, s[0:3], 0 offset:344
	buffer_load_dword v168, off, s[0:3], 0 offset:356
	buffer_load_dword v166, off, s[0:3], 0 offset:364
	buffer_load_dword v164, off, s[0:3], 0 offset:372
	s_waitcnt vmcnt(34)
	v_fma_f64 v[125:126], v[135:136], v[127:128], v[125:126]
	s_waitcnt vmcnt(32) lgkmcnt(0)
	v_fma_f64 v[125:126], v[137:138], v[129:130], v[125:126]
	s_waitcnt vmcnt(30)
	v_fma_f64 v[135:136], v[139:140], v[131:132], v[125:126]
	ds_read_b128 v[125:128], v124 offset:752
	ds_read_b128 v[129:132], v124 offset:768
	s_waitcnt vmcnt(28) lgkmcnt(1)
	v_fma_f64 v[125:126], v[141:142], v[125:126], v[135:136]
	s_clause 0x7
	buffer_load_dword v136, off, s[0:3], 0 offset:380
	buffer_load_dword v137, off, s[0:3], 0 offset:400
	buffer_load_dword v139, off, s[0:3], 0 offset:392
	buffer_load_dword v141, off, s[0:3], 0 offset:384
	buffer_load_dword v135, off, s[0:3], 0 offset:376
	buffer_load_dword v142, off, s[0:3], 0 offset:388
	buffer_load_dword v140, off, s[0:3], 0 offset:396
	buffer_load_dword v138, off, s[0:3], 0 offset:404
	s_waitcnt vmcnt(34)
	v_fma_f64 v[125:126], v[143:144], v[127:128], v[125:126]
	s_waitcnt vmcnt(32) lgkmcnt(0)
	v_fma_f64 v[125:126], v[145:146], v[129:130], v[125:126]
	s_waitcnt vmcnt(27)
	v_fma_f64 v[143:144], v[147:148], v[131:132], v[125:126]
	;; [unrolled: 19-line block ×4, first 2 shown]
	ds_read_b128 v[125:128], v124 offset:848
	ds_read_b128 v[129:132], v124 offset:864
	s_waitcnt vmcnt(26) lgkmcnt(1)
	v_fma_f64 v[125:126], v[167:168], v[125:126], v[133:134]
	s_clause 0x5
	buffer_load_dword v134, off, s[0:3], 0 offset:476
	buffer_load_dword v157, off, s[0:3], 0 offset:480
	;; [unrolled: 1-line block ×6, first 2 shown]
	s_waitcnt vmcnt(31)
	v_fma_f64 v[125:126], v[165:166], v[127:128], v[125:126]
	s_waitcnt vmcnt(30) lgkmcnt(0)
	v_fma_f64 v[125:126], v[163:164], v[129:130], v[125:126]
	s_waitcnt vmcnt(25)
	v_fma_f64 v[135:136], v[135:136], v[131:132], v[125:126]
	ds_read_b128 v[125:128], v124 offset:880
	ds_read_b128 v[129:132], v124 offset:896
	s_waitcnt vmcnt(24) lgkmcnt(1)
	v_fma_f64 v[125:126], v[141:142], v[125:126], v[135:136]
	s_waitcnt vmcnt(23)
	v_fma_f64 v[125:126], v[139:140], v[127:128], v[125:126]
	s_waitcnt vmcnt(22) lgkmcnt(0)
	v_fma_f64 v[125:126], v[137:138], v[129:130], v[125:126]
	s_waitcnt vmcnt(17)
	v_fma_f64 v[135:136], v[143:144], v[131:132], v[125:126]
	ds_read_b128 v[125:128], v124 offset:912
	ds_read_b128 v[129:132], v124 offset:928
	s_waitcnt vmcnt(16) lgkmcnt(1)
	v_fma_f64 v[125:126], v[153:154], v[125:126], v[135:136]
	;; [unrolled: 10-line block ×3, first 2 shown]
	s_waitcnt vmcnt(7)
	v_fma_f64 v[125:126], v[155:156], v[127:128], v[125:126]
	ds_read_b64 v[127:128], v124 offset:976
	s_waitcnt vmcnt(6) lgkmcnt(1)
	v_fma_f64 v[125:126], v[151:152], v[129:130], v[125:126]
	s_waitcnt vmcnt(3)
	v_fma_f64 v[125:126], v[133:134], v[131:132], v[125:126]
	s_waitcnt vmcnt(2) lgkmcnt(0)
	v_fma_f64 v[125:126], v[157:158], v[127:128], v[125:126]
	s_waitcnt vmcnt(0)
	v_add_f64 v[125:126], v[159:160], -v[125:126]
	buffer_store_dword v126, off, s[0:3], 0 offset:220
	buffer_store_dword v125, off, s[0:3], 0 offset:216
	v_cmpx_lt_u32_e32 26, v0
	s_cbranch_execz .LBB60_323
; %bb.322:
	s_clause 0x1
	buffer_load_dword v125, off, s[0:3], 0 offset:208
	buffer_load_dword v126, off, s[0:3], 0 offset:212
	buffer_store_dword v124, off, s[0:3], 0 offset:208
	buffer_store_dword v124, off, s[0:3], 0 offset:212
	s_waitcnt vmcnt(0)
	ds_write_b64 v123, v[125:126]
.LBB60_323:
	s_or_b32 exec_lo, exec_lo, s4
	s_waitcnt lgkmcnt(0)
	s_waitcnt_vscnt null, 0x0
	s_barrier
	buffer_gl0_inv
	s_clause 0x1c
	buffer_load_dword v133, off, s[0:3], 0 offset:216
	buffer_load_dword v134, off, s[0:3], 0 offset:220
	;; [unrolled: 1-line block ×29, first 2 shown]
	ds_read2_b64 v[125:128], v124 offset0:89 offset1:90
	ds_read2_b64 v[129:132], v124 offset0:91 offset1:92
	buffer_load_dword v158, off, s[0:3], 0 offset:332
	s_mov_b32 s4, exec_lo
	s_waitcnt vmcnt(28) lgkmcnt(1)
	v_fma_f64 v[125:126], v[133:134], v[125:126], 0
	s_clause 0x7
	buffer_load_dword v134, off, s[0:3], 0 offset:340
	buffer_load_dword v163, off, s[0:3], 0 offset:360
	buffer_load_dword v165, off, s[0:3], 0 offset:352
	buffer_load_dword v167, off, s[0:3], 0 offset:344
	buffer_load_dword v133, off, s[0:3], 0 offset:336
	buffer_load_dword v168, off, s[0:3], 0 offset:348
	buffer_load_dword v166, off, s[0:3], 0 offset:356
	buffer_load_dword v164, off, s[0:3], 0 offset:364
	s_waitcnt vmcnt(34)
	v_fma_f64 v[125:126], v[135:136], v[127:128], v[125:126]
	s_waitcnt vmcnt(32) lgkmcnt(0)
	v_fma_f64 v[125:126], v[137:138], v[129:130], v[125:126]
	s_waitcnt vmcnt(30)
	v_fma_f64 v[135:136], v[139:140], v[131:132], v[125:126]
	ds_read2_b64 v[125:128], v124 offset0:93 offset1:94
	ds_read2_b64 v[129:132], v124 offset0:95 offset1:96
	s_waitcnt vmcnt(28) lgkmcnt(1)
	v_fma_f64 v[125:126], v[141:142], v[125:126], v[135:136]
	s_clause 0x7
	buffer_load_dword v136, off, s[0:3], 0 offset:372
	buffer_load_dword v137, off, s[0:3], 0 offset:392
	buffer_load_dword v139, off, s[0:3], 0 offset:384
	buffer_load_dword v141, off, s[0:3], 0 offset:376
	buffer_load_dword v135, off, s[0:3], 0 offset:368
	buffer_load_dword v142, off, s[0:3], 0 offset:380
	buffer_load_dword v140, off, s[0:3], 0 offset:388
	buffer_load_dword v138, off, s[0:3], 0 offset:396
	s_waitcnt vmcnt(34)
	v_fma_f64 v[125:126], v[143:144], v[127:128], v[125:126]
	s_waitcnt vmcnt(32) lgkmcnt(0)
	v_fma_f64 v[125:126], v[145:146], v[129:130], v[125:126]
	s_waitcnt vmcnt(27)
	v_fma_f64 v[143:144], v[147:148], v[131:132], v[125:126]
	ds_read2_b64 v[125:128], v124 offset0:97 offset1:98
	ds_read2_b64 v[129:132], v124 offset0:99 offset1:100
	;; [unrolled: 19-line block ×4, first 2 shown]
	s_waitcnt vmcnt(26) lgkmcnt(1)
	v_fma_f64 v[125:126], v[167:168], v[125:126], v[133:134]
	s_clause 0x5
	buffer_load_dword v134, off, s[0:3], 0 offset:468
	buffer_load_dword v157, off, s[0:3], 0 offset:480
	;; [unrolled: 1-line block ×6, first 2 shown]
	s_waitcnt vmcnt(31)
	v_fma_f64 v[125:126], v[165:166], v[127:128], v[125:126]
	s_waitcnt vmcnt(30) lgkmcnt(0)
	v_fma_f64 v[125:126], v[163:164], v[129:130], v[125:126]
	s_waitcnt vmcnt(25)
	v_fma_f64 v[135:136], v[135:136], v[131:132], v[125:126]
	ds_read2_b64 v[125:128], v124 offset0:109 offset1:110
	s_clause 0x1
	buffer_load_dword v163, off, s[0:3], 0 offset:208
	buffer_load_dword v164, off, s[0:3], 0 offset:212
	ds_read2_b64 v[129:132], v124 offset0:111 offset1:112
	s_waitcnt vmcnt(26) lgkmcnt(1)
	v_fma_f64 v[125:126], v[141:142], v[125:126], v[135:136]
	s_waitcnt vmcnt(25)
	v_fma_f64 v[125:126], v[139:140], v[127:128], v[125:126]
	s_waitcnt vmcnt(24) lgkmcnt(0)
	v_fma_f64 v[125:126], v[137:138], v[129:130], v[125:126]
	s_waitcnt vmcnt(19)
	v_fma_f64 v[135:136], v[143:144], v[131:132], v[125:126]
	ds_read2_b64 v[125:128], v124 offset0:113 offset1:114
	ds_read2_b64 v[129:132], v124 offset0:115 offset1:116
	s_waitcnt vmcnt(18) lgkmcnt(1)
	v_fma_f64 v[125:126], v[153:154], v[125:126], v[135:136]
	s_waitcnt vmcnt(17)
	v_fma_f64 v[125:126], v[147:148], v[127:128], v[125:126]
	s_waitcnt vmcnt(16) lgkmcnt(0)
	v_fma_f64 v[125:126], v[145:146], v[129:130], v[125:126]
	s_waitcnt vmcnt(11)
	v_fma_f64 v[135:136], v[149:150], v[131:132], v[125:126]
	ds_read2_b64 v[125:128], v124 offset0:117 offset1:118
	;; [unrolled: 10-line block ×3, first 2 shown]
	s_waitcnt vmcnt(3) lgkmcnt(0)
	v_fma_f64 v[124:125], v[159:160], v[124:125], v[128:129]
	s_waitcnt vmcnt(2)
	v_fma_f64 v[124:125], v[157:158], v[126:127], v[124:125]
	s_waitcnt vmcnt(0)
	v_add_f64 v[124:125], v[163:164], -v[124:125]
	buffer_store_dword v125, off, s[0:3], 0 offset:212
	buffer_store_dword v124, off, s[0:3], 0 offset:208
	v_cmpx_lt_u32_e32 25, v0
	s_cbranch_execz .LBB60_325
; %bb.324:
	s_clause 0x1
	buffer_load_dword v124, off, s[0:3], 0 offset:200
	buffer_load_dword v125, off, s[0:3], 0 offset:204
	v_mov_b32_e32 v126, 0
	buffer_store_dword v126, off, s[0:3], 0 offset:200
	buffer_store_dword v126, off, s[0:3], 0 offset:204
	s_waitcnt vmcnt(0)
	ds_write_b64 v123, v[124:125]
.LBB60_325:
	s_or_b32 exec_lo, exec_lo, s4
	s_waitcnt lgkmcnt(0)
	s_waitcnt_vscnt null, 0x0
	s_barrier
	buffer_gl0_inv
	s_clause 0x1c
	buffer_load_dword v133, off, s[0:3], 0 offset:208
	buffer_load_dword v134, off, s[0:3], 0 offset:212
	;; [unrolled: 1-line block ×29, first 2 shown]
	v_mov_b32_e32 v124, 0
	buffer_load_dword v158, off, s[0:3], 0 offset:324
	s_mov_b32 s4, exec_lo
	ds_read_b128 v[125:128], v124 offset:704
	ds_read_b128 v[129:132], v124 offset:720
	s_waitcnt vmcnt(28) lgkmcnt(1)
	v_fma_f64 v[125:126], v[133:134], v[125:126], 0
	s_clause 0x7
	buffer_load_dword v134, off, s[0:3], 0 offset:332
	buffer_load_dword v163, off, s[0:3], 0 offset:352
	buffer_load_dword v165, off, s[0:3], 0 offset:344
	buffer_load_dword v167, off, s[0:3], 0 offset:336
	buffer_load_dword v133, off, s[0:3], 0 offset:328
	buffer_load_dword v168, off, s[0:3], 0 offset:340
	buffer_load_dword v166, off, s[0:3], 0 offset:348
	buffer_load_dword v164, off, s[0:3], 0 offset:356
	s_waitcnt vmcnt(34)
	v_fma_f64 v[125:126], v[135:136], v[127:128], v[125:126]
	s_waitcnt vmcnt(32) lgkmcnt(0)
	v_fma_f64 v[125:126], v[137:138], v[129:130], v[125:126]
	s_waitcnt vmcnt(30)
	v_fma_f64 v[135:136], v[139:140], v[131:132], v[125:126]
	ds_read_b128 v[125:128], v124 offset:736
	ds_read_b128 v[129:132], v124 offset:752
	s_waitcnt vmcnt(28) lgkmcnt(1)
	v_fma_f64 v[125:126], v[141:142], v[125:126], v[135:136]
	s_clause 0x7
	buffer_load_dword v136, off, s[0:3], 0 offset:364
	buffer_load_dword v137, off, s[0:3], 0 offset:384
	buffer_load_dword v139, off, s[0:3], 0 offset:376
	buffer_load_dword v141, off, s[0:3], 0 offset:368
	buffer_load_dword v135, off, s[0:3], 0 offset:360
	buffer_load_dword v142, off, s[0:3], 0 offset:372
	buffer_load_dword v140, off, s[0:3], 0 offset:380
	buffer_load_dword v138, off, s[0:3], 0 offset:388
	s_waitcnt vmcnt(34)
	v_fma_f64 v[125:126], v[143:144], v[127:128], v[125:126]
	s_waitcnt vmcnt(32) lgkmcnt(0)
	v_fma_f64 v[125:126], v[145:146], v[129:130], v[125:126]
	s_waitcnt vmcnt(27)
	v_fma_f64 v[143:144], v[147:148], v[131:132], v[125:126]
	;; [unrolled: 19-line block ×5, first 2 shown]
	ds_read_b128 v[125:128], v124 offset:864
	ds_read_b128 v[129:132], v124 offset:880
	s_waitcnt vmcnt(26) lgkmcnt(1)
	v_fma_f64 v[125:126], v[141:142], v[125:126], v[135:136]
	s_clause 0x1
	buffer_load_dword v135, off, s[0:3], 0 offset:200
	buffer_load_dword v136, off, s[0:3], 0 offset:204
	s_waitcnt vmcnt(27)
	v_fma_f64 v[125:126], v[139:140], v[127:128], v[125:126]
	s_waitcnt vmcnt(26) lgkmcnt(0)
	v_fma_f64 v[125:126], v[137:138], v[129:130], v[125:126]
	s_waitcnt vmcnt(21)
	v_fma_f64 v[137:138], v[143:144], v[131:132], v[125:126]
	ds_read_b128 v[125:128], v124 offset:896
	ds_read_b128 v[129:132], v124 offset:912
	s_waitcnt vmcnt(20) lgkmcnt(1)
	v_fma_f64 v[125:126], v[153:154], v[125:126], v[137:138]
	s_waitcnt vmcnt(19)
	v_fma_f64 v[125:126], v[147:148], v[127:128], v[125:126]
	s_waitcnt vmcnt(18) lgkmcnt(0)
	v_fma_f64 v[125:126], v[145:146], v[129:130], v[125:126]
	s_waitcnt vmcnt(13)
	v_fma_f64 v[137:138], v[149:150], v[131:132], v[125:126]
	ds_read_b128 v[125:128], v124 offset:928
	ds_read_b128 v[129:132], v124 offset:944
	s_waitcnt vmcnt(12) lgkmcnt(1)
	v_fma_f64 v[125:126], v[161:162], v[125:126], v[137:138]
	s_waitcnt vmcnt(11)
	v_fma_f64 v[125:126], v[155:156], v[127:128], v[125:126]
	s_waitcnt vmcnt(10) lgkmcnt(0)
	v_fma_f64 v[125:126], v[151:152], v[129:130], v[125:126]
	s_waitcnt vmcnt(5)
	v_fma_f64 v[129:130], v[133:134], v[131:132], v[125:126]
	ds_read_b128 v[125:128], v124 offset:960
	ds_read_b64 v[131:132], v124 offset:976
	s_waitcnt vmcnt(4) lgkmcnt(1)
	v_fma_f64 v[125:126], v[167:168], v[125:126], v[129:130]
	s_waitcnt vmcnt(3)
	v_fma_f64 v[125:126], v[159:160], v[127:128], v[125:126]
	s_waitcnt vmcnt(2) lgkmcnt(0)
	v_fma_f64 v[125:126], v[157:158], v[131:132], v[125:126]
	s_waitcnt vmcnt(0)
	v_add_f64 v[125:126], v[135:136], -v[125:126]
	buffer_store_dword v126, off, s[0:3], 0 offset:204
	buffer_store_dword v125, off, s[0:3], 0 offset:200
	v_cmpx_lt_u32_e32 24, v0
	s_cbranch_execz .LBB60_327
; %bb.326:
	s_clause 0x1
	buffer_load_dword v125, off, s[0:3], 0 offset:192
	buffer_load_dword v126, off, s[0:3], 0 offset:196
	buffer_store_dword v124, off, s[0:3], 0 offset:192
	buffer_store_dword v124, off, s[0:3], 0 offset:196
	s_waitcnt vmcnt(0)
	ds_write_b64 v123, v[125:126]
.LBB60_327:
	s_or_b32 exec_lo, exec_lo, s4
	s_waitcnt lgkmcnt(0)
	s_waitcnt_vscnt null, 0x0
	s_barrier
	buffer_gl0_inv
	s_clause 0x1c
	buffer_load_dword v133, off, s[0:3], 0 offset:200
	buffer_load_dword v134, off, s[0:3], 0 offset:204
	;; [unrolled: 1-line block ×29, first 2 shown]
	ds_read2_b64 v[125:128], v124 offset0:87 offset1:88
	ds_read2_b64 v[129:132], v124 offset0:89 offset1:90
	buffer_load_dword v158, off, s[0:3], 0 offset:316
	s_mov_b32 s4, exec_lo
	s_waitcnt vmcnt(28) lgkmcnt(1)
	v_fma_f64 v[125:126], v[133:134], v[125:126], 0
	s_clause 0x7
	buffer_load_dword v134, off, s[0:3], 0 offset:324
	buffer_load_dword v163, off, s[0:3], 0 offset:344
	buffer_load_dword v165, off, s[0:3], 0 offset:336
	buffer_load_dword v167, off, s[0:3], 0 offset:328
	buffer_load_dword v133, off, s[0:3], 0 offset:320
	buffer_load_dword v168, off, s[0:3], 0 offset:332
	buffer_load_dword v166, off, s[0:3], 0 offset:340
	buffer_load_dword v164, off, s[0:3], 0 offset:348
	s_waitcnt vmcnt(34)
	v_fma_f64 v[125:126], v[135:136], v[127:128], v[125:126]
	s_waitcnt vmcnt(32) lgkmcnt(0)
	v_fma_f64 v[125:126], v[137:138], v[129:130], v[125:126]
	s_waitcnt vmcnt(30)
	v_fma_f64 v[135:136], v[139:140], v[131:132], v[125:126]
	ds_read2_b64 v[125:128], v124 offset0:91 offset1:92
	ds_read2_b64 v[129:132], v124 offset0:93 offset1:94
	s_waitcnt vmcnt(28) lgkmcnt(1)
	v_fma_f64 v[125:126], v[141:142], v[125:126], v[135:136]
	s_clause 0x7
	buffer_load_dword v136, off, s[0:3], 0 offset:356
	buffer_load_dword v137, off, s[0:3], 0 offset:376
	buffer_load_dword v139, off, s[0:3], 0 offset:368
	buffer_load_dword v141, off, s[0:3], 0 offset:360
	buffer_load_dword v135, off, s[0:3], 0 offset:352
	buffer_load_dword v142, off, s[0:3], 0 offset:364
	buffer_load_dword v140, off, s[0:3], 0 offset:372
	buffer_load_dword v138, off, s[0:3], 0 offset:380
	s_waitcnt vmcnt(34)
	v_fma_f64 v[125:126], v[143:144], v[127:128], v[125:126]
	s_waitcnt vmcnt(32) lgkmcnt(0)
	v_fma_f64 v[125:126], v[145:146], v[129:130], v[125:126]
	s_waitcnt vmcnt(27)
	v_fma_f64 v[143:144], v[147:148], v[131:132], v[125:126]
	ds_read2_b64 v[125:128], v124 offset0:95 offset1:96
	ds_read2_b64 v[129:132], v124 offset0:97 offset1:98
	;; [unrolled: 19-line block ×5, first 2 shown]
	s_waitcnt vmcnt(26) lgkmcnt(1)
	v_fma_f64 v[125:126], v[141:142], v[125:126], v[135:136]
	s_clause 0x1
	buffer_load_dword v136, off, s[0:3], 0 offset:484
	buffer_load_dword v135, off, s[0:3], 0 offset:480
	s_waitcnt vmcnt(27)
	v_fma_f64 v[125:126], v[139:140], v[127:128], v[125:126]
	s_clause 0x1
	buffer_load_dword v139, off, s[0:3], 0 offset:192
	buffer_load_dword v140, off, s[0:3], 0 offset:196
	s_waitcnt vmcnt(28) lgkmcnt(0)
	v_fma_f64 v[125:126], v[137:138], v[129:130], v[125:126]
	s_waitcnt vmcnt(23)
	v_fma_f64 v[137:138], v[143:144], v[131:132], v[125:126]
	ds_read2_b64 v[125:128], v124 offset0:111 offset1:112
	ds_read2_b64 v[129:132], v124 offset0:113 offset1:114
	s_waitcnt vmcnt(22) lgkmcnt(1)
	v_fma_f64 v[125:126], v[153:154], v[125:126], v[137:138]
	s_waitcnt vmcnt(21)
	v_fma_f64 v[125:126], v[147:148], v[127:128], v[125:126]
	s_waitcnt vmcnt(20) lgkmcnt(0)
	v_fma_f64 v[125:126], v[145:146], v[129:130], v[125:126]
	s_waitcnt vmcnt(15)
	v_fma_f64 v[137:138], v[149:150], v[131:132], v[125:126]
	ds_read2_b64 v[125:128], v124 offset0:115 offset1:116
	ds_read2_b64 v[129:132], v124 offset0:117 offset1:118
	s_waitcnt vmcnt(14) lgkmcnt(1)
	v_fma_f64 v[125:126], v[161:162], v[125:126], v[137:138]
	s_waitcnt vmcnt(13)
	v_fma_f64 v[125:126], v[155:156], v[127:128], v[125:126]
	;; [unrolled: 10-line block ×3, first 2 shown]
	s_waitcnt vmcnt(4) lgkmcnt(0)
	v_fma_f64 v[124:125], v[157:158], v[129:130], v[124:125]
	s_waitcnt vmcnt(2)
	v_fma_f64 v[124:125], v[135:136], v[131:132], v[124:125]
	s_waitcnt vmcnt(0)
	v_add_f64 v[124:125], v[139:140], -v[124:125]
	buffer_store_dword v125, off, s[0:3], 0 offset:196
	buffer_store_dword v124, off, s[0:3], 0 offset:192
	v_cmpx_lt_u32_e32 23, v0
	s_cbranch_execz .LBB60_329
; %bb.328:
	s_clause 0x1
	buffer_load_dword v124, off, s[0:3], 0 offset:184
	buffer_load_dword v125, off, s[0:3], 0 offset:188
	v_mov_b32_e32 v126, 0
	buffer_store_dword v126, off, s[0:3], 0 offset:184
	buffer_store_dword v126, off, s[0:3], 0 offset:188
	s_waitcnt vmcnt(0)
	ds_write_b64 v123, v[124:125]
.LBB60_329:
	s_or_b32 exec_lo, exec_lo, s4
	s_waitcnt lgkmcnt(0)
	s_waitcnt_vscnt null, 0x0
	s_barrier
	buffer_gl0_inv
	s_clause 0x1c
	buffer_load_dword v133, off, s[0:3], 0 offset:192
	buffer_load_dword v134, off, s[0:3], 0 offset:196
	;; [unrolled: 1-line block ×29, first 2 shown]
	v_mov_b32_e32 v124, 0
	buffer_load_dword v158, off, s[0:3], 0 offset:308
	s_mov_b32 s4, exec_lo
	ds_read_b128 v[125:128], v124 offset:688
	ds_read_b128 v[129:132], v124 offset:704
	s_waitcnt vmcnt(28) lgkmcnt(1)
	v_fma_f64 v[125:126], v[133:134], v[125:126], 0
	s_clause 0x7
	buffer_load_dword v134, off, s[0:3], 0 offset:316
	buffer_load_dword v163, off, s[0:3], 0 offset:336
	buffer_load_dword v165, off, s[0:3], 0 offset:328
	buffer_load_dword v167, off, s[0:3], 0 offset:320
	buffer_load_dword v133, off, s[0:3], 0 offset:312
	buffer_load_dword v168, off, s[0:3], 0 offset:324
	buffer_load_dword v166, off, s[0:3], 0 offset:332
	buffer_load_dword v164, off, s[0:3], 0 offset:340
	s_waitcnt vmcnt(34)
	v_fma_f64 v[125:126], v[135:136], v[127:128], v[125:126]
	s_waitcnt vmcnt(32) lgkmcnt(0)
	v_fma_f64 v[125:126], v[137:138], v[129:130], v[125:126]
	s_waitcnt vmcnt(30)
	v_fma_f64 v[135:136], v[139:140], v[131:132], v[125:126]
	ds_read_b128 v[125:128], v124 offset:720
	ds_read_b128 v[129:132], v124 offset:736
	s_waitcnt vmcnt(28) lgkmcnt(1)
	v_fma_f64 v[125:126], v[141:142], v[125:126], v[135:136]
	s_clause 0x7
	buffer_load_dword v136, off, s[0:3], 0 offset:348
	buffer_load_dword v137, off, s[0:3], 0 offset:368
	buffer_load_dword v139, off, s[0:3], 0 offset:360
	buffer_load_dword v141, off, s[0:3], 0 offset:352
	buffer_load_dword v135, off, s[0:3], 0 offset:344
	buffer_load_dword v142, off, s[0:3], 0 offset:356
	buffer_load_dword v140, off, s[0:3], 0 offset:364
	buffer_load_dword v138, off, s[0:3], 0 offset:372
	s_waitcnt vmcnt(34)
	v_fma_f64 v[125:126], v[143:144], v[127:128], v[125:126]
	s_waitcnt vmcnt(32) lgkmcnt(0)
	v_fma_f64 v[125:126], v[145:146], v[129:130], v[125:126]
	s_waitcnt vmcnt(27)
	v_fma_f64 v[143:144], v[147:148], v[131:132], v[125:126]
	;; [unrolled: 19-line block ×5, first 2 shown]
	ds_read_b128 v[125:128], v124 offset:848
	ds_read_b128 v[129:132], v124 offset:864
	s_waitcnt vmcnt(26) lgkmcnt(1)
	v_fma_f64 v[125:126], v[141:142], v[125:126], v[135:136]
	s_clause 0x3
	buffer_load_dword v136, off, s[0:3], 0 offset:476
	buffer_load_dword v141, off, s[0:3], 0 offset:480
	;; [unrolled: 1-line block ×4, first 2 shown]
	s_waitcnt vmcnt(29)
	v_fma_f64 v[125:126], v[139:140], v[127:128], v[125:126]
	s_waitcnt vmcnt(28) lgkmcnt(0)
	v_fma_f64 v[125:126], v[137:138], v[129:130], v[125:126]
	s_clause 0x1
	buffer_load_dword v137, off, s[0:3], 0 offset:184
	buffer_load_dword v138, off, s[0:3], 0 offset:188
	s_waitcnt vmcnt(25)
	v_fma_f64 v[139:140], v[143:144], v[131:132], v[125:126]
	ds_read_b128 v[125:128], v124 offset:880
	ds_read_b128 v[129:132], v124 offset:896
	s_waitcnt vmcnt(24) lgkmcnt(1)
	v_fma_f64 v[125:126], v[153:154], v[125:126], v[139:140]
	s_waitcnt vmcnt(23)
	v_fma_f64 v[125:126], v[147:148], v[127:128], v[125:126]
	s_waitcnt vmcnt(22) lgkmcnt(0)
	v_fma_f64 v[125:126], v[145:146], v[129:130], v[125:126]
	s_waitcnt vmcnt(17)
	v_fma_f64 v[139:140], v[149:150], v[131:132], v[125:126]
	ds_read_b128 v[125:128], v124 offset:912
	ds_read_b128 v[129:132], v124 offset:928
	s_waitcnt vmcnt(16) lgkmcnt(1)
	v_fma_f64 v[125:126], v[161:162], v[125:126], v[139:140]
	s_waitcnt vmcnt(15)
	v_fma_f64 v[125:126], v[155:156], v[127:128], v[125:126]
	s_waitcnt vmcnt(14) lgkmcnt(0)
	v_fma_f64 v[125:126], v[151:152], v[129:130], v[125:126]
	s_waitcnt vmcnt(9)
	v_fma_f64 v[133:134], v[133:134], v[131:132], v[125:126]
	ds_read_b128 v[125:128], v124 offset:944
	ds_read_b128 v[129:132], v124 offset:960
	s_waitcnt vmcnt(8) lgkmcnt(1)
	v_fma_f64 v[125:126], v[167:168], v[125:126], v[133:134]
	s_waitcnt vmcnt(7)
	v_fma_f64 v[125:126], v[159:160], v[127:128], v[125:126]
	ds_read_b64 v[127:128], v124 offset:976
	s_waitcnt vmcnt(6) lgkmcnt(1)
	v_fma_f64 v[125:126], v[157:158], v[129:130], v[125:126]
	s_waitcnt vmcnt(3)
	v_fma_f64 v[125:126], v[135:136], v[131:132], v[125:126]
	s_waitcnt vmcnt(2) lgkmcnt(0)
	v_fma_f64 v[125:126], v[141:142], v[127:128], v[125:126]
	s_waitcnt vmcnt(0)
	v_add_f64 v[125:126], v[137:138], -v[125:126]
	buffer_store_dword v126, off, s[0:3], 0 offset:188
	buffer_store_dword v125, off, s[0:3], 0 offset:184
	v_cmpx_lt_u32_e32 22, v0
	s_cbranch_execz .LBB60_331
; %bb.330:
	s_clause 0x1
	buffer_load_dword v125, off, s[0:3], 0 offset:176
	buffer_load_dword v126, off, s[0:3], 0 offset:180
	buffer_store_dword v124, off, s[0:3], 0 offset:176
	buffer_store_dword v124, off, s[0:3], 0 offset:180
	s_waitcnt vmcnt(0)
	ds_write_b64 v123, v[125:126]
.LBB60_331:
	s_or_b32 exec_lo, exec_lo, s4
	s_waitcnt lgkmcnt(0)
	s_waitcnt_vscnt null, 0x0
	s_barrier
	buffer_gl0_inv
	s_clause 0x1c
	buffer_load_dword v133, off, s[0:3], 0 offset:184
	buffer_load_dword v134, off, s[0:3], 0 offset:188
	buffer_load_dword v135, off, s[0:3], 0 offset:192
	buffer_load_dword v136, off, s[0:3], 0 offset:196
	buffer_load_dword v137, off, s[0:3], 0 offset:200
	buffer_load_dword v138, off, s[0:3], 0 offset:204
	buffer_load_dword v139, off, s[0:3], 0 offset:208
	buffer_load_dword v140, off, s[0:3], 0 offset:212
	buffer_load_dword v141, off, s[0:3], 0 offset:216
	buffer_load_dword v142, off, s[0:3], 0 offset:220
	buffer_load_dword v143, off, s[0:3], 0 offset:224
	buffer_load_dword v144, off, s[0:3], 0 offset:228
	buffer_load_dword v145, off, s[0:3], 0 offset:232
	buffer_load_dword v146, off, s[0:3], 0 offset:236
	buffer_load_dword v148, off, s[0:3], 0 offset:244
	buffer_load_dword v149, off, s[0:3], 0 offset:264
	buffer_load_dword v151, off, s[0:3], 0 offset:256
	buffer_load_dword v153, off, s[0:3], 0 offset:248
	buffer_load_dword v147, off, s[0:3], 0 offset:240
	buffer_load_dword v154, off, s[0:3], 0 offset:252
	buffer_load_dword v152, off, s[0:3], 0 offset:260
	buffer_load_dword v150, off, s[0:3], 0 offset:268
	buffer_load_dword v156, off, s[0:3], 0 offset:276
	buffer_load_dword v157, off, s[0:3], 0 offset:296
	buffer_load_dword v159, off, s[0:3], 0 offset:288
	buffer_load_dword v161, off, s[0:3], 0 offset:280
	buffer_load_dword v155, off, s[0:3], 0 offset:272
	buffer_load_dword v162, off, s[0:3], 0 offset:284
	buffer_load_dword v160, off, s[0:3], 0 offset:292
	ds_read2_b64 v[125:128], v124 offset0:85 offset1:86
	ds_read2_b64 v[129:132], v124 offset0:87 offset1:88
	buffer_load_dword v158, off, s[0:3], 0 offset:300
	s_mov_b32 s4, exec_lo
	s_waitcnt vmcnt(28) lgkmcnt(1)
	v_fma_f64 v[125:126], v[133:134], v[125:126], 0
	s_clause 0x7
	buffer_load_dword v134, off, s[0:3], 0 offset:308
	buffer_load_dword v163, off, s[0:3], 0 offset:328
	buffer_load_dword v165, off, s[0:3], 0 offset:320
	buffer_load_dword v167, off, s[0:3], 0 offset:312
	buffer_load_dword v133, off, s[0:3], 0 offset:304
	buffer_load_dword v168, off, s[0:3], 0 offset:316
	buffer_load_dword v166, off, s[0:3], 0 offset:324
	buffer_load_dword v164, off, s[0:3], 0 offset:332
	s_waitcnt vmcnt(34)
	v_fma_f64 v[125:126], v[135:136], v[127:128], v[125:126]
	s_waitcnt vmcnt(32) lgkmcnt(0)
	v_fma_f64 v[125:126], v[137:138], v[129:130], v[125:126]
	s_waitcnt vmcnt(30)
	v_fma_f64 v[135:136], v[139:140], v[131:132], v[125:126]
	ds_read2_b64 v[125:128], v124 offset0:89 offset1:90
	ds_read2_b64 v[129:132], v124 offset0:91 offset1:92
	s_waitcnt vmcnt(28) lgkmcnt(1)
	v_fma_f64 v[125:126], v[141:142], v[125:126], v[135:136]
	s_clause 0x7
	buffer_load_dword v136, off, s[0:3], 0 offset:340
	buffer_load_dword v137, off, s[0:3], 0 offset:360
	buffer_load_dword v139, off, s[0:3], 0 offset:352
	buffer_load_dword v141, off, s[0:3], 0 offset:344
	buffer_load_dword v135, off, s[0:3], 0 offset:336
	buffer_load_dword v142, off, s[0:3], 0 offset:348
	buffer_load_dword v140, off, s[0:3], 0 offset:356
	buffer_load_dword v138, off, s[0:3], 0 offset:364
	s_waitcnt vmcnt(34)
	v_fma_f64 v[125:126], v[143:144], v[127:128], v[125:126]
	s_waitcnt vmcnt(32) lgkmcnt(0)
	v_fma_f64 v[125:126], v[145:146], v[129:130], v[125:126]
	s_waitcnt vmcnt(27)
	v_fma_f64 v[143:144], v[147:148], v[131:132], v[125:126]
	ds_read2_b64 v[125:128], v124 offset0:93 offset1:94
	ds_read2_b64 v[129:132], v124 offset0:95 offset1:96
	;; [unrolled: 19-line block ×5, first 2 shown]
	s_waitcnt vmcnt(26) lgkmcnt(1)
	v_fma_f64 v[125:126], v[141:142], v[125:126], v[135:136]
	s_clause 0x5
	buffer_load_dword v136, off, s[0:3], 0 offset:468
	buffer_load_dword v141, off, s[0:3], 0 offset:480
	;; [unrolled: 1-line block ×6, first 2 shown]
	s_waitcnt vmcnt(31)
	v_fma_f64 v[125:126], v[139:140], v[127:128], v[125:126]
	s_waitcnt vmcnt(30) lgkmcnt(0)
	v_fma_f64 v[125:126], v[137:138], v[129:130], v[125:126]
	s_waitcnt vmcnt(25)
	v_fma_f64 v[137:138], v[143:144], v[131:132], v[125:126]
	ds_read2_b64 v[125:128], v124 offset0:109 offset1:110
	s_clause 0x1
	buffer_load_dword v139, off, s[0:3], 0 offset:176
	buffer_load_dword v140, off, s[0:3], 0 offset:180
	ds_read2_b64 v[129:132], v124 offset0:111 offset1:112
	s_waitcnt vmcnt(26) lgkmcnt(1)
	v_fma_f64 v[125:126], v[153:154], v[125:126], v[137:138]
	s_waitcnt vmcnt(25)
	v_fma_f64 v[125:126], v[147:148], v[127:128], v[125:126]
	s_waitcnt vmcnt(24) lgkmcnt(0)
	v_fma_f64 v[125:126], v[145:146], v[129:130], v[125:126]
	s_waitcnt vmcnt(19)
	v_fma_f64 v[137:138], v[149:150], v[131:132], v[125:126]
	ds_read2_b64 v[125:128], v124 offset0:113 offset1:114
	ds_read2_b64 v[129:132], v124 offset0:115 offset1:116
	s_waitcnt vmcnt(18) lgkmcnt(1)
	v_fma_f64 v[125:126], v[161:162], v[125:126], v[137:138]
	s_waitcnt vmcnt(17)
	v_fma_f64 v[125:126], v[155:156], v[127:128], v[125:126]
	s_waitcnt vmcnt(16) lgkmcnt(0)
	v_fma_f64 v[125:126], v[151:152], v[129:130], v[125:126]
	s_waitcnt vmcnt(11)
	v_fma_f64 v[133:134], v[133:134], v[131:132], v[125:126]
	ds_read2_b64 v[125:128], v124 offset0:117 offset1:118
	;; [unrolled: 10-line block ×3, first 2 shown]
	s_waitcnt vmcnt(3) lgkmcnt(0)
	v_fma_f64 v[124:125], v[163:164], v[124:125], v[128:129]
	s_waitcnt vmcnt(2)
	v_fma_f64 v[124:125], v[141:142], v[126:127], v[124:125]
	s_waitcnt vmcnt(0)
	v_add_f64 v[124:125], v[139:140], -v[124:125]
	buffer_store_dword v125, off, s[0:3], 0 offset:180
	buffer_store_dword v124, off, s[0:3], 0 offset:176
	v_cmpx_lt_u32_e32 21, v0
	s_cbranch_execz .LBB60_333
; %bb.332:
	s_clause 0x1
	buffer_load_dword v124, off, s[0:3], 0 offset:168
	buffer_load_dword v125, off, s[0:3], 0 offset:172
	v_mov_b32_e32 v126, 0
	buffer_store_dword v126, off, s[0:3], 0 offset:168
	buffer_store_dword v126, off, s[0:3], 0 offset:172
	s_waitcnt vmcnt(0)
	ds_write_b64 v123, v[124:125]
.LBB60_333:
	s_or_b32 exec_lo, exec_lo, s4
	s_waitcnt lgkmcnt(0)
	s_waitcnt_vscnt null, 0x0
	s_barrier
	buffer_gl0_inv
	s_clause 0x1c
	buffer_load_dword v133, off, s[0:3], 0 offset:176
	buffer_load_dword v134, off, s[0:3], 0 offset:180
	;; [unrolled: 1-line block ×29, first 2 shown]
	v_mov_b32_e32 v124, 0
	buffer_load_dword v158, off, s[0:3], 0 offset:292
	s_mov_b32 s4, exec_lo
	ds_read_b128 v[125:128], v124 offset:672
	ds_read_b128 v[129:132], v124 offset:688
	s_waitcnt vmcnt(28) lgkmcnt(1)
	v_fma_f64 v[125:126], v[133:134], v[125:126], 0
	s_clause 0x7
	buffer_load_dword v134, off, s[0:3], 0 offset:300
	buffer_load_dword v163, off, s[0:3], 0 offset:320
	buffer_load_dword v165, off, s[0:3], 0 offset:312
	buffer_load_dword v167, off, s[0:3], 0 offset:304
	buffer_load_dword v133, off, s[0:3], 0 offset:296
	buffer_load_dword v168, off, s[0:3], 0 offset:308
	buffer_load_dword v166, off, s[0:3], 0 offset:316
	buffer_load_dword v164, off, s[0:3], 0 offset:324
	s_waitcnt vmcnt(34)
	v_fma_f64 v[125:126], v[135:136], v[127:128], v[125:126]
	s_waitcnt vmcnt(32) lgkmcnt(0)
	v_fma_f64 v[125:126], v[137:138], v[129:130], v[125:126]
	s_waitcnt vmcnt(30)
	v_fma_f64 v[135:136], v[139:140], v[131:132], v[125:126]
	ds_read_b128 v[125:128], v124 offset:704
	ds_read_b128 v[129:132], v124 offset:720
	s_waitcnt vmcnt(28) lgkmcnt(1)
	v_fma_f64 v[125:126], v[141:142], v[125:126], v[135:136]
	s_clause 0x7
	buffer_load_dword v136, off, s[0:3], 0 offset:332
	buffer_load_dword v137, off, s[0:3], 0 offset:352
	buffer_load_dword v139, off, s[0:3], 0 offset:344
	buffer_load_dword v141, off, s[0:3], 0 offset:336
	buffer_load_dword v135, off, s[0:3], 0 offset:328
	buffer_load_dword v142, off, s[0:3], 0 offset:340
	buffer_load_dword v140, off, s[0:3], 0 offset:348
	buffer_load_dword v138, off, s[0:3], 0 offset:356
	s_waitcnt vmcnt(34)
	v_fma_f64 v[125:126], v[143:144], v[127:128], v[125:126]
	s_waitcnt vmcnt(32) lgkmcnt(0)
	v_fma_f64 v[125:126], v[145:146], v[129:130], v[125:126]
	s_waitcnt vmcnt(27)
	v_fma_f64 v[143:144], v[147:148], v[131:132], v[125:126]
	;; [unrolled: 19-line block ×6, first 2 shown]
	ds_read_b128 v[125:128], v124 offset:864
	ds_read_b128 v[129:132], v124 offset:880
	s_waitcnt vmcnt(26) lgkmcnt(1)
	v_fma_f64 v[125:126], v[153:154], v[125:126], v[137:138]
	s_clause 0x1
	buffer_load_dword v137, off, s[0:3], 0 offset:168
	buffer_load_dword v138, off, s[0:3], 0 offset:172
	s_waitcnt vmcnt(27)
	v_fma_f64 v[125:126], v[147:148], v[127:128], v[125:126]
	s_waitcnt vmcnt(26) lgkmcnt(0)
	v_fma_f64 v[125:126], v[145:146], v[129:130], v[125:126]
	s_waitcnt vmcnt(21)
	v_fma_f64 v[139:140], v[149:150], v[131:132], v[125:126]
	ds_read_b128 v[125:128], v124 offset:896
	ds_read_b128 v[129:132], v124 offset:912
	s_waitcnt vmcnt(20) lgkmcnt(1)
	v_fma_f64 v[125:126], v[161:162], v[125:126], v[139:140]
	s_waitcnt vmcnt(19)
	v_fma_f64 v[125:126], v[155:156], v[127:128], v[125:126]
	s_waitcnt vmcnt(18) lgkmcnt(0)
	v_fma_f64 v[125:126], v[151:152], v[129:130], v[125:126]
	s_waitcnt vmcnt(13)
	v_fma_f64 v[133:134], v[133:134], v[131:132], v[125:126]
	ds_read_b128 v[125:128], v124 offset:928
	ds_read_b128 v[129:132], v124 offset:944
	s_waitcnt vmcnt(12) lgkmcnt(1)
	v_fma_f64 v[125:126], v[167:168], v[125:126], v[133:134]
	s_waitcnt vmcnt(11)
	v_fma_f64 v[125:126], v[159:160], v[127:128], v[125:126]
	s_waitcnt vmcnt(10) lgkmcnt(0)
	v_fma_f64 v[125:126], v[157:158], v[129:130], v[125:126]
	s_waitcnt vmcnt(5)
	v_fma_f64 v[129:130], v[135:136], v[131:132], v[125:126]
	ds_read_b128 v[125:128], v124 offset:960
	ds_read_b64 v[131:132], v124 offset:976
	s_waitcnt vmcnt(4) lgkmcnt(1)
	v_fma_f64 v[125:126], v[165:166], v[125:126], v[129:130]
	s_waitcnt vmcnt(3)
	v_fma_f64 v[125:126], v[163:164], v[127:128], v[125:126]
	s_waitcnt vmcnt(2) lgkmcnt(0)
	v_fma_f64 v[125:126], v[141:142], v[131:132], v[125:126]
	s_waitcnt vmcnt(0)
	v_add_f64 v[125:126], v[137:138], -v[125:126]
	buffer_store_dword v126, off, s[0:3], 0 offset:172
	buffer_store_dword v125, off, s[0:3], 0 offset:168
	v_cmpx_lt_u32_e32 20, v0
	s_cbranch_execz .LBB60_335
; %bb.334:
	s_clause 0x1
	buffer_load_dword v125, off, s[0:3], 0 offset:160
	buffer_load_dword v126, off, s[0:3], 0 offset:164
	buffer_store_dword v124, off, s[0:3], 0 offset:160
	buffer_store_dword v124, off, s[0:3], 0 offset:164
	s_waitcnt vmcnt(0)
	ds_write_b64 v123, v[125:126]
.LBB60_335:
	s_or_b32 exec_lo, exec_lo, s4
	s_waitcnt lgkmcnt(0)
	s_waitcnt_vscnt null, 0x0
	s_barrier
	buffer_gl0_inv
	s_clause 0x1c
	buffer_load_dword v133, off, s[0:3], 0 offset:168
	buffer_load_dword v134, off, s[0:3], 0 offset:172
	;; [unrolled: 1-line block ×29, first 2 shown]
	ds_read2_b64 v[125:128], v124 offset0:83 offset1:84
	ds_read2_b64 v[129:132], v124 offset0:85 offset1:86
	buffer_load_dword v158, off, s[0:3], 0 offset:284
	s_mov_b32 s4, exec_lo
	s_waitcnt vmcnt(28) lgkmcnt(1)
	v_fma_f64 v[125:126], v[133:134], v[125:126], 0
	s_clause 0x7
	buffer_load_dword v134, off, s[0:3], 0 offset:292
	buffer_load_dword v163, off, s[0:3], 0 offset:312
	buffer_load_dword v165, off, s[0:3], 0 offset:304
	buffer_load_dword v167, off, s[0:3], 0 offset:296
	buffer_load_dword v133, off, s[0:3], 0 offset:288
	buffer_load_dword v168, off, s[0:3], 0 offset:300
	buffer_load_dword v166, off, s[0:3], 0 offset:308
	buffer_load_dword v164, off, s[0:3], 0 offset:316
	s_waitcnt vmcnt(34)
	v_fma_f64 v[125:126], v[135:136], v[127:128], v[125:126]
	s_waitcnt vmcnt(32) lgkmcnt(0)
	v_fma_f64 v[125:126], v[137:138], v[129:130], v[125:126]
	s_waitcnt vmcnt(30)
	v_fma_f64 v[135:136], v[139:140], v[131:132], v[125:126]
	ds_read2_b64 v[125:128], v124 offset0:87 offset1:88
	ds_read2_b64 v[129:132], v124 offset0:89 offset1:90
	s_waitcnt vmcnt(28) lgkmcnt(1)
	v_fma_f64 v[125:126], v[141:142], v[125:126], v[135:136]
	s_clause 0x7
	buffer_load_dword v136, off, s[0:3], 0 offset:324
	buffer_load_dword v137, off, s[0:3], 0 offset:344
	buffer_load_dword v139, off, s[0:3], 0 offset:336
	buffer_load_dword v141, off, s[0:3], 0 offset:328
	buffer_load_dword v135, off, s[0:3], 0 offset:320
	buffer_load_dword v142, off, s[0:3], 0 offset:332
	buffer_load_dword v140, off, s[0:3], 0 offset:340
	buffer_load_dword v138, off, s[0:3], 0 offset:348
	s_waitcnt vmcnt(34)
	v_fma_f64 v[125:126], v[143:144], v[127:128], v[125:126]
	s_waitcnt vmcnt(32) lgkmcnt(0)
	v_fma_f64 v[125:126], v[145:146], v[129:130], v[125:126]
	s_waitcnt vmcnt(27)
	v_fma_f64 v[143:144], v[147:148], v[131:132], v[125:126]
	ds_read2_b64 v[125:128], v124 offset0:91 offset1:92
	ds_read2_b64 v[129:132], v124 offset0:93 offset1:94
	;; [unrolled: 19-line block ×6, first 2 shown]
	s_waitcnt vmcnt(26) lgkmcnt(1)
	v_fma_f64 v[125:126], v[153:154], v[125:126], v[137:138]
	s_clause 0x3
	buffer_load_dword v138, off, s[0:3], 0 offset:484
	buffer_load_dword v137, off, s[0:3], 0 offset:480
	;; [unrolled: 1-line block ×4, first 2 shown]
	s_waitcnt vmcnt(29)
	v_fma_f64 v[125:126], v[147:148], v[127:128], v[125:126]
	s_waitcnt vmcnt(28) lgkmcnt(0)
	v_fma_f64 v[125:126], v[145:146], v[129:130], v[125:126]
	s_waitcnt vmcnt(23)
	v_fma_f64 v[143:144], v[149:150], v[131:132], v[125:126]
	ds_read2_b64 v[125:128], v124 offset0:111 offset1:112
	ds_read2_b64 v[129:132], v124 offset0:113 offset1:114
	s_waitcnt vmcnt(22) lgkmcnt(1)
	v_fma_f64 v[125:126], v[161:162], v[125:126], v[143:144]
	s_waitcnt vmcnt(21)
	v_fma_f64 v[125:126], v[155:156], v[127:128], v[125:126]
	s_waitcnt vmcnt(20) lgkmcnt(0)
	v_fma_f64 v[125:126], v[151:152], v[129:130], v[125:126]
	s_waitcnt vmcnt(15)
	v_fma_f64 v[133:134], v[133:134], v[131:132], v[125:126]
	ds_read2_b64 v[125:128], v124 offset0:115 offset1:116
	ds_read2_b64 v[129:132], v124 offset0:117 offset1:118
	s_waitcnt vmcnt(14) lgkmcnt(1)
	v_fma_f64 v[125:126], v[167:168], v[125:126], v[133:134]
	;; [unrolled: 10-line block ×3, first 2 shown]
	s_waitcnt vmcnt(5)
	v_fma_f64 v[124:125], v[163:164], v[127:128], v[124:125]
	s_waitcnt vmcnt(4) lgkmcnt(0)
	v_fma_f64 v[124:125], v[141:142], v[129:130], v[124:125]
	s_waitcnt vmcnt(2)
	v_fma_f64 v[124:125], v[137:138], v[131:132], v[124:125]
	s_waitcnt vmcnt(0)
	v_add_f64 v[124:125], v[139:140], -v[124:125]
	buffer_store_dword v125, off, s[0:3], 0 offset:164
	buffer_store_dword v124, off, s[0:3], 0 offset:160
	v_cmpx_lt_u32_e32 19, v0
	s_cbranch_execz .LBB60_337
; %bb.336:
	s_clause 0x1
	buffer_load_dword v124, off, s[0:3], 0 offset:152
	buffer_load_dword v125, off, s[0:3], 0 offset:156
	v_mov_b32_e32 v126, 0
	buffer_store_dword v126, off, s[0:3], 0 offset:152
	buffer_store_dword v126, off, s[0:3], 0 offset:156
	s_waitcnt vmcnt(0)
	ds_write_b64 v123, v[124:125]
.LBB60_337:
	s_or_b32 exec_lo, exec_lo, s4
	s_waitcnt lgkmcnt(0)
	s_waitcnt_vscnt null, 0x0
	s_barrier
	buffer_gl0_inv
	s_clause 0x1c
	buffer_load_dword v133, off, s[0:3], 0 offset:160
	buffer_load_dword v134, off, s[0:3], 0 offset:164
	;; [unrolled: 1-line block ×29, first 2 shown]
	v_mov_b32_e32 v124, 0
	buffer_load_dword v158, off, s[0:3], 0 offset:276
	s_mov_b32 s4, exec_lo
	ds_read_b128 v[125:128], v124 offset:656
	ds_read_b128 v[129:132], v124 offset:672
	s_waitcnt vmcnt(28) lgkmcnt(1)
	v_fma_f64 v[125:126], v[133:134], v[125:126], 0
	s_clause 0x7
	buffer_load_dword v134, off, s[0:3], 0 offset:284
	buffer_load_dword v163, off, s[0:3], 0 offset:304
	buffer_load_dword v165, off, s[0:3], 0 offset:296
	buffer_load_dword v167, off, s[0:3], 0 offset:288
	buffer_load_dword v133, off, s[0:3], 0 offset:280
	buffer_load_dword v168, off, s[0:3], 0 offset:292
	buffer_load_dword v166, off, s[0:3], 0 offset:300
	buffer_load_dword v164, off, s[0:3], 0 offset:308
	s_waitcnt vmcnt(34)
	v_fma_f64 v[125:126], v[135:136], v[127:128], v[125:126]
	s_waitcnt vmcnt(32) lgkmcnt(0)
	v_fma_f64 v[125:126], v[137:138], v[129:130], v[125:126]
	s_waitcnt vmcnt(30)
	v_fma_f64 v[135:136], v[139:140], v[131:132], v[125:126]
	ds_read_b128 v[125:128], v124 offset:688
	ds_read_b128 v[129:132], v124 offset:704
	s_waitcnt vmcnt(28) lgkmcnt(1)
	v_fma_f64 v[125:126], v[141:142], v[125:126], v[135:136]
	s_clause 0x7
	buffer_load_dword v136, off, s[0:3], 0 offset:316
	buffer_load_dword v137, off, s[0:3], 0 offset:336
	buffer_load_dword v139, off, s[0:3], 0 offset:328
	buffer_load_dword v141, off, s[0:3], 0 offset:320
	buffer_load_dword v135, off, s[0:3], 0 offset:312
	buffer_load_dword v142, off, s[0:3], 0 offset:324
	buffer_load_dword v140, off, s[0:3], 0 offset:332
	buffer_load_dword v138, off, s[0:3], 0 offset:340
	s_waitcnt vmcnt(34)
	v_fma_f64 v[125:126], v[143:144], v[127:128], v[125:126]
	s_waitcnt vmcnt(32) lgkmcnt(0)
	v_fma_f64 v[125:126], v[145:146], v[129:130], v[125:126]
	s_waitcnt vmcnt(27)
	v_fma_f64 v[143:144], v[147:148], v[131:132], v[125:126]
	;; [unrolled: 19-line block ×6, first 2 shown]
	ds_read_b128 v[125:128], v124 offset:848
	ds_read_b128 v[129:132], v124 offset:864
	s_waitcnt vmcnt(26) lgkmcnt(1)
	v_fma_f64 v[125:126], v[153:154], v[125:126], v[137:138]
	s_clause 0x5
	buffer_load_dword v138, off, s[0:3], 0 offset:476
	buffer_load_dword v139, off, s[0:3], 0 offset:480
	;; [unrolled: 1-line block ×6, first 2 shown]
	s_waitcnt vmcnt(31)
	v_fma_f64 v[125:126], v[147:148], v[127:128], v[125:126]
	s_waitcnt vmcnt(30) lgkmcnt(0)
	v_fma_f64 v[125:126], v[145:146], v[129:130], v[125:126]
	s_waitcnt vmcnt(25)
	v_fma_f64 v[145:146], v[149:150], v[131:132], v[125:126]
	ds_read_b128 v[125:128], v124 offset:880
	ds_read_b128 v[129:132], v124 offset:896
	s_waitcnt vmcnt(24) lgkmcnt(1)
	v_fma_f64 v[125:126], v[161:162], v[125:126], v[145:146]
	s_waitcnt vmcnt(23)
	v_fma_f64 v[125:126], v[155:156], v[127:128], v[125:126]
	s_waitcnt vmcnt(22) lgkmcnt(0)
	v_fma_f64 v[125:126], v[151:152], v[129:130], v[125:126]
	s_waitcnt vmcnt(17)
	v_fma_f64 v[133:134], v[133:134], v[131:132], v[125:126]
	ds_read_b128 v[125:128], v124 offset:912
	ds_read_b128 v[129:132], v124 offset:928
	s_waitcnt vmcnt(16) lgkmcnt(1)
	v_fma_f64 v[125:126], v[167:168], v[125:126], v[133:134]
	;; [unrolled: 10-line block ×3, first 2 shown]
	s_waitcnt vmcnt(7)
	v_fma_f64 v[125:126], v[163:164], v[127:128], v[125:126]
	ds_read_b64 v[127:128], v124 offset:976
	s_waitcnt vmcnt(6) lgkmcnt(1)
	v_fma_f64 v[125:126], v[141:142], v[129:130], v[125:126]
	s_waitcnt vmcnt(3)
	v_fma_f64 v[125:126], v[137:138], v[131:132], v[125:126]
	s_waitcnt vmcnt(2) lgkmcnt(0)
	v_fma_f64 v[125:126], v[139:140], v[127:128], v[125:126]
	s_waitcnt vmcnt(0)
	v_add_f64 v[125:126], v[143:144], -v[125:126]
	buffer_store_dword v126, off, s[0:3], 0 offset:156
	buffer_store_dword v125, off, s[0:3], 0 offset:152
	v_cmpx_lt_u32_e32 18, v0
	s_cbranch_execz .LBB60_339
; %bb.338:
	s_clause 0x1
	buffer_load_dword v125, off, s[0:3], 0 offset:144
	buffer_load_dword v126, off, s[0:3], 0 offset:148
	buffer_store_dword v124, off, s[0:3], 0 offset:144
	buffer_store_dword v124, off, s[0:3], 0 offset:148
	s_waitcnt vmcnt(0)
	ds_write_b64 v123, v[125:126]
.LBB60_339:
	s_or_b32 exec_lo, exec_lo, s4
	s_waitcnt lgkmcnt(0)
	s_waitcnt_vscnt null, 0x0
	s_barrier
	buffer_gl0_inv
	s_clause 0x1c
	buffer_load_dword v133, off, s[0:3], 0 offset:152
	buffer_load_dword v134, off, s[0:3], 0 offset:156
	;; [unrolled: 1-line block ×29, first 2 shown]
	ds_read2_b64 v[125:128], v124 offset0:81 offset1:82
	ds_read2_b64 v[129:132], v124 offset0:83 offset1:84
	buffer_load_dword v158, off, s[0:3], 0 offset:268
	s_mov_b32 s4, exec_lo
	s_waitcnt vmcnt(28) lgkmcnt(1)
	v_fma_f64 v[125:126], v[133:134], v[125:126], 0
	s_clause 0x7
	buffer_load_dword v134, off, s[0:3], 0 offset:276
	buffer_load_dword v163, off, s[0:3], 0 offset:296
	buffer_load_dword v165, off, s[0:3], 0 offset:288
	buffer_load_dword v167, off, s[0:3], 0 offset:280
	buffer_load_dword v133, off, s[0:3], 0 offset:272
	buffer_load_dword v168, off, s[0:3], 0 offset:284
	buffer_load_dword v166, off, s[0:3], 0 offset:292
	buffer_load_dword v164, off, s[0:3], 0 offset:300
	s_waitcnt vmcnt(34)
	v_fma_f64 v[125:126], v[135:136], v[127:128], v[125:126]
	s_waitcnt vmcnt(32) lgkmcnt(0)
	v_fma_f64 v[125:126], v[137:138], v[129:130], v[125:126]
	s_waitcnt vmcnt(30)
	v_fma_f64 v[135:136], v[139:140], v[131:132], v[125:126]
	ds_read2_b64 v[125:128], v124 offset0:85 offset1:86
	ds_read2_b64 v[129:132], v124 offset0:87 offset1:88
	s_waitcnt vmcnt(28) lgkmcnt(1)
	v_fma_f64 v[125:126], v[141:142], v[125:126], v[135:136]
	s_clause 0x7
	buffer_load_dword v136, off, s[0:3], 0 offset:308
	buffer_load_dword v137, off, s[0:3], 0 offset:328
	buffer_load_dword v139, off, s[0:3], 0 offset:320
	buffer_load_dword v141, off, s[0:3], 0 offset:312
	buffer_load_dword v135, off, s[0:3], 0 offset:304
	buffer_load_dword v142, off, s[0:3], 0 offset:316
	buffer_load_dword v140, off, s[0:3], 0 offset:324
	buffer_load_dword v138, off, s[0:3], 0 offset:332
	s_waitcnt vmcnt(34)
	v_fma_f64 v[125:126], v[143:144], v[127:128], v[125:126]
	s_waitcnt vmcnt(32) lgkmcnt(0)
	v_fma_f64 v[125:126], v[145:146], v[129:130], v[125:126]
	s_waitcnt vmcnt(27)
	v_fma_f64 v[143:144], v[147:148], v[131:132], v[125:126]
	ds_read2_b64 v[125:128], v124 offset0:89 offset1:90
	ds_read2_b64 v[129:132], v124 offset0:91 offset1:92
	;; [unrolled: 19-line block ×6, first 2 shown]
	s_waitcnt vmcnt(26) lgkmcnt(1)
	v_fma_f64 v[125:126], v[153:154], v[125:126], v[137:138]
	s_clause 0x5
	buffer_load_dword v138, off, s[0:3], 0 offset:468
	buffer_load_dword v139, off, s[0:3], 0 offset:480
	;; [unrolled: 1-line block ×6, first 2 shown]
	s_waitcnt vmcnt(31)
	v_fma_f64 v[125:126], v[147:148], v[127:128], v[125:126]
	s_waitcnt vmcnt(30) lgkmcnt(0)
	v_fma_f64 v[125:126], v[145:146], v[129:130], v[125:126]
	s_waitcnt vmcnt(25)
	v_fma_f64 v[145:146], v[149:150], v[131:132], v[125:126]
	ds_read2_b64 v[125:128], v124 offset0:109 offset1:110
	s_clause 0x1
	buffer_load_dword v147, off, s[0:3], 0 offset:144
	buffer_load_dword v148, off, s[0:3], 0 offset:148
	ds_read2_b64 v[129:132], v124 offset0:111 offset1:112
	s_waitcnt vmcnt(26) lgkmcnt(1)
	v_fma_f64 v[125:126], v[161:162], v[125:126], v[145:146]
	s_waitcnt vmcnt(25)
	v_fma_f64 v[125:126], v[155:156], v[127:128], v[125:126]
	s_waitcnt vmcnt(24) lgkmcnt(0)
	v_fma_f64 v[125:126], v[151:152], v[129:130], v[125:126]
	s_waitcnt vmcnt(19)
	v_fma_f64 v[133:134], v[133:134], v[131:132], v[125:126]
	ds_read2_b64 v[125:128], v124 offset0:113 offset1:114
	ds_read2_b64 v[129:132], v124 offset0:115 offset1:116
	s_waitcnt vmcnt(18) lgkmcnt(1)
	v_fma_f64 v[125:126], v[167:168], v[125:126], v[133:134]
	s_waitcnt vmcnt(17)
	v_fma_f64 v[125:126], v[159:160], v[127:128], v[125:126]
	s_waitcnt vmcnt(16) lgkmcnt(0)
	v_fma_f64 v[125:126], v[157:158], v[129:130], v[125:126]
	s_waitcnt vmcnt(11)
	v_fma_f64 v[133:134], v[135:136], v[131:132], v[125:126]
	ds_read2_b64 v[125:128], v124 offset0:117 offset1:118
	;; [unrolled: 10-line block ×3, first 2 shown]
	s_waitcnt vmcnt(3) lgkmcnt(0)
	v_fma_f64 v[124:125], v[143:144], v[124:125], v[128:129]
	s_waitcnt vmcnt(2)
	v_fma_f64 v[124:125], v[139:140], v[126:127], v[124:125]
	s_waitcnt vmcnt(0)
	v_add_f64 v[124:125], v[147:148], -v[124:125]
	buffer_store_dword v125, off, s[0:3], 0 offset:148
	buffer_store_dword v124, off, s[0:3], 0 offset:144
	v_cmpx_lt_u32_e32 17, v0
	s_cbranch_execz .LBB60_341
; %bb.340:
	s_clause 0x1
	buffer_load_dword v124, off, s[0:3], 0 offset:136
	buffer_load_dword v125, off, s[0:3], 0 offset:140
	v_mov_b32_e32 v126, 0
	buffer_store_dword v126, off, s[0:3], 0 offset:136
	buffer_store_dword v126, off, s[0:3], 0 offset:140
	s_waitcnt vmcnt(0)
	ds_write_b64 v123, v[124:125]
.LBB60_341:
	s_or_b32 exec_lo, exec_lo, s4
	s_waitcnt lgkmcnt(0)
	s_waitcnt_vscnt null, 0x0
	s_barrier
	buffer_gl0_inv
	s_clause 0x1c
	buffer_load_dword v133, off, s[0:3], 0 offset:144
	buffer_load_dword v134, off, s[0:3], 0 offset:148
	;; [unrolled: 1-line block ×29, first 2 shown]
	v_mov_b32_e32 v124, 0
	buffer_load_dword v158, off, s[0:3], 0 offset:260
	s_mov_b32 s4, exec_lo
	ds_read_b128 v[125:128], v124 offset:640
	ds_read_b128 v[129:132], v124 offset:656
	s_waitcnt vmcnt(28) lgkmcnt(1)
	v_fma_f64 v[125:126], v[133:134], v[125:126], 0
	s_clause 0x7
	buffer_load_dword v134, off, s[0:3], 0 offset:268
	buffer_load_dword v163, off, s[0:3], 0 offset:288
	buffer_load_dword v165, off, s[0:3], 0 offset:280
	buffer_load_dword v167, off, s[0:3], 0 offset:272
	buffer_load_dword v133, off, s[0:3], 0 offset:264
	buffer_load_dword v168, off, s[0:3], 0 offset:276
	buffer_load_dword v166, off, s[0:3], 0 offset:284
	buffer_load_dword v164, off, s[0:3], 0 offset:292
	s_waitcnt vmcnt(34)
	v_fma_f64 v[125:126], v[135:136], v[127:128], v[125:126]
	s_waitcnt vmcnt(32) lgkmcnt(0)
	v_fma_f64 v[125:126], v[137:138], v[129:130], v[125:126]
	s_waitcnt vmcnt(30)
	v_fma_f64 v[135:136], v[139:140], v[131:132], v[125:126]
	ds_read_b128 v[125:128], v124 offset:672
	ds_read_b128 v[129:132], v124 offset:688
	s_waitcnt vmcnt(28) lgkmcnt(1)
	v_fma_f64 v[125:126], v[141:142], v[125:126], v[135:136]
	s_clause 0x7
	buffer_load_dword v136, off, s[0:3], 0 offset:300
	buffer_load_dword v137, off, s[0:3], 0 offset:320
	buffer_load_dword v139, off, s[0:3], 0 offset:312
	buffer_load_dword v141, off, s[0:3], 0 offset:304
	buffer_load_dword v135, off, s[0:3], 0 offset:296
	buffer_load_dword v142, off, s[0:3], 0 offset:308
	buffer_load_dword v140, off, s[0:3], 0 offset:316
	buffer_load_dword v138, off, s[0:3], 0 offset:324
	s_waitcnt vmcnt(34)
	v_fma_f64 v[125:126], v[143:144], v[127:128], v[125:126]
	s_waitcnt vmcnt(32) lgkmcnt(0)
	v_fma_f64 v[125:126], v[145:146], v[129:130], v[125:126]
	s_waitcnt vmcnt(27)
	v_fma_f64 v[143:144], v[147:148], v[131:132], v[125:126]
	;; [unrolled: 19-line block ×7, first 2 shown]
	ds_read_b128 v[125:128], v124 offset:864
	ds_read_b128 v[129:132], v124 offset:880
	s_waitcnt vmcnt(26) lgkmcnt(1)
	v_fma_f64 v[125:126], v[161:162], v[125:126], v[145:146]
	s_clause 0x1
	buffer_load_dword v145, off, s[0:3], 0 offset:136
	buffer_load_dword v146, off, s[0:3], 0 offset:140
	s_waitcnt vmcnt(27)
	v_fma_f64 v[125:126], v[155:156], v[127:128], v[125:126]
	s_waitcnt vmcnt(26) lgkmcnt(0)
	v_fma_f64 v[125:126], v[151:152], v[129:130], v[125:126]
	s_waitcnt vmcnt(21)
	v_fma_f64 v[133:134], v[133:134], v[131:132], v[125:126]
	ds_read_b128 v[125:128], v124 offset:896
	ds_read_b128 v[129:132], v124 offset:912
	s_waitcnt vmcnt(20) lgkmcnt(1)
	v_fma_f64 v[125:126], v[167:168], v[125:126], v[133:134]
	s_waitcnt vmcnt(19)
	v_fma_f64 v[125:126], v[159:160], v[127:128], v[125:126]
	s_waitcnt vmcnt(18) lgkmcnt(0)
	v_fma_f64 v[125:126], v[157:158], v[129:130], v[125:126]
	s_waitcnt vmcnt(13)
	v_fma_f64 v[133:134], v[135:136], v[131:132], v[125:126]
	ds_read_b128 v[125:128], v124 offset:928
	ds_read_b128 v[129:132], v124 offset:944
	s_waitcnt vmcnt(12) lgkmcnt(1)
	v_fma_f64 v[125:126], v[165:166], v[125:126], v[133:134]
	s_waitcnt vmcnt(11)
	v_fma_f64 v[125:126], v[163:164], v[127:128], v[125:126]
	s_waitcnt vmcnt(10) lgkmcnt(0)
	v_fma_f64 v[125:126], v[141:142], v[129:130], v[125:126]
	s_waitcnt vmcnt(5)
	v_fma_f64 v[129:130], v[137:138], v[131:132], v[125:126]
	ds_read_b128 v[125:128], v124 offset:960
	ds_read_b64 v[131:132], v124 offset:976
	s_waitcnt vmcnt(4) lgkmcnt(1)
	v_fma_f64 v[125:126], v[153:154], v[125:126], v[129:130]
	s_waitcnt vmcnt(3)
	v_fma_f64 v[125:126], v[143:144], v[127:128], v[125:126]
	s_waitcnt vmcnt(2) lgkmcnt(0)
	v_fma_f64 v[125:126], v[139:140], v[131:132], v[125:126]
	s_waitcnt vmcnt(0)
	v_add_f64 v[125:126], v[145:146], -v[125:126]
	buffer_store_dword v126, off, s[0:3], 0 offset:140
	buffer_store_dword v125, off, s[0:3], 0 offset:136
	v_cmpx_lt_u32_e32 16, v0
	s_cbranch_execz .LBB60_343
; %bb.342:
	s_clause 0x1
	buffer_load_dword v125, off, s[0:3], 0 offset:128
	buffer_load_dword v126, off, s[0:3], 0 offset:132
	buffer_store_dword v124, off, s[0:3], 0 offset:128
	buffer_store_dword v124, off, s[0:3], 0 offset:132
	s_waitcnt vmcnt(0)
	ds_write_b64 v123, v[125:126]
.LBB60_343:
	s_or_b32 exec_lo, exec_lo, s4
	s_waitcnt lgkmcnt(0)
	s_waitcnt_vscnt null, 0x0
	s_barrier
	buffer_gl0_inv
	s_clause 0x1c
	buffer_load_dword v133, off, s[0:3], 0 offset:136
	buffer_load_dword v134, off, s[0:3], 0 offset:140
	;; [unrolled: 1-line block ×29, first 2 shown]
	ds_read2_b64 v[125:128], v124 offset0:79 offset1:80
	ds_read2_b64 v[129:132], v124 offset0:81 offset1:82
	buffer_load_dword v158, off, s[0:3], 0 offset:252
	s_mov_b32 s4, exec_lo
	s_waitcnt vmcnt(28) lgkmcnt(1)
	v_fma_f64 v[125:126], v[133:134], v[125:126], 0
	s_clause 0x7
	buffer_load_dword v134, off, s[0:3], 0 offset:260
	buffer_load_dword v163, off, s[0:3], 0 offset:280
	buffer_load_dword v165, off, s[0:3], 0 offset:272
	buffer_load_dword v167, off, s[0:3], 0 offset:264
	buffer_load_dword v133, off, s[0:3], 0 offset:256
	buffer_load_dword v168, off, s[0:3], 0 offset:268
	buffer_load_dword v166, off, s[0:3], 0 offset:276
	buffer_load_dword v164, off, s[0:3], 0 offset:284
	s_waitcnt vmcnt(34)
	v_fma_f64 v[125:126], v[135:136], v[127:128], v[125:126]
	s_waitcnt vmcnt(32) lgkmcnt(0)
	v_fma_f64 v[125:126], v[137:138], v[129:130], v[125:126]
	s_waitcnt vmcnt(30)
	v_fma_f64 v[135:136], v[139:140], v[131:132], v[125:126]
	ds_read2_b64 v[125:128], v124 offset0:83 offset1:84
	ds_read2_b64 v[129:132], v124 offset0:85 offset1:86
	s_waitcnt vmcnt(28) lgkmcnt(1)
	v_fma_f64 v[125:126], v[141:142], v[125:126], v[135:136]
	s_clause 0x7
	buffer_load_dword v136, off, s[0:3], 0 offset:292
	buffer_load_dword v137, off, s[0:3], 0 offset:312
	buffer_load_dword v139, off, s[0:3], 0 offset:304
	buffer_load_dword v141, off, s[0:3], 0 offset:296
	buffer_load_dword v135, off, s[0:3], 0 offset:288
	buffer_load_dword v142, off, s[0:3], 0 offset:300
	buffer_load_dword v140, off, s[0:3], 0 offset:308
	buffer_load_dword v138, off, s[0:3], 0 offset:316
	s_waitcnt vmcnt(34)
	v_fma_f64 v[125:126], v[143:144], v[127:128], v[125:126]
	s_waitcnt vmcnt(32) lgkmcnt(0)
	v_fma_f64 v[125:126], v[145:146], v[129:130], v[125:126]
	s_waitcnt vmcnt(27)
	v_fma_f64 v[143:144], v[147:148], v[131:132], v[125:126]
	ds_read2_b64 v[125:128], v124 offset0:87 offset1:88
	ds_read2_b64 v[129:132], v124 offset0:89 offset1:90
	s_waitcnt vmcnt(26) lgkmcnt(1)
	v_fma_f64 v[125:126], v[153:154], v[125:126], v[143:144]
	s_clause 0x7
	buffer_load_dword v144, off, s[0:3], 0 offset:324
	buffer_load_dword v145, off, s[0:3], 0 offset:344
	buffer_load_dword v147, off, s[0:3], 0 offset:336
	buffer_load_dword v153, off, s[0:3], 0 offset:328
	buffer_load_dword v143, off, s[0:3], 0 offset:320
	buffer_load_dword v154, off, s[0:3], 0 offset:332
	buffer_load_dword v148, off, s[0:3], 0 offset:340
	buffer_load_dword v146, off, s[0:3], 0 offset:348
	s_waitcnt vmcnt(33)
	v_fma_f64 v[125:126], v[151:152], v[127:128], v[125:126]
	s_waitcnt vmcnt(32) lgkmcnt(0)
	v_fma_f64 v[125:126], v[149:150], v[129:130], v[125:126]
	s_waitcnt vmcnt(27)
	v_fma_f64 v[149:150], v[155:156], v[131:132], v[125:126]
	ds_read2_b64 v[125:128], v124 offset0:91 offset1:92
	ds_read2_b64 v[129:132], v124 offset0:93 offset1:94
	s_waitcnt vmcnt(26) lgkmcnt(1)
	v_fma_f64 v[125:126], v[161:162], v[125:126], v[149:150]
	s_clause 0x7
	buffer_load_dword v150, off, s[0:3], 0 offset:356
	buffer_load_dword v151, off, s[0:3], 0 offset:376
	buffer_load_dword v155, off, s[0:3], 0 offset:368
	buffer_load_dword v161, off, s[0:3], 0 offset:360
	buffer_load_dword v149, off, s[0:3], 0 offset:352
	buffer_load_dword v162, off, s[0:3], 0 offset:364
	buffer_load_dword v156, off, s[0:3], 0 offset:372
	buffer_load_dword v152, off, s[0:3], 0 offset:380
	s_waitcnt vmcnt(33)
	v_fma_f64 v[125:126], v[159:160], v[127:128], v[125:126]
	s_waitcnt vmcnt(32) lgkmcnt(0)
	v_fma_f64 v[125:126], v[157:158], v[129:130], v[125:126]
	s_waitcnt vmcnt(27)
	v_fma_f64 v[133:134], v[133:134], v[131:132], v[125:126]
	ds_read2_b64 v[125:128], v124 offset0:95 offset1:96
	ds_read2_b64 v[129:132], v124 offset0:97 offset1:98
	s_waitcnt vmcnt(26) lgkmcnt(1)
	v_fma_f64 v[125:126], v[167:168], v[125:126], v[133:134]
	s_clause 0x7
	buffer_load_dword v134, off, s[0:3], 0 offset:388
	buffer_load_dword v157, off, s[0:3], 0 offset:408
	buffer_load_dword v159, off, s[0:3], 0 offset:400
	buffer_load_dword v167, off, s[0:3], 0 offset:392
	buffer_load_dword v133, off, s[0:3], 0 offset:384
	buffer_load_dword v168, off, s[0:3], 0 offset:396
	buffer_load_dword v160, off, s[0:3], 0 offset:404
	buffer_load_dword v158, off, s[0:3], 0 offset:412
	s_waitcnt vmcnt(33)
	v_fma_f64 v[125:126], v[165:166], v[127:128], v[125:126]
	s_waitcnt vmcnt(32) lgkmcnt(0)
	v_fma_f64 v[125:126], v[163:164], v[129:130], v[125:126]
	s_waitcnt vmcnt(27)
	v_fma_f64 v[135:136], v[135:136], v[131:132], v[125:126]
	ds_read2_b64 v[125:128], v124 offset0:99 offset1:100
	ds_read2_b64 v[129:132], v124 offset0:101 offset1:102
	s_waitcnt vmcnt(26) lgkmcnt(1)
	v_fma_f64 v[125:126], v[141:142], v[125:126], v[135:136]
	s_clause 0x7
	buffer_load_dword v136, off, s[0:3], 0 offset:420
	buffer_load_dword v141, off, s[0:3], 0 offset:440
	buffer_load_dword v163, off, s[0:3], 0 offset:432
	buffer_load_dword v165, off, s[0:3], 0 offset:424
	buffer_load_dword v135, off, s[0:3], 0 offset:416
	buffer_load_dword v166, off, s[0:3], 0 offset:428
	buffer_load_dword v164, off, s[0:3], 0 offset:436
	buffer_load_dword v142, off, s[0:3], 0 offset:444
	s_waitcnt vmcnt(33)
	v_fma_f64 v[125:126], v[139:140], v[127:128], v[125:126]
	s_waitcnt vmcnt(32) lgkmcnt(0)
	v_fma_f64 v[125:126], v[137:138], v[129:130], v[125:126]
	s_waitcnt vmcnt(27)
	v_fma_f64 v[137:138], v[143:144], v[131:132], v[125:126]
	ds_read2_b64 v[125:128], v124 offset0:103 offset1:104
	ds_read2_b64 v[129:132], v124 offset0:105 offset1:106
	s_waitcnt vmcnt(26) lgkmcnt(1)
	v_fma_f64 v[125:126], v[153:154], v[125:126], v[137:138]
	s_clause 0x7
	buffer_load_dword v138, off, s[0:3], 0 offset:452
	buffer_load_dword v139, off, s[0:3], 0 offset:472
	buffer_load_dword v143, off, s[0:3], 0 offset:464
	buffer_load_dword v153, off, s[0:3], 0 offset:456
	buffer_load_dword v137, off, s[0:3], 0 offset:448
	buffer_load_dword v154, off, s[0:3], 0 offset:460
	buffer_load_dword v144, off, s[0:3], 0 offset:468
	buffer_load_dword v140, off, s[0:3], 0 offset:476
	s_waitcnt vmcnt(33)
	v_fma_f64 v[125:126], v[147:148], v[127:128], v[125:126]
	s_waitcnt vmcnt(32) lgkmcnt(0)
	v_fma_f64 v[125:126], v[145:146], v[129:130], v[125:126]
	s_waitcnt vmcnt(27)
	v_fma_f64 v[145:146], v[149:150], v[131:132], v[125:126]
	ds_read2_b64 v[125:128], v124 offset0:107 offset1:108
	ds_read2_b64 v[129:132], v124 offset0:109 offset1:110
	s_waitcnt vmcnt(26) lgkmcnt(1)
	v_fma_f64 v[125:126], v[161:162], v[125:126], v[145:146]
	s_clause 0x3
	buffer_load_dword v146, off, s[0:3], 0 offset:484
	buffer_load_dword v145, off, s[0:3], 0 offset:480
	;; [unrolled: 1-line block ×4, first 2 shown]
	s_waitcnt vmcnt(29)
	v_fma_f64 v[125:126], v[155:156], v[127:128], v[125:126]
	s_waitcnt vmcnt(28) lgkmcnt(0)
	v_fma_f64 v[125:126], v[151:152], v[129:130], v[125:126]
	s_waitcnt vmcnt(23)
	v_fma_f64 v[133:134], v[133:134], v[131:132], v[125:126]
	ds_read2_b64 v[125:128], v124 offset0:111 offset1:112
	ds_read2_b64 v[129:132], v124 offset0:113 offset1:114
	s_waitcnt vmcnt(22) lgkmcnt(1)
	v_fma_f64 v[125:126], v[167:168], v[125:126], v[133:134]
	s_waitcnt vmcnt(21)
	v_fma_f64 v[125:126], v[159:160], v[127:128], v[125:126]
	s_waitcnt vmcnt(20) lgkmcnt(0)
	v_fma_f64 v[125:126], v[157:158], v[129:130], v[125:126]
	s_waitcnt vmcnt(15)
	v_fma_f64 v[133:134], v[135:136], v[131:132], v[125:126]
	ds_read2_b64 v[125:128], v124 offset0:115 offset1:116
	ds_read2_b64 v[129:132], v124 offset0:117 offset1:118
	s_waitcnt vmcnt(14) lgkmcnt(1)
	v_fma_f64 v[125:126], v[165:166], v[125:126], v[133:134]
	;; [unrolled: 10-line block ×3, first 2 shown]
	s_waitcnt vmcnt(5)
	v_fma_f64 v[124:125], v[143:144], v[127:128], v[124:125]
	s_waitcnt vmcnt(4) lgkmcnt(0)
	v_fma_f64 v[124:125], v[139:140], v[129:130], v[124:125]
	s_waitcnt vmcnt(2)
	v_fma_f64 v[124:125], v[145:146], v[131:132], v[124:125]
	s_waitcnt vmcnt(0)
	v_add_f64 v[124:125], v[147:148], -v[124:125]
	buffer_store_dword v125, off, s[0:3], 0 offset:132
	buffer_store_dword v124, off, s[0:3], 0 offset:128
	v_cmpx_lt_u32_e32 15, v0
	s_cbranch_execz .LBB60_345
; %bb.344:
	s_clause 0x1
	buffer_load_dword v124, off, s[0:3], 0 offset:120
	buffer_load_dword v125, off, s[0:3], 0 offset:124
	v_mov_b32_e32 v126, 0
	buffer_store_dword v126, off, s[0:3], 0 offset:120
	buffer_store_dword v126, off, s[0:3], 0 offset:124
	s_waitcnt vmcnt(0)
	ds_write_b64 v123, v[124:125]
.LBB60_345:
	s_or_b32 exec_lo, exec_lo, s4
	s_waitcnt lgkmcnt(0)
	s_waitcnt_vscnt null, 0x0
	s_barrier
	buffer_gl0_inv
	s_clause 0x1c
	buffer_load_dword v133, off, s[0:3], 0 offset:128
	buffer_load_dword v134, off, s[0:3], 0 offset:132
	;; [unrolled: 1-line block ×29, first 2 shown]
	v_mov_b32_e32 v124, 0
	buffer_load_dword v158, off, s[0:3], 0 offset:244
	s_mov_b32 s4, exec_lo
	ds_read_b128 v[125:128], v124 offset:624
	ds_read_b128 v[129:132], v124 offset:640
	s_waitcnt vmcnt(28) lgkmcnt(1)
	v_fma_f64 v[125:126], v[133:134], v[125:126], 0
	s_clause 0x7
	buffer_load_dword v134, off, s[0:3], 0 offset:252
	buffer_load_dword v163, off, s[0:3], 0 offset:272
	buffer_load_dword v165, off, s[0:3], 0 offset:264
	buffer_load_dword v167, off, s[0:3], 0 offset:256
	buffer_load_dword v133, off, s[0:3], 0 offset:248
	buffer_load_dword v168, off, s[0:3], 0 offset:260
	buffer_load_dword v166, off, s[0:3], 0 offset:268
	buffer_load_dword v164, off, s[0:3], 0 offset:276
	s_waitcnt vmcnt(34)
	v_fma_f64 v[125:126], v[135:136], v[127:128], v[125:126]
	s_waitcnt vmcnt(32) lgkmcnt(0)
	v_fma_f64 v[125:126], v[137:138], v[129:130], v[125:126]
	s_waitcnt vmcnt(30)
	v_fma_f64 v[135:136], v[139:140], v[131:132], v[125:126]
	ds_read_b128 v[125:128], v124 offset:656
	ds_read_b128 v[129:132], v124 offset:672
	s_waitcnt vmcnt(28) lgkmcnt(1)
	v_fma_f64 v[125:126], v[141:142], v[125:126], v[135:136]
	s_clause 0x7
	buffer_load_dword v136, off, s[0:3], 0 offset:284
	buffer_load_dword v137, off, s[0:3], 0 offset:304
	buffer_load_dword v139, off, s[0:3], 0 offset:296
	buffer_load_dword v141, off, s[0:3], 0 offset:288
	buffer_load_dword v135, off, s[0:3], 0 offset:280
	buffer_load_dword v142, off, s[0:3], 0 offset:292
	buffer_load_dword v140, off, s[0:3], 0 offset:300
	buffer_load_dword v138, off, s[0:3], 0 offset:308
	s_waitcnt vmcnt(34)
	v_fma_f64 v[125:126], v[143:144], v[127:128], v[125:126]
	s_waitcnt vmcnt(32) lgkmcnt(0)
	v_fma_f64 v[125:126], v[145:146], v[129:130], v[125:126]
	s_waitcnt vmcnt(27)
	v_fma_f64 v[143:144], v[147:148], v[131:132], v[125:126]
	;; [unrolled: 19-line block ×7, first 2 shown]
	ds_read_b128 v[125:128], v124 offset:848
	ds_read_b128 v[129:132], v124 offset:864
	s_waitcnt vmcnt(26) lgkmcnt(1)
	v_fma_f64 v[125:126], v[161:162], v[125:126], v[145:146]
	s_clause 0x5
	buffer_load_dword v146, off, s[0:3], 0 offset:476
	buffer_load_dword v147, off, s[0:3], 0 offset:480
	;; [unrolled: 1-line block ×6, first 2 shown]
	s_waitcnt vmcnt(31)
	v_fma_f64 v[125:126], v[155:156], v[127:128], v[125:126]
	s_waitcnt vmcnt(30) lgkmcnt(0)
	v_fma_f64 v[125:126], v[151:152], v[129:130], v[125:126]
	s_waitcnt vmcnt(25)
	v_fma_f64 v[133:134], v[133:134], v[131:132], v[125:126]
	ds_read_b128 v[125:128], v124 offset:880
	ds_read_b128 v[129:132], v124 offset:896
	s_waitcnt vmcnt(24) lgkmcnt(1)
	v_fma_f64 v[125:126], v[167:168], v[125:126], v[133:134]
	s_waitcnt vmcnt(23)
	v_fma_f64 v[125:126], v[159:160], v[127:128], v[125:126]
	s_waitcnt vmcnt(22) lgkmcnt(0)
	v_fma_f64 v[125:126], v[157:158], v[129:130], v[125:126]
	s_waitcnt vmcnt(17)
	v_fma_f64 v[133:134], v[135:136], v[131:132], v[125:126]
	ds_read_b128 v[125:128], v124 offset:912
	ds_read_b128 v[129:132], v124 offset:928
	s_waitcnt vmcnt(16) lgkmcnt(1)
	v_fma_f64 v[125:126], v[165:166], v[125:126], v[133:134]
	;; [unrolled: 10-line block ×3, first 2 shown]
	s_waitcnt vmcnt(7)
	v_fma_f64 v[125:126], v[143:144], v[127:128], v[125:126]
	ds_read_b64 v[127:128], v124 offset:976
	s_waitcnt vmcnt(6) lgkmcnt(1)
	v_fma_f64 v[125:126], v[139:140], v[129:130], v[125:126]
	s_waitcnt vmcnt(3)
	v_fma_f64 v[125:126], v[145:146], v[131:132], v[125:126]
	s_waitcnt vmcnt(2) lgkmcnt(0)
	v_fma_f64 v[125:126], v[147:148], v[127:128], v[125:126]
	s_waitcnt vmcnt(0)
	v_add_f64 v[125:126], v[149:150], -v[125:126]
	buffer_store_dword v126, off, s[0:3], 0 offset:124
	buffer_store_dword v125, off, s[0:3], 0 offset:120
	v_cmpx_lt_u32_e32 14, v0
	s_cbranch_execz .LBB60_347
; %bb.346:
	s_clause 0x1
	buffer_load_dword v125, off, s[0:3], 0 offset:112
	buffer_load_dword v126, off, s[0:3], 0 offset:116
	buffer_store_dword v124, off, s[0:3], 0 offset:112
	buffer_store_dword v124, off, s[0:3], 0 offset:116
	s_waitcnt vmcnt(0)
	ds_write_b64 v123, v[125:126]
.LBB60_347:
	s_or_b32 exec_lo, exec_lo, s4
	s_waitcnt lgkmcnt(0)
	s_waitcnt_vscnt null, 0x0
	s_barrier
	buffer_gl0_inv
	s_clause 0x1c
	buffer_load_dword v133, off, s[0:3], 0 offset:120
	buffer_load_dword v134, off, s[0:3], 0 offset:124
	;; [unrolled: 1-line block ×29, first 2 shown]
	ds_read2_b64 v[125:128], v124 offset0:77 offset1:78
	ds_read2_b64 v[129:132], v124 offset0:79 offset1:80
	buffer_load_dword v158, off, s[0:3], 0 offset:236
	s_mov_b32 s4, exec_lo
	s_waitcnt vmcnt(28) lgkmcnt(1)
	v_fma_f64 v[125:126], v[133:134], v[125:126], 0
	s_clause 0x7
	buffer_load_dword v134, off, s[0:3], 0 offset:244
	buffer_load_dword v163, off, s[0:3], 0 offset:264
	buffer_load_dword v165, off, s[0:3], 0 offset:256
	buffer_load_dword v167, off, s[0:3], 0 offset:248
	buffer_load_dword v133, off, s[0:3], 0 offset:240
	buffer_load_dword v168, off, s[0:3], 0 offset:252
	buffer_load_dword v166, off, s[0:3], 0 offset:260
	buffer_load_dword v164, off, s[0:3], 0 offset:268
	s_waitcnt vmcnt(34)
	v_fma_f64 v[125:126], v[135:136], v[127:128], v[125:126]
	s_waitcnt vmcnt(32) lgkmcnt(0)
	v_fma_f64 v[125:126], v[137:138], v[129:130], v[125:126]
	s_waitcnt vmcnt(30)
	v_fma_f64 v[135:136], v[139:140], v[131:132], v[125:126]
	ds_read2_b64 v[125:128], v124 offset0:81 offset1:82
	ds_read2_b64 v[129:132], v124 offset0:83 offset1:84
	s_waitcnt vmcnt(28) lgkmcnt(1)
	v_fma_f64 v[125:126], v[141:142], v[125:126], v[135:136]
	s_clause 0x7
	buffer_load_dword v136, off, s[0:3], 0 offset:276
	buffer_load_dword v137, off, s[0:3], 0 offset:296
	buffer_load_dword v139, off, s[0:3], 0 offset:288
	buffer_load_dword v141, off, s[0:3], 0 offset:280
	buffer_load_dword v135, off, s[0:3], 0 offset:272
	buffer_load_dword v142, off, s[0:3], 0 offset:284
	buffer_load_dword v140, off, s[0:3], 0 offset:292
	buffer_load_dword v138, off, s[0:3], 0 offset:300
	s_waitcnt vmcnt(34)
	v_fma_f64 v[125:126], v[143:144], v[127:128], v[125:126]
	s_waitcnt vmcnt(32) lgkmcnt(0)
	v_fma_f64 v[125:126], v[145:146], v[129:130], v[125:126]
	s_waitcnt vmcnt(27)
	v_fma_f64 v[143:144], v[147:148], v[131:132], v[125:126]
	ds_read2_b64 v[125:128], v124 offset0:85 offset1:86
	ds_read2_b64 v[129:132], v124 offset0:87 offset1:88
	;; [unrolled: 19-line block ×7, first 2 shown]
	s_waitcnt vmcnt(26) lgkmcnt(1)
	v_fma_f64 v[125:126], v[161:162], v[125:126], v[145:146]
	s_clause 0x5
	buffer_load_dword v146, off, s[0:3], 0 offset:468
	buffer_load_dword v147, off, s[0:3], 0 offset:480
	;; [unrolled: 1-line block ×6, first 2 shown]
	s_waitcnt vmcnt(31)
	v_fma_f64 v[125:126], v[155:156], v[127:128], v[125:126]
	s_waitcnt vmcnt(30) lgkmcnt(0)
	v_fma_f64 v[125:126], v[151:152], v[129:130], v[125:126]
	s_waitcnt vmcnt(25)
	v_fma_f64 v[133:134], v[133:134], v[131:132], v[125:126]
	ds_read2_b64 v[125:128], v124 offset0:109 offset1:110
	s_clause 0x1
	buffer_load_dword v151, off, s[0:3], 0 offset:112
	buffer_load_dword v152, off, s[0:3], 0 offset:116
	ds_read2_b64 v[129:132], v124 offset0:111 offset1:112
	s_waitcnt vmcnt(26) lgkmcnt(1)
	v_fma_f64 v[125:126], v[167:168], v[125:126], v[133:134]
	s_waitcnt vmcnt(25)
	v_fma_f64 v[125:126], v[159:160], v[127:128], v[125:126]
	s_waitcnt vmcnt(24) lgkmcnt(0)
	v_fma_f64 v[125:126], v[157:158], v[129:130], v[125:126]
	s_waitcnt vmcnt(19)
	v_fma_f64 v[133:134], v[135:136], v[131:132], v[125:126]
	ds_read2_b64 v[125:128], v124 offset0:113 offset1:114
	ds_read2_b64 v[129:132], v124 offset0:115 offset1:116
	s_waitcnt vmcnt(18) lgkmcnt(1)
	v_fma_f64 v[125:126], v[165:166], v[125:126], v[133:134]
	s_waitcnt vmcnt(17)
	v_fma_f64 v[125:126], v[163:164], v[127:128], v[125:126]
	s_waitcnt vmcnt(16) lgkmcnt(0)
	v_fma_f64 v[125:126], v[141:142], v[129:130], v[125:126]
	s_waitcnt vmcnt(11)
	v_fma_f64 v[133:134], v[137:138], v[131:132], v[125:126]
	ds_read2_b64 v[125:128], v124 offset0:117 offset1:118
	;; [unrolled: 10-line block ×3, first 2 shown]
	s_waitcnt vmcnt(3) lgkmcnt(0)
	v_fma_f64 v[124:125], v[149:150], v[124:125], v[128:129]
	s_waitcnt vmcnt(2)
	v_fma_f64 v[124:125], v[147:148], v[126:127], v[124:125]
	s_waitcnt vmcnt(0)
	v_add_f64 v[124:125], v[151:152], -v[124:125]
	buffer_store_dword v125, off, s[0:3], 0 offset:116
	buffer_store_dword v124, off, s[0:3], 0 offset:112
	v_cmpx_lt_u32_e32 13, v0
	s_cbranch_execz .LBB60_349
; %bb.348:
	s_clause 0x1
	buffer_load_dword v124, off, s[0:3], 0 offset:104
	buffer_load_dword v125, off, s[0:3], 0 offset:108
	v_mov_b32_e32 v126, 0
	buffer_store_dword v126, off, s[0:3], 0 offset:104
	buffer_store_dword v126, off, s[0:3], 0 offset:108
	s_waitcnt vmcnt(0)
	ds_write_b64 v123, v[124:125]
.LBB60_349:
	s_or_b32 exec_lo, exec_lo, s4
	s_waitcnt lgkmcnt(0)
	s_waitcnt_vscnt null, 0x0
	s_barrier
	buffer_gl0_inv
	s_clause 0x1c
	buffer_load_dword v133, off, s[0:3], 0 offset:112
	buffer_load_dword v134, off, s[0:3], 0 offset:116
	;; [unrolled: 1-line block ×29, first 2 shown]
	v_mov_b32_e32 v124, 0
	buffer_load_dword v158, off, s[0:3], 0 offset:228
	s_mov_b32 s4, exec_lo
	ds_read_b128 v[125:128], v124 offset:608
	ds_read_b128 v[129:132], v124 offset:624
	s_waitcnt vmcnt(28) lgkmcnt(1)
	v_fma_f64 v[125:126], v[133:134], v[125:126], 0
	s_clause 0x7
	buffer_load_dword v134, off, s[0:3], 0 offset:236
	buffer_load_dword v163, off, s[0:3], 0 offset:256
	buffer_load_dword v165, off, s[0:3], 0 offset:248
	buffer_load_dword v167, off, s[0:3], 0 offset:240
	buffer_load_dword v133, off, s[0:3], 0 offset:232
	buffer_load_dword v168, off, s[0:3], 0 offset:244
	buffer_load_dword v166, off, s[0:3], 0 offset:252
	buffer_load_dword v164, off, s[0:3], 0 offset:260
	s_waitcnt vmcnt(34)
	v_fma_f64 v[125:126], v[135:136], v[127:128], v[125:126]
	s_waitcnt vmcnt(32) lgkmcnt(0)
	v_fma_f64 v[125:126], v[137:138], v[129:130], v[125:126]
	s_waitcnt vmcnt(30)
	v_fma_f64 v[135:136], v[139:140], v[131:132], v[125:126]
	ds_read_b128 v[125:128], v124 offset:640
	ds_read_b128 v[129:132], v124 offset:656
	s_waitcnt vmcnt(28) lgkmcnt(1)
	v_fma_f64 v[125:126], v[141:142], v[125:126], v[135:136]
	s_clause 0x7
	buffer_load_dword v136, off, s[0:3], 0 offset:268
	buffer_load_dword v137, off, s[0:3], 0 offset:288
	buffer_load_dword v139, off, s[0:3], 0 offset:280
	buffer_load_dword v141, off, s[0:3], 0 offset:272
	buffer_load_dword v135, off, s[0:3], 0 offset:264
	buffer_load_dword v142, off, s[0:3], 0 offset:276
	buffer_load_dword v140, off, s[0:3], 0 offset:284
	buffer_load_dword v138, off, s[0:3], 0 offset:292
	s_waitcnt vmcnt(34)
	v_fma_f64 v[125:126], v[143:144], v[127:128], v[125:126]
	s_waitcnt vmcnt(32) lgkmcnt(0)
	v_fma_f64 v[125:126], v[145:146], v[129:130], v[125:126]
	s_waitcnt vmcnt(27)
	v_fma_f64 v[143:144], v[147:148], v[131:132], v[125:126]
	;; [unrolled: 19-line block ×8, first 2 shown]
	ds_read_b128 v[125:128], v124 offset:864
	ds_read_b128 v[129:132], v124 offset:880
	s_waitcnt vmcnt(26) lgkmcnt(1)
	v_fma_f64 v[125:126], v[167:168], v[125:126], v[133:134]
	s_clause 0x1
	buffer_load_dword v133, off, s[0:3], 0 offset:104
	buffer_load_dword v134, off, s[0:3], 0 offset:108
	s_waitcnt vmcnt(27)
	v_fma_f64 v[125:126], v[159:160], v[127:128], v[125:126]
	s_waitcnt vmcnt(26) lgkmcnt(0)
	v_fma_f64 v[125:126], v[157:158], v[129:130], v[125:126]
	s_waitcnt vmcnt(21)
	v_fma_f64 v[135:136], v[135:136], v[131:132], v[125:126]
	ds_read_b128 v[125:128], v124 offset:896
	ds_read_b128 v[129:132], v124 offset:912
	s_waitcnt vmcnt(20) lgkmcnt(1)
	v_fma_f64 v[125:126], v[165:166], v[125:126], v[135:136]
	s_waitcnt vmcnt(19)
	v_fma_f64 v[125:126], v[163:164], v[127:128], v[125:126]
	s_waitcnt vmcnt(18) lgkmcnt(0)
	v_fma_f64 v[125:126], v[141:142], v[129:130], v[125:126]
	s_waitcnt vmcnt(13)
	v_fma_f64 v[135:136], v[137:138], v[131:132], v[125:126]
	ds_read_b128 v[125:128], v124 offset:928
	ds_read_b128 v[129:132], v124 offset:944
	s_waitcnt vmcnt(12) lgkmcnt(1)
	v_fma_f64 v[125:126], v[153:154], v[125:126], v[135:136]
	s_waitcnt vmcnt(11)
	v_fma_f64 v[125:126], v[143:144], v[127:128], v[125:126]
	s_waitcnt vmcnt(10) lgkmcnt(0)
	v_fma_f64 v[125:126], v[139:140], v[129:130], v[125:126]
	s_waitcnt vmcnt(5)
	v_fma_f64 v[129:130], v[145:146], v[131:132], v[125:126]
	ds_read_b128 v[125:128], v124 offset:960
	ds_read_b64 v[131:132], v124 offset:976
	s_waitcnt vmcnt(4) lgkmcnt(1)
	v_fma_f64 v[125:126], v[161:162], v[125:126], v[129:130]
	s_waitcnt vmcnt(3)
	v_fma_f64 v[125:126], v[149:150], v[127:128], v[125:126]
	s_waitcnt vmcnt(2) lgkmcnt(0)
	v_fma_f64 v[125:126], v[147:148], v[131:132], v[125:126]
	s_waitcnt vmcnt(0)
	v_add_f64 v[125:126], v[133:134], -v[125:126]
	buffer_store_dword v126, off, s[0:3], 0 offset:108
	buffer_store_dword v125, off, s[0:3], 0 offset:104
	v_cmpx_lt_u32_e32 12, v0
	s_cbranch_execz .LBB60_351
; %bb.350:
	s_clause 0x1
	buffer_load_dword v125, off, s[0:3], 0 offset:96
	buffer_load_dword v126, off, s[0:3], 0 offset:100
	buffer_store_dword v124, off, s[0:3], 0 offset:96
	buffer_store_dword v124, off, s[0:3], 0 offset:100
	s_waitcnt vmcnt(0)
	ds_write_b64 v123, v[125:126]
.LBB60_351:
	s_or_b32 exec_lo, exec_lo, s4
	s_waitcnt lgkmcnt(0)
	s_waitcnt_vscnt null, 0x0
	s_barrier
	buffer_gl0_inv
	s_clause 0x1c
	buffer_load_dword v133, off, s[0:3], 0 offset:104
	buffer_load_dword v134, off, s[0:3], 0 offset:108
	;; [unrolled: 1-line block ×29, first 2 shown]
	ds_read2_b64 v[125:128], v124 offset0:75 offset1:76
	ds_read2_b64 v[129:132], v124 offset0:77 offset1:78
	buffer_load_dword v158, off, s[0:3], 0 offset:220
	s_mov_b32 s4, exec_lo
	s_waitcnt vmcnt(28) lgkmcnt(1)
	v_fma_f64 v[125:126], v[133:134], v[125:126], 0
	s_clause 0x7
	buffer_load_dword v134, off, s[0:3], 0 offset:228
	buffer_load_dword v163, off, s[0:3], 0 offset:248
	buffer_load_dword v165, off, s[0:3], 0 offset:240
	buffer_load_dword v167, off, s[0:3], 0 offset:232
	buffer_load_dword v133, off, s[0:3], 0 offset:224
	buffer_load_dword v168, off, s[0:3], 0 offset:236
	buffer_load_dword v166, off, s[0:3], 0 offset:244
	buffer_load_dword v164, off, s[0:3], 0 offset:252
	s_waitcnt vmcnt(34)
	v_fma_f64 v[125:126], v[135:136], v[127:128], v[125:126]
	s_waitcnt vmcnt(32) lgkmcnt(0)
	v_fma_f64 v[125:126], v[137:138], v[129:130], v[125:126]
	s_waitcnt vmcnt(30)
	v_fma_f64 v[135:136], v[139:140], v[131:132], v[125:126]
	ds_read2_b64 v[125:128], v124 offset0:79 offset1:80
	ds_read2_b64 v[129:132], v124 offset0:81 offset1:82
	s_waitcnt vmcnt(28) lgkmcnt(1)
	v_fma_f64 v[125:126], v[141:142], v[125:126], v[135:136]
	s_clause 0x7
	buffer_load_dword v136, off, s[0:3], 0 offset:260
	buffer_load_dword v137, off, s[0:3], 0 offset:280
	buffer_load_dword v139, off, s[0:3], 0 offset:272
	buffer_load_dword v141, off, s[0:3], 0 offset:264
	buffer_load_dword v135, off, s[0:3], 0 offset:256
	buffer_load_dword v142, off, s[0:3], 0 offset:268
	buffer_load_dword v140, off, s[0:3], 0 offset:276
	buffer_load_dword v138, off, s[0:3], 0 offset:284
	s_waitcnt vmcnt(34)
	v_fma_f64 v[125:126], v[143:144], v[127:128], v[125:126]
	s_waitcnt vmcnt(32) lgkmcnt(0)
	v_fma_f64 v[125:126], v[145:146], v[129:130], v[125:126]
	s_waitcnt vmcnt(27)
	v_fma_f64 v[143:144], v[147:148], v[131:132], v[125:126]
	ds_read2_b64 v[125:128], v124 offset0:83 offset1:84
	ds_read2_b64 v[129:132], v124 offset0:85 offset1:86
	;; [unrolled: 19-line block ×8, first 2 shown]
	s_waitcnt vmcnt(26) lgkmcnt(1)
	v_fma_f64 v[125:126], v[167:168], v[125:126], v[133:134]
	s_clause 0x3
	buffer_load_dword v134, off, s[0:3], 0 offset:484
	buffer_load_dword v133, off, s[0:3], 0 offset:480
	;; [unrolled: 1-line block ×4, first 2 shown]
	s_waitcnt vmcnt(29)
	v_fma_f64 v[125:126], v[159:160], v[127:128], v[125:126]
	s_waitcnt vmcnt(28) lgkmcnt(0)
	v_fma_f64 v[125:126], v[157:158], v[129:130], v[125:126]
	s_waitcnt vmcnt(23)
	v_fma_f64 v[135:136], v[135:136], v[131:132], v[125:126]
	ds_read2_b64 v[125:128], v124 offset0:111 offset1:112
	ds_read2_b64 v[129:132], v124 offset0:113 offset1:114
	s_waitcnt vmcnt(22) lgkmcnt(1)
	v_fma_f64 v[125:126], v[165:166], v[125:126], v[135:136]
	s_waitcnt vmcnt(21)
	v_fma_f64 v[125:126], v[163:164], v[127:128], v[125:126]
	s_waitcnt vmcnt(20) lgkmcnt(0)
	v_fma_f64 v[125:126], v[141:142], v[129:130], v[125:126]
	s_waitcnt vmcnt(15)
	v_fma_f64 v[135:136], v[137:138], v[131:132], v[125:126]
	ds_read2_b64 v[125:128], v124 offset0:115 offset1:116
	ds_read2_b64 v[129:132], v124 offset0:117 offset1:118
	s_waitcnt vmcnt(14) lgkmcnt(1)
	v_fma_f64 v[125:126], v[153:154], v[125:126], v[135:136]
	;; [unrolled: 10-line block ×3, first 2 shown]
	s_waitcnt vmcnt(5)
	v_fma_f64 v[124:125], v[149:150], v[127:128], v[124:125]
	s_waitcnt vmcnt(4) lgkmcnt(0)
	v_fma_f64 v[124:125], v[147:148], v[129:130], v[124:125]
	s_waitcnt vmcnt(2)
	v_fma_f64 v[124:125], v[133:134], v[131:132], v[124:125]
	s_waitcnt vmcnt(0)
	v_add_f64 v[124:125], v[151:152], -v[124:125]
	buffer_store_dword v125, off, s[0:3], 0 offset:100
	buffer_store_dword v124, off, s[0:3], 0 offset:96
	v_cmpx_lt_u32_e32 11, v0
	s_cbranch_execz .LBB60_353
; %bb.352:
	s_clause 0x1
	buffer_load_dword v124, off, s[0:3], 0 offset:88
	buffer_load_dword v125, off, s[0:3], 0 offset:92
	v_mov_b32_e32 v126, 0
	buffer_store_dword v126, off, s[0:3], 0 offset:88
	buffer_store_dword v126, off, s[0:3], 0 offset:92
	s_waitcnt vmcnt(0)
	ds_write_b64 v123, v[124:125]
.LBB60_353:
	s_or_b32 exec_lo, exec_lo, s4
	s_waitcnt lgkmcnt(0)
	s_waitcnt_vscnt null, 0x0
	s_barrier
	buffer_gl0_inv
	s_clause 0x1c
	buffer_load_dword v133, off, s[0:3], 0 offset:96
	buffer_load_dword v134, off, s[0:3], 0 offset:100
	;; [unrolled: 1-line block ×29, first 2 shown]
	v_mov_b32_e32 v124, 0
	buffer_load_dword v158, off, s[0:3], 0 offset:212
	s_mov_b32 s4, exec_lo
	ds_read_b128 v[125:128], v124 offset:592
	ds_read_b128 v[129:132], v124 offset:608
	s_waitcnt vmcnt(28) lgkmcnt(1)
	v_fma_f64 v[125:126], v[133:134], v[125:126], 0
	s_clause 0x7
	buffer_load_dword v134, off, s[0:3], 0 offset:220
	buffer_load_dword v163, off, s[0:3], 0 offset:240
	buffer_load_dword v165, off, s[0:3], 0 offset:232
	buffer_load_dword v167, off, s[0:3], 0 offset:224
	buffer_load_dword v133, off, s[0:3], 0 offset:216
	buffer_load_dword v168, off, s[0:3], 0 offset:228
	buffer_load_dword v166, off, s[0:3], 0 offset:236
	buffer_load_dword v164, off, s[0:3], 0 offset:244
	s_waitcnt vmcnt(34)
	v_fma_f64 v[125:126], v[135:136], v[127:128], v[125:126]
	s_waitcnt vmcnt(32) lgkmcnt(0)
	v_fma_f64 v[125:126], v[137:138], v[129:130], v[125:126]
	s_waitcnt vmcnt(30)
	v_fma_f64 v[135:136], v[139:140], v[131:132], v[125:126]
	ds_read_b128 v[125:128], v124 offset:624
	ds_read_b128 v[129:132], v124 offset:640
	s_waitcnt vmcnt(28) lgkmcnt(1)
	v_fma_f64 v[125:126], v[141:142], v[125:126], v[135:136]
	s_clause 0x7
	buffer_load_dword v136, off, s[0:3], 0 offset:252
	buffer_load_dword v137, off, s[0:3], 0 offset:272
	buffer_load_dword v139, off, s[0:3], 0 offset:264
	buffer_load_dword v141, off, s[0:3], 0 offset:256
	buffer_load_dword v135, off, s[0:3], 0 offset:248
	buffer_load_dword v142, off, s[0:3], 0 offset:260
	buffer_load_dword v140, off, s[0:3], 0 offset:268
	buffer_load_dword v138, off, s[0:3], 0 offset:276
	s_waitcnt vmcnt(34)
	v_fma_f64 v[125:126], v[143:144], v[127:128], v[125:126]
	s_waitcnt vmcnt(32) lgkmcnt(0)
	v_fma_f64 v[125:126], v[145:146], v[129:130], v[125:126]
	s_waitcnt vmcnt(27)
	v_fma_f64 v[143:144], v[147:148], v[131:132], v[125:126]
	;; [unrolled: 19-line block ×8, first 2 shown]
	ds_read_b128 v[125:128], v124 offset:848
	ds_read_b128 v[129:132], v124 offset:864
	s_waitcnt vmcnt(26) lgkmcnt(1)
	v_fma_f64 v[125:126], v[167:168], v[125:126], v[133:134]
	s_clause 0x5
	buffer_load_dword v134, off, s[0:3], 0 offset:476
	buffer_load_dword v151, off, s[0:3], 0 offset:480
	;; [unrolled: 1-line block ×6, first 2 shown]
	s_waitcnt vmcnt(31)
	v_fma_f64 v[125:126], v[159:160], v[127:128], v[125:126]
	s_waitcnt vmcnt(30) lgkmcnt(0)
	v_fma_f64 v[125:126], v[157:158], v[129:130], v[125:126]
	s_waitcnt vmcnt(25)
	v_fma_f64 v[135:136], v[135:136], v[131:132], v[125:126]
	ds_read_b128 v[125:128], v124 offset:880
	ds_read_b128 v[129:132], v124 offset:896
	s_waitcnt vmcnt(24) lgkmcnt(1)
	v_fma_f64 v[125:126], v[165:166], v[125:126], v[135:136]
	s_waitcnt vmcnt(23)
	v_fma_f64 v[125:126], v[163:164], v[127:128], v[125:126]
	s_waitcnt vmcnt(22) lgkmcnt(0)
	v_fma_f64 v[125:126], v[141:142], v[129:130], v[125:126]
	s_waitcnt vmcnt(17)
	v_fma_f64 v[135:136], v[137:138], v[131:132], v[125:126]
	ds_read_b128 v[125:128], v124 offset:912
	ds_read_b128 v[129:132], v124 offset:928
	s_waitcnt vmcnt(16) lgkmcnt(1)
	v_fma_f64 v[125:126], v[153:154], v[125:126], v[135:136]
	;; [unrolled: 10-line block ×3, first 2 shown]
	s_waitcnt vmcnt(7)
	v_fma_f64 v[125:126], v[149:150], v[127:128], v[125:126]
	ds_read_b64 v[127:128], v124 offset:976
	s_waitcnt vmcnt(6) lgkmcnt(1)
	v_fma_f64 v[125:126], v[147:148], v[129:130], v[125:126]
	s_waitcnt vmcnt(3)
	v_fma_f64 v[125:126], v[133:134], v[131:132], v[125:126]
	s_waitcnt vmcnt(2) lgkmcnt(0)
	v_fma_f64 v[125:126], v[151:152], v[127:128], v[125:126]
	s_waitcnt vmcnt(0)
	v_add_f64 v[125:126], v[155:156], -v[125:126]
	buffer_store_dword v126, off, s[0:3], 0 offset:92
	buffer_store_dword v125, off, s[0:3], 0 offset:88
	v_cmpx_lt_u32_e32 10, v0
	s_cbranch_execz .LBB60_355
; %bb.354:
	s_clause 0x1
	buffer_load_dword v125, off, s[0:3], 0 offset:80
	buffer_load_dword v126, off, s[0:3], 0 offset:84
	buffer_store_dword v124, off, s[0:3], 0 offset:80
	buffer_store_dword v124, off, s[0:3], 0 offset:84
	s_waitcnt vmcnt(0)
	ds_write_b64 v123, v[125:126]
.LBB60_355:
	s_or_b32 exec_lo, exec_lo, s4
	s_waitcnt lgkmcnt(0)
	s_waitcnt_vscnt null, 0x0
	s_barrier
	buffer_gl0_inv
	s_clause 0x1c
	buffer_load_dword v133, off, s[0:3], 0 offset:88
	buffer_load_dword v134, off, s[0:3], 0 offset:92
	;; [unrolled: 1-line block ×29, first 2 shown]
	ds_read2_b64 v[125:128], v124 offset0:73 offset1:74
	ds_read2_b64 v[129:132], v124 offset0:75 offset1:76
	buffer_load_dword v158, off, s[0:3], 0 offset:204
	s_mov_b32 s4, exec_lo
	s_waitcnt vmcnt(28) lgkmcnt(1)
	v_fma_f64 v[125:126], v[133:134], v[125:126], 0
	s_clause 0x7
	buffer_load_dword v134, off, s[0:3], 0 offset:212
	buffer_load_dword v163, off, s[0:3], 0 offset:232
	buffer_load_dword v165, off, s[0:3], 0 offset:224
	buffer_load_dword v167, off, s[0:3], 0 offset:216
	buffer_load_dword v133, off, s[0:3], 0 offset:208
	buffer_load_dword v168, off, s[0:3], 0 offset:220
	buffer_load_dword v166, off, s[0:3], 0 offset:228
	buffer_load_dword v164, off, s[0:3], 0 offset:236
	s_waitcnt vmcnt(34)
	v_fma_f64 v[125:126], v[135:136], v[127:128], v[125:126]
	s_waitcnt vmcnt(32) lgkmcnt(0)
	v_fma_f64 v[125:126], v[137:138], v[129:130], v[125:126]
	s_waitcnt vmcnt(30)
	v_fma_f64 v[135:136], v[139:140], v[131:132], v[125:126]
	ds_read2_b64 v[125:128], v124 offset0:77 offset1:78
	ds_read2_b64 v[129:132], v124 offset0:79 offset1:80
	s_waitcnt vmcnt(28) lgkmcnt(1)
	v_fma_f64 v[125:126], v[141:142], v[125:126], v[135:136]
	s_clause 0x7
	buffer_load_dword v136, off, s[0:3], 0 offset:244
	buffer_load_dword v137, off, s[0:3], 0 offset:264
	buffer_load_dword v139, off, s[0:3], 0 offset:256
	buffer_load_dword v141, off, s[0:3], 0 offset:248
	buffer_load_dword v135, off, s[0:3], 0 offset:240
	buffer_load_dword v142, off, s[0:3], 0 offset:252
	buffer_load_dword v140, off, s[0:3], 0 offset:260
	buffer_load_dword v138, off, s[0:3], 0 offset:268
	s_waitcnt vmcnt(34)
	v_fma_f64 v[125:126], v[143:144], v[127:128], v[125:126]
	s_waitcnt vmcnt(32) lgkmcnt(0)
	v_fma_f64 v[125:126], v[145:146], v[129:130], v[125:126]
	s_waitcnt vmcnt(27)
	v_fma_f64 v[143:144], v[147:148], v[131:132], v[125:126]
	ds_read2_b64 v[125:128], v124 offset0:81 offset1:82
	ds_read2_b64 v[129:132], v124 offset0:83 offset1:84
	;; [unrolled: 19-line block ×8, first 2 shown]
	s_waitcnt vmcnt(26) lgkmcnt(1)
	v_fma_f64 v[125:126], v[167:168], v[125:126], v[133:134]
	s_clause 0x5
	buffer_load_dword v134, off, s[0:3], 0 offset:468
	buffer_load_dword v151, off, s[0:3], 0 offset:480
	;; [unrolled: 1-line block ×6, first 2 shown]
	s_waitcnt vmcnt(31)
	v_fma_f64 v[125:126], v[159:160], v[127:128], v[125:126]
	s_waitcnt vmcnt(30) lgkmcnt(0)
	v_fma_f64 v[125:126], v[157:158], v[129:130], v[125:126]
	s_waitcnt vmcnt(25)
	v_fma_f64 v[135:136], v[135:136], v[131:132], v[125:126]
	ds_read2_b64 v[125:128], v124 offset0:109 offset1:110
	s_clause 0x1
	buffer_load_dword v157, off, s[0:3], 0 offset:80
	buffer_load_dword v158, off, s[0:3], 0 offset:84
	ds_read2_b64 v[129:132], v124 offset0:111 offset1:112
	s_waitcnt vmcnt(26) lgkmcnt(1)
	v_fma_f64 v[125:126], v[165:166], v[125:126], v[135:136]
	s_waitcnt vmcnt(25)
	v_fma_f64 v[125:126], v[163:164], v[127:128], v[125:126]
	s_waitcnt vmcnt(24) lgkmcnt(0)
	v_fma_f64 v[125:126], v[141:142], v[129:130], v[125:126]
	s_waitcnt vmcnt(19)
	v_fma_f64 v[135:136], v[137:138], v[131:132], v[125:126]
	ds_read2_b64 v[125:128], v124 offset0:113 offset1:114
	ds_read2_b64 v[129:132], v124 offset0:115 offset1:116
	s_waitcnt vmcnt(18) lgkmcnt(1)
	v_fma_f64 v[125:126], v[153:154], v[125:126], v[135:136]
	s_waitcnt vmcnt(17)
	v_fma_f64 v[125:126], v[143:144], v[127:128], v[125:126]
	s_waitcnt vmcnt(16) lgkmcnt(0)
	v_fma_f64 v[125:126], v[139:140], v[129:130], v[125:126]
	s_waitcnt vmcnt(11)
	v_fma_f64 v[135:136], v[145:146], v[131:132], v[125:126]
	ds_read2_b64 v[125:128], v124 offset0:117 offset1:118
	;; [unrolled: 10-line block ×3, first 2 shown]
	s_waitcnt vmcnt(3) lgkmcnt(0)
	v_fma_f64 v[124:125], v[155:156], v[124:125], v[128:129]
	s_waitcnt vmcnt(2)
	v_fma_f64 v[124:125], v[151:152], v[126:127], v[124:125]
	s_waitcnt vmcnt(0)
	v_add_f64 v[124:125], v[157:158], -v[124:125]
	buffer_store_dword v125, off, s[0:3], 0 offset:84
	buffer_store_dword v124, off, s[0:3], 0 offset:80
	v_cmpx_lt_u32_e32 9, v0
	s_cbranch_execz .LBB60_357
; %bb.356:
	s_clause 0x1
	buffer_load_dword v124, off, s[0:3], 0 offset:72
	buffer_load_dword v125, off, s[0:3], 0 offset:76
	v_mov_b32_e32 v126, 0
	buffer_store_dword v126, off, s[0:3], 0 offset:72
	buffer_store_dword v126, off, s[0:3], 0 offset:76
	s_waitcnt vmcnt(0)
	ds_write_b64 v123, v[124:125]
.LBB60_357:
	s_or_b32 exec_lo, exec_lo, s4
	s_waitcnt lgkmcnt(0)
	s_waitcnt_vscnt null, 0x0
	s_barrier
	buffer_gl0_inv
	s_clause 0x1c
	buffer_load_dword v133, off, s[0:3], 0 offset:80
	buffer_load_dword v134, off, s[0:3], 0 offset:84
	;; [unrolled: 1-line block ×29, first 2 shown]
	v_mov_b32_e32 v124, 0
	buffer_load_dword v158, off, s[0:3], 0 offset:196
	s_mov_b32 s4, exec_lo
	ds_read_b128 v[125:128], v124 offset:576
	ds_read_b128 v[129:132], v124 offset:592
	s_waitcnt vmcnt(28) lgkmcnt(1)
	v_fma_f64 v[125:126], v[133:134], v[125:126], 0
	s_clause 0x7
	buffer_load_dword v134, off, s[0:3], 0 offset:204
	buffer_load_dword v163, off, s[0:3], 0 offset:224
	buffer_load_dword v165, off, s[0:3], 0 offset:216
	buffer_load_dword v167, off, s[0:3], 0 offset:208
	buffer_load_dword v133, off, s[0:3], 0 offset:200
	buffer_load_dword v168, off, s[0:3], 0 offset:212
	buffer_load_dword v166, off, s[0:3], 0 offset:220
	buffer_load_dword v164, off, s[0:3], 0 offset:228
	s_waitcnt vmcnt(34)
	v_fma_f64 v[125:126], v[135:136], v[127:128], v[125:126]
	s_waitcnt vmcnt(32) lgkmcnt(0)
	v_fma_f64 v[125:126], v[137:138], v[129:130], v[125:126]
	s_waitcnt vmcnt(30)
	v_fma_f64 v[135:136], v[139:140], v[131:132], v[125:126]
	ds_read_b128 v[125:128], v124 offset:608
	ds_read_b128 v[129:132], v124 offset:624
	s_waitcnt vmcnt(28) lgkmcnt(1)
	v_fma_f64 v[125:126], v[141:142], v[125:126], v[135:136]
	s_clause 0x7
	buffer_load_dword v136, off, s[0:3], 0 offset:236
	buffer_load_dword v137, off, s[0:3], 0 offset:256
	buffer_load_dword v139, off, s[0:3], 0 offset:248
	buffer_load_dword v141, off, s[0:3], 0 offset:240
	buffer_load_dword v135, off, s[0:3], 0 offset:232
	buffer_load_dword v142, off, s[0:3], 0 offset:244
	buffer_load_dword v140, off, s[0:3], 0 offset:252
	buffer_load_dword v138, off, s[0:3], 0 offset:260
	s_waitcnt vmcnt(34)
	v_fma_f64 v[125:126], v[143:144], v[127:128], v[125:126]
	s_waitcnt vmcnt(32) lgkmcnt(0)
	v_fma_f64 v[125:126], v[145:146], v[129:130], v[125:126]
	s_waitcnt vmcnt(27)
	v_fma_f64 v[143:144], v[147:148], v[131:132], v[125:126]
	;; [unrolled: 19-line block ×9, first 2 shown]
	ds_read_b128 v[125:128], v124 offset:864
	ds_read_b128 v[129:132], v124 offset:880
	s_waitcnt vmcnt(26) lgkmcnt(1)
	v_fma_f64 v[125:126], v[165:166], v[125:126], v[135:136]
	s_clause 0x1
	buffer_load_dword v135, off, s[0:3], 0 offset:72
	buffer_load_dword v136, off, s[0:3], 0 offset:76
	s_waitcnt vmcnt(27)
	v_fma_f64 v[125:126], v[163:164], v[127:128], v[125:126]
	s_waitcnt vmcnt(26) lgkmcnt(0)
	v_fma_f64 v[125:126], v[141:142], v[129:130], v[125:126]
	s_waitcnt vmcnt(21)
	v_fma_f64 v[137:138], v[137:138], v[131:132], v[125:126]
	ds_read_b128 v[125:128], v124 offset:896
	ds_read_b128 v[129:132], v124 offset:912
	s_waitcnt vmcnt(20) lgkmcnt(1)
	v_fma_f64 v[125:126], v[153:154], v[125:126], v[137:138]
	s_waitcnt vmcnt(19)
	v_fma_f64 v[125:126], v[143:144], v[127:128], v[125:126]
	s_waitcnt vmcnt(18) lgkmcnt(0)
	v_fma_f64 v[125:126], v[139:140], v[129:130], v[125:126]
	s_waitcnt vmcnt(13)
	v_fma_f64 v[137:138], v[145:146], v[131:132], v[125:126]
	ds_read_b128 v[125:128], v124 offset:928
	ds_read_b128 v[129:132], v124 offset:944
	s_waitcnt vmcnt(12) lgkmcnt(1)
	v_fma_f64 v[125:126], v[161:162], v[125:126], v[137:138]
	s_waitcnt vmcnt(11)
	v_fma_f64 v[125:126], v[149:150], v[127:128], v[125:126]
	s_waitcnt vmcnt(10) lgkmcnt(0)
	v_fma_f64 v[125:126], v[147:148], v[129:130], v[125:126]
	s_waitcnt vmcnt(5)
	v_fma_f64 v[129:130], v[133:134], v[131:132], v[125:126]
	ds_read_b128 v[125:128], v124 offset:960
	ds_read_b64 v[131:132], v124 offset:976
	s_waitcnt vmcnt(4) lgkmcnt(1)
	v_fma_f64 v[125:126], v[167:168], v[125:126], v[129:130]
	s_waitcnt vmcnt(3)
	v_fma_f64 v[125:126], v[155:156], v[127:128], v[125:126]
	s_waitcnt vmcnt(2) lgkmcnt(0)
	v_fma_f64 v[125:126], v[151:152], v[131:132], v[125:126]
	s_waitcnt vmcnt(0)
	v_add_f64 v[125:126], v[135:136], -v[125:126]
	buffer_store_dword v126, off, s[0:3], 0 offset:76
	buffer_store_dword v125, off, s[0:3], 0 offset:72
	v_cmpx_lt_u32_e32 8, v0
	s_cbranch_execz .LBB60_359
; %bb.358:
	s_clause 0x1
	buffer_load_dword v125, off, s[0:3], 0 offset:64
	buffer_load_dword v126, off, s[0:3], 0 offset:68
	buffer_store_dword v124, off, s[0:3], 0 offset:64
	buffer_store_dword v124, off, s[0:3], 0 offset:68
	s_waitcnt vmcnt(0)
	ds_write_b64 v123, v[125:126]
.LBB60_359:
	s_or_b32 exec_lo, exec_lo, s4
	s_waitcnt lgkmcnt(0)
	s_waitcnt_vscnt null, 0x0
	s_barrier
	buffer_gl0_inv
	s_clause 0x1c
	buffer_load_dword v133, off, s[0:3], 0 offset:72
	buffer_load_dword v134, off, s[0:3], 0 offset:76
	;; [unrolled: 1-line block ×29, first 2 shown]
	ds_read2_b64 v[125:128], v124 offset0:71 offset1:72
	ds_read2_b64 v[129:132], v124 offset0:73 offset1:74
	buffer_load_dword v158, off, s[0:3], 0 offset:188
	s_mov_b32 s4, exec_lo
	s_waitcnt vmcnt(28) lgkmcnt(1)
	v_fma_f64 v[125:126], v[133:134], v[125:126], 0
	s_clause 0x7
	buffer_load_dword v134, off, s[0:3], 0 offset:196
	buffer_load_dword v163, off, s[0:3], 0 offset:216
	buffer_load_dword v165, off, s[0:3], 0 offset:208
	buffer_load_dword v167, off, s[0:3], 0 offset:200
	buffer_load_dword v133, off, s[0:3], 0 offset:192
	buffer_load_dword v168, off, s[0:3], 0 offset:204
	buffer_load_dword v166, off, s[0:3], 0 offset:212
	buffer_load_dword v164, off, s[0:3], 0 offset:220
	s_waitcnt vmcnt(34)
	v_fma_f64 v[125:126], v[135:136], v[127:128], v[125:126]
	s_waitcnt vmcnt(32) lgkmcnt(0)
	v_fma_f64 v[125:126], v[137:138], v[129:130], v[125:126]
	s_waitcnt vmcnt(30)
	v_fma_f64 v[135:136], v[139:140], v[131:132], v[125:126]
	ds_read2_b64 v[125:128], v124 offset0:75 offset1:76
	ds_read2_b64 v[129:132], v124 offset0:77 offset1:78
	s_waitcnt vmcnt(28) lgkmcnt(1)
	v_fma_f64 v[125:126], v[141:142], v[125:126], v[135:136]
	s_clause 0x7
	buffer_load_dword v136, off, s[0:3], 0 offset:228
	buffer_load_dword v137, off, s[0:3], 0 offset:248
	buffer_load_dword v139, off, s[0:3], 0 offset:240
	buffer_load_dword v141, off, s[0:3], 0 offset:232
	buffer_load_dword v135, off, s[0:3], 0 offset:224
	buffer_load_dword v142, off, s[0:3], 0 offset:236
	buffer_load_dword v140, off, s[0:3], 0 offset:244
	buffer_load_dword v138, off, s[0:3], 0 offset:252
	s_waitcnt vmcnt(34)
	v_fma_f64 v[125:126], v[143:144], v[127:128], v[125:126]
	s_waitcnt vmcnt(32) lgkmcnt(0)
	v_fma_f64 v[125:126], v[145:146], v[129:130], v[125:126]
	s_waitcnt vmcnt(27)
	v_fma_f64 v[143:144], v[147:148], v[131:132], v[125:126]
	ds_read2_b64 v[125:128], v124 offset0:79 offset1:80
	ds_read2_b64 v[129:132], v124 offset0:81 offset1:82
	;; [unrolled: 19-line block ×9, first 2 shown]
	s_waitcnt vmcnt(26) lgkmcnt(1)
	v_fma_f64 v[125:126], v[165:166], v[125:126], v[135:136]
	s_clause 0x3
	buffer_load_dword v136, off, s[0:3], 0 offset:484
	buffer_load_dword v135, off, s[0:3], 0 offset:480
	;; [unrolled: 1-line block ×4, first 2 shown]
	s_waitcnt vmcnt(29)
	v_fma_f64 v[125:126], v[163:164], v[127:128], v[125:126]
	s_waitcnt vmcnt(28) lgkmcnt(0)
	v_fma_f64 v[125:126], v[141:142], v[129:130], v[125:126]
	s_waitcnt vmcnt(23)
	v_fma_f64 v[137:138], v[137:138], v[131:132], v[125:126]
	ds_read2_b64 v[125:128], v124 offset0:111 offset1:112
	ds_read2_b64 v[129:132], v124 offset0:113 offset1:114
	s_waitcnt vmcnt(22) lgkmcnt(1)
	v_fma_f64 v[125:126], v[153:154], v[125:126], v[137:138]
	s_waitcnt vmcnt(21)
	v_fma_f64 v[125:126], v[143:144], v[127:128], v[125:126]
	s_waitcnt vmcnt(20) lgkmcnt(0)
	v_fma_f64 v[125:126], v[139:140], v[129:130], v[125:126]
	s_waitcnt vmcnt(15)
	v_fma_f64 v[137:138], v[145:146], v[131:132], v[125:126]
	ds_read2_b64 v[125:128], v124 offset0:115 offset1:116
	ds_read2_b64 v[129:132], v124 offset0:117 offset1:118
	s_waitcnt vmcnt(14) lgkmcnt(1)
	v_fma_f64 v[125:126], v[161:162], v[125:126], v[137:138]
	;; [unrolled: 10-line block ×3, first 2 shown]
	s_waitcnt vmcnt(5)
	v_fma_f64 v[124:125], v[155:156], v[127:128], v[124:125]
	s_waitcnt vmcnt(4) lgkmcnt(0)
	v_fma_f64 v[124:125], v[151:152], v[129:130], v[124:125]
	s_waitcnt vmcnt(2)
	v_fma_f64 v[124:125], v[135:136], v[131:132], v[124:125]
	s_waitcnt vmcnt(0)
	v_add_f64 v[124:125], v[157:158], -v[124:125]
	buffer_store_dword v125, off, s[0:3], 0 offset:68
	buffer_store_dword v124, off, s[0:3], 0 offset:64
	v_cmpx_lt_u32_e32 7, v0
	s_cbranch_execz .LBB60_361
; %bb.360:
	s_clause 0x1
	buffer_load_dword v124, off, s[0:3], 0 offset:56
	buffer_load_dword v125, off, s[0:3], 0 offset:60
	v_mov_b32_e32 v126, 0
	buffer_store_dword v126, off, s[0:3], 0 offset:56
	buffer_store_dword v126, off, s[0:3], 0 offset:60
	s_waitcnt vmcnt(0)
	ds_write_b64 v123, v[124:125]
.LBB60_361:
	s_or_b32 exec_lo, exec_lo, s4
	s_waitcnt lgkmcnt(0)
	s_waitcnt_vscnt null, 0x0
	s_barrier
	buffer_gl0_inv
	s_clause 0x1c
	buffer_load_dword v133, off, s[0:3], 0 offset:64
	buffer_load_dword v134, off, s[0:3], 0 offset:68
	buffer_load_dword v135, off, s[0:3], 0 offset:72
	buffer_load_dword v136, off, s[0:3], 0 offset:76
	buffer_load_dword v137, off, s[0:3], 0 offset:80
	buffer_load_dword v138, off, s[0:3], 0 offset:84
	buffer_load_dword v139, off, s[0:3], 0 offset:88
	buffer_load_dword v140, off, s[0:3], 0 offset:92
	buffer_load_dword v141, off, s[0:3], 0 offset:96
	buffer_load_dword v142, off, s[0:3], 0 offset:100
	buffer_load_dword v143, off, s[0:3], 0 offset:104
	buffer_load_dword v144, off, s[0:3], 0 offset:108
	buffer_load_dword v145, off, s[0:3], 0 offset:112
	buffer_load_dword v146, off, s[0:3], 0 offset:116
	buffer_load_dword v148, off, s[0:3], 0 offset:124
	buffer_load_dword v149, off, s[0:3], 0 offset:144
	buffer_load_dword v151, off, s[0:3], 0 offset:136
	buffer_load_dword v153, off, s[0:3], 0 offset:128
	buffer_load_dword v147, off, s[0:3], 0 offset:120
	buffer_load_dword v154, off, s[0:3], 0 offset:132
	buffer_load_dword v152, off, s[0:3], 0 offset:140
	buffer_load_dword v150, off, s[0:3], 0 offset:148
	buffer_load_dword v156, off, s[0:3], 0 offset:156
	buffer_load_dword v157, off, s[0:3], 0 offset:176
	buffer_load_dword v159, off, s[0:3], 0 offset:168
	buffer_load_dword v161, off, s[0:3], 0 offset:160
	buffer_load_dword v155, off, s[0:3], 0 offset:152
	buffer_load_dword v162, off, s[0:3], 0 offset:164
	buffer_load_dword v160, off, s[0:3], 0 offset:172
	v_mov_b32_e32 v124, 0
	buffer_load_dword v158, off, s[0:3], 0 offset:180
	s_mov_b32 s4, exec_lo
	ds_read_b128 v[125:128], v124 offset:560
	ds_read_b128 v[129:132], v124 offset:576
	s_waitcnt vmcnt(28) lgkmcnt(1)
	v_fma_f64 v[125:126], v[133:134], v[125:126], 0
	s_clause 0x7
	buffer_load_dword v134, off, s[0:3], 0 offset:188
	buffer_load_dword v163, off, s[0:3], 0 offset:208
	buffer_load_dword v165, off, s[0:3], 0 offset:200
	buffer_load_dword v167, off, s[0:3], 0 offset:192
	buffer_load_dword v133, off, s[0:3], 0 offset:184
	buffer_load_dword v168, off, s[0:3], 0 offset:196
	buffer_load_dword v166, off, s[0:3], 0 offset:204
	buffer_load_dword v164, off, s[0:3], 0 offset:212
	s_waitcnt vmcnt(34)
	v_fma_f64 v[125:126], v[135:136], v[127:128], v[125:126]
	s_waitcnt vmcnt(32) lgkmcnt(0)
	v_fma_f64 v[125:126], v[137:138], v[129:130], v[125:126]
	s_waitcnt vmcnt(30)
	v_fma_f64 v[135:136], v[139:140], v[131:132], v[125:126]
	ds_read_b128 v[125:128], v124 offset:592
	ds_read_b128 v[129:132], v124 offset:608
	s_waitcnt vmcnt(28) lgkmcnt(1)
	v_fma_f64 v[125:126], v[141:142], v[125:126], v[135:136]
	s_clause 0x7
	buffer_load_dword v136, off, s[0:3], 0 offset:220
	buffer_load_dword v137, off, s[0:3], 0 offset:240
	buffer_load_dword v139, off, s[0:3], 0 offset:232
	buffer_load_dword v141, off, s[0:3], 0 offset:224
	buffer_load_dword v135, off, s[0:3], 0 offset:216
	buffer_load_dword v142, off, s[0:3], 0 offset:228
	buffer_load_dword v140, off, s[0:3], 0 offset:236
	buffer_load_dword v138, off, s[0:3], 0 offset:244
	s_waitcnt vmcnt(34)
	v_fma_f64 v[125:126], v[143:144], v[127:128], v[125:126]
	s_waitcnt vmcnt(32) lgkmcnt(0)
	v_fma_f64 v[125:126], v[145:146], v[129:130], v[125:126]
	s_waitcnt vmcnt(27)
	v_fma_f64 v[143:144], v[147:148], v[131:132], v[125:126]
	;; [unrolled: 19-line block ×9, first 2 shown]
	ds_read_b128 v[125:128], v124 offset:848
	ds_read_b128 v[129:132], v124 offset:864
	s_waitcnt vmcnt(26) lgkmcnt(1)
	v_fma_f64 v[125:126], v[165:166], v[125:126], v[135:136]
	s_clause 0x3
	buffer_load_dword v136, off, s[0:3], 0 offset:476
	buffer_load_dword v157, off, s[0:3], 0 offset:480
	;; [unrolled: 1-line block ×4, first 2 shown]
	s_waitcnt vmcnt(29)
	v_fma_f64 v[125:126], v[163:164], v[127:128], v[125:126]
	s_waitcnt vmcnt(28) lgkmcnt(0)
	v_fma_f64 v[125:126], v[141:142], v[129:130], v[125:126]
	s_clause 0x1
	buffer_load_dword v141, off, s[0:3], 0 offset:56
	buffer_load_dword v142, off, s[0:3], 0 offset:60
	s_waitcnt vmcnt(25)
	v_fma_f64 v[137:138], v[137:138], v[131:132], v[125:126]
	ds_read_b128 v[125:128], v124 offset:880
	ds_read_b128 v[129:132], v124 offset:896
	s_waitcnt vmcnt(24) lgkmcnt(1)
	v_fma_f64 v[125:126], v[153:154], v[125:126], v[137:138]
	s_waitcnt vmcnt(23)
	v_fma_f64 v[125:126], v[143:144], v[127:128], v[125:126]
	s_waitcnt vmcnt(22) lgkmcnt(0)
	v_fma_f64 v[125:126], v[139:140], v[129:130], v[125:126]
	s_waitcnt vmcnt(17)
	v_fma_f64 v[137:138], v[145:146], v[131:132], v[125:126]
	ds_read_b128 v[125:128], v124 offset:912
	ds_read_b128 v[129:132], v124 offset:928
	s_waitcnt vmcnt(16) lgkmcnt(1)
	v_fma_f64 v[125:126], v[161:162], v[125:126], v[137:138]
	s_waitcnt vmcnt(15)
	v_fma_f64 v[125:126], v[149:150], v[127:128], v[125:126]
	s_waitcnt vmcnt(14) lgkmcnt(0)
	v_fma_f64 v[125:126], v[147:148], v[129:130], v[125:126]
	s_waitcnt vmcnt(9)
	v_fma_f64 v[133:134], v[133:134], v[131:132], v[125:126]
	ds_read_b128 v[125:128], v124 offset:944
	ds_read_b128 v[129:132], v124 offset:960
	s_waitcnt vmcnt(8) lgkmcnt(1)
	v_fma_f64 v[125:126], v[167:168], v[125:126], v[133:134]
	s_waitcnt vmcnt(7)
	v_fma_f64 v[125:126], v[155:156], v[127:128], v[125:126]
	ds_read_b64 v[127:128], v124 offset:976
	s_waitcnt vmcnt(6) lgkmcnt(1)
	v_fma_f64 v[125:126], v[151:152], v[129:130], v[125:126]
	s_waitcnt vmcnt(3)
	v_fma_f64 v[125:126], v[135:136], v[131:132], v[125:126]
	s_waitcnt vmcnt(2) lgkmcnt(0)
	v_fma_f64 v[125:126], v[157:158], v[127:128], v[125:126]
	s_waitcnt vmcnt(0)
	v_add_f64 v[125:126], v[141:142], -v[125:126]
	buffer_store_dword v126, off, s[0:3], 0 offset:60
	buffer_store_dword v125, off, s[0:3], 0 offset:56
	v_cmpx_lt_u32_e32 6, v0
	s_cbranch_execz .LBB60_363
; %bb.362:
	s_clause 0x1
	buffer_load_dword v125, off, s[0:3], 0 offset:48
	buffer_load_dword v126, off, s[0:3], 0 offset:52
	buffer_store_dword v124, off, s[0:3], 0 offset:48
	buffer_store_dword v124, off, s[0:3], 0 offset:52
	s_waitcnt vmcnt(0)
	ds_write_b64 v123, v[125:126]
.LBB60_363:
	s_or_b32 exec_lo, exec_lo, s4
	s_waitcnt lgkmcnt(0)
	s_waitcnt_vscnt null, 0x0
	s_barrier
	buffer_gl0_inv
	s_clause 0x1c
	buffer_load_dword v133, off, s[0:3], 0 offset:56
	buffer_load_dword v134, off, s[0:3], 0 offset:60
	;; [unrolled: 1-line block ×29, first 2 shown]
	ds_read2_b64 v[125:128], v124 offset0:69 offset1:70
	ds_read2_b64 v[129:132], v124 offset0:71 offset1:72
	buffer_load_dword v158, off, s[0:3], 0 offset:172
	s_mov_b32 s4, exec_lo
	s_waitcnt vmcnt(28) lgkmcnt(1)
	v_fma_f64 v[125:126], v[133:134], v[125:126], 0
	s_clause 0x7
	buffer_load_dword v134, off, s[0:3], 0 offset:180
	buffer_load_dword v163, off, s[0:3], 0 offset:200
	buffer_load_dword v165, off, s[0:3], 0 offset:192
	buffer_load_dword v167, off, s[0:3], 0 offset:184
	buffer_load_dword v133, off, s[0:3], 0 offset:176
	buffer_load_dword v168, off, s[0:3], 0 offset:188
	buffer_load_dword v166, off, s[0:3], 0 offset:196
	buffer_load_dword v164, off, s[0:3], 0 offset:204
	s_waitcnt vmcnt(34)
	v_fma_f64 v[125:126], v[135:136], v[127:128], v[125:126]
	s_waitcnt vmcnt(32) lgkmcnt(0)
	v_fma_f64 v[125:126], v[137:138], v[129:130], v[125:126]
	s_waitcnt vmcnt(30)
	v_fma_f64 v[135:136], v[139:140], v[131:132], v[125:126]
	ds_read2_b64 v[125:128], v124 offset0:73 offset1:74
	ds_read2_b64 v[129:132], v124 offset0:75 offset1:76
	s_waitcnt vmcnt(28) lgkmcnt(1)
	v_fma_f64 v[125:126], v[141:142], v[125:126], v[135:136]
	s_clause 0x7
	buffer_load_dword v136, off, s[0:3], 0 offset:212
	buffer_load_dword v137, off, s[0:3], 0 offset:232
	buffer_load_dword v139, off, s[0:3], 0 offset:224
	buffer_load_dword v141, off, s[0:3], 0 offset:216
	buffer_load_dword v135, off, s[0:3], 0 offset:208
	buffer_load_dword v142, off, s[0:3], 0 offset:220
	buffer_load_dword v140, off, s[0:3], 0 offset:228
	buffer_load_dword v138, off, s[0:3], 0 offset:236
	s_waitcnt vmcnt(34)
	v_fma_f64 v[125:126], v[143:144], v[127:128], v[125:126]
	s_waitcnt vmcnt(32) lgkmcnt(0)
	v_fma_f64 v[125:126], v[145:146], v[129:130], v[125:126]
	s_waitcnt vmcnt(27)
	v_fma_f64 v[143:144], v[147:148], v[131:132], v[125:126]
	ds_read2_b64 v[125:128], v124 offset0:77 offset1:78
	ds_read2_b64 v[129:132], v124 offset0:79 offset1:80
	;; [unrolled: 19-line block ×9, first 2 shown]
	s_waitcnt vmcnt(26) lgkmcnt(1)
	v_fma_f64 v[125:126], v[165:166], v[125:126], v[135:136]
	s_clause 0x5
	buffer_load_dword v136, off, s[0:3], 0 offset:468
	buffer_load_dword v157, off, s[0:3], 0 offset:480
	;; [unrolled: 1-line block ×6, first 2 shown]
	s_waitcnt vmcnt(31)
	v_fma_f64 v[125:126], v[163:164], v[127:128], v[125:126]
	s_waitcnt vmcnt(30) lgkmcnt(0)
	v_fma_f64 v[125:126], v[141:142], v[129:130], v[125:126]
	s_waitcnt vmcnt(25)
	v_fma_f64 v[137:138], v[137:138], v[131:132], v[125:126]
	ds_read2_b64 v[125:128], v124 offset0:109 offset1:110
	s_clause 0x1
	buffer_load_dword v141, off, s[0:3], 0 offset:48
	buffer_load_dword v142, off, s[0:3], 0 offset:52
	ds_read2_b64 v[129:132], v124 offset0:111 offset1:112
	s_waitcnt vmcnt(26) lgkmcnt(1)
	v_fma_f64 v[125:126], v[153:154], v[125:126], v[137:138]
	s_waitcnt vmcnt(25)
	v_fma_f64 v[125:126], v[143:144], v[127:128], v[125:126]
	s_waitcnt vmcnt(24) lgkmcnt(0)
	v_fma_f64 v[125:126], v[139:140], v[129:130], v[125:126]
	s_waitcnt vmcnt(19)
	v_fma_f64 v[137:138], v[145:146], v[131:132], v[125:126]
	ds_read2_b64 v[125:128], v124 offset0:113 offset1:114
	ds_read2_b64 v[129:132], v124 offset0:115 offset1:116
	s_waitcnt vmcnt(18) lgkmcnt(1)
	v_fma_f64 v[125:126], v[161:162], v[125:126], v[137:138]
	s_waitcnt vmcnt(17)
	v_fma_f64 v[125:126], v[149:150], v[127:128], v[125:126]
	s_waitcnt vmcnt(16) lgkmcnt(0)
	v_fma_f64 v[125:126], v[147:148], v[129:130], v[125:126]
	s_waitcnt vmcnt(11)
	v_fma_f64 v[133:134], v[133:134], v[131:132], v[125:126]
	ds_read2_b64 v[125:128], v124 offset0:117 offset1:118
	;; [unrolled: 10-line block ×3, first 2 shown]
	s_waitcnt vmcnt(3) lgkmcnt(0)
	v_fma_f64 v[124:125], v[159:160], v[124:125], v[128:129]
	s_waitcnt vmcnt(2)
	v_fma_f64 v[124:125], v[157:158], v[126:127], v[124:125]
	s_waitcnt vmcnt(0)
	v_add_f64 v[124:125], v[141:142], -v[124:125]
	buffer_store_dword v125, off, s[0:3], 0 offset:52
	buffer_store_dword v124, off, s[0:3], 0 offset:48
	v_cmpx_lt_u32_e32 5, v0
	s_cbranch_execz .LBB60_365
; %bb.364:
	s_clause 0x1
	buffer_load_dword v124, off, s[0:3], 0 offset:40
	buffer_load_dword v125, off, s[0:3], 0 offset:44
	v_mov_b32_e32 v126, 0
	buffer_store_dword v126, off, s[0:3], 0 offset:40
	buffer_store_dword v126, off, s[0:3], 0 offset:44
	s_waitcnt vmcnt(0)
	ds_write_b64 v123, v[124:125]
.LBB60_365:
	s_or_b32 exec_lo, exec_lo, s4
	s_waitcnt lgkmcnt(0)
	s_waitcnt_vscnt null, 0x0
	s_barrier
	buffer_gl0_inv
	s_clause 0x1c
	buffer_load_dword v133, off, s[0:3], 0 offset:48
	buffer_load_dword v134, off, s[0:3], 0 offset:52
	;; [unrolled: 1-line block ×29, first 2 shown]
	v_mov_b32_e32 v124, 0
	buffer_load_dword v158, off, s[0:3], 0 offset:164
	s_mov_b32 s4, exec_lo
	ds_read_b128 v[125:128], v124 offset:544
	ds_read_b128 v[129:132], v124 offset:560
	s_waitcnt vmcnt(28) lgkmcnt(1)
	v_fma_f64 v[125:126], v[133:134], v[125:126], 0
	s_clause 0x7
	buffer_load_dword v134, off, s[0:3], 0 offset:172
	buffer_load_dword v163, off, s[0:3], 0 offset:192
	buffer_load_dword v165, off, s[0:3], 0 offset:184
	buffer_load_dword v167, off, s[0:3], 0 offset:176
	buffer_load_dword v133, off, s[0:3], 0 offset:168
	buffer_load_dword v168, off, s[0:3], 0 offset:180
	buffer_load_dword v166, off, s[0:3], 0 offset:188
	buffer_load_dword v164, off, s[0:3], 0 offset:196
	s_waitcnt vmcnt(34)
	v_fma_f64 v[125:126], v[135:136], v[127:128], v[125:126]
	s_waitcnt vmcnt(32) lgkmcnt(0)
	v_fma_f64 v[125:126], v[137:138], v[129:130], v[125:126]
	s_waitcnt vmcnt(30)
	v_fma_f64 v[135:136], v[139:140], v[131:132], v[125:126]
	ds_read_b128 v[125:128], v124 offset:576
	ds_read_b128 v[129:132], v124 offset:592
	s_waitcnt vmcnt(28) lgkmcnt(1)
	v_fma_f64 v[125:126], v[141:142], v[125:126], v[135:136]
	s_clause 0x7
	buffer_load_dword v136, off, s[0:3], 0 offset:204
	buffer_load_dword v137, off, s[0:3], 0 offset:224
	buffer_load_dword v139, off, s[0:3], 0 offset:216
	buffer_load_dword v141, off, s[0:3], 0 offset:208
	buffer_load_dword v135, off, s[0:3], 0 offset:200
	buffer_load_dword v142, off, s[0:3], 0 offset:212
	buffer_load_dword v140, off, s[0:3], 0 offset:220
	buffer_load_dword v138, off, s[0:3], 0 offset:228
	s_waitcnt vmcnt(34)
	v_fma_f64 v[125:126], v[143:144], v[127:128], v[125:126]
	s_waitcnt vmcnt(32) lgkmcnt(0)
	v_fma_f64 v[125:126], v[145:146], v[129:130], v[125:126]
	s_waitcnt vmcnt(27)
	v_fma_f64 v[143:144], v[147:148], v[131:132], v[125:126]
	;; [unrolled: 19-line block ×10, first 2 shown]
	ds_read_b128 v[125:128], v124 offset:864
	ds_read_b128 v[129:132], v124 offset:880
	s_waitcnt vmcnt(26) lgkmcnt(1)
	v_fma_f64 v[125:126], v[153:154], v[125:126], v[137:138]
	s_clause 0x1
	buffer_load_dword v137, off, s[0:3], 0 offset:40
	buffer_load_dword v138, off, s[0:3], 0 offset:44
	s_waitcnt vmcnt(27)
	v_fma_f64 v[125:126], v[143:144], v[127:128], v[125:126]
	s_waitcnt vmcnt(26) lgkmcnt(0)
	v_fma_f64 v[125:126], v[139:140], v[129:130], v[125:126]
	s_waitcnt vmcnt(21)
	v_fma_f64 v[139:140], v[145:146], v[131:132], v[125:126]
	ds_read_b128 v[125:128], v124 offset:896
	ds_read_b128 v[129:132], v124 offset:912
	s_waitcnt vmcnt(20) lgkmcnt(1)
	v_fma_f64 v[125:126], v[161:162], v[125:126], v[139:140]
	s_waitcnt vmcnt(19)
	v_fma_f64 v[125:126], v[149:150], v[127:128], v[125:126]
	s_waitcnt vmcnt(18) lgkmcnt(0)
	v_fma_f64 v[125:126], v[147:148], v[129:130], v[125:126]
	s_waitcnt vmcnt(13)
	v_fma_f64 v[133:134], v[133:134], v[131:132], v[125:126]
	ds_read_b128 v[125:128], v124 offset:928
	ds_read_b128 v[129:132], v124 offset:944
	s_waitcnt vmcnt(12) lgkmcnt(1)
	v_fma_f64 v[125:126], v[167:168], v[125:126], v[133:134]
	s_waitcnt vmcnt(11)
	v_fma_f64 v[125:126], v[155:156], v[127:128], v[125:126]
	s_waitcnt vmcnt(10) lgkmcnt(0)
	v_fma_f64 v[125:126], v[151:152], v[129:130], v[125:126]
	s_waitcnt vmcnt(5)
	v_fma_f64 v[129:130], v[135:136], v[131:132], v[125:126]
	ds_read_b128 v[125:128], v124 offset:960
	ds_read_b64 v[131:132], v124 offset:976
	s_waitcnt vmcnt(4) lgkmcnt(1)
	v_fma_f64 v[125:126], v[165:166], v[125:126], v[129:130]
	s_waitcnt vmcnt(3)
	v_fma_f64 v[125:126], v[159:160], v[127:128], v[125:126]
	s_waitcnt vmcnt(2) lgkmcnt(0)
	v_fma_f64 v[125:126], v[157:158], v[131:132], v[125:126]
	s_waitcnt vmcnt(0)
	v_add_f64 v[125:126], v[137:138], -v[125:126]
	buffer_store_dword v126, off, s[0:3], 0 offset:44
	buffer_store_dword v125, off, s[0:3], 0 offset:40
	v_cmpx_lt_u32_e32 4, v0
	s_cbranch_execz .LBB60_367
; %bb.366:
	s_clause 0x1
	buffer_load_dword v125, off, s[0:3], 0 offset:32
	buffer_load_dword v126, off, s[0:3], 0 offset:36
	buffer_store_dword v124, off, s[0:3], 0 offset:32
	buffer_store_dword v124, off, s[0:3], 0 offset:36
	s_waitcnt vmcnt(0)
	ds_write_b64 v123, v[125:126]
.LBB60_367:
	s_or_b32 exec_lo, exec_lo, s4
	s_waitcnt lgkmcnt(0)
	s_waitcnt_vscnt null, 0x0
	s_barrier
	buffer_gl0_inv
	s_clause 0x1c
	buffer_load_dword v133, off, s[0:3], 0 offset:40
	buffer_load_dword v134, off, s[0:3], 0 offset:44
	;; [unrolled: 1-line block ×29, first 2 shown]
	ds_read2_b64 v[125:128], v124 offset0:67 offset1:68
	ds_read2_b64 v[129:132], v124 offset0:69 offset1:70
	buffer_load_dword v158, off, s[0:3], 0 offset:156
	s_mov_b32 s4, exec_lo
	s_waitcnt vmcnt(28) lgkmcnt(1)
	v_fma_f64 v[125:126], v[133:134], v[125:126], 0
	s_clause 0x7
	buffer_load_dword v134, off, s[0:3], 0 offset:164
	buffer_load_dword v163, off, s[0:3], 0 offset:184
	buffer_load_dword v165, off, s[0:3], 0 offset:176
	buffer_load_dword v167, off, s[0:3], 0 offset:168
	buffer_load_dword v133, off, s[0:3], 0 offset:160
	buffer_load_dword v168, off, s[0:3], 0 offset:172
	buffer_load_dword v166, off, s[0:3], 0 offset:180
	buffer_load_dword v164, off, s[0:3], 0 offset:188
	s_waitcnt vmcnt(34)
	v_fma_f64 v[125:126], v[135:136], v[127:128], v[125:126]
	s_waitcnt vmcnt(32) lgkmcnt(0)
	v_fma_f64 v[125:126], v[137:138], v[129:130], v[125:126]
	s_waitcnt vmcnt(30)
	v_fma_f64 v[135:136], v[139:140], v[131:132], v[125:126]
	ds_read2_b64 v[125:128], v124 offset0:71 offset1:72
	ds_read2_b64 v[129:132], v124 offset0:73 offset1:74
	s_waitcnt vmcnt(28) lgkmcnt(1)
	v_fma_f64 v[125:126], v[141:142], v[125:126], v[135:136]
	s_clause 0x7
	buffer_load_dword v136, off, s[0:3], 0 offset:196
	buffer_load_dword v137, off, s[0:3], 0 offset:216
	buffer_load_dword v139, off, s[0:3], 0 offset:208
	buffer_load_dword v141, off, s[0:3], 0 offset:200
	buffer_load_dword v135, off, s[0:3], 0 offset:192
	buffer_load_dword v142, off, s[0:3], 0 offset:204
	buffer_load_dword v140, off, s[0:3], 0 offset:212
	buffer_load_dword v138, off, s[0:3], 0 offset:220
	s_waitcnt vmcnt(34)
	v_fma_f64 v[125:126], v[143:144], v[127:128], v[125:126]
	s_waitcnt vmcnt(32) lgkmcnt(0)
	v_fma_f64 v[125:126], v[145:146], v[129:130], v[125:126]
	s_waitcnt vmcnt(27)
	v_fma_f64 v[143:144], v[147:148], v[131:132], v[125:126]
	ds_read2_b64 v[125:128], v124 offset0:75 offset1:76
	ds_read2_b64 v[129:132], v124 offset0:77 offset1:78
	;; [unrolled: 19-line block ×10, first 2 shown]
	s_waitcnt vmcnt(26) lgkmcnt(1)
	v_fma_f64 v[125:126], v[153:154], v[125:126], v[137:138]
	s_clause 0x3
	buffer_load_dword v138, off, s[0:3], 0 offset:484
	buffer_load_dword v137, off, s[0:3], 0 offset:480
	;; [unrolled: 1-line block ×4, first 2 shown]
	s_waitcnt vmcnt(29)
	v_fma_f64 v[125:126], v[143:144], v[127:128], v[125:126]
	s_waitcnt vmcnt(28) lgkmcnt(0)
	v_fma_f64 v[125:126], v[139:140], v[129:130], v[125:126]
	s_waitcnt vmcnt(23)
	v_fma_f64 v[139:140], v[145:146], v[131:132], v[125:126]
	ds_read2_b64 v[125:128], v124 offset0:111 offset1:112
	ds_read2_b64 v[129:132], v124 offset0:113 offset1:114
	s_waitcnt vmcnt(22) lgkmcnt(1)
	v_fma_f64 v[125:126], v[161:162], v[125:126], v[139:140]
	s_waitcnt vmcnt(21)
	v_fma_f64 v[125:126], v[149:150], v[127:128], v[125:126]
	s_waitcnt vmcnt(20) lgkmcnt(0)
	v_fma_f64 v[125:126], v[147:148], v[129:130], v[125:126]
	s_waitcnt vmcnt(15)
	v_fma_f64 v[133:134], v[133:134], v[131:132], v[125:126]
	ds_read2_b64 v[125:128], v124 offset0:115 offset1:116
	ds_read2_b64 v[129:132], v124 offset0:117 offset1:118
	s_waitcnt vmcnt(14) lgkmcnt(1)
	v_fma_f64 v[125:126], v[167:168], v[125:126], v[133:134]
	;; [unrolled: 10-line block ×3, first 2 shown]
	s_waitcnt vmcnt(5)
	v_fma_f64 v[124:125], v[159:160], v[127:128], v[124:125]
	s_waitcnt vmcnt(4) lgkmcnt(0)
	v_fma_f64 v[124:125], v[157:158], v[129:130], v[124:125]
	s_waitcnt vmcnt(2)
	v_fma_f64 v[124:125], v[137:138], v[131:132], v[124:125]
	s_waitcnt vmcnt(0)
	v_add_f64 v[124:125], v[141:142], -v[124:125]
	buffer_store_dword v125, off, s[0:3], 0 offset:36
	buffer_store_dword v124, off, s[0:3], 0 offset:32
	v_cmpx_lt_u32_e32 3, v0
	s_cbranch_execz .LBB60_369
; %bb.368:
	s_clause 0x1
	buffer_load_dword v124, off, s[0:3], 0 offset:24
	buffer_load_dword v125, off, s[0:3], 0 offset:28
	v_mov_b32_e32 v126, 0
	buffer_store_dword v126, off, s[0:3], 0 offset:24
	buffer_store_dword v126, off, s[0:3], 0 offset:28
	s_waitcnt vmcnt(0)
	ds_write_b64 v123, v[124:125]
.LBB60_369:
	s_or_b32 exec_lo, exec_lo, s4
	s_waitcnt lgkmcnt(0)
	s_waitcnt_vscnt null, 0x0
	s_barrier
	buffer_gl0_inv
	s_clause 0x1c
	buffer_load_dword v133, off, s[0:3], 0 offset:32
	buffer_load_dword v134, off, s[0:3], 0 offset:36
	;; [unrolled: 1-line block ×29, first 2 shown]
	v_mov_b32_e32 v124, 0
	buffer_load_dword v158, off, s[0:3], 0 offset:148
	s_mov_b32 s4, exec_lo
	ds_read_b128 v[125:128], v124 offset:528
	ds_read_b128 v[129:132], v124 offset:544
	s_waitcnt vmcnt(28) lgkmcnt(1)
	v_fma_f64 v[125:126], v[133:134], v[125:126], 0
	s_clause 0x7
	buffer_load_dword v134, off, s[0:3], 0 offset:156
	buffer_load_dword v163, off, s[0:3], 0 offset:176
	buffer_load_dword v165, off, s[0:3], 0 offset:168
	buffer_load_dword v167, off, s[0:3], 0 offset:160
	buffer_load_dword v133, off, s[0:3], 0 offset:152
	buffer_load_dword v168, off, s[0:3], 0 offset:164
	buffer_load_dword v166, off, s[0:3], 0 offset:172
	buffer_load_dword v164, off, s[0:3], 0 offset:180
	s_waitcnt vmcnt(34)
	v_fma_f64 v[125:126], v[135:136], v[127:128], v[125:126]
	s_waitcnt vmcnt(32) lgkmcnt(0)
	v_fma_f64 v[125:126], v[137:138], v[129:130], v[125:126]
	s_waitcnt vmcnt(30)
	v_fma_f64 v[135:136], v[139:140], v[131:132], v[125:126]
	ds_read_b128 v[125:128], v124 offset:560
	ds_read_b128 v[129:132], v124 offset:576
	s_waitcnt vmcnt(28) lgkmcnt(1)
	v_fma_f64 v[125:126], v[141:142], v[125:126], v[135:136]
	s_clause 0x7
	buffer_load_dword v136, off, s[0:3], 0 offset:188
	buffer_load_dword v137, off, s[0:3], 0 offset:208
	buffer_load_dword v139, off, s[0:3], 0 offset:200
	buffer_load_dword v141, off, s[0:3], 0 offset:192
	buffer_load_dword v135, off, s[0:3], 0 offset:184
	buffer_load_dword v142, off, s[0:3], 0 offset:196
	buffer_load_dword v140, off, s[0:3], 0 offset:204
	buffer_load_dword v138, off, s[0:3], 0 offset:212
	s_waitcnt vmcnt(34)
	v_fma_f64 v[125:126], v[143:144], v[127:128], v[125:126]
	s_waitcnt vmcnt(32) lgkmcnt(0)
	v_fma_f64 v[125:126], v[145:146], v[129:130], v[125:126]
	s_waitcnt vmcnt(27)
	v_fma_f64 v[143:144], v[147:148], v[131:132], v[125:126]
	;; [unrolled: 19-line block ×10, first 2 shown]
	ds_read_b128 v[125:128], v124 offset:848
	ds_read_b128 v[129:132], v124 offset:864
	s_waitcnt vmcnt(26) lgkmcnt(1)
	v_fma_f64 v[125:126], v[153:154], v[125:126], v[137:138]
	s_clause 0x3
	buffer_load_dword v138, off, s[0:3], 0 offset:476
	buffer_load_dword v141, off, s[0:3], 0 offset:480
	buffer_load_dword v137, off, s[0:3], 0 offset:472
	buffer_load_dword v142, off, s[0:3], 0 offset:484
	s_waitcnt vmcnt(29)
	v_fma_f64 v[125:126], v[143:144], v[127:128], v[125:126]
	s_waitcnt vmcnt(28) lgkmcnt(0)
	v_fma_f64 v[125:126], v[139:140], v[129:130], v[125:126]
	s_clause 0x1
	buffer_load_dword v139, off, s[0:3], 0 offset:24
	buffer_load_dword v140, off, s[0:3], 0 offset:28
	s_waitcnt vmcnt(25)
	v_fma_f64 v[143:144], v[145:146], v[131:132], v[125:126]
	ds_read_b128 v[125:128], v124 offset:880
	ds_read_b128 v[129:132], v124 offset:896
	s_waitcnt vmcnt(24) lgkmcnt(1)
	v_fma_f64 v[125:126], v[161:162], v[125:126], v[143:144]
	s_waitcnt vmcnt(23)
	v_fma_f64 v[125:126], v[149:150], v[127:128], v[125:126]
	s_waitcnt vmcnt(22) lgkmcnt(0)
	v_fma_f64 v[125:126], v[147:148], v[129:130], v[125:126]
	s_waitcnt vmcnt(17)
	v_fma_f64 v[133:134], v[133:134], v[131:132], v[125:126]
	ds_read_b128 v[125:128], v124 offset:912
	ds_read_b128 v[129:132], v124 offset:928
	s_waitcnt vmcnt(16) lgkmcnt(1)
	v_fma_f64 v[125:126], v[167:168], v[125:126], v[133:134]
	s_waitcnt vmcnt(15)
	v_fma_f64 v[125:126], v[155:156], v[127:128], v[125:126]
	s_waitcnt vmcnt(14) lgkmcnt(0)
	v_fma_f64 v[125:126], v[151:152], v[129:130], v[125:126]
	s_waitcnt vmcnt(9)
	v_fma_f64 v[133:134], v[135:136], v[131:132], v[125:126]
	ds_read_b128 v[125:128], v124 offset:944
	ds_read_b128 v[129:132], v124 offset:960
	s_waitcnt vmcnt(8) lgkmcnt(1)
	v_fma_f64 v[125:126], v[165:166], v[125:126], v[133:134]
	s_waitcnt vmcnt(7)
	v_fma_f64 v[125:126], v[159:160], v[127:128], v[125:126]
	ds_read_b64 v[127:128], v124 offset:976
	s_waitcnt vmcnt(6) lgkmcnt(1)
	v_fma_f64 v[125:126], v[157:158], v[129:130], v[125:126]
	s_waitcnt vmcnt(3)
	v_fma_f64 v[125:126], v[137:138], v[131:132], v[125:126]
	s_waitcnt vmcnt(2) lgkmcnt(0)
	v_fma_f64 v[125:126], v[141:142], v[127:128], v[125:126]
	s_waitcnt vmcnt(0)
	v_add_f64 v[125:126], v[139:140], -v[125:126]
	buffer_store_dword v126, off, s[0:3], 0 offset:28
	buffer_store_dword v125, off, s[0:3], 0 offset:24
	v_cmpx_lt_u32_e32 2, v0
	s_cbranch_execz .LBB60_371
; %bb.370:
	s_clause 0x1
	buffer_load_dword v125, off, s[0:3], 0 offset:16
	buffer_load_dword v126, off, s[0:3], 0 offset:20
	buffer_store_dword v124, off, s[0:3], 0 offset:16
	buffer_store_dword v124, off, s[0:3], 0 offset:20
	s_waitcnt vmcnt(0)
	ds_write_b64 v123, v[125:126]
.LBB60_371:
	s_or_b32 exec_lo, exec_lo, s4
	s_waitcnt lgkmcnt(0)
	s_waitcnt_vscnt null, 0x0
	s_barrier
	buffer_gl0_inv
	s_clause 0x1c
	buffer_load_dword v133, off, s[0:3], 0 offset:24
	buffer_load_dword v134, off, s[0:3], 0 offset:28
	;; [unrolled: 1-line block ×29, first 2 shown]
	ds_read2_b64 v[125:128], v124 offset0:65 offset1:66
	ds_read2_b64 v[129:132], v124 offset0:67 offset1:68
	buffer_load_dword v158, off, s[0:3], 0 offset:140
	s_mov_b32 s4, exec_lo
	s_waitcnt vmcnt(28) lgkmcnt(1)
	v_fma_f64 v[125:126], v[133:134], v[125:126], 0
	s_clause 0x7
	buffer_load_dword v134, off, s[0:3], 0 offset:148
	buffer_load_dword v163, off, s[0:3], 0 offset:168
	buffer_load_dword v165, off, s[0:3], 0 offset:160
	buffer_load_dword v167, off, s[0:3], 0 offset:152
	buffer_load_dword v133, off, s[0:3], 0 offset:144
	buffer_load_dword v168, off, s[0:3], 0 offset:156
	buffer_load_dword v166, off, s[0:3], 0 offset:164
	buffer_load_dword v164, off, s[0:3], 0 offset:172
	s_waitcnt vmcnt(34)
	v_fma_f64 v[125:126], v[135:136], v[127:128], v[125:126]
	s_waitcnt vmcnt(32) lgkmcnt(0)
	v_fma_f64 v[125:126], v[137:138], v[129:130], v[125:126]
	s_waitcnt vmcnt(30)
	v_fma_f64 v[135:136], v[139:140], v[131:132], v[125:126]
	ds_read2_b64 v[125:128], v124 offset0:69 offset1:70
	ds_read2_b64 v[129:132], v124 offset0:71 offset1:72
	s_waitcnt vmcnt(28) lgkmcnt(1)
	v_fma_f64 v[125:126], v[141:142], v[125:126], v[135:136]
	s_clause 0x7
	buffer_load_dword v136, off, s[0:3], 0 offset:180
	buffer_load_dword v137, off, s[0:3], 0 offset:200
	buffer_load_dword v139, off, s[0:3], 0 offset:192
	buffer_load_dword v141, off, s[0:3], 0 offset:184
	buffer_load_dword v135, off, s[0:3], 0 offset:176
	buffer_load_dword v142, off, s[0:3], 0 offset:188
	buffer_load_dword v140, off, s[0:3], 0 offset:196
	buffer_load_dword v138, off, s[0:3], 0 offset:204
	s_waitcnt vmcnt(34)
	v_fma_f64 v[125:126], v[143:144], v[127:128], v[125:126]
	s_waitcnt vmcnt(32) lgkmcnt(0)
	v_fma_f64 v[125:126], v[145:146], v[129:130], v[125:126]
	s_waitcnt vmcnt(27)
	v_fma_f64 v[143:144], v[147:148], v[131:132], v[125:126]
	ds_read2_b64 v[125:128], v124 offset0:73 offset1:74
	ds_read2_b64 v[129:132], v124 offset0:75 offset1:76
	;; [unrolled: 19-line block ×10, first 2 shown]
	s_waitcnt vmcnt(26) lgkmcnt(1)
	v_fma_f64 v[125:126], v[153:154], v[125:126], v[137:138]
	s_clause 0x5
	buffer_load_dword v138, off, s[0:3], 0 offset:468
	buffer_load_dword v141, off, s[0:3], 0 offset:480
	;; [unrolled: 1-line block ×6, first 2 shown]
	s_waitcnt vmcnt(31)
	v_fma_f64 v[125:126], v[143:144], v[127:128], v[125:126]
	s_waitcnt vmcnt(30) lgkmcnt(0)
	v_fma_f64 v[125:126], v[139:140], v[129:130], v[125:126]
	s_waitcnt vmcnt(25)
	v_fma_f64 v[139:140], v[145:146], v[131:132], v[125:126]
	ds_read2_b64 v[125:128], v124 offset0:109 offset1:110
	s_clause 0x1
	buffer_load_dword v143, off, s[0:3], 0 offset:16
	buffer_load_dword v144, off, s[0:3], 0 offset:20
	ds_read2_b64 v[129:132], v124 offset0:111 offset1:112
	s_waitcnt vmcnt(26) lgkmcnt(1)
	v_fma_f64 v[125:126], v[161:162], v[125:126], v[139:140]
	s_waitcnt vmcnt(25)
	v_fma_f64 v[125:126], v[149:150], v[127:128], v[125:126]
	s_waitcnt vmcnt(24) lgkmcnt(0)
	v_fma_f64 v[125:126], v[147:148], v[129:130], v[125:126]
	s_waitcnt vmcnt(19)
	v_fma_f64 v[133:134], v[133:134], v[131:132], v[125:126]
	ds_read2_b64 v[125:128], v124 offset0:113 offset1:114
	ds_read2_b64 v[129:132], v124 offset0:115 offset1:116
	s_waitcnt vmcnt(18) lgkmcnt(1)
	v_fma_f64 v[125:126], v[167:168], v[125:126], v[133:134]
	s_waitcnt vmcnt(17)
	v_fma_f64 v[125:126], v[155:156], v[127:128], v[125:126]
	s_waitcnt vmcnt(16) lgkmcnt(0)
	v_fma_f64 v[125:126], v[151:152], v[129:130], v[125:126]
	s_waitcnt vmcnt(11)
	v_fma_f64 v[133:134], v[135:136], v[131:132], v[125:126]
	ds_read2_b64 v[125:128], v124 offset0:117 offset1:118
	;; [unrolled: 10-line block ×3, first 2 shown]
	s_waitcnt vmcnt(3) lgkmcnt(0)
	v_fma_f64 v[124:125], v[153:154], v[124:125], v[128:129]
	s_waitcnt vmcnt(2)
	v_fma_f64 v[124:125], v[141:142], v[126:127], v[124:125]
	s_waitcnt vmcnt(0)
	v_add_f64 v[124:125], v[143:144], -v[124:125]
	buffer_store_dword v125, off, s[0:3], 0 offset:20
	buffer_store_dword v124, off, s[0:3], 0 offset:16
	v_cmpx_lt_u32_e32 1, v0
	s_cbranch_execz .LBB60_373
; %bb.372:
	s_clause 0x1
	buffer_load_dword v124, off, s[0:3], 0 offset:8
	buffer_load_dword v125, off, s[0:3], 0 offset:12
	v_mov_b32_e32 v126, 0
	buffer_store_dword v126, off, s[0:3], 0 offset:8
	buffer_store_dword v126, off, s[0:3], 0 offset:12
	s_waitcnt vmcnt(0)
	ds_write_b64 v123, v[124:125]
.LBB60_373:
	s_or_b32 exec_lo, exec_lo, s4
	s_waitcnt lgkmcnt(0)
	s_waitcnt_vscnt null, 0x0
	s_barrier
	buffer_gl0_inv
	s_clause 0x1c
	buffer_load_dword v133, off, s[0:3], 0 offset:16
	buffer_load_dword v134, off, s[0:3], 0 offset:20
	;; [unrolled: 1-line block ×29, first 2 shown]
	v_mov_b32_e32 v124, 0
	buffer_load_dword v158, off, s[0:3], 0 offset:132
	s_mov_b32 s4, exec_lo
	ds_read_b128 v[125:128], v124 offset:512
	ds_read_b128 v[129:132], v124 offset:528
	s_waitcnt vmcnt(28) lgkmcnt(1)
	v_fma_f64 v[125:126], v[133:134], v[125:126], 0
	s_clause 0x7
	buffer_load_dword v134, off, s[0:3], 0 offset:140
	buffer_load_dword v163, off, s[0:3], 0 offset:160
	buffer_load_dword v165, off, s[0:3], 0 offset:152
	buffer_load_dword v167, off, s[0:3], 0 offset:144
	buffer_load_dword v133, off, s[0:3], 0 offset:136
	buffer_load_dword v168, off, s[0:3], 0 offset:148
	buffer_load_dword v166, off, s[0:3], 0 offset:156
	buffer_load_dword v164, off, s[0:3], 0 offset:164
	s_waitcnt vmcnt(34)
	v_fma_f64 v[125:126], v[135:136], v[127:128], v[125:126]
	s_waitcnt vmcnt(32) lgkmcnt(0)
	v_fma_f64 v[125:126], v[137:138], v[129:130], v[125:126]
	s_waitcnt vmcnt(30)
	v_fma_f64 v[135:136], v[139:140], v[131:132], v[125:126]
	ds_read_b128 v[125:128], v124 offset:544
	ds_read_b128 v[129:132], v124 offset:560
	s_waitcnt vmcnt(28) lgkmcnt(1)
	v_fma_f64 v[125:126], v[141:142], v[125:126], v[135:136]
	s_clause 0x7
	buffer_load_dword v136, off, s[0:3], 0 offset:172
	buffer_load_dword v137, off, s[0:3], 0 offset:192
	buffer_load_dword v139, off, s[0:3], 0 offset:184
	buffer_load_dword v141, off, s[0:3], 0 offset:176
	buffer_load_dword v135, off, s[0:3], 0 offset:168
	buffer_load_dword v142, off, s[0:3], 0 offset:180
	buffer_load_dword v140, off, s[0:3], 0 offset:188
	buffer_load_dword v138, off, s[0:3], 0 offset:196
	s_waitcnt vmcnt(34)
	v_fma_f64 v[125:126], v[143:144], v[127:128], v[125:126]
	s_waitcnt vmcnt(32) lgkmcnt(0)
	v_fma_f64 v[125:126], v[145:146], v[129:130], v[125:126]
	s_waitcnt vmcnt(27)
	v_fma_f64 v[143:144], v[147:148], v[131:132], v[125:126]
	;; [unrolled: 19-line block ×11, first 2 shown]
	ds_read_b128 v[125:128], v124 offset:864
	ds_read_b128 v[129:132], v124 offset:880
	s_waitcnt vmcnt(26) lgkmcnt(1)
	v_fma_f64 v[125:126], v[161:162], v[125:126], v[139:140]
	s_clause 0x1
	buffer_load_dword v139, off, s[0:3], 0 offset:8
	buffer_load_dword v140, off, s[0:3], 0 offset:12
	s_waitcnt vmcnt(27)
	v_fma_f64 v[125:126], v[149:150], v[127:128], v[125:126]
	s_waitcnt vmcnt(26) lgkmcnt(0)
	v_fma_f64 v[125:126], v[147:148], v[129:130], v[125:126]
	s_waitcnt vmcnt(21)
	v_fma_f64 v[133:134], v[133:134], v[131:132], v[125:126]
	ds_read_b128 v[125:128], v124 offset:896
	ds_read_b128 v[129:132], v124 offset:912
	s_waitcnt vmcnt(20) lgkmcnt(1)
	v_fma_f64 v[125:126], v[167:168], v[125:126], v[133:134]
	s_waitcnt vmcnt(19)
	v_fma_f64 v[125:126], v[155:156], v[127:128], v[125:126]
	s_waitcnt vmcnt(18) lgkmcnt(0)
	v_fma_f64 v[125:126], v[151:152], v[129:130], v[125:126]
	s_waitcnt vmcnt(13)
	v_fma_f64 v[133:134], v[135:136], v[131:132], v[125:126]
	ds_read_b128 v[125:128], v124 offset:928
	ds_read_b128 v[129:132], v124 offset:944
	s_waitcnt vmcnt(12) lgkmcnt(1)
	v_fma_f64 v[125:126], v[165:166], v[125:126], v[133:134]
	s_waitcnt vmcnt(11)
	v_fma_f64 v[125:126], v[159:160], v[127:128], v[125:126]
	s_waitcnt vmcnt(10) lgkmcnt(0)
	v_fma_f64 v[125:126], v[157:158], v[129:130], v[125:126]
	s_waitcnt vmcnt(5)
	v_fma_f64 v[129:130], v[137:138], v[131:132], v[125:126]
	ds_read_b128 v[125:128], v124 offset:960
	ds_read_b64 v[131:132], v124 offset:976
	s_waitcnt vmcnt(4) lgkmcnt(1)
	v_fma_f64 v[125:126], v[163:164], v[125:126], v[129:130]
	s_waitcnt vmcnt(3)
	v_fma_f64 v[125:126], v[153:154], v[127:128], v[125:126]
	s_waitcnt vmcnt(2) lgkmcnt(0)
	v_fma_f64 v[125:126], v[141:142], v[131:132], v[125:126]
	s_waitcnt vmcnt(0)
	v_add_f64 v[125:126], v[139:140], -v[125:126]
	buffer_store_dword v126, off, s[0:3], 0 offset:12
	buffer_store_dword v125, off, s[0:3], 0 offset:8
	v_cmpx_ne_u32_e32 0, v0
	s_cbranch_execz .LBB60_375
; %bb.374:
	s_clause 0x1
	buffer_load_dword v125, off, s[0:3], 0
	buffer_load_dword v126, off, s[0:3], 0 offset:4
	buffer_store_dword v124, off, s[0:3], 0
	buffer_store_dword v124, off, s[0:3], 0 offset:4
	s_waitcnt vmcnt(0)
	ds_write_b64 v123, v[125:126]
.LBB60_375:
	s_or_b32 exec_lo, exec_lo, s4
	s_waitcnt lgkmcnt(0)
	s_waitcnt_vscnt null, 0x0
	s_barrier
	buffer_gl0_inv
	s_clause 0x1c
	buffer_load_dword v133, off, s[0:3], 0 offset:8
	buffer_load_dword v134, off, s[0:3], 0 offset:12
	;; [unrolled: 1-line block ×29, first 2 shown]
	ds_read2_b64 v[125:128], v124 offset0:63 offset1:64
	ds_read2_b64 v[129:132], v124 offset0:65 offset1:66
	buffer_load_dword v158, off, s[0:3], 0 offset:124
	s_and_b32 vcc_lo, exec_lo, s22
	s_waitcnt vmcnt(28) lgkmcnt(1)
	v_fma_f64 v[125:126], v[133:134], v[125:126], 0
	s_clause 0x7
	buffer_load_dword v134, off, s[0:3], 0 offset:132
	buffer_load_dword v163, off, s[0:3], 0 offset:152
	buffer_load_dword v165, off, s[0:3], 0 offset:144
	buffer_load_dword v167, off, s[0:3], 0 offset:136
	buffer_load_dword v133, off, s[0:3], 0 offset:128
	buffer_load_dword v168, off, s[0:3], 0 offset:140
	buffer_load_dword v166, off, s[0:3], 0 offset:148
	buffer_load_dword v164, off, s[0:3], 0 offset:156
	s_waitcnt vmcnt(34)
	v_fma_f64 v[125:126], v[135:136], v[127:128], v[125:126]
	s_waitcnt vmcnt(32) lgkmcnt(0)
	v_fma_f64 v[125:126], v[137:138], v[129:130], v[125:126]
	s_waitcnt vmcnt(30)
	v_fma_f64 v[135:136], v[139:140], v[131:132], v[125:126]
	ds_read2_b64 v[125:128], v124 offset0:67 offset1:68
	ds_read2_b64 v[129:132], v124 offset0:69 offset1:70
	s_waitcnt vmcnt(28) lgkmcnt(1)
	v_fma_f64 v[125:126], v[141:142], v[125:126], v[135:136]
	s_clause 0x7
	buffer_load_dword v136, off, s[0:3], 0 offset:164
	buffer_load_dword v137, off, s[0:3], 0 offset:184
	buffer_load_dword v139, off, s[0:3], 0 offset:176
	buffer_load_dword v141, off, s[0:3], 0 offset:168
	buffer_load_dword v135, off, s[0:3], 0 offset:160
	buffer_load_dword v142, off, s[0:3], 0 offset:172
	buffer_load_dword v140, off, s[0:3], 0 offset:180
	buffer_load_dword v138, off, s[0:3], 0 offset:188
	s_waitcnt vmcnt(34)
	v_fma_f64 v[125:126], v[143:144], v[127:128], v[125:126]
	s_waitcnt vmcnt(32) lgkmcnt(0)
	v_fma_f64 v[125:126], v[145:146], v[129:130], v[125:126]
	s_waitcnt vmcnt(27)
	v_fma_f64 v[143:144], v[147:148], v[131:132], v[125:126]
	ds_read2_b64 v[125:128], v124 offset0:71 offset1:72
	ds_read2_b64 v[129:132], v124 offset0:73 offset1:74
	;; [unrolled: 19-line block ×10, first 2 shown]
	s_waitcnt vmcnt(26) lgkmcnt(1)
	v_fma_f64 v[133:134], v[153:154], v[125:126], v[133:134]
	s_clause 0x6
	buffer_load_dword v138, off, s[0:3], 0 offset:452
	buffer_load_dword v125, off, s[0:3], 0 offset:472
	;; [unrolled: 1-line block ×7, first 2 shown]
	s_waitcnt vmcnt(32)
	v_fma_f64 v[126:127], v[143:144], v[127:128], v[133:134]
	s_waitcnt vmcnt(31) lgkmcnt(0)
	v_fma_f64 v[126:127], v[139:140], v[129:130], v[126:127]
	s_waitcnt vmcnt(26)
	v_fma_f64 v[139:140], v[145:146], v[131:132], v[126:127]
	ds_read2_b64 v[127:130], v124 offset0:107 offset1:108
	ds_read2_b64 v[131:134], v124 offset0:109 offset1:110
	buffer_load_dword v126, off, s[0:3], 0 offset:476
	s_waitcnt vmcnt(26) lgkmcnt(1)
	v_fma_f64 v[127:128], v[161:162], v[127:128], v[139:140]
	s_clause 0x3
	buffer_load_dword v140, off, s[0:3], 0 offset:484
	buffer_load_dword v139, off, s[0:3], 0 offset:480
	buffer_load_dword v143, off, s[0:3], 0
	buffer_load_dword v144, off, s[0:3], 0 offset:4
	s_waitcnt vmcnt(29)
	v_fma_f64 v[127:128], v[149:150], v[129:130], v[127:128]
	s_waitcnt vmcnt(28) lgkmcnt(0)
	v_fma_f64 v[127:128], v[147:148], v[131:132], v[127:128]
	s_waitcnt vmcnt(23)
	v_fma_f64 v[145:146], v[151:152], v[133:134], v[127:128]
	ds_read2_b64 v[127:130], v124 offset0:111 offset1:112
	ds_read2_b64 v[131:134], v124 offset0:113 offset1:114
	s_waitcnt vmcnt(22) lgkmcnt(1)
	v_fma_f64 v[127:128], v[169:170], v[127:128], v[145:146]
	s_waitcnt vmcnt(21)
	v_fma_f64 v[127:128], v[167:168], v[129:130], v[127:128]
	s_waitcnt vmcnt(20) lgkmcnt(0)
	v_fma_f64 v[127:128], v[155:156], v[131:132], v[127:128]
	s_waitcnt vmcnt(15)
	v_fma_f64 v[135:136], v[135:136], v[133:134], v[127:128]
	ds_read2_b64 v[127:130], v124 offset0:115 offset1:116
	ds_read2_b64 v[131:134], v124 offset0:117 offset1:118
	s_waitcnt vmcnt(14) lgkmcnt(1)
	v_fma_f64 v[127:128], v[165:166], v[127:128], v[135:136]
	;; [unrolled: 10-line block ×3, first 2 shown]
	s_waitcnt vmcnt(5)
	v_fma_f64 v[123:124], v[141:142], v[129:130], v[123:124]
	s_waitcnt vmcnt(4) lgkmcnt(0)
	v_fma_f64 v[123:124], v[125:126], v[131:132], v[123:124]
	s_waitcnt vmcnt(2)
	v_fma_f64 v[123:124], v[139:140], v[133:134], v[123:124]
	s_waitcnt vmcnt(0)
	v_add_f64 v[123:124], v[143:144], -v[123:124]
	buffer_store_dword v124, off, s[0:3], 0 offset:4
	buffer_store_dword v123, off, s[0:3], 0
	s_cbranch_vccz .LBB60_496
; %bb.376:
	v_mov_b32_e32 v0, 0
	global_load_dword v123, v0, s[20:21] offset:236
	s_waitcnt vmcnt(0)
	v_add_nc_u32_e32 v123, -1, v123
	v_cmp_ne_u32_e32 vcc_lo, 59, v123
	s_cbranch_vccz .LBB60_378
; %bb.377:
	v_lshlrev_b32_e32 v123, 3, v123
	s_clause 0x1
	buffer_load_dword v124, v123, s[0:3], 0 offen
	buffer_load_dword v127, v123, s[0:3], 0 offen offset:4
	s_waitcnt vmcnt(1)
	buffer_store_dword v124, off, s[0:3], 0 offset:472
	s_waitcnt vmcnt(0)
	buffer_store_dword v127, off, s[0:3], 0 offset:476
	buffer_store_dword v125, v123, s[0:3], 0 offen
	buffer_store_dword v126, v123, s[0:3], 0 offen offset:4
.LBB60_378:
	global_load_dword v0, v0, s[20:21] offset:232
	s_waitcnt vmcnt(0)
	v_add_nc_u32_e32 v0, -1, v0
	v_cmp_eq_u32_e32 vcc_lo, 58, v0
	s_cbranch_vccnz .LBB60_380
; %bb.379:
	v_lshlrev_b32_e32 v0, 3, v0
	s_clause 0x3
	buffer_load_dword v123, v0, s[0:3], 0 offen
	buffer_load_dword v124, v0, s[0:3], 0 offen offset:4
	buffer_load_dword v125, off, s[0:3], 0 offset:468
	buffer_load_dword v126, off, s[0:3], 0 offset:464
	s_waitcnt vmcnt(3)
	buffer_store_dword v123, off, s[0:3], 0 offset:464
	s_waitcnt vmcnt(2)
	buffer_store_dword v124, off, s[0:3], 0 offset:468
	s_waitcnt vmcnt(1)
	buffer_store_dword v125, v0, s[0:3], 0 offen offset:4
	s_waitcnt vmcnt(0)
	buffer_store_dword v126, v0, s[0:3], 0 offen
.LBB60_380:
	v_mov_b32_e32 v0, 0
	global_load_dword v123, v0, s[20:21] offset:228
	s_waitcnt vmcnt(0)
	v_add_nc_u32_e32 v123, -1, v123
	v_cmp_eq_u32_e32 vcc_lo, 57, v123
	s_cbranch_vccnz .LBB60_382
; %bb.381:
	v_lshlrev_b32_e32 v123, 3, v123
	s_clause 0x3
	buffer_load_dword v124, v123, s[0:3], 0 offen
	buffer_load_dword v125, v123, s[0:3], 0 offen offset:4
	buffer_load_dword v126, off, s[0:3], 0 offset:456
	buffer_load_dword v127, off, s[0:3], 0 offset:460
	s_waitcnt vmcnt(3)
	buffer_store_dword v124, off, s[0:3], 0 offset:456
	s_waitcnt vmcnt(2)
	buffer_store_dword v125, off, s[0:3], 0 offset:460
	s_waitcnt vmcnt(1)
	buffer_store_dword v126, v123, s[0:3], 0 offen
	s_waitcnt vmcnt(0)
	buffer_store_dword v127, v123, s[0:3], 0 offen offset:4
.LBB60_382:
	global_load_dword v0, v0, s[20:21] offset:224
	s_waitcnt vmcnt(0)
	v_add_nc_u32_e32 v0, -1, v0
	v_cmp_eq_u32_e32 vcc_lo, 56, v0
	s_cbranch_vccnz .LBB60_384
; %bb.383:
	v_lshlrev_b32_e32 v0, 3, v0
	s_clause 0x3
	buffer_load_dword v123, v0, s[0:3], 0 offen
	buffer_load_dword v124, v0, s[0:3], 0 offen offset:4
	buffer_load_dword v125, off, s[0:3], 0 offset:452
	buffer_load_dword v126, off, s[0:3], 0 offset:448
	s_waitcnt vmcnt(3)
	buffer_store_dword v123, off, s[0:3], 0 offset:448
	s_waitcnt vmcnt(2)
	buffer_store_dword v124, off, s[0:3], 0 offset:452
	s_waitcnt vmcnt(1)
	buffer_store_dword v125, v0, s[0:3], 0 offen offset:4
	s_waitcnt vmcnt(0)
	buffer_store_dword v126, v0, s[0:3], 0 offen
.LBB60_384:
	v_mov_b32_e32 v0, 0
	global_load_dword v123, v0, s[20:21] offset:220
	s_waitcnt vmcnt(0)
	v_add_nc_u32_e32 v123, -1, v123
	v_cmp_eq_u32_e32 vcc_lo, 55, v123
	s_cbranch_vccnz .LBB60_386
; %bb.385:
	v_lshlrev_b32_e32 v123, 3, v123
	s_clause 0x3
	buffer_load_dword v124, v123, s[0:3], 0 offen
	buffer_load_dword v125, v123, s[0:3], 0 offen offset:4
	buffer_load_dword v126, off, s[0:3], 0 offset:440
	buffer_load_dword v127, off, s[0:3], 0 offset:444
	s_waitcnt vmcnt(3)
	buffer_store_dword v124, off, s[0:3], 0 offset:440
	s_waitcnt vmcnt(2)
	buffer_store_dword v125, off, s[0:3], 0 offset:444
	s_waitcnt vmcnt(1)
	buffer_store_dword v126, v123, s[0:3], 0 offen
	s_waitcnt vmcnt(0)
	buffer_store_dword v127, v123, s[0:3], 0 offen offset:4
.LBB60_386:
	;; [unrolled: 43-line block ×29, first 2 shown]
	global_load_dword v0, v0, s[20:21]
	s_clause 0x1
	buffer_load_dword v123, off, s[0:3], 0
	buffer_load_dword v124, off, s[0:3], 0 offset:4
	s_waitcnt vmcnt(2)
	v_add_nc_u32_e32 v0, -1, v0
	v_cmp_eq_u32_e32 vcc_lo, 0, v0
	s_cbranch_vccnz .LBB60_496
; %bb.495:
	v_lshlrev_b32_e32 v0, 3, v0
	s_clause 0x1
	buffer_load_dword v125, v0, s[0:3], 0 offen offset:4
	buffer_load_dword v126, v0, s[0:3], 0 offen
	s_waitcnt vmcnt(1)
	buffer_store_dword v125, off, s[0:3], 0 offset:4
	s_waitcnt vmcnt(0)
	buffer_store_dword v126, off, s[0:3], 0
	buffer_store_dword v124, v0, s[0:3], 0 offen offset:4
	buffer_store_dword v123, v0, s[0:3], 0 offen
	s_clause 0x1
	buffer_load_dword v123, off, s[0:3], 0
	buffer_load_dword v124, off, s[0:3], 0 offset:4
.LBB60_496:
	s_clause 0x19
	buffer_load_dword v125, off, s[0:3], 0 offset:8
	buffer_load_dword v126, off, s[0:3], 0 offset:12
	;; [unrolled: 1-line block ×26, first 2 shown]
	s_waitcnt vmcnt(26)
	global_store_dwordx2 v[97:98], v[123:124], off
	s_clause 0x25
	buffer_load_dword v97, off, s[0:3], 0 offset:112
	buffer_load_dword v98, off, s[0:3], 0 offset:116
	;; [unrolled: 1-line block ×38, first 2 shown]
	s_waitcnt vmcnt(62)
	global_store_dwordx2 v[53:54], v[125:126], off
	s_clause 0x7
	buffer_load_dword v53, off, s[0:3], 0 offset:264
	buffer_load_dword v54, off, s[0:3], 0 offset:268
	;; [unrolled: 1-line block ×8, first 2 shown]
	s_waitcnt vmcnt(62)
	global_store_dwordx2 v[1:2], v[127:128], off
	global_store_dwordx2 v[5:6], v[129:130], off
	s_clause 0x7
	buffer_load_dword v0, off, s[0:3], 0 offset:296
	buffer_load_dword v1, off, s[0:3], 0 offset:300
	;; [unrolled: 1-line block ×8, first 2 shown]
	global_store_dwordx2 v[3:4], v[131:132], off
	global_store_dwordx2 v[9:10], v[133:134], off
	s_clause 0x7
	buffer_load_dword v2, off, s[0:3], 0 offset:328
	buffer_load_dword v3, off, s[0:3], 0 offset:332
	;; [unrolled: 1-line block ×8, first 2 shown]
	s_waitcnt vmcnt(62)
	global_store_dwordx2 v[7:8], v[135:136], off
	global_store_dwordx2 v[13:14], v[137:138], off
	s_clause 0x7
	buffer_load_dword v7, off, s[0:3], 0 offset:360
	buffer_load_dword v8, off, s[0:3], 0 offset:364
	buffer_load_dword v13, off, s[0:3], 0 offset:368
	buffer_load_dword v14, off, s[0:3], 0 offset:372
	buffer_load_dword v135, off, s[0:3], 0 offset:376
	buffer_load_dword v136, off, s[0:3], 0 offset:380
	buffer_load_dword v137, off, s[0:3], 0 offset:384
	buffer_load_dword v138, off, s[0:3], 0 offset:388
	global_store_dwordx2 v[11:12], v[139:140], off
	global_store_dwordx2 v[17:18], v[141:142], off
	s_clause 0x7
	buffer_load_dword v11, off, s[0:3], 0 offset:392
	buffer_load_dword v12, off, s[0:3], 0 offset:396
	buffer_load_dword v17, off, s[0:3], 0 offset:400
	buffer_load_dword v18, off, s[0:3], 0 offset:404
	buffer_load_dword v139, off, s[0:3], 0 offset:408
	buffer_load_dword v140, off, s[0:3], 0 offset:412
	buffer_load_dword v141, off, s[0:3], 0 offset:416
	buffer_load_dword v142, off, s[0:3], 0 offset:420
	;; [unrolled: 11-line block ×4, first 2 shown]
	s_waitcnt vmcnt(62)
	global_store_dwordx2 v[23:24], v[97:98], off
	global_store_dwordx2 v[27:28], v[123:124], off
	;; [unrolled: 1-line block ×16, first 2 shown]
	s_waitcnt vmcnt(60)
	global_store_dwordx2 v[59:60], v[179:180], off
	s_waitcnt vmcnt(58)
	global_store_dwordx2 v[61:62], v[181:182], off
	;; [unrolled: 2-line block ×31, first 2 shown]
	s_endpgm
	.section	.rodata,"a",@progbits
	.p2align	6, 0x0
	.amdhsa_kernel _ZN9rocsolver6v33100L18getri_kernel_smallILi61EdPdEEvT1_iilPiilS4_bb
		.amdhsa_group_segment_fixed_size 984
		.amdhsa_private_segment_fixed_size 496
		.amdhsa_kernarg_size 60
		.amdhsa_user_sgpr_count 6
		.amdhsa_user_sgpr_private_segment_buffer 1
		.amdhsa_user_sgpr_dispatch_ptr 0
		.amdhsa_user_sgpr_queue_ptr 0
		.amdhsa_user_sgpr_kernarg_segment_ptr 1
		.amdhsa_user_sgpr_dispatch_id 0
		.amdhsa_user_sgpr_flat_scratch_init 0
		.amdhsa_user_sgpr_private_segment_size 0
		.amdhsa_wavefront_size32 1
		.amdhsa_uses_dynamic_stack 0
		.amdhsa_system_sgpr_private_segment_wavefront_offset 1
		.amdhsa_system_sgpr_workgroup_id_x 1
		.amdhsa_system_sgpr_workgroup_id_y 0
		.amdhsa_system_sgpr_workgroup_id_z 0
		.amdhsa_system_sgpr_workgroup_info 0
		.amdhsa_system_vgpr_workitem_id 0
		.amdhsa_next_free_vgpr 189
		.amdhsa_next_free_sgpr 23
		.amdhsa_reserve_vcc 1
		.amdhsa_reserve_flat_scratch 0
		.amdhsa_float_round_mode_32 0
		.amdhsa_float_round_mode_16_64 0
		.amdhsa_float_denorm_mode_32 3
		.amdhsa_float_denorm_mode_16_64 3
		.amdhsa_dx10_clamp 1
		.amdhsa_ieee_mode 1
		.amdhsa_fp16_overflow 0
		.amdhsa_workgroup_processor_mode 1
		.amdhsa_memory_ordered 1
		.amdhsa_forward_progress 1
		.amdhsa_shared_vgpr_count 0
		.amdhsa_exception_fp_ieee_invalid_op 0
		.amdhsa_exception_fp_denorm_src 0
		.amdhsa_exception_fp_ieee_div_zero 0
		.amdhsa_exception_fp_ieee_overflow 0
		.amdhsa_exception_fp_ieee_underflow 0
		.amdhsa_exception_fp_ieee_inexact 0
		.amdhsa_exception_int_div_zero 0
	.end_amdhsa_kernel
	.section	.text._ZN9rocsolver6v33100L18getri_kernel_smallILi61EdPdEEvT1_iilPiilS4_bb,"axG",@progbits,_ZN9rocsolver6v33100L18getri_kernel_smallILi61EdPdEEvT1_iilPiilS4_bb,comdat
.Lfunc_end60:
	.size	_ZN9rocsolver6v33100L18getri_kernel_smallILi61EdPdEEvT1_iilPiilS4_bb, .Lfunc_end60-_ZN9rocsolver6v33100L18getri_kernel_smallILi61EdPdEEvT1_iilPiilS4_bb
                                        ; -- End function
	.set _ZN9rocsolver6v33100L18getri_kernel_smallILi61EdPdEEvT1_iilPiilS4_bb.num_vgpr, 189
	.set _ZN9rocsolver6v33100L18getri_kernel_smallILi61EdPdEEvT1_iilPiilS4_bb.num_agpr, 0
	.set _ZN9rocsolver6v33100L18getri_kernel_smallILi61EdPdEEvT1_iilPiilS4_bb.numbered_sgpr, 23
	.set _ZN9rocsolver6v33100L18getri_kernel_smallILi61EdPdEEvT1_iilPiilS4_bb.num_named_barrier, 0
	.set _ZN9rocsolver6v33100L18getri_kernel_smallILi61EdPdEEvT1_iilPiilS4_bb.private_seg_size, 496
	.set _ZN9rocsolver6v33100L18getri_kernel_smallILi61EdPdEEvT1_iilPiilS4_bb.uses_vcc, 1
	.set _ZN9rocsolver6v33100L18getri_kernel_smallILi61EdPdEEvT1_iilPiilS4_bb.uses_flat_scratch, 0
	.set _ZN9rocsolver6v33100L18getri_kernel_smallILi61EdPdEEvT1_iilPiilS4_bb.has_dyn_sized_stack, 0
	.set _ZN9rocsolver6v33100L18getri_kernel_smallILi61EdPdEEvT1_iilPiilS4_bb.has_recursion, 0
	.set _ZN9rocsolver6v33100L18getri_kernel_smallILi61EdPdEEvT1_iilPiilS4_bb.has_indirect_call, 0
	.section	.AMDGPU.csdata,"",@progbits
; Kernel info:
; codeLenInByte = 94028
; TotalNumSgprs: 25
; NumVgprs: 189
; ScratchSize: 496
; MemoryBound: 1
; FloatMode: 240
; IeeeMode: 1
; LDSByteSize: 984 bytes/workgroup (compile time only)
; SGPRBlocks: 0
; VGPRBlocks: 23
; NumSGPRsForWavesPerEU: 25
; NumVGPRsForWavesPerEU: 189
; Occupancy: 5
; WaveLimiterHint : 1
; COMPUTE_PGM_RSRC2:SCRATCH_EN: 1
; COMPUTE_PGM_RSRC2:USER_SGPR: 6
; COMPUTE_PGM_RSRC2:TRAP_HANDLER: 0
; COMPUTE_PGM_RSRC2:TGID_X_EN: 1
; COMPUTE_PGM_RSRC2:TGID_Y_EN: 0
; COMPUTE_PGM_RSRC2:TGID_Z_EN: 0
; COMPUTE_PGM_RSRC2:TIDIG_COMP_CNT: 0
	.section	.text._ZN9rocsolver6v33100L18getri_kernel_smallILi62EdPdEEvT1_iilPiilS4_bb,"axG",@progbits,_ZN9rocsolver6v33100L18getri_kernel_smallILi62EdPdEEvT1_iilPiilS4_bb,comdat
	.globl	_ZN9rocsolver6v33100L18getri_kernel_smallILi62EdPdEEvT1_iilPiilS4_bb ; -- Begin function _ZN9rocsolver6v33100L18getri_kernel_smallILi62EdPdEEvT1_iilPiilS4_bb
	.p2align	8
	.type	_ZN9rocsolver6v33100L18getri_kernel_smallILi62EdPdEEvT1_iilPiilS4_bb,@function
_ZN9rocsolver6v33100L18getri_kernel_smallILi62EdPdEEvT1_iilPiilS4_bb: ; @_ZN9rocsolver6v33100L18getri_kernel_smallILi62EdPdEEvT1_iilPiilS4_bb
; %bb.0:
	s_add_u32 s0, s0, s7
	s_addc_u32 s1, s1, 0
	s_mov_b32 s7, exec_lo
	v_cmpx_gt_u32_e32 62, v0
	s_cbranch_execz .LBB61_258
; %bb.1:
	s_clause 0x2
	s_load_dword s7, s[4:5], 0x38
	s_load_dwordx4 s[16:19], s[4:5], 0x10
	s_load_dwordx4 s[8:11], s[4:5], 0x28
                                        ; implicit-def: $sgpr20_sgpr21
	s_waitcnt lgkmcnt(0)
	s_bitcmp1_b32 s7, 8
	s_cselect_b32 s22, -1, 0
	s_bfe_u32 s12, s7, 0x10008
	s_ashr_i32 s7, s6, 31
	s_cmp_eq_u32 s12, 0
	s_cbranch_scc1 .LBB61_3
; %bb.2:
	s_load_dword s12, s[4:5], 0x20
	s_mul_i32 s13, s8, s7
	s_mul_hi_u32 s14, s8, s6
	s_mul_i32 s9, s9, s6
	s_add_i32 s13, s14, s13
	s_mul_i32 s8, s8, s6
	s_add_i32 s9, s13, s9
	s_lshl_b64 s[8:9], s[8:9], 2
	s_waitcnt lgkmcnt(0)
	s_ashr_i32 s13, s12, 31
	s_add_u32 s14, s18, s8
	s_addc_u32 s15, s19, s9
	s_lshl_b64 s[8:9], s[12:13], 2
	s_add_u32 s20, s14, s8
	s_addc_u32 s21, s15, s9
.LBB61_3:
	s_clause 0x1
	s_load_dwordx4 s[12:15], s[4:5], 0x0
	s_load_dword s8, s[4:5], 0x38
	s_mul_i32 s4, s16, s7
	s_mul_hi_u32 s5, s16, s6
	s_mul_i32 s9, s17, s6
	s_add_i32 s5, s5, s4
	s_mul_i32 s4, s16, s6
	s_add_i32 s5, s5, s9
	v_lshlrev_b32_e32 v127, 3, v0
	s_lshl_b64 s[4:5], s[4:5], 3
	s_waitcnt lgkmcnt(0)
	v_add3_u32 v1, s15, s15, v0
	s_ashr_i32 s17, s14, 31
	s_mov_b32 s16, s14
	s_add_u32 s9, s12, s4
	s_addc_u32 s12, s13, s5
	v_add_nc_u32_e32 v3, s15, v1
	v_ashrrev_i32_e32 v2, 31, v1
	s_lshl_b64 s[4:5], s[16:17], 3
	s_add_u32 s4, s9, s4
	v_add_nc_u32_e32 v5, s15, v3
	v_ashrrev_i32_e32 v4, 31, v3
	v_lshlrev_b64 v[1:2], 3, v[1:2]
	s_addc_u32 s5, s12, s5
	v_add_co_u32 v81, s9, s4, v127
	v_add_nc_u32_e32 v9, s15, v5
	v_ashrrev_i32_e32 v6, 31, v5
	v_lshlrev_b64 v[7:8], 3, v[3:4]
	v_add_co_u32 v3, vcc_lo, s4, v1
	v_add_nc_u32_e32 v11, s15, v9
	v_ashrrev_i32_e32 v10, 31, v9
	v_lshlrev_b64 v[5:6], 3, v[5:6]
	v_add_co_ci_u32_e64 v4, null, s5, v2, vcc_lo
	v_add_nc_u32_e32 v13, s15, v11
	v_lshlrev_b64 v[9:10], 3, v[9:10]
	v_add_co_u32 v1, vcc_lo, s4, v7
	v_add_co_ci_u32_e64 v2, null, s5, v8, vcc_lo
	v_ashrrev_i32_e32 v14, 31, v13
	v_add_nc_u32_e32 v15, s15, v13
	v_add_co_u32 v7, vcc_lo, s4, v5
	v_add_co_ci_u32_e64 v8, null, s5, v6, vcc_lo
	v_add_co_u32 v5, vcc_lo, s4, v9
	v_add_co_ci_u32_e64 v6, null, s5, v10, vcc_lo
	v_lshlrev_b64 v[9:10], 3, v[13:14]
	v_add_nc_u32_e32 v13, s15, v15
	v_ashrrev_i32_e32 v12, 31, v11
	v_ashrrev_i32_e32 v16, 31, v15
	s_ashr_i32 s13, s15, 31
	s_mov_b32 s12, s15
	v_add_nc_u32_e32 v17, s15, v13
	v_lshlrev_b64 v[11:12], 3, v[11:12]
	v_ashrrev_i32_e32 v14, 31, v13
	v_lshlrev_b64 v[15:16], 3, v[15:16]
	v_add_co_ci_u32_e64 v82, null, s5, 0, s9
	v_add_nc_u32_e32 v19, s15, v17
	v_ashrrev_i32_e32 v18, 31, v17
	v_add_co_u32 v11, vcc_lo, s4, v11
	v_lshlrev_b64 v[13:14], 3, v[13:14]
	v_add_nc_u32_e32 v21, s15, v19
	v_ashrrev_i32_e32 v20, 31, v19
	v_add_co_ci_u32_e64 v12, null, s5, v12, vcc_lo
	v_add_co_u32 v9, vcc_lo, s4, v9
	v_add_nc_u32_e32 v25, s15, v21
	v_lshlrev_b64 v[17:18], 3, v[17:18]
	v_add_co_ci_u32_e64 v10, null, s5, v10, vcc_lo
	v_add_co_u32 v15, vcc_lo, s4, v15
	v_lshlrev_b64 v[23:24], 3, v[19:20]
	v_ashrrev_i32_e32 v22, 31, v21
	v_add_nc_u32_e32 v27, s15, v25
	v_add_co_ci_u32_e64 v16, null, s5, v16, vcc_lo
	v_add_co_u32 v13, vcc_lo, s4, v13
	v_ashrrev_i32_e32 v26, 31, v25
	v_add_co_ci_u32_e64 v14, null, s5, v14, vcc_lo
	v_add_co_u32 v19, vcc_lo, s4, v17
	v_add_co_ci_u32_e64 v20, null, s5, v18, vcc_lo
	v_lshlrev_b64 v[21:22], 3, v[21:22]
	v_add_co_u32 v17, vcc_lo, s4, v23
	v_add_nc_u32_e32 v29, s15, v27
	v_add_co_ci_u32_e64 v18, null, s5, v24, vcc_lo
	v_lshlrev_b64 v[23:24], 3, v[25:26]
	v_add_co_u32 v25, vcc_lo, s4, v21
	v_ashrrev_i32_e32 v30, 31, v29
	v_add_nc_u32_e32 v31, s15, v29
	v_add_co_ci_u32_e64 v26, null, s5, v22, vcc_lo
	v_add_co_u32 v21, vcc_lo, s4, v23
	v_add_co_ci_u32_e64 v22, null, s5, v24, vcc_lo
	v_lshlrev_b64 v[23:24], 3, v[29:30]
	v_add_nc_u32_e32 v29, s15, v31
	v_ashrrev_i32_e32 v28, 31, v27
	v_ashrrev_i32_e32 v32, 31, v31
	s_lshl_b64 s[12:13], s[12:13], 3
	s_bitcmp0_b32 s8, 0
	v_add_nc_u32_e32 v33, s15, v29
	v_lshlrev_b64 v[27:28], 3, v[27:28]
	v_ashrrev_i32_e32 v30, 31, v29
	v_lshlrev_b64 v[31:32], 3, v[31:32]
	v_add_nc_u32_e32 v37, s15, v33
	v_ashrrev_i32_e32 v34, 31, v33
	v_add_co_u32 v27, vcc_lo, s4, v27
	v_lshlrev_b64 v[35:36], 3, v[29:30]
	v_add_co_ci_u32_e64 v28, null, s5, v28, vcc_lo
	v_add_co_u32 v23, vcc_lo, s4, v23
	v_ashrrev_i32_e32 v38, 31, v37
	v_add_nc_u32_e32 v39, s15, v37
	v_add_co_ci_u32_e64 v24, null, s5, v24, vcc_lo
	v_add_co_u32 v29, vcc_lo, s4, v31
	v_add_co_ci_u32_e64 v30, null, s5, v32, vcc_lo
	v_add_co_u32 v31, vcc_lo, s4, v35
	v_add_co_ci_u32_e64 v32, null, s5, v36, vcc_lo
	v_lshlrev_b64 v[35:36], 3, v[37:38]
	v_add_nc_u32_e32 v37, s15, v39
	v_ashrrev_i32_e32 v40, 31, v39
	v_lshlrev_b64 v[33:34], 3, v[33:34]
	v_add_nc_u32_e32 v41, s15, v37
	v_ashrrev_i32_e32 v38, 31, v37
	v_lshlrev_b64 v[39:40], 3, v[39:40]
	v_add_co_u32 v33, vcc_lo, s4, v33
	v_add_nc_u32_e32 v45, s15, v41
	v_lshlrev_b64 v[43:44], 3, v[37:38]
	v_add_co_ci_u32_e64 v34, null, s5, v34, vcc_lo
	v_add_co_u32 v35, vcc_lo, s4, v35
	v_ashrrev_i32_e32 v46, 31, v45
	v_add_nc_u32_e32 v47, s15, v45
	v_add_co_ci_u32_e64 v36, null, s5, v36, vcc_lo
	v_add_co_u32 v37, vcc_lo, s4, v39
	v_add_co_ci_u32_e64 v38, null, s5, v40, vcc_lo
	v_add_co_u32 v39, vcc_lo, s4, v43
	v_add_co_ci_u32_e64 v40, null, s5, v44, vcc_lo
	v_lshlrev_b64 v[43:44], 3, v[45:46]
	v_add_nc_u32_e32 v45, s15, v47
	v_ashrrev_i32_e32 v42, 31, v41
	v_ashrrev_i32_e32 v48, 31, v47
	v_add_nc_u32_e32 v49, s15, v45
	v_lshlrev_b64 v[41:42], 3, v[41:42]
	v_ashrrev_i32_e32 v46, 31, v45
	v_lshlrev_b64 v[47:48], 3, v[47:48]
	v_add_nc_u32_e32 v53, s15, v49
	v_ashrrev_i32_e32 v50, 31, v49
	v_add_co_u32 v41, vcc_lo, s4, v41
	v_add_co_ci_u32_e64 v42, null, s5, v42, vcc_lo
	v_add_co_u32 v43, vcc_lo, s4, v43
	v_lshlrev_b64 v[51:52], 3, v[45:46]
	v_add_nc_u32_e32 v57, s15, v53
	v_add_co_ci_u32_e64 v44, null, s5, v44, vcc_lo
	v_add_co_u32 v55, vcc_lo, v81, s12
	v_ashrrev_i32_e32 v54, 31, v53
	v_add_co_ci_u32_e64 v56, null, s13, v82, vcc_lo
	v_add_co_u32 v45, vcc_lo, s4, v47
	v_ashrrev_i32_e32 v58, 31, v57
	v_add_co_ci_u32_e64 v46, null, s5, v48, vcc_lo
	v_lshlrev_b64 v[49:50], 3, v[49:50]
	v_add_co_u32 v47, vcc_lo, s4, v51
	v_add_co_ci_u32_e64 v48, null, s5, v52, vcc_lo
	v_lshlrev_b64 v[51:52], 3, v[53:54]
	v_lshlrev_b64 v[53:54], 3, v[57:58]
	v_add_co_u32 v49, vcc_lo, s4, v49
	v_add_co_ci_u32_e64 v50, null, s5, v50, vcc_lo
	v_add_co_u32 v51, vcc_lo, s4, v51
	v_add_co_ci_u32_e64 v52, null, s5, v52, vcc_lo
	;; [unrolled: 2-line block ×3, first 2 shown]
	s_clause 0x1c
	global_load_dwordx2 v[111:112], v127, s[4:5]
	global_load_dwordx2 v[113:114], v[55:56], off
	global_load_dwordx2 v[115:116], v[3:4], off
	;; [unrolled: 1-line block ×28, first 2 shown]
	v_add_nc_u32_e32 v59, s15, v57
	v_ashrrev_i32_e32 v60, 31, v59
	v_add_nc_u32_e32 v61, s15, v59
	v_lshlrev_b64 v[57:58], 3, v[59:60]
	v_ashrrev_i32_e32 v62, 31, v61
	v_add_co_u32 v57, vcc_lo, s4, v57
	v_add_co_ci_u32_e64 v58, null, s5, v58, vcc_lo
	v_lshlrev_b64 v[59:60], 3, v[61:62]
	v_add_nc_u32_e32 v61, s15, v61
	global_load_dwordx2 v[170:171], v[57:58], off
	v_add_co_u32 v59, vcc_lo, s4, v59
	v_add_co_ci_u32_e64 v60, null, s5, v60, vcc_lo
	v_add_nc_u32_e32 v63, s15, v61
	v_ashrrev_i32_e32 v62, 31, v61
	global_load_dwordx2 v[172:173], v[59:60], off
	s_waitcnt vmcnt(30)
	buffer_store_dword v112, off, s[0:3], 0 offset:4
	buffer_store_dword v111, off, s[0:3], 0
	s_waitcnt vmcnt(29)
	buffer_store_dword v114, off, s[0:3], 0 offset:12
	buffer_store_dword v113, off, s[0:3], 0 offset:8
	s_waitcnt vmcnt(28)
	buffer_store_dword v116, off, s[0:3], 0 offset:20
	buffer_store_dword v115, off, s[0:3], 0 offset:16
	;; [unrolled: 3-line block ×28, first 2 shown]
	v_add_nc_u32_e32 v65, s15, v63
	v_ashrrev_i32_e32 v64, 31, v63
	v_lshlrev_b64 v[61:62], 3, v[61:62]
	v_add_nc_u32_e32 v67, s15, v65
	v_ashrrev_i32_e32 v66, 31, v65
	v_lshlrev_b64 v[63:64], 3, v[63:64]
	v_add_co_u32 v61, vcc_lo, s4, v61
	v_add_nc_u32_e32 v69, s15, v67
	v_ashrrev_i32_e32 v68, 31, v67
	v_lshlrev_b64 v[65:66], 3, v[65:66]
	v_add_co_ci_u32_e64 v62, null, s5, v62, vcc_lo
	v_add_nc_u32_e32 v71, s15, v69
	v_ashrrev_i32_e32 v70, 31, v69
	v_lshlrev_b64 v[67:68], 3, v[67:68]
	v_add_co_u32 v63, vcc_lo, s4, v63
	v_add_nc_u32_e32 v73, s15, v71
	v_ashrrev_i32_e32 v72, 31, v71
	v_lshlrev_b64 v[69:70], 3, v[69:70]
	v_add_co_ci_u32_e64 v64, null, s5, v64, vcc_lo
	v_add_nc_u32_e32 v75, s15, v73
	v_ashrrev_i32_e32 v74, 31, v73
	v_add_co_u32 v65, vcc_lo, s4, v65
	v_lshlrev_b64 v[71:72], 3, v[71:72]
	v_add_nc_u32_e32 v77, s15, v75
	v_ashrrev_i32_e32 v76, 31, v75
	v_add_co_ci_u32_e64 v66, null, s5, v66, vcc_lo
	v_add_co_u32 v67, vcc_lo, s4, v67
	v_add_nc_u32_e32 v79, s15, v77
	v_ashrrev_i32_e32 v78, 31, v77
	v_lshlrev_b64 v[73:74], 3, v[73:74]
	v_add_co_ci_u32_e64 v68, null, s5, v68, vcc_lo
	v_add_nc_u32_e32 v83, s15, v79
	v_ashrrev_i32_e32 v80, 31, v79
	v_add_co_u32 v69, vcc_lo, s4, v69
	v_lshlrev_b64 v[75:76], 3, v[75:76]
	v_add_nc_u32_e32 v85, s15, v83
	v_ashrrev_i32_e32 v84, 31, v83
	v_add_co_ci_u32_e64 v70, null, s5, v70, vcc_lo
	v_add_co_u32 v71, vcc_lo, s4, v71
	v_add_nc_u32_e32 v87, s15, v85
	v_lshlrev_b64 v[77:78], 3, v[77:78]
	v_ashrrev_i32_e32 v86, 31, v85
	v_add_co_ci_u32_e64 v72, null, s5, v72, vcc_lo
	v_add_nc_u32_e32 v89, s15, v87
	v_add_co_u32 v73, vcc_lo, s4, v73
	v_lshlrev_b64 v[79:80], 3, v[79:80]
	v_ashrrev_i32_e32 v88, 31, v87
	v_add_nc_u32_e32 v91, s15, v89
	v_add_co_ci_u32_e64 v74, null, s5, v74, vcc_lo
	v_add_co_u32 v75, vcc_lo, s4, v75
	v_add_nc_u32_e32 v93, s15, v91
	v_lshlrev_b64 v[83:84], 3, v[83:84]
	v_ashrrev_i32_e32 v90, 31, v89
	v_add_co_ci_u32_e64 v76, null, s5, v76, vcc_lo
	v_add_nc_u32_e32 v95, s15, v93
	v_add_co_u32 v77, vcc_lo, s4, v77
	v_lshlrev_b64 v[85:86], 3, v[85:86]
	v_ashrrev_i32_e32 v92, 31, v91
	v_add_nc_u32_e32 v97, s15, v95
	v_add_co_ci_u32_e64 v78, null, s5, v78, vcc_lo
	v_add_co_u32 v79, vcc_lo, s4, v79
	v_add_nc_u32_e32 v99, s15, v97
	v_lshlrev_b64 v[87:88], 3, v[87:88]
	v_ashrrev_i32_e32 v94, 31, v93
	v_add_co_ci_u32_e64 v80, null, s5, v80, vcc_lo
	v_add_nc_u32_e32 v101, s15, v99
	v_add_co_u32 v83, vcc_lo, s4, v83
	v_lshlrev_b64 v[89:90], 3, v[89:90]
	v_ashrrev_i32_e32 v96, 31, v95
	v_add_nc_u32_e32 v103, s15, v101
	v_add_co_ci_u32_e64 v84, null, s5, v84, vcc_lo
	v_add_co_u32 v85, vcc_lo, s4, v85
	v_add_nc_u32_e32 v105, s15, v103
	v_lshlrev_b64 v[91:92], 3, v[91:92]
	v_ashrrev_i32_e32 v98, 31, v97
	v_add_co_ci_u32_e64 v86, null, s5, v86, vcc_lo
	v_add_nc_u32_e32 v107, s15, v105
	v_add_co_u32 v87, vcc_lo, s4, v87
	v_lshlrev_b64 v[93:94], 3, v[93:94]
	v_ashrrev_i32_e32 v100, 31, v99
	v_add_nc_u32_e32 v109, s15, v107
	v_add_co_ci_u32_e64 v88, null, s5, v88, vcc_lo
	v_add_co_u32 v89, vcc_lo, s4, v89
	v_add_nc_u32_e32 v174, s15, v109
	v_lshlrev_b64 v[95:96], 3, v[95:96]
	v_ashrrev_i32_e32 v102, 31, v101
	v_add_co_ci_u32_e64 v90, null, s5, v90, vcc_lo
	v_add_co_u32 v91, vcc_lo, s4, v91
	v_lshlrev_b64 v[97:98], 3, v[97:98]
	v_ashrrev_i32_e32 v104, 31, v103
	v_add_nc_u32_e32 v176, s15, v174
	v_add_co_ci_u32_e64 v92, null, s5, v92, vcc_lo
	v_add_co_u32 v93, vcc_lo, s4, v93
	v_lshlrev_b64 v[99:100], 3, v[99:100]
	v_ashrrev_i32_e32 v106, 31, v105
	v_add_co_ci_u32_e64 v94, null, s5, v94, vcc_lo
	v_add_co_u32 v95, vcc_lo, s4, v95
	v_lshlrev_b64 v[101:102], 3, v[101:102]
	v_ashrrev_i32_e32 v108, 31, v107
	v_add_co_ci_u32_e64 v96, null, s5, v96, vcc_lo
	v_add_co_u32 v97, vcc_lo, s4, v97
	v_lshlrev_b64 v[103:104], 3, v[103:104]
	v_add_nc_u32_e32 v115, s15, v176
	v_ashrrev_i32_e32 v110, 31, v109
	v_add_co_ci_u32_e64 v98, null, s5, v98, vcc_lo
	v_add_co_u32 v99, vcc_lo, s4, v99
	v_lshlrev_b64 v[105:106], 3, v[105:106]
	v_ashrrev_i32_e32 v175, 31, v174
	v_add_co_ci_u32_e64 v100, null, s5, v100, vcc_lo
	v_add_co_u32 v101, vcc_lo, s4, v101
	v_lshlrev_b64 v[107:108], 3, v[107:108]
	v_ashrrev_i32_e32 v177, 31, v176
	v_add_nc_u32_e32 v118, s15, v115
	v_add_co_ci_u32_e64 v102, null, s5, v102, vcc_lo
	v_add_co_u32 v103, vcc_lo, s4, v103
	v_lshlrev_b64 v[109:110], 3, v[109:110]
	v_ashrrev_i32_e32 v116, 31, v115
	v_add_co_ci_u32_e64 v104, null, s5, v104, vcc_lo
	v_add_co_u32 v105, vcc_lo, s4, v105
	v_lshlrev_b64 v[174:175], 3, v[174:175]
	v_add_co_ci_u32_e64 v106, null, s5, v106, vcc_lo
	v_add_co_u32 v107, vcc_lo, s4, v107
	v_lshlrev_b64 v[113:114], 3, v[176:177]
	v_add_nc_u32_e32 v120, s15, v118
	v_add_co_ci_u32_e64 v108, null, s5, v108, vcc_lo
	v_add_co_u32 v109, vcc_lo, s4, v109
	v_lshlrev_b64 v[116:117], 3, v[115:116]
	v_add_co_ci_u32_e64 v110, null, s5, v110, vcc_lo
	v_add_co_u32 v111, vcc_lo, s4, v174
	v_ashrrev_i32_e32 v119, 31, v118
	v_add_nc_u32_e32 v122, s15, v120
	v_add_co_ci_u32_e64 v112, null, s5, v175, vcc_lo
	v_add_co_u32 v113, vcc_lo, s4, v113
	v_add_co_ci_u32_e64 v114, null, s5, v114, vcc_lo
	v_add_co_u32 v115, vcc_lo, s4, v116
	v_add_co_ci_u32_e64 v116, null, s5, v117, vcc_lo
	v_lshlrev_b64 v[117:118], 3, v[118:119]
	v_add_nc_u32_e32 v160, s15, v122
	v_ashrrev_i32_e32 v121, 31, v120
	v_ashrrev_i32_e32 v123, 31, v122
	s_clause 0x1
	global_load_dwordx2 v[125:126], v[61:62], off
	global_load_dwordx2 v[128:129], v[63:64], off
	s_waitcnt vmcnt(3)
	buffer_store_dword v170, off, s[0:3], 0 offset:232
	buffer_store_dword v171, off, s[0:3], 0 offset:236
	v_ashrrev_i32_e32 v161, 31, v160
	v_add_co_u32 v117, vcc_lo, s4, v117
	v_add_co_ci_u32_e64 v118, null, s5, v118, vcc_lo
	s_clause 0x8
	global_load_dwordx2 v[130:131], v[65:66], off
	global_load_dwordx2 v[132:133], v[67:68], off
	;; [unrolled: 1-line block ×9, first 2 shown]
	v_lshlrev_b64 v[119:120], 3, v[120:121]
	s_clause 0x7
	global_load_dwordx2 v[148:149], v[85:86], off
	global_load_dwordx2 v[150:151], v[87:88], off
	;; [unrolled: 1-line block ×8, first 2 shown]
	v_lshlrev_b64 v[121:122], 3, v[122:123]
	s_clause 0x4
	global_load_dwordx2 v[166:167], v[101:102], off
	global_load_dwordx2 v[168:169], v[103:104], off
	;; [unrolled: 1-line block ×5, first 2 shown]
	v_lshlrev_b64 v[123:124], 3, v[160:161]
	s_clause 0x3
	global_load_dwordx2 v[160:161], v[111:112], off
	global_load_dwordx2 v[178:179], v[113:114], off
	;; [unrolled: 1-line block ×4, first 2 shown]
	v_add_co_u32 v119, vcc_lo, s4, v119
	v_add_co_ci_u32_e64 v120, null, s5, v120, vcc_lo
	v_add_co_u32 v121, vcc_lo, s4, v121
	v_add_co_ci_u32_e64 v122, null, s5, v122, vcc_lo
	;; [unrolled: 2-line block ×3, first 2 shown]
	s_clause 0x1
	global_load_dwordx2 v[184:185], v[119:120], off
	global_load_dwordx2 v[186:187], v[121:122], off
	s_waitcnt vmcnt(30)
	buffer_store_dword v172, off, s[0:3], 0 offset:240
	buffer_store_dword v173, off, s[0:3], 0 offset:244
	global_load_dwordx2 v[172:173], v[123:124], off
	s_mov_b32 s5, -1
	s_waitcnt vmcnt(30)
	buffer_store_dword v126, off, s[0:3], 0 offset:252
	buffer_store_dword v125, off, s[0:3], 0 offset:248
	s_waitcnt vmcnt(29)
	buffer_store_dword v129, off, s[0:3], 0 offset:260
	buffer_store_dword v128, off, s[0:3], 0 offset:256
	s_waitcnt vmcnt(28)
	buffer_store_dword v130, off, s[0:3], 0 offset:264
	buffer_store_dword v131, off, s[0:3], 0 offset:268
	s_waitcnt vmcnt(27)
	buffer_store_dword v132, off, s[0:3], 0 offset:272
	buffer_store_dword v133, off, s[0:3], 0 offset:276
	s_waitcnt vmcnt(26)
	buffer_store_dword v134, off, s[0:3], 0 offset:280
	buffer_store_dword v135, off, s[0:3], 0 offset:284
	s_waitcnt vmcnt(25)
	buffer_store_dword v136, off, s[0:3], 0 offset:288
	buffer_store_dword v137, off, s[0:3], 0 offset:292
	s_waitcnt vmcnt(24)
	buffer_store_dword v139, off, s[0:3], 0 offset:300
	buffer_store_dword v138, off, s[0:3], 0 offset:296
	s_waitcnt vmcnt(23)
	buffer_store_dword v141, off, s[0:3], 0 offset:308
	buffer_store_dword v140, off, s[0:3], 0 offset:304
	s_waitcnt vmcnt(22)
	buffer_store_dword v142, off, s[0:3], 0 offset:312
	buffer_store_dword v143, off, s[0:3], 0 offset:316
	s_waitcnt vmcnt(21)
	buffer_store_dword v144, off, s[0:3], 0 offset:320
	buffer_store_dword v145, off, s[0:3], 0 offset:324
	s_waitcnt vmcnt(20)
	buffer_store_dword v146, off, s[0:3], 0 offset:328
	buffer_store_dword v147, off, s[0:3], 0 offset:332
	s_waitcnt vmcnt(19)
	buffer_store_dword v148, off, s[0:3], 0 offset:336
	buffer_store_dword v149, off, s[0:3], 0 offset:340
	s_waitcnt vmcnt(18)
	buffer_store_dword v151, off, s[0:3], 0 offset:348
	buffer_store_dword v150, off, s[0:3], 0 offset:344
	s_waitcnt vmcnt(17)
	buffer_store_dword v153, off, s[0:3], 0 offset:356
	buffer_store_dword v152, off, s[0:3], 0 offset:352
	s_waitcnt vmcnt(16)
	buffer_store_dword v154, off, s[0:3], 0 offset:360
	buffer_store_dword v155, off, s[0:3], 0 offset:364
	s_waitcnt vmcnt(15)
	buffer_store_dword v156, off, s[0:3], 0 offset:368
	buffer_store_dword v157, off, s[0:3], 0 offset:372
	s_waitcnt vmcnt(14)
	buffer_store_dword v158, off, s[0:3], 0 offset:376
	buffer_store_dword v159, off, s[0:3], 0 offset:380
	s_waitcnt vmcnt(13)
	buffer_store_dword v162, off, s[0:3], 0 offset:384
	buffer_store_dword v163, off, s[0:3], 0 offset:388
	s_waitcnt vmcnt(12)
	buffer_store_dword v165, off, s[0:3], 0 offset:396
	buffer_store_dword v164, off, s[0:3], 0 offset:392
	s_waitcnt vmcnt(11)
	buffer_store_dword v167, off, s[0:3], 0 offset:404
	buffer_store_dword v166, off, s[0:3], 0 offset:400
	s_waitcnt vmcnt(10)
	buffer_store_dword v168, off, s[0:3], 0 offset:408
	buffer_store_dword v169, off, s[0:3], 0 offset:412
	s_waitcnt vmcnt(9)
	buffer_store_dword v170, off, s[0:3], 0 offset:416
	buffer_store_dword v171, off, s[0:3], 0 offset:420
	s_waitcnt vmcnt(8)
	buffer_store_dword v174, off, s[0:3], 0 offset:424
	buffer_store_dword v175, off, s[0:3], 0 offset:428
	s_waitcnt vmcnt(7)
	buffer_store_dword v176, off, s[0:3], 0 offset:432
	buffer_store_dword v177, off, s[0:3], 0 offset:436
	s_waitcnt vmcnt(6)
	buffer_store_dword v161, off, s[0:3], 0 offset:444
	buffer_store_dword v160, off, s[0:3], 0 offset:440
	s_waitcnt vmcnt(5)
	buffer_store_dword v179, off, s[0:3], 0 offset:452
	buffer_store_dword v178, off, s[0:3], 0 offset:448
	s_waitcnt vmcnt(4)
	buffer_store_dword v180, off, s[0:3], 0 offset:456
	buffer_store_dword v181, off, s[0:3], 0 offset:460
	s_waitcnt vmcnt(3)
	buffer_store_dword v182, off, s[0:3], 0 offset:464
	buffer_store_dword v183, off, s[0:3], 0 offset:468
	s_waitcnt vmcnt(2)
	buffer_store_dword v184, off, s[0:3], 0 offset:472
	buffer_store_dword v185, off, s[0:3], 0 offset:476
	s_waitcnt vmcnt(1)
	buffer_store_dword v186, off, s[0:3], 0 offset:480
	buffer_store_dword v187, off, s[0:3], 0 offset:484
	s_waitcnt vmcnt(0)
	buffer_store_dword v173, off, s[0:3], 0 offset:492
	buffer_store_dword v172, off, s[0:3], 0 offset:488
	s_cbranch_scc1 .LBB61_256
; %bb.4:
	v_cmp_eq_u32_e64 s4, 0, v0
	s_and_saveexec_b32 s5, s4
; %bb.5:
	v_mov_b32_e32 v125, 0
	ds_write_b32 v125, v125 offset:992
; %bb.6:
	s_or_b32 exec_lo, exec_lo, s5
	v_lshl_add_u32 v125, v0, 3, 0
	s_waitcnt lgkmcnt(0)
	s_waitcnt_vscnt null, 0x0
	s_barrier
	buffer_gl0_inv
	s_mov_b32 s8, exec_lo
	s_clause 0x1
	buffer_load_dword v128, v125, s[0:3], 0 offen
	buffer_load_dword v129, v125, s[0:3], 0 offen offset:4
	s_waitcnt vmcnt(0)
	v_cmpx_eq_f64_e32 0, v[128:129]
	s_cbranch_execz .LBB61_10
; %bb.7:
	v_mov_b32_e32 v126, 0
	s_mov_b32 s9, 0
	ds_read_b32 v128, v126 offset:992
	s_waitcnt lgkmcnt(0)
	v_readfirstlane_b32 s5, v128
	v_add_nc_u32_e32 v128, 1, v0
	s_cmp_eq_u32 s5, 0
	v_cmp_gt_i32_e32 vcc_lo, s5, v128
	s_cselect_b32 s12, -1, 0
	s_or_b32 s12, s12, vcc_lo
	s_and_b32 exec_lo, exec_lo, s12
	s_cbranch_execz .LBB61_10
; %bb.8:
	v_mov_b32_e32 v129, s5
.LBB61_9:                               ; =>This Inner Loop Header: Depth=1
	ds_cmpst_rtn_b32 v129, v126, v129, v128 offset:992
	s_waitcnt lgkmcnt(0)
	v_cmp_ne_u32_e32 vcc_lo, 0, v129
	v_cmp_le_i32_e64 s5, v129, v128
	s_and_b32 s5, vcc_lo, s5
	s_and_b32 s5, exec_lo, s5
	s_or_b32 s9, s5, s9
	s_andn2_b32 exec_lo, exec_lo, s9
	s_cbranch_execnz .LBB61_9
.LBB61_10:
	s_or_b32 exec_lo, exec_lo, s8
	v_mov_b32_e32 v126, 0
	s_barrier
	buffer_gl0_inv
	ds_read_b32 v128, v126 offset:992
	s_and_saveexec_b32 s5, s4
	s_cbranch_execz .LBB61_12
; %bb.11:
	s_lshl_b64 s[8:9], s[6:7], 2
	s_add_u32 s8, s10, s8
	s_addc_u32 s9, s11, s9
	s_waitcnt lgkmcnt(0)
	global_store_dword v126, v128, s[8:9]
.LBB61_12:
	s_or_b32 exec_lo, exec_lo, s5
	s_waitcnt lgkmcnt(0)
	v_cmp_ne_u32_e32 vcc_lo, 0, v128
	s_mov_b32 s5, 0
	s_cbranch_vccnz .LBB61_256
; %bb.13:
	s_clause 0x1
	buffer_load_dword v128, v125, s[0:3], 0 offen
	buffer_load_dword v129, v125, s[0:3], 0 offen offset:4
	s_waitcnt vmcnt(0)
	v_div_scale_f64 v[130:131], null, v[128:129], v[128:129], 1.0
	v_div_scale_f64 v[136:137], vcc_lo, 1.0, v[128:129], 1.0
	v_rcp_f64_e32 v[132:133], v[130:131]
	v_fma_f64 v[134:135], -v[130:131], v[132:133], 1.0
	v_fma_f64 v[132:133], v[132:133], v[134:135], v[132:133]
	v_fma_f64 v[134:135], -v[130:131], v[132:133], 1.0
	v_fma_f64 v[132:133], v[132:133], v[134:135], v[132:133]
	v_mul_f64 v[134:135], v[136:137], v[132:133]
	v_fma_f64 v[130:131], -v[130:131], v[134:135], v[136:137]
	v_div_fmas_f64 v[130:131], v[130:131], v[132:133], v[134:135]
	v_div_fixup_f64 v[129:130], v[130:131], v[128:129], 1.0
	v_add_nc_u32_e32 v128, 0x1f0, v127
	buffer_store_dword v130, v125, s[0:3], 0 offen offset:4
	buffer_store_dword v129, v125, s[0:3], 0 offen
	s_clause 0x1
	buffer_load_dword v132, off, s[0:3], 0 offset:12
	buffer_load_dword v131, off, s[0:3], 0 offset:8
	v_xor_b32_e32 v130, 0x80000000, v130
	s_waitcnt vmcnt(0)
	ds_write2_b64 v127, v[129:130], v[131:132] offset1:62
	s_waitcnt lgkmcnt(0)
	s_waitcnt_vscnt null, 0x0
	s_barrier
	buffer_gl0_inv
	s_and_saveexec_b32 s5, s4
	s_cbranch_execz .LBB61_15
; %bb.14:
	s_clause 0x1
	buffer_load_dword v129, v125, s[0:3], 0 offen
	buffer_load_dword v130, v125, s[0:3], 0 offen offset:4
	ds_read_b64 v[131:132], v128
	v_mov_b32_e32 v126, 0
	ds_read_b64 v[133:134], v126 offset:8
	s_waitcnt vmcnt(0) lgkmcnt(1)
	v_fma_f64 v[129:130], v[129:130], v[131:132], 0
	s_waitcnt lgkmcnt(0)
	v_mul_f64 v[129:130], v[129:130], v[133:134]
	buffer_store_dword v129, off, s[0:3], 0 offset:8
	buffer_store_dword v130, off, s[0:3], 0 offset:12
.LBB61_15:
	s_or_b32 exec_lo, exec_lo, s5
	s_waitcnt_vscnt null, 0x0
	s_barrier
	buffer_gl0_inv
	s_clause 0x1
	buffer_load_dword v129, off, s[0:3], 0 offset:16
	buffer_load_dword v130, off, s[0:3], 0 offset:20
	s_mov_b32 s5, exec_lo
	s_waitcnt vmcnt(0)
	ds_write_b64 v128, v[129:130]
	s_waitcnt lgkmcnt(0)
	s_barrier
	buffer_gl0_inv
	v_cmpx_gt_u32_e32 2, v0
	s_cbranch_execz .LBB61_19
; %bb.16:
	s_clause 0x1
	buffer_load_dword v129, v125, s[0:3], 0 offen
	buffer_load_dword v130, v125, s[0:3], 0 offen offset:4
	ds_read_b64 v[125:126], v128
	s_waitcnt vmcnt(0) lgkmcnt(0)
	v_fma_f64 v[125:126], v[129:130], v[125:126], 0
	s_and_saveexec_b32 s8, s4
	s_cbranch_execz .LBB61_18
; %bb.17:
	s_clause 0x1
	buffer_load_dword v129, off, s[0:3], 0 offset:8
	buffer_load_dword v130, off, s[0:3], 0 offset:12
	v_mov_b32_e32 v131, 0
	ds_read_b64 v[131:132], v131 offset:504
	s_waitcnt vmcnt(0) lgkmcnt(0)
	v_fma_f64 v[125:126], v[129:130], v[131:132], v[125:126]
.LBB61_18:
	s_or_b32 exec_lo, exec_lo, s8
	v_mov_b32_e32 v129, 0
	ds_read_b64 v[129:130], v129 offset:16
	s_waitcnt lgkmcnt(0)
	v_mul_f64 v[125:126], v[125:126], v[129:130]
	buffer_store_dword v126, off, s[0:3], 0 offset:20
	buffer_store_dword v125, off, s[0:3], 0 offset:16
.LBB61_19:
	s_or_b32 exec_lo, exec_lo, s5
	s_waitcnt_vscnt null, 0x0
	s_barrier
	buffer_gl0_inv
	s_clause 0x1
	buffer_load_dword v125, off, s[0:3], 0 offset:24
	buffer_load_dword v126, off, s[0:3], 0 offset:28
	v_add_nc_u32_e32 v129, -1, v0
	s_mov_b32 s4, exec_lo
	s_waitcnt vmcnt(0)
	ds_write_b64 v128, v[125:126]
	s_waitcnt lgkmcnt(0)
	s_barrier
	buffer_gl0_inv
	v_cmpx_gt_u32_e32 3, v0
	s_cbranch_execz .LBB61_23
; %bb.20:
	v_mov_b32_e32 v125, 0
	v_add_nc_u32_e32 v130, -1, v0
	v_add_nc_u32_e32 v131, 0x1f0, v127
	v_mov_b32_e32 v126, 0
	v_mov_b32_e32 v132, v127
	s_mov_b32 s5, 0
.LBB61_21:                              ; =>This Inner Loop Header: Depth=1
	s_clause 0x1
	buffer_load_dword v133, v132, s[0:3], 0 offen
	buffer_load_dword v134, v132, s[0:3], 0 offen offset:4
	ds_read_b64 v[135:136], v131
	v_add_nc_u32_e32 v130, 1, v130
	v_add_nc_u32_e32 v131, 8, v131
	v_add_nc_u32_e32 v132, 8, v132
	v_cmp_lt_u32_e32 vcc_lo, 1, v130
	s_or_b32 s5, vcc_lo, s5
	s_waitcnt vmcnt(0) lgkmcnt(0)
	v_fma_f64 v[125:126], v[133:134], v[135:136], v[125:126]
	s_andn2_b32 exec_lo, exec_lo, s5
	s_cbranch_execnz .LBB61_21
; %bb.22:
	s_or_b32 exec_lo, exec_lo, s5
	v_mov_b32_e32 v130, 0
	ds_read_b64 v[130:131], v130 offset:24
	s_waitcnt lgkmcnt(0)
	v_mul_f64 v[125:126], v[125:126], v[130:131]
	buffer_store_dword v126, off, s[0:3], 0 offset:28
	buffer_store_dword v125, off, s[0:3], 0 offset:24
.LBB61_23:
	s_or_b32 exec_lo, exec_lo, s4
	s_waitcnt_vscnt null, 0x0
	s_barrier
	buffer_gl0_inv
	s_clause 0x1
	buffer_load_dword v125, off, s[0:3], 0 offset:32
	buffer_load_dword v126, off, s[0:3], 0 offset:36
	s_mov_b32 s4, exec_lo
	s_waitcnt vmcnt(0)
	ds_write_b64 v128, v[125:126]
	s_waitcnt lgkmcnt(0)
	s_barrier
	buffer_gl0_inv
	v_cmpx_gt_u32_e32 4, v0
	s_cbranch_execz .LBB61_27
; %bb.24:
	v_mov_b32_e32 v125, 0
	v_add_nc_u32_e32 v130, -1, v0
	v_add_nc_u32_e32 v131, 0x1f0, v127
	v_mov_b32_e32 v126, 0
	v_mov_b32_e32 v132, v127
	s_mov_b32 s5, 0
.LBB61_25:                              ; =>This Inner Loop Header: Depth=1
	s_clause 0x1
	buffer_load_dword v133, v132, s[0:3], 0 offen
	buffer_load_dword v134, v132, s[0:3], 0 offen offset:4
	ds_read_b64 v[135:136], v131
	v_add_nc_u32_e32 v130, 1, v130
	v_add_nc_u32_e32 v131, 8, v131
	v_add_nc_u32_e32 v132, 8, v132
	v_cmp_lt_u32_e32 vcc_lo, 2, v130
	s_or_b32 s5, vcc_lo, s5
	s_waitcnt vmcnt(0) lgkmcnt(0)
	v_fma_f64 v[125:126], v[133:134], v[135:136], v[125:126]
	s_andn2_b32 exec_lo, exec_lo, s5
	s_cbranch_execnz .LBB61_25
; %bb.26:
	s_or_b32 exec_lo, exec_lo, s5
	v_mov_b32_e32 v130, 0
	ds_read_b64 v[130:131], v130 offset:32
	s_waitcnt lgkmcnt(0)
	v_mul_f64 v[125:126], v[125:126], v[130:131]
	buffer_store_dword v126, off, s[0:3], 0 offset:36
	buffer_store_dword v125, off, s[0:3], 0 offset:32
.LBB61_27:
	s_or_b32 exec_lo, exec_lo, s4
	s_waitcnt_vscnt null, 0x0
	s_barrier
	buffer_gl0_inv
	s_clause 0x1
	buffer_load_dword v125, off, s[0:3], 0 offset:40
	buffer_load_dword v126, off, s[0:3], 0 offset:44
	;; [unrolled: 45-line block ×20, first 2 shown]
	s_mov_b32 s4, exec_lo
	s_waitcnt vmcnt(0)
	ds_write_b64 v128, v[125:126]
	s_waitcnt lgkmcnt(0)
	s_barrier
	buffer_gl0_inv
	v_cmpx_gt_u32_e32 23, v0
	s_cbranch_execz .LBB61_103
; %bb.100:
	v_mov_b32_e32 v125, 0
	v_add_nc_u32_e32 v130, -1, v0
	v_add_nc_u32_e32 v131, 0x1f0, v127
	v_mov_b32_e32 v126, 0
	v_mov_b32_e32 v132, v127
	s_mov_b32 s5, 0
.LBB61_101:                             ; =>This Inner Loop Header: Depth=1
	s_clause 0x1
	buffer_load_dword v133, v132, s[0:3], 0 offen
	buffer_load_dword v134, v132, s[0:3], 0 offen offset:4
	ds_read_b64 v[135:136], v131
	v_add_nc_u32_e32 v130, 1, v130
	v_add_nc_u32_e32 v131, 8, v131
	v_add_nc_u32_e32 v132, 8, v132
	v_cmp_lt_u32_e32 vcc_lo, 21, v130
	s_or_b32 s5, vcc_lo, s5
	s_waitcnt vmcnt(0) lgkmcnt(0)
	v_fma_f64 v[125:126], v[133:134], v[135:136], v[125:126]
	s_andn2_b32 exec_lo, exec_lo, s5
	s_cbranch_execnz .LBB61_101
; %bb.102:
	s_or_b32 exec_lo, exec_lo, s5
	v_mov_b32_e32 v130, 0
	ds_read_b64 v[130:131], v130 offset:184
	s_waitcnt lgkmcnt(0)
	v_mul_f64 v[125:126], v[125:126], v[130:131]
	buffer_store_dword v126, off, s[0:3], 0 offset:188
	buffer_store_dword v125, off, s[0:3], 0 offset:184
.LBB61_103:
	s_or_b32 exec_lo, exec_lo, s4
	s_waitcnt_vscnt null, 0x0
	s_barrier
	buffer_gl0_inv
	s_clause 0x1
	buffer_load_dword v125, off, s[0:3], 0 offset:192
	buffer_load_dword v126, off, s[0:3], 0 offset:196
	s_mov_b32 s4, exec_lo
	s_waitcnt vmcnt(0)
	ds_write_b64 v128, v[125:126]
	s_waitcnt lgkmcnt(0)
	s_barrier
	buffer_gl0_inv
	v_cmpx_gt_u32_e32 24, v0
	s_cbranch_execz .LBB61_107
; %bb.104:
	v_mov_b32_e32 v125, 0
	v_add_nc_u32_e32 v130, -1, v0
	v_add_nc_u32_e32 v131, 0x1f0, v127
	v_mov_b32_e32 v126, 0
	v_mov_b32_e32 v132, v127
	s_mov_b32 s5, 0
.LBB61_105:                             ; =>This Inner Loop Header: Depth=1
	s_clause 0x1
	buffer_load_dword v133, v132, s[0:3], 0 offen
	buffer_load_dword v134, v132, s[0:3], 0 offen offset:4
	ds_read_b64 v[135:136], v131
	v_add_nc_u32_e32 v130, 1, v130
	v_add_nc_u32_e32 v131, 8, v131
	v_add_nc_u32_e32 v132, 8, v132
	v_cmp_lt_u32_e32 vcc_lo, 22, v130
	s_or_b32 s5, vcc_lo, s5
	s_waitcnt vmcnt(0) lgkmcnt(0)
	v_fma_f64 v[125:126], v[133:134], v[135:136], v[125:126]
	s_andn2_b32 exec_lo, exec_lo, s5
	s_cbranch_execnz .LBB61_105
; %bb.106:
	s_or_b32 exec_lo, exec_lo, s5
	v_mov_b32_e32 v130, 0
	ds_read_b64 v[130:131], v130 offset:192
	s_waitcnt lgkmcnt(0)
	v_mul_f64 v[125:126], v[125:126], v[130:131]
	buffer_store_dword v126, off, s[0:3], 0 offset:196
	buffer_store_dword v125, off, s[0:3], 0 offset:192
.LBB61_107:
	s_or_b32 exec_lo, exec_lo, s4
	s_waitcnt_vscnt null, 0x0
	s_barrier
	buffer_gl0_inv
	s_clause 0x1
	buffer_load_dword v125, off, s[0:3], 0 offset:200
	buffer_load_dword v126, off, s[0:3], 0 offset:204
	s_mov_b32 s4, exec_lo
	s_waitcnt vmcnt(0)
	ds_write_b64 v128, v[125:126]
	s_waitcnt lgkmcnt(0)
	s_barrier
	buffer_gl0_inv
	v_cmpx_gt_u32_e32 25, v0
	s_cbranch_execz .LBB61_111
; %bb.108:
	v_mov_b32_e32 v125, 0
	v_add_nc_u32_e32 v130, -1, v0
	v_add_nc_u32_e32 v131, 0x1f0, v127
	v_mov_b32_e32 v126, 0
	v_mov_b32_e32 v132, v127
	s_mov_b32 s5, 0
.LBB61_109:                             ; =>This Inner Loop Header: Depth=1
	s_clause 0x1
	buffer_load_dword v133, v132, s[0:3], 0 offen
	buffer_load_dword v134, v132, s[0:3], 0 offen offset:4
	ds_read_b64 v[135:136], v131
	v_add_nc_u32_e32 v130, 1, v130
	v_add_nc_u32_e32 v131, 8, v131
	v_add_nc_u32_e32 v132, 8, v132
	v_cmp_lt_u32_e32 vcc_lo, 23, v130
	s_or_b32 s5, vcc_lo, s5
	s_waitcnt vmcnt(0) lgkmcnt(0)
	v_fma_f64 v[125:126], v[133:134], v[135:136], v[125:126]
	s_andn2_b32 exec_lo, exec_lo, s5
	s_cbranch_execnz .LBB61_109
; %bb.110:
	s_or_b32 exec_lo, exec_lo, s5
	v_mov_b32_e32 v130, 0
	ds_read_b64 v[130:131], v130 offset:200
	s_waitcnt lgkmcnt(0)
	v_mul_f64 v[125:126], v[125:126], v[130:131]
	buffer_store_dword v126, off, s[0:3], 0 offset:204
	buffer_store_dword v125, off, s[0:3], 0 offset:200
.LBB61_111:
	s_or_b32 exec_lo, exec_lo, s4
	s_waitcnt_vscnt null, 0x0
	s_barrier
	buffer_gl0_inv
	s_clause 0x1
	buffer_load_dword v125, off, s[0:3], 0 offset:208
	buffer_load_dword v126, off, s[0:3], 0 offset:212
	s_mov_b32 s4, exec_lo
	s_waitcnt vmcnt(0)
	ds_write_b64 v128, v[125:126]
	s_waitcnt lgkmcnt(0)
	s_barrier
	buffer_gl0_inv
	v_cmpx_gt_u32_e32 26, v0
	s_cbranch_execz .LBB61_115
; %bb.112:
	v_mov_b32_e32 v125, 0
	v_add_nc_u32_e32 v130, -1, v0
	v_add_nc_u32_e32 v131, 0x1f0, v127
	v_mov_b32_e32 v126, 0
	v_mov_b32_e32 v132, v127
	s_mov_b32 s5, 0
.LBB61_113:                             ; =>This Inner Loop Header: Depth=1
	s_clause 0x1
	buffer_load_dword v133, v132, s[0:3], 0 offen
	buffer_load_dword v134, v132, s[0:3], 0 offen offset:4
	ds_read_b64 v[135:136], v131
	v_add_nc_u32_e32 v130, 1, v130
	v_add_nc_u32_e32 v131, 8, v131
	v_add_nc_u32_e32 v132, 8, v132
	v_cmp_lt_u32_e32 vcc_lo, 24, v130
	s_or_b32 s5, vcc_lo, s5
	s_waitcnt vmcnt(0) lgkmcnt(0)
	v_fma_f64 v[125:126], v[133:134], v[135:136], v[125:126]
	s_andn2_b32 exec_lo, exec_lo, s5
	s_cbranch_execnz .LBB61_113
; %bb.114:
	s_or_b32 exec_lo, exec_lo, s5
	v_mov_b32_e32 v130, 0
	ds_read_b64 v[130:131], v130 offset:208
	s_waitcnt lgkmcnt(0)
	v_mul_f64 v[125:126], v[125:126], v[130:131]
	buffer_store_dword v126, off, s[0:3], 0 offset:212
	buffer_store_dword v125, off, s[0:3], 0 offset:208
.LBB61_115:
	s_or_b32 exec_lo, exec_lo, s4
	s_waitcnt_vscnt null, 0x0
	s_barrier
	buffer_gl0_inv
	s_clause 0x1
	buffer_load_dword v125, off, s[0:3], 0 offset:216
	buffer_load_dword v126, off, s[0:3], 0 offset:220
	s_mov_b32 s4, exec_lo
	s_waitcnt vmcnt(0)
	ds_write_b64 v128, v[125:126]
	s_waitcnt lgkmcnt(0)
	s_barrier
	buffer_gl0_inv
	v_cmpx_gt_u32_e32 27, v0
	s_cbranch_execz .LBB61_119
; %bb.116:
	v_mov_b32_e32 v125, 0
	v_add_nc_u32_e32 v130, -1, v0
	v_add_nc_u32_e32 v131, 0x1f0, v127
	v_mov_b32_e32 v126, 0
	v_mov_b32_e32 v132, v127
	s_mov_b32 s5, 0
.LBB61_117:                             ; =>This Inner Loop Header: Depth=1
	s_clause 0x1
	buffer_load_dword v133, v132, s[0:3], 0 offen
	buffer_load_dword v134, v132, s[0:3], 0 offen offset:4
	ds_read_b64 v[135:136], v131
	v_add_nc_u32_e32 v130, 1, v130
	v_add_nc_u32_e32 v131, 8, v131
	v_add_nc_u32_e32 v132, 8, v132
	v_cmp_lt_u32_e32 vcc_lo, 25, v130
	s_or_b32 s5, vcc_lo, s5
	s_waitcnt vmcnt(0) lgkmcnt(0)
	v_fma_f64 v[125:126], v[133:134], v[135:136], v[125:126]
	s_andn2_b32 exec_lo, exec_lo, s5
	s_cbranch_execnz .LBB61_117
; %bb.118:
	s_or_b32 exec_lo, exec_lo, s5
	v_mov_b32_e32 v130, 0
	ds_read_b64 v[130:131], v130 offset:216
	s_waitcnt lgkmcnt(0)
	v_mul_f64 v[125:126], v[125:126], v[130:131]
	buffer_store_dword v126, off, s[0:3], 0 offset:220
	buffer_store_dword v125, off, s[0:3], 0 offset:216
.LBB61_119:
	s_or_b32 exec_lo, exec_lo, s4
	s_waitcnt_vscnt null, 0x0
	s_barrier
	buffer_gl0_inv
	s_clause 0x1
	buffer_load_dword v125, off, s[0:3], 0 offset:224
	buffer_load_dword v126, off, s[0:3], 0 offset:228
	s_mov_b32 s4, exec_lo
	s_waitcnt vmcnt(0)
	ds_write_b64 v128, v[125:126]
	s_waitcnt lgkmcnt(0)
	s_barrier
	buffer_gl0_inv
	v_cmpx_gt_u32_e32 28, v0
	s_cbranch_execz .LBB61_123
; %bb.120:
	v_mov_b32_e32 v125, 0
	v_add_nc_u32_e32 v130, -1, v0
	v_add_nc_u32_e32 v131, 0x1f0, v127
	v_mov_b32_e32 v126, 0
	v_mov_b32_e32 v132, v127
	s_mov_b32 s5, 0
.LBB61_121:                             ; =>This Inner Loop Header: Depth=1
	s_clause 0x1
	buffer_load_dword v133, v132, s[0:3], 0 offen
	buffer_load_dword v134, v132, s[0:3], 0 offen offset:4
	ds_read_b64 v[135:136], v131
	v_add_nc_u32_e32 v130, 1, v130
	v_add_nc_u32_e32 v131, 8, v131
	v_add_nc_u32_e32 v132, 8, v132
	v_cmp_lt_u32_e32 vcc_lo, 26, v130
	s_or_b32 s5, vcc_lo, s5
	s_waitcnt vmcnt(0) lgkmcnt(0)
	v_fma_f64 v[125:126], v[133:134], v[135:136], v[125:126]
	s_andn2_b32 exec_lo, exec_lo, s5
	s_cbranch_execnz .LBB61_121
; %bb.122:
	s_or_b32 exec_lo, exec_lo, s5
	v_mov_b32_e32 v130, 0
	ds_read_b64 v[130:131], v130 offset:224
	s_waitcnt lgkmcnt(0)
	v_mul_f64 v[125:126], v[125:126], v[130:131]
	buffer_store_dword v126, off, s[0:3], 0 offset:228
	buffer_store_dword v125, off, s[0:3], 0 offset:224
.LBB61_123:
	s_or_b32 exec_lo, exec_lo, s4
	s_waitcnt_vscnt null, 0x0
	s_barrier
	buffer_gl0_inv
	s_clause 0x1
	buffer_load_dword v125, off, s[0:3], 0 offset:232
	buffer_load_dword v126, off, s[0:3], 0 offset:236
	s_mov_b32 s4, exec_lo
	s_waitcnt vmcnt(0)
	ds_write_b64 v128, v[125:126]
	s_waitcnt lgkmcnt(0)
	s_barrier
	buffer_gl0_inv
	v_cmpx_gt_u32_e32 29, v0
	s_cbranch_execz .LBB61_127
; %bb.124:
	v_mov_b32_e32 v125, 0
	v_add_nc_u32_e32 v130, -1, v0
	v_add_nc_u32_e32 v131, 0x1f0, v127
	v_mov_b32_e32 v126, 0
	v_mov_b32_e32 v132, v127
	s_mov_b32 s5, 0
.LBB61_125:                             ; =>This Inner Loop Header: Depth=1
	s_clause 0x1
	buffer_load_dword v133, v132, s[0:3], 0 offen
	buffer_load_dword v134, v132, s[0:3], 0 offen offset:4
	ds_read_b64 v[135:136], v131
	v_add_nc_u32_e32 v130, 1, v130
	v_add_nc_u32_e32 v131, 8, v131
	v_add_nc_u32_e32 v132, 8, v132
	v_cmp_lt_u32_e32 vcc_lo, 27, v130
	s_or_b32 s5, vcc_lo, s5
	s_waitcnt vmcnt(0) lgkmcnt(0)
	v_fma_f64 v[125:126], v[133:134], v[135:136], v[125:126]
	s_andn2_b32 exec_lo, exec_lo, s5
	s_cbranch_execnz .LBB61_125
; %bb.126:
	s_or_b32 exec_lo, exec_lo, s5
	v_mov_b32_e32 v130, 0
	ds_read_b64 v[130:131], v130 offset:232
	s_waitcnt lgkmcnt(0)
	v_mul_f64 v[125:126], v[125:126], v[130:131]
	buffer_store_dword v126, off, s[0:3], 0 offset:236
	buffer_store_dword v125, off, s[0:3], 0 offset:232
.LBB61_127:
	s_or_b32 exec_lo, exec_lo, s4
	s_waitcnt_vscnt null, 0x0
	s_barrier
	buffer_gl0_inv
	s_clause 0x1
	buffer_load_dword v125, off, s[0:3], 0 offset:240
	buffer_load_dword v126, off, s[0:3], 0 offset:244
	s_mov_b32 s4, exec_lo
	s_waitcnt vmcnt(0)
	ds_write_b64 v128, v[125:126]
	s_waitcnt lgkmcnt(0)
	s_barrier
	buffer_gl0_inv
	v_cmpx_gt_u32_e32 30, v0
	s_cbranch_execz .LBB61_131
; %bb.128:
	v_mov_b32_e32 v125, 0
	v_add_nc_u32_e32 v130, -1, v0
	v_add_nc_u32_e32 v131, 0x1f0, v127
	v_mov_b32_e32 v126, 0
	v_mov_b32_e32 v132, v127
	s_mov_b32 s5, 0
.LBB61_129:                             ; =>This Inner Loop Header: Depth=1
	s_clause 0x1
	buffer_load_dword v133, v132, s[0:3], 0 offen
	buffer_load_dword v134, v132, s[0:3], 0 offen offset:4
	ds_read_b64 v[135:136], v131
	v_add_nc_u32_e32 v130, 1, v130
	v_add_nc_u32_e32 v131, 8, v131
	v_add_nc_u32_e32 v132, 8, v132
	v_cmp_lt_u32_e32 vcc_lo, 28, v130
	s_or_b32 s5, vcc_lo, s5
	s_waitcnt vmcnt(0) lgkmcnt(0)
	v_fma_f64 v[125:126], v[133:134], v[135:136], v[125:126]
	s_andn2_b32 exec_lo, exec_lo, s5
	s_cbranch_execnz .LBB61_129
; %bb.130:
	s_or_b32 exec_lo, exec_lo, s5
	v_mov_b32_e32 v130, 0
	ds_read_b64 v[130:131], v130 offset:240
	s_waitcnt lgkmcnt(0)
	v_mul_f64 v[125:126], v[125:126], v[130:131]
	buffer_store_dword v126, off, s[0:3], 0 offset:244
	buffer_store_dword v125, off, s[0:3], 0 offset:240
.LBB61_131:
	s_or_b32 exec_lo, exec_lo, s4
	s_waitcnt_vscnt null, 0x0
	s_barrier
	buffer_gl0_inv
	s_clause 0x1
	buffer_load_dword v125, off, s[0:3], 0 offset:248
	buffer_load_dword v126, off, s[0:3], 0 offset:252
	s_mov_b32 s4, exec_lo
	s_waitcnt vmcnt(0)
	ds_write_b64 v128, v[125:126]
	s_waitcnt lgkmcnt(0)
	s_barrier
	buffer_gl0_inv
	v_cmpx_gt_u32_e32 31, v0
	s_cbranch_execz .LBB61_135
; %bb.132:
	v_mov_b32_e32 v125, 0
	v_add_nc_u32_e32 v130, -1, v0
	v_add_nc_u32_e32 v131, 0x1f0, v127
	v_mov_b32_e32 v126, 0
	v_mov_b32_e32 v132, v127
	s_mov_b32 s5, 0
.LBB61_133:                             ; =>This Inner Loop Header: Depth=1
	s_clause 0x1
	buffer_load_dword v133, v132, s[0:3], 0 offen
	buffer_load_dword v134, v132, s[0:3], 0 offen offset:4
	ds_read_b64 v[135:136], v131
	v_add_nc_u32_e32 v130, 1, v130
	v_add_nc_u32_e32 v131, 8, v131
	v_add_nc_u32_e32 v132, 8, v132
	v_cmp_lt_u32_e32 vcc_lo, 29, v130
	s_or_b32 s5, vcc_lo, s5
	s_waitcnt vmcnt(0) lgkmcnt(0)
	v_fma_f64 v[125:126], v[133:134], v[135:136], v[125:126]
	s_andn2_b32 exec_lo, exec_lo, s5
	s_cbranch_execnz .LBB61_133
; %bb.134:
	s_or_b32 exec_lo, exec_lo, s5
	v_mov_b32_e32 v130, 0
	ds_read_b64 v[130:131], v130 offset:248
	s_waitcnt lgkmcnt(0)
	v_mul_f64 v[125:126], v[125:126], v[130:131]
	buffer_store_dword v126, off, s[0:3], 0 offset:252
	buffer_store_dword v125, off, s[0:3], 0 offset:248
.LBB61_135:
	s_or_b32 exec_lo, exec_lo, s4
	s_waitcnt_vscnt null, 0x0
	s_barrier
	buffer_gl0_inv
	s_clause 0x1
	buffer_load_dword v125, off, s[0:3], 0 offset:256
	buffer_load_dword v126, off, s[0:3], 0 offset:260
	s_mov_b32 s4, exec_lo
	s_waitcnt vmcnt(0)
	ds_write_b64 v128, v[125:126]
	s_waitcnt lgkmcnt(0)
	s_barrier
	buffer_gl0_inv
	v_cmpx_gt_u32_e32 32, v0
	s_cbranch_execz .LBB61_139
; %bb.136:
	v_mov_b32_e32 v125, 0
	v_add_nc_u32_e32 v130, -1, v0
	v_add_nc_u32_e32 v131, 0x1f0, v127
	v_mov_b32_e32 v126, 0
	v_mov_b32_e32 v132, v127
	s_mov_b32 s5, 0
.LBB61_137:                             ; =>This Inner Loop Header: Depth=1
	s_clause 0x1
	buffer_load_dword v133, v132, s[0:3], 0 offen
	buffer_load_dword v134, v132, s[0:3], 0 offen offset:4
	ds_read_b64 v[135:136], v131
	v_add_nc_u32_e32 v130, 1, v130
	v_add_nc_u32_e32 v131, 8, v131
	v_add_nc_u32_e32 v132, 8, v132
	v_cmp_lt_u32_e32 vcc_lo, 30, v130
	s_or_b32 s5, vcc_lo, s5
	s_waitcnt vmcnt(0) lgkmcnt(0)
	v_fma_f64 v[125:126], v[133:134], v[135:136], v[125:126]
	s_andn2_b32 exec_lo, exec_lo, s5
	s_cbranch_execnz .LBB61_137
; %bb.138:
	s_or_b32 exec_lo, exec_lo, s5
	v_mov_b32_e32 v130, 0
	ds_read_b64 v[130:131], v130 offset:256
	s_waitcnt lgkmcnt(0)
	v_mul_f64 v[125:126], v[125:126], v[130:131]
	buffer_store_dword v126, off, s[0:3], 0 offset:260
	buffer_store_dword v125, off, s[0:3], 0 offset:256
.LBB61_139:
	s_or_b32 exec_lo, exec_lo, s4
	s_waitcnt_vscnt null, 0x0
	s_barrier
	buffer_gl0_inv
	s_clause 0x1
	buffer_load_dword v125, off, s[0:3], 0 offset:264
	buffer_load_dword v126, off, s[0:3], 0 offset:268
	s_mov_b32 s4, exec_lo
	s_waitcnt vmcnt(0)
	ds_write_b64 v128, v[125:126]
	s_waitcnt lgkmcnt(0)
	s_barrier
	buffer_gl0_inv
	v_cmpx_gt_u32_e32 33, v0
	s_cbranch_execz .LBB61_143
; %bb.140:
	v_mov_b32_e32 v125, 0
	v_add_nc_u32_e32 v130, -1, v0
	v_add_nc_u32_e32 v131, 0x1f0, v127
	v_mov_b32_e32 v126, 0
	v_mov_b32_e32 v132, v127
	s_mov_b32 s5, 0
.LBB61_141:                             ; =>This Inner Loop Header: Depth=1
	s_clause 0x1
	buffer_load_dword v133, v132, s[0:3], 0 offen
	buffer_load_dword v134, v132, s[0:3], 0 offen offset:4
	ds_read_b64 v[135:136], v131
	v_add_nc_u32_e32 v130, 1, v130
	v_add_nc_u32_e32 v131, 8, v131
	v_add_nc_u32_e32 v132, 8, v132
	v_cmp_lt_u32_e32 vcc_lo, 31, v130
	s_or_b32 s5, vcc_lo, s5
	s_waitcnt vmcnt(0) lgkmcnt(0)
	v_fma_f64 v[125:126], v[133:134], v[135:136], v[125:126]
	s_andn2_b32 exec_lo, exec_lo, s5
	s_cbranch_execnz .LBB61_141
; %bb.142:
	s_or_b32 exec_lo, exec_lo, s5
	v_mov_b32_e32 v130, 0
	ds_read_b64 v[130:131], v130 offset:264
	s_waitcnt lgkmcnt(0)
	v_mul_f64 v[125:126], v[125:126], v[130:131]
	buffer_store_dword v126, off, s[0:3], 0 offset:268
	buffer_store_dword v125, off, s[0:3], 0 offset:264
.LBB61_143:
	s_or_b32 exec_lo, exec_lo, s4
	s_waitcnt_vscnt null, 0x0
	s_barrier
	buffer_gl0_inv
	s_clause 0x1
	buffer_load_dword v125, off, s[0:3], 0 offset:272
	buffer_load_dword v126, off, s[0:3], 0 offset:276
	s_mov_b32 s4, exec_lo
	s_waitcnt vmcnt(0)
	ds_write_b64 v128, v[125:126]
	s_waitcnt lgkmcnt(0)
	s_barrier
	buffer_gl0_inv
	v_cmpx_gt_u32_e32 34, v0
	s_cbranch_execz .LBB61_147
; %bb.144:
	v_mov_b32_e32 v125, 0
	v_add_nc_u32_e32 v130, -1, v0
	v_add_nc_u32_e32 v131, 0x1f0, v127
	v_mov_b32_e32 v126, 0
	v_mov_b32_e32 v132, v127
	s_mov_b32 s5, 0
.LBB61_145:                             ; =>This Inner Loop Header: Depth=1
	s_clause 0x1
	buffer_load_dword v133, v132, s[0:3], 0 offen
	buffer_load_dword v134, v132, s[0:3], 0 offen offset:4
	ds_read_b64 v[135:136], v131
	v_add_nc_u32_e32 v130, 1, v130
	v_add_nc_u32_e32 v131, 8, v131
	v_add_nc_u32_e32 v132, 8, v132
	v_cmp_lt_u32_e32 vcc_lo, 32, v130
	s_or_b32 s5, vcc_lo, s5
	s_waitcnt vmcnt(0) lgkmcnt(0)
	v_fma_f64 v[125:126], v[133:134], v[135:136], v[125:126]
	s_andn2_b32 exec_lo, exec_lo, s5
	s_cbranch_execnz .LBB61_145
; %bb.146:
	s_or_b32 exec_lo, exec_lo, s5
	v_mov_b32_e32 v130, 0
	ds_read_b64 v[130:131], v130 offset:272
	s_waitcnt lgkmcnt(0)
	v_mul_f64 v[125:126], v[125:126], v[130:131]
	buffer_store_dword v126, off, s[0:3], 0 offset:276
	buffer_store_dword v125, off, s[0:3], 0 offset:272
.LBB61_147:
	s_or_b32 exec_lo, exec_lo, s4
	s_waitcnt_vscnt null, 0x0
	s_barrier
	buffer_gl0_inv
	s_clause 0x1
	buffer_load_dword v125, off, s[0:3], 0 offset:280
	buffer_load_dword v126, off, s[0:3], 0 offset:284
	s_mov_b32 s4, exec_lo
	s_waitcnt vmcnt(0)
	ds_write_b64 v128, v[125:126]
	s_waitcnt lgkmcnt(0)
	s_barrier
	buffer_gl0_inv
	v_cmpx_gt_u32_e32 35, v0
	s_cbranch_execz .LBB61_151
; %bb.148:
	v_mov_b32_e32 v125, 0
	v_add_nc_u32_e32 v130, -1, v0
	v_add_nc_u32_e32 v131, 0x1f0, v127
	v_mov_b32_e32 v126, 0
	v_mov_b32_e32 v132, v127
	s_mov_b32 s5, 0
.LBB61_149:                             ; =>This Inner Loop Header: Depth=1
	s_clause 0x1
	buffer_load_dword v133, v132, s[0:3], 0 offen
	buffer_load_dword v134, v132, s[0:3], 0 offen offset:4
	ds_read_b64 v[135:136], v131
	v_add_nc_u32_e32 v130, 1, v130
	v_add_nc_u32_e32 v131, 8, v131
	v_add_nc_u32_e32 v132, 8, v132
	v_cmp_lt_u32_e32 vcc_lo, 33, v130
	s_or_b32 s5, vcc_lo, s5
	s_waitcnt vmcnt(0) lgkmcnt(0)
	v_fma_f64 v[125:126], v[133:134], v[135:136], v[125:126]
	s_andn2_b32 exec_lo, exec_lo, s5
	s_cbranch_execnz .LBB61_149
; %bb.150:
	s_or_b32 exec_lo, exec_lo, s5
	v_mov_b32_e32 v130, 0
	ds_read_b64 v[130:131], v130 offset:280
	s_waitcnt lgkmcnt(0)
	v_mul_f64 v[125:126], v[125:126], v[130:131]
	buffer_store_dword v126, off, s[0:3], 0 offset:284
	buffer_store_dword v125, off, s[0:3], 0 offset:280
.LBB61_151:
	s_or_b32 exec_lo, exec_lo, s4
	s_waitcnt_vscnt null, 0x0
	s_barrier
	buffer_gl0_inv
	s_clause 0x1
	buffer_load_dword v125, off, s[0:3], 0 offset:288
	buffer_load_dword v126, off, s[0:3], 0 offset:292
	s_mov_b32 s4, exec_lo
	s_waitcnt vmcnt(0)
	ds_write_b64 v128, v[125:126]
	s_waitcnt lgkmcnt(0)
	s_barrier
	buffer_gl0_inv
	v_cmpx_gt_u32_e32 36, v0
	s_cbranch_execz .LBB61_155
; %bb.152:
	v_mov_b32_e32 v125, 0
	v_add_nc_u32_e32 v130, -1, v0
	v_add_nc_u32_e32 v131, 0x1f0, v127
	v_mov_b32_e32 v126, 0
	v_mov_b32_e32 v132, v127
	s_mov_b32 s5, 0
.LBB61_153:                             ; =>This Inner Loop Header: Depth=1
	s_clause 0x1
	buffer_load_dword v133, v132, s[0:3], 0 offen
	buffer_load_dword v134, v132, s[0:3], 0 offen offset:4
	ds_read_b64 v[135:136], v131
	v_add_nc_u32_e32 v130, 1, v130
	v_add_nc_u32_e32 v131, 8, v131
	v_add_nc_u32_e32 v132, 8, v132
	v_cmp_lt_u32_e32 vcc_lo, 34, v130
	s_or_b32 s5, vcc_lo, s5
	s_waitcnt vmcnt(0) lgkmcnt(0)
	v_fma_f64 v[125:126], v[133:134], v[135:136], v[125:126]
	s_andn2_b32 exec_lo, exec_lo, s5
	s_cbranch_execnz .LBB61_153
; %bb.154:
	s_or_b32 exec_lo, exec_lo, s5
	v_mov_b32_e32 v130, 0
	ds_read_b64 v[130:131], v130 offset:288
	s_waitcnt lgkmcnt(0)
	v_mul_f64 v[125:126], v[125:126], v[130:131]
	buffer_store_dword v126, off, s[0:3], 0 offset:292
	buffer_store_dword v125, off, s[0:3], 0 offset:288
.LBB61_155:
	s_or_b32 exec_lo, exec_lo, s4
	s_waitcnt_vscnt null, 0x0
	s_barrier
	buffer_gl0_inv
	s_clause 0x1
	buffer_load_dword v125, off, s[0:3], 0 offset:296
	buffer_load_dword v126, off, s[0:3], 0 offset:300
	s_mov_b32 s4, exec_lo
	s_waitcnt vmcnt(0)
	ds_write_b64 v128, v[125:126]
	s_waitcnt lgkmcnt(0)
	s_barrier
	buffer_gl0_inv
	v_cmpx_gt_u32_e32 37, v0
	s_cbranch_execz .LBB61_159
; %bb.156:
	v_mov_b32_e32 v125, 0
	v_add_nc_u32_e32 v130, -1, v0
	v_add_nc_u32_e32 v131, 0x1f0, v127
	v_mov_b32_e32 v126, 0
	v_mov_b32_e32 v132, v127
	s_mov_b32 s5, 0
.LBB61_157:                             ; =>This Inner Loop Header: Depth=1
	s_clause 0x1
	buffer_load_dword v133, v132, s[0:3], 0 offen
	buffer_load_dword v134, v132, s[0:3], 0 offen offset:4
	ds_read_b64 v[135:136], v131
	v_add_nc_u32_e32 v130, 1, v130
	v_add_nc_u32_e32 v131, 8, v131
	v_add_nc_u32_e32 v132, 8, v132
	v_cmp_lt_u32_e32 vcc_lo, 35, v130
	s_or_b32 s5, vcc_lo, s5
	s_waitcnt vmcnt(0) lgkmcnt(0)
	v_fma_f64 v[125:126], v[133:134], v[135:136], v[125:126]
	s_andn2_b32 exec_lo, exec_lo, s5
	s_cbranch_execnz .LBB61_157
; %bb.158:
	s_or_b32 exec_lo, exec_lo, s5
	v_mov_b32_e32 v130, 0
	ds_read_b64 v[130:131], v130 offset:296
	s_waitcnt lgkmcnt(0)
	v_mul_f64 v[125:126], v[125:126], v[130:131]
	buffer_store_dword v126, off, s[0:3], 0 offset:300
	buffer_store_dword v125, off, s[0:3], 0 offset:296
.LBB61_159:
	s_or_b32 exec_lo, exec_lo, s4
	s_waitcnt_vscnt null, 0x0
	s_barrier
	buffer_gl0_inv
	s_clause 0x1
	buffer_load_dword v125, off, s[0:3], 0 offset:304
	buffer_load_dword v126, off, s[0:3], 0 offset:308
	s_mov_b32 s4, exec_lo
	s_waitcnt vmcnt(0)
	ds_write_b64 v128, v[125:126]
	s_waitcnt lgkmcnt(0)
	s_barrier
	buffer_gl0_inv
	v_cmpx_gt_u32_e32 38, v0
	s_cbranch_execz .LBB61_163
; %bb.160:
	v_mov_b32_e32 v125, 0
	v_add_nc_u32_e32 v130, -1, v0
	v_add_nc_u32_e32 v131, 0x1f0, v127
	v_mov_b32_e32 v126, 0
	v_mov_b32_e32 v132, v127
	s_mov_b32 s5, 0
.LBB61_161:                             ; =>This Inner Loop Header: Depth=1
	s_clause 0x1
	buffer_load_dword v133, v132, s[0:3], 0 offen
	buffer_load_dword v134, v132, s[0:3], 0 offen offset:4
	ds_read_b64 v[135:136], v131
	v_add_nc_u32_e32 v130, 1, v130
	v_add_nc_u32_e32 v131, 8, v131
	v_add_nc_u32_e32 v132, 8, v132
	v_cmp_lt_u32_e32 vcc_lo, 36, v130
	s_or_b32 s5, vcc_lo, s5
	s_waitcnt vmcnt(0) lgkmcnt(0)
	v_fma_f64 v[125:126], v[133:134], v[135:136], v[125:126]
	s_andn2_b32 exec_lo, exec_lo, s5
	s_cbranch_execnz .LBB61_161
; %bb.162:
	s_or_b32 exec_lo, exec_lo, s5
	v_mov_b32_e32 v130, 0
	ds_read_b64 v[130:131], v130 offset:304
	s_waitcnt lgkmcnt(0)
	v_mul_f64 v[125:126], v[125:126], v[130:131]
	buffer_store_dword v126, off, s[0:3], 0 offset:308
	buffer_store_dword v125, off, s[0:3], 0 offset:304
.LBB61_163:
	s_or_b32 exec_lo, exec_lo, s4
	s_waitcnt_vscnt null, 0x0
	s_barrier
	buffer_gl0_inv
	s_clause 0x1
	buffer_load_dword v125, off, s[0:3], 0 offset:312
	buffer_load_dword v126, off, s[0:3], 0 offset:316
	s_mov_b32 s4, exec_lo
	s_waitcnt vmcnt(0)
	ds_write_b64 v128, v[125:126]
	s_waitcnt lgkmcnt(0)
	s_barrier
	buffer_gl0_inv
	v_cmpx_gt_u32_e32 39, v0
	s_cbranch_execz .LBB61_167
; %bb.164:
	v_mov_b32_e32 v125, 0
	v_add_nc_u32_e32 v130, -1, v0
	v_add_nc_u32_e32 v131, 0x1f0, v127
	v_mov_b32_e32 v126, 0
	v_mov_b32_e32 v132, v127
	s_mov_b32 s5, 0
.LBB61_165:                             ; =>This Inner Loop Header: Depth=1
	s_clause 0x1
	buffer_load_dword v133, v132, s[0:3], 0 offen
	buffer_load_dword v134, v132, s[0:3], 0 offen offset:4
	ds_read_b64 v[135:136], v131
	v_add_nc_u32_e32 v130, 1, v130
	v_add_nc_u32_e32 v131, 8, v131
	v_add_nc_u32_e32 v132, 8, v132
	v_cmp_lt_u32_e32 vcc_lo, 37, v130
	s_or_b32 s5, vcc_lo, s5
	s_waitcnt vmcnt(0) lgkmcnt(0)
	v_fma_f64 v[125:126], v[133:134], v[135:136], v[125:126]
	s_andn2_b32 exec_lo, exec_lo, s5
	s_cbranch_execnz .LBB61_165
; %bb.166:
	s_or_b32 exec_lo, exec_lo, s5
	v_mov_b32_e32 v130, 0
	ds_read_b64 v[130:131], v130 offset:312
	s_waitcnt lgkmcnt(0)
	v_mul_f64 v[125:126], v[125:126], v[130:131]
	buffer_store_dword v126, off, s[0:3], 0 offset:316
	buffer_store_dword v125, off, s[0:3], 0 offset:312
.LBB61_167:
	s_or_b32 exec_lo, exec_lo, s4
	s_waitcnt_vscnt null, 0x0
	s_barrier
	buffer_gl0_inv
	s_clause 0x1
	buffer_load_dword v125, off, s[0:3], 0 offset:320
	buffer_load_dword v126, off, s[0:3], 0 offset:324
	s_mov_b32 s4, exec_lo
	s_waitcnt vmcnt(0)
	ds_write_b64 v128, v[125:126]
	s_waitcnt lgkmcnt(0)
	s_barrier
	buffer_gl0_inv
	v_cmpx_gt_u32_e32 40, v0
	s_cbranch_execz .LBB61_171
; %bb.168:
	v_mov_b32_e32 v125, 0
	v_add_nc_u32_e32 v130, -1, v0
	v_add_nc_u32_e32 v131, 0x1f0, v127
	v_mov_b32_e32 v126, 0
	v_mov_b32_e32 v132, v127
	s_mov_b32 s5, 0
.LBB61_169:                             ; =>This Inner Loop Header: Depth=1
	s_clause 0x1
	buffer_load_dword v133, v132, s[0:3], 0 offen
	buffer_load_dword v134, v132, s[0:3], 0 offen offset:4
	ds_read_b64 v[135:136], v131
	v_add_nc_u32_e32 v130, 1, v130
	v_add_nc_u32_e32 v131, 8, v131
	v_add_nc_u32_e32 v132, 8, v132
	v_cmp_lt_u32_e32 vcc_lo, 38, v130
	s_or_b32 s5, vcc_lo, s5
	s_waitcnt vmcnt(0) lgkmcnt(0)
	v_fma_f64 v[125:126], v[133:134], v[135:136], v[125:126]
	s_andn2_b32 exec_lo, exec_lo, s5
	s_cbranch_execnz .LBB61_169
; %bb.170:
	s_or_b32 exec_lo, exec_lo, s5
	v_mov_b32_e32 v130, 0
	ds_read_b64 v[130:131], v130 offset:320
	s_waitcnt lgkmcnt(0)
	v_mul_f64 v[125:126], v[125:126], v[130:131]
	buffer_store_dword v126, off, s[0:3], 0 offset:324
	buffer_store_dword v125, off, s[0:3], 0 offset:320
.LBB61_171:
	s_or_b32 exec_lo, exec_lo, s4
	s_waitcnt_vscnt null, 0x0
	s_barrier
	buffer_gl0_inv
	s_clause 0x1
	buffer_load_dword v125, off, s[0:3], 0 offset:328
	buffer_load_dword v126, off, s[0:3], 0 offset:332
	s_mov_b32 s4, exec_lo
	s_waitcnt vmcnt(0)
	ds_write_b64 v128, v[125:126]
	s_waitcnt lgkmcnt(0)
	s_barrier
	buffer_gl0_inv
	v_cmpx_gt_u32_e32 41, v0
	s_cbranch_execz .LBB61_175
; %bb.172:
	v_mov_b32_e32 v125, 0
	v_add_nc_u32_e32 v130, -1, v0
	v_add_nc_u32_e32 v131, 0x1f0, v127
	v_mov_b32_e32 v126, 0
	v_mov_b32_e32 v132, v127
	s_mov_b32 s5, 0
.LBB61_173:                             ; =>This Inner Loop Header: Depth=1
	s_clause 0x1
	buffer_load_dword v133, v132, s[0:3], 0 offen
	buffer_load_dword v134, v132, s[0:3], 0 offen offset:4
	ds_read_b64 v[135:136], v131
	v_add_nc_u32_e32 v130, 1, v130
	v_add_nc_u32_e32 v131, 8, v131
	v_add_nc_u32_e32 v132, 8, v132
	v_cmp_lt_u32_e32 vcc_lo, 39, v130
	s_or_b32 s5, vcc_lo, s5
	s_waitcnt vmcnt(0) lgkmcnt(0)
	v_fma_f64 v[125:126], v[133:134], v[135:136], v[125:126]
	s_andn2_b32 exec_lo, exec_lo, s5
	s_cbranch_execnz .LBB61_173
; %bb.174:
	s_or_b32 exec_lo, exec_lo, s5
	v_mov_b32_e32 v130, 0
	ds_read_b64 v[130:131], v130 offset:328
	s_waitcnt lgkmcnt(0)
	v_mul_f64 v[125:126], v[125:126], v[130:131]
	buffer_store_dword v126, off, s[0:3], 0 offset:332
	buffer_store_dword v125, off, s[0:3], 0 offset:328
.LBB61_175:
	s_or_b32 exec_lo, exec_lo, s4
	s_waitcnt_vscnt null, 0x0
	s_barrier
	buffer_gl0_inv
	s_clause 0x1
	buffer_load_dword v125, off, s[0:3], 0 offset:336
	buffer_load_dword v126, off, s[0:3], 0 offset:340
	s_mov_b32 s4, exec_lo
	s_waitcnt vmcnt(0)
	ds_write_b64 v128, v[125:126]
	s_waitcnt lgkmcnt(0)
	s_barrier
	buffer_gl0_inv
	v_cmpx_gt_u32_e32 42, v0
	s_cbranch_execz .LBB61_179
; %bb.176:
	v_mov_b32_e32 v125, 0
	v_add_nc_u32_e32 v130, -1, v0
	v_add_nc_u32_e32 v131, 0x1f0, v127
	v_mov_b32_e32 v126, 0
	v_mov_b32_e32 v132, v127
	s_mov_b32 s5, 0
.LBB61_177:                             ; =>This Inner Loop Header: Depth=1
	s_clause 0x1
	buffer_load_dword v133, v132, s[0:3], 0 offen
	buffer_load_dword v134, v132, s[0:3], 0 offen offset:4
	ds_read_b64 v[135:136], v131
	v_add_nc_u32_e32 v130, 1, v130
	v_add_nc_u32_e32 v131, 8, v131
	v_add_nc_u32_e32 v132, 8, v132
	v_cmp_lt_u32_e32 vcc_lo, 40, v130
	s_or_b32 s5, vcc_lo, s5
	s_waitcnt vmcnt(0) lgkmcnt(0)
	v_fma_f64 v[125:126], v[133:134], v[135:136], v[125:126]
	s_andn2_b32 exec_lo, exec_lo, s5
	s_cbranch_execnz .LBB61_177
; %bb.178:
	s_or_b32 exec_lo, exec_lo, s5
	v_mov_b32_e32 v130, 0
	ds_read_b64 v[130:131], v130 offset:336
	s_waitcnt lgkmcnt(0)
	v_mul_f64 v[125:126], v[125:126], v[130:131]
	buffer_store_dword v126, off, s[0:3], 0 offset:340
	buffer_store_dword v125, off, s[0:3], 0 offset:336
.LBB61_179:
	s_or_b32 exec_lo, exec_lo, s4
	s_waitcnt_vscnt null, 0x0
	s_barrier
	buffer_gl0_inv
	s_clause 0x1
	buffer_load_dword v125, off, s[0:3], 0 offset:344
	buffer_load_dword v126, off, s[0:3], 0 offset:348
	s_mov_b32 s4, exec_lo
	s_waitcnt vmcnt(0)
	ds_write_b64 v128, v[125:126]
	s_waitcnt lgkmcnt(0)
	s_barrier
	buffer_gl0_inv
	v_cmpx_gt_u32_e32 43, v0
	s_cbranch_execz .LBB61_183
; %bb.180:
	v_mov_b32_e32 v125, 0
	v_add_nc_u32_e32 v130, -1, v0
	v_add_nc_u32_e32 v131, 0x1f0, v127
	v_mov_b32_e32 v126, 0
	v_mov_b32_e32 v132, v127
	s_mov_b32 s5, 0
.LBB61_181:                             ; =>This Inner Loop Header: Depth=1
	s_clause 0x1
	buffer_load_dword v133, v132, s[0:3], 0 offen
	buffer_load_dword v134, v132, s[0:3], 0 offen offset:4
	ds_read_b64 v[135:136], v131
	v_add_nc_u32_e32 v130, 1, v130
	v_add_nc_u32_e32 v131, 8, v131
	v_add_nc_u32_e32 v132, 8, v132
	v_cmp_lt_u32_e32 vcc_lo, 41, v130
	s_or_b32 s5, vcc_lo, s5
	s_waitcnt vmcnt(0) lgkmcnt(0)
	v_fma_f64 v[125:126], v[133:134], v[135:136], v[125:126]
	s_andn2_b32 exec_lo, exec_lo, s5
	s_cbranch_execnz .LBB61_181
; %bb.182:
	s_or_b32 exec_lo, exec_lo, s5
	v_mov_b32_e32 v130, 0
	ds_read_b64 v[130:131], v130 offset:344
	s_waitcnt lgkmcnt(0)
	v_mul_f64 v[125:126], v[125:126], v[130:131]
	buffer_store_dword v126, off, s[0:3], 0 offset:348
	buffer_store_dword v125, off, s[0:3], 0 offset:344
.LBB61_183:
	s_or_b32 exec_lo, exec_lo, s4
	s_waitcnt_vscnt null, 0x0
	s_barrier
	buffer_gl0_inv
	s_clause 0x1
	buffer_load_dword v125, off, s[0:3], 0 offset:352
	buffer_load_dword v126, off, s[0:3], 0 offset:356
	s_mov_b32 s4, exec_lo
	s_waitcnt vmcnt(0)
	ds_write_b64 v128, v[125:126]
	s_waitcnt lgkmcnt(0)
	s_barrier
	buffer_gl0_inv
	v_cmpx_gt_u32_e32 44, v0
	s_cbranch_execz .LBB61_187
; %bb.184:
	v_mov_b32_e32 v125, 0
	v_add_nc_u32_e32 v130, -1, v0
	v_add_nc_u32_e32 v131, 0x1f0, v127
	v_mov_b32_e32 v126, 0
	v_mov_b32_e32 v132, v127
	s_mov_b32 s5, 0
.LBB61_185:                             ; =>This Inner Loop Header: Depth=1
	s_clause 0x1
	buffer_load_dword v133, v132, s[0:3], 0 offen
	buffer_load_dword v134, v132, s[0:3], 0 offen offset:4
	ds_read_b64 v[135:136], v131
	v_add_nc_u32_e32 v130, 1, v130
	v_add_nc_u32_e32 v131, 8, v131
	v_add_nc_u32_e32 v132, 8, v132
	v_cmp_lt_u32_e32 vcc_lo, 42, v130
	s_or_b32 s5, vcc_lo, s5
	s_waitcnt vmcnt(0) lgkmcnt(0)
	v_fma_f64 v[125:126], v[133:134], v[135:136], v[125:126]
	s_andn2_b32 exec_lo, exec_lo, s5
	s_cbranch_execnz .LBB61_185
; %bb.186:
	s_or_b32 exec_lo, exec_lo, s5
	v_mov_b32_e32 v130, 0
	ds_read_b64 v[130:131], v130 offset:352
	s_waitcnt lgkmcnt(0)
	v_mul_f64 v[125:126], v[125:126], v[130:131]
	buffer_store_dword v126, off, s[0:3], 0 offset:356
	buffer_store_dword v125, off, s[0:3], 0 offset:352
.LBB61_187:
	s_or_b32 exec_lo, exec_lo, s4
	s_waitcnt_vscnt null, 0x0
	s_barrier
	buffer_gl0_inv
	s_clause 0x1
	buffer_load_dword v125, off, s[0:3], 0 offset:360
	buffer_load_dword v126, off, s[0:3], 0 offset:364
	s_mov_b32 s4, exec_lo
	s_waitcnt vmcnt(0)
	ds_write_b64 v128, v[125:126]
	s_waitcnt lgkmcnt(0)
	s_barrier
	buffer_gl0_inv
	v_cmpx_gt_u32_e32 45, v0
	s_cbranch_execz .LBB61_191
; %bb.188:
	v_mov_b32_e32 v125, 0
	v_add_nc_u32_e32 v130, -1, v0
	v_add_nc_u32_e32 v131, 0x1f0, v127
	v_mov_b32_e32 v126, 0
	v_mov_b32_e32 v132, v127
	s_mov_b32 s5, 0
.LBB61_189:                             ; =>This Inner Loop Header: Depth=1
	s_clause 0x1
	buffer_load_dword v133, v132, s[0:3], 0 offen
	buffer_load_dword v134, v132, s[0:3], 0 offen offset:4
	ds_read_b64 v[135:136], v131
	v_add_nc_u32_e32 v130, 1, v130
	v_add_nc_u32_e32 v131, 8, v131
	v_add_nc_u32_e32 v132, 8, v132
	v_cmp_lt_u32_e32 vcc_lo, 43, v130
	s_or_b32 s5, vcc_lo, s5
	s_waitcnt vmcnt(0) lgkmcnt(0)
	v_fma_f64 v[125:126], v[133:134], v[135:136], v[125:126]
	s_andn2_b32 exec_lo, exec_lo, s5
	s_cbranch_execnz .LBB61_189
; %bb.190:
	s_or_b32 exec_lo, exec_lo, s5
	v_mov_b32_e32 v130, 0
	ds_read_b64 v[130:131], v130 offset:360
	s_waitcnt lgkmcnt(0)
	v_mul_f64 v[125:126], v[125:126], v[130:131]
	buffer_store_dword v126, off, s[0:3], 0 offset:364
	buffer_store_dword v125, off, s[0:3], 0 offset:360
.LBB61_191:
	s_or_b32 exec_lo, exec_lo, s4
	s_waitcnt_vscnt null, 0x0
	s_barrier
	buffer_gl0_inv
	s_clause 0x1
	buffer_load_dword v125, off, s[0:3], 0 offset:368
	buffer_load_dword v126, off, s[0:3], 0 offset:372
	s_mov_b32 s4, exec_lo
	s_waitcnt vmcnt(0)
	ds_write_b64 v128, v[125:126]
	s_waitcnt lgkmcnt(0)
	s_barrier
	buffer_gl0_inv
	v_cmpx_gt_u32_e32 46, v0
	s_cbranch_execz .LBB61_195
; %bb.192:
	v_mov_b32_e32 v125, 0
	v_add_nc_u32_e32 v130, -1, v0
	v_add_nc_u32_e32 v131, 0x1f0, v127
	v_mov_b32_e32 v126, 0
	v_mov_b32_e32 v132, v127
	s_mov_b32 s5, 0
.LBB61_193:                             ; =>This Inner Loop Header: Depth=1
	s_clause 0x1
	buffer_load_dword v133, v132, s[0:3], 0 offen
	buffer_load_dword v134, v132, s[0:3], 0 offen offset:4
	ds_read_b64 v[135:136], v131
	v_add_nc_u32_e32 v130, 1, v130
	v_add_nc_u32_e32 v131, 8, v131
	v_add_nc_u32_e32 v132, 8, v132
	v_cmp_lt_u32_e32 vcc_lo, 44, v130
	s_or_b32 s5, vcc_lo, s5
	s_waitcnt vmcnt(0) lgkmcnt(0)
	v_fma_f64 v[125:126], v[133:134], v[135:136], v[125:126]
	s_andn2_b32 exec_lo, exec_lo, s5
	s_cbranch_execnz .LBB61_193
; %bb.194:
	s_or_b32 exec_lo, exec_lo, s5
	v_mov_b32_e32 v130, 0
	ds_read_b64 v[130:131], v130 offset:368
	s_waitcnt lgkmcnt(0)
	v_mul_f64 v[125:126], v[125:126], v[130:131]
	buffer_store_dword v126, off, s[0:3], 0 offset:372
	buffer_store_dword v125, off, s[0:3], 0 offset:368
.LBB61_195:
	s_or_b32 exec_lo, exec_lo, s4
	s_waitcnt_vscnt null, 0x0
	s_barrier
	buffer_gl0_inv
	s_clause 0x1
	buffer_load_dword v125, off, s[0:3], 0 offset:376
	buffer_load_dword v126, off, s[0:3], 0 offset:380
	s_mov_b32 s4, exec_lo
	s_waitcnt vmcnt(0)
	ds_write_b64 v128, v[125:126]
	s_waitcnt lgkmcnt(0)
	s_barrier
	buffer_gl0_inv
	v_cmpx_gt_u32_e32 47, v0
	s_cbranch_execz .LBB61_199
; %bb.196:
	v_mov_b32_e32 v125, 0
	v_add_nc_u32_e32 v130, -1, v0
	v_add_nc_u32_e32 v131, 0x1f0, v127
	v_mov_b32_e32 v126, 0
	v_mov_b32_e32 v132, v127
	s_mov_b32 s5, 0
.LBB61_197:                             ; =>This Inner Loop Header: Depth=1
	s_clause 0x1
	buffer_load_dword v133, v132, s[0:3], 0 offen
	buffer_load_dword v134, v132, s[0:3], 0 offen offset:4
	ds_read_b64 v[135:136], v131
	v_add_nc_u32_e32 v130, 1, v130
	v_add_nc_u32_e32 v131, 8, v131
	v_add_nc_u32_e32 v132, 8, v132
	v_cmp_lt_u32_e32 vcc_lo, 45, v130
	s_or_b32 s5, vcc_lo, s5
	s_waitcnt vmcnt(0) lgkmcnt(0)
	v_fma_f64 v[125:126], v[133:134], v[135:136], v[125:126]
	s_andn2_b32 exec_lo, exec_lo, s5
	s_cbranch_execnz .LBB61_197
; %bb.198:
	s_or_b32 exec_lo, exec_lo, s5
	v_mov_b32_e32 v130, 0
	ds_read_b64 v[130:131], v130 offset:376
	s_waitcnt lgkmcnt(0)
	v_mul_f64 v[125:126], v[125:126], v[130:131]
	buffer_store_dword v126, off, s[0:3], 0 offset:380
	buffer_store_dword v125, off, s[0:3], 0 offset:376
.LBB61_199:
	s_or_b32 exec_lo, exec_lo, s4
	s_waitcnt_vscnt null, 0x0
	s_barrier
	buffer_gl0_inv
	s_clause 0x1
	buffer_load_dword v125, off, s[0:3], 0 offset:384
	buffer_load_dword v126, off, s[0:3], 0 offset:388
	s_mov_b32 s4, exec_lo
	s_waitcnt vmcnt(0)
	ds_write_b64 v128, v[125:126]
	s_waitcnt lgkmcnt(0)
	s_barrier
	buffer_gl0_inv
	v_cmpx_gt_u32_e32 48, v0
	s_cbranch_execz .LBB61_203
; %bb.200:
	v_mov_b32_e32 v125, 0
	v_add_nc_u32_e32 v130, -1, v0
	v_add_nc_u32_e32 v131, 0x1f0, v127
	v_mov_b32_e32 v126, 0
	v_mov_b32_e32 v132, v127
	s_mov_b32 s5, 0
.LBB61_201:                             ; =>This Inner Loop Header: Depth=1
	s_clause 0x1
	buffer_load_dword v133, v132, s[0:3], 0 offen
	buffer_load_dword v134, v132, s[0:3], 0 offen offset:4
	ds_read_b64 v[135:136], v131
	v_add_nc_u32_e32 v130, 1, v130
	v_add_nc_u32_e32 v131, 8, v131
	v_add_nc_u32_e32 v132, 8, v132
	v_cmp_lt_u32_e32 vcc_lo, 46, v130
	s_or_b32 s5, vcc_lo, s5
	s_waitcnt vmcnt(0) lgkmcnt(0)
	v_fma_f64 v[125:126], v[133:134], v[135:136], v[125:126]
	s_andn2_b32 exec_lo, exec_lo, s5
	s_cbranch_execnz .LBB61_201
; %bb.202:
	s_or_b32 exec_lo, exec_lo, s5
	v_mov_b32_e32 v130, 0
	ds_read_b64 v[130:131], v130 offset:384
	s_waitcnt lgkmcnt(0)
	v_mul_f64 v[125:126], v[125:126], v[130:131]
	buffer_store_dword v126, off, s[0:3], 0 offset:388
	buffer_store_dword v125, off, s[0:3], 0 offset:384
.LBB61_203:
	s_or_b32 exec_lo, exec_lo, s4
	s_waitcnt_vscnt null, 0x0
	s_barrier
	buffer_gl0_inv
	s_clause 0x1
	buffer_load_dword v125, off, s[0:3], 0 offset:392
	buffer_load_dword v126, off, s[0:3], 0 offset:396
	s_mov_b32 s4, exec_lo
	s_waitcnt vmcnt(0)
	ds_write_b64 v128, v[125:126]
	s_waitcnt lgkmcnt(0)
	s_barrier
	buffer_gl0_inv
	v_cmpx_gt_u32_e32 49, v0
	s_cbranch_execz .LBB61_207
; %bb.204:
	v_mov_b32_e32 v125, 0
	v_add_nc_u32_e32 v130, -1, v0
	v_add_nc_u32_e32 v131, 0x1f0, v127
	v_mov_b32_e32 v126, 0
	v_mov_b32_e32 v132, v127
	s_mov_b32 s5, 0
.LBB61_205:                             ; =>This Inner Loop Header: Depth=1
	s_clause 0x1
	buffer_load_dword v133, v132, s[0:3], 0 offen
	buffer_load_dword v134, v132, s[0:3], 0 offen offset:4
	ds_read_b64 v[135:136], v131
	v_add_nc_u32_e32 v130, 1, v130
	v_add_nc_u32_e32 v131, 8, v131
	v_add_nc_u32_e32 v132, 8, v132
	v_cmp_lt_u32_e32 vcc_lo, 47, v130
	s_or_b32 s5, vcc_lo, s5
	s_waitcnt vmcnt(0) lgkmcnt(0)
	v_fma_f64 v[125:126], v[133:134], v[135:136], v[125:126]
	s_andn2_b32 exec_lo, exec_lo, s5
	s_cbranch_execnz .LBB61_205
; %bb.206:
	s_or_b32 exec_lo, exec_lo, s5
	v_mov_b32_e32 v130, 0
	ds_read_b64 v[130:131], v130 offset:392
	s_waitcnt lgkmcnt(0)
	v_mul_f64 v[125:126], v[125:126], v[130:131]
	buffer_store_dword v126, off, s[0:3], 0 offset:396
	buffer_store_dword v125, off, s[0:3], 0 offset:392
.LBB61_207:
	s_or_b32 exec_lo, exec_lo, s4
	s_waitcnt_vscnt null, 0x0
	s_barrier
	buffer_gl0_inv
	s_clause 0x1
	buffer_load_dword v125, off, s[0:3], 0 offset:400
	buffer_load_dword v126, off, s[0:3], 0 offset:404
	s_mov_b32 s4, exec_lo
	s_waitcnt vmcnt(0)
	ds_write_b64 v128, v[125:126]
	s_waitcnt lgkmcnt(0)
	s_barrier
	buffer_gl0_inv
	v_cmpx_gt_u32_e32 50, v0
	s_cbranch_execz .LBB61_211
; %bb.208:
	v_mov_b32_e32 v125, 0
	v_add_nc_u32_e32 v130, -1, v0
	v_add_nc_u32_e32 v131, 0x1f0, v127
	v_mov_b32_e32 v126, 0
	v_mov_b32_e32 v132, v127
	s_mov_b32 s5, 0
.LBB61_209:                             ; =>This Inner Loop Header: Depth=1
	s_clause 0x1
	buffer_load_dword v133, v132, s[0:3], 0 offen
	buffer_load_dword v134, v132, s[0:3], 0 offen offset:4
	ds_read_b64 v[135:136], v131
	v_add_nc_u32_e32 v130, 1, v130
	v_add_nc_u32_e32 v131, 8, v131
	v_add_nc_u32_e32 v132, 8, v132
	v_cmp_lt_u32_e32 vcc_lo, 48, v130
	s_or_b32 s5, vcc_lo, s5
	s_waitcnt vmcnt(0) lgkmcnt(0)
	v_fma_f64 v[125:126], v[133:134], v[135:136], v[125:126]
	s_andn2_b32 exec_lo, exec_lo, s5
	s_cbranch_execnz .LBB61_209
; %bb.210:
	s_or_b32 exec_lo, exec_lo, s5
	v_mov_b32_e32 v130, 0
	ds_read_b64 v[130:131], v130 offset:400
	s_waitcnt lgkmcnt(0)
	v_mul_f64 v[125:126], v[125:126], v[130:131]
	buffer_store_dword v126, off, s[0:3], 0 offset:404
	buffer_store_dword v125, off, s[0:3], 0 offset:400
.LBB61_211:
	s_or_b32 exec_lo, exec_lo, s4
	s_waitcnt_vscnt null, 0x0
	s_barrier
	buffer_gl0_inv
	s_clause 0x1
	buffer_load_dword v125, off, s[0:3], 0 offset:408
	buffer_load_dword v126, off, s[0:3], 0 offset:412
	s_mov_b32 s4, exec_lo
	s_waitcnt vmcnt(0)
	ds_write_b64 v128, v[125:126]
	s_waitcnt lgkmcnt(0)
	s_barrier
	buffer_gl0_inv
	v_cmpx_gt_u32_e32 51, v0
	s_cbranch_execz .LBB61_215
; %bb.212:
	v_mov_b32_e32 v125, 0
	v_add_nc_u32_e32 v130, -1, v0
	v_add_nc_u32_e32 v131, 0x1f0, v127
	v_mov_b32_e32 v126, 0
	v_mov_b32_e32 v132, v127
	s_mov_b32 s5, 0
.LBB61_213:                             ; =>This Inner Loop Header: Depth=1
	s_clause 0x1
	buffer_load_dword v133, v132, s[0:3], 0 offen
	buffer_load_dword v134, v132, s[0:3], 0 offen offset:4
	ds_read_b64 v[135:136], v131
	v_add_nc_u32_e32 v130, 1, v130
	v_add_nc_u32_e32 v131, 8, v131
	v_add_nc_u32_e32 v132, 8, v132
	v_cmp_lt_u32_e32 vcc_lo, 49, v130
	s_or_b32 s5, vcc_lo, s5
	s_waitcnt vmcnt(0) lgkmcnt(0)
	v_fma_f64 v[125:126], v[133:134], v[135:136], v[125:126]
	s_andn2_b32 exec_lo, exec_lo, s5
	s_cbranch_execnz .LBB61_213
; %bb.214:
	s_or_b32 exec_lo, exec_lo, s5
	v_mov_b32_e32 v130, 0
	ds_read_b64 v[130:131], v130 offset:408
	s_waitcnt lgkmcnt(0)
	v_mul_f64 v[125:126], v[125:126], v[130:131]
	buffer_store_dword v126, off, s[0:3], 0 offset:412
	buffer_store_dword v125, off, s[0:3], 0 offset:408
.LBB61_215:
	s_or_b32 exec_lo, exec_lo, s4
	s_waitcnt_vscnt null, 0x0
	s_barrier
	buffer_gl0_inv
	s_clause 0x1
	buffer_load_dword v125, off, s[0:3], 0 offset:416
	buffer_load_dword v126, off, s[0:3], 0 offset:420
	s_mov_b32 s4, exec_lo
	s_waitcnt vmcnt(0)
	ds_write_b64 v128, v[125:126]
	s_waitcnt lgkmcnt(0)
	s_barrier
	buffer_gl0_inv
	v_cmpx_gt_u32_e32 52, v0
	s_cbranch_execz .LBB61_219
; %bb.216:
	v_mov_b32_e32 v125, 0
	v_add_nc_u32_e32 v130, -1, v0
	v_add_nc_u32_e32 v131, 0x1f0, v127
	v_mov_b32_e32 v126, 0
	v_mov_b32_e32 v132, v127
	s_mov_b32 s5, 0
.LBB61_217:                             ; =>This Inner Loop Header: Depth=1
	s_clause 0x1
	buffer_load_dword v133, v132, s[0:3], 0 offen
	buffer_load_dword v134, v132, s[0:3], 0 offen offset:4
	ds_read_b64 v[135:136], v131
	v_add_nc_u32_e32 v130, 1, v130
	v_add_nc_u32_e32 v131, 8, v131
	v_add_nc_u32_e32 v132, 8, v132
	v_cmp_lt_u32_e32 vcc_lo, 50, v130
	s_or_b32 s5, vcc_lo, s5
	s_waitcnt vmcnt(0) lgkmcnt(0)
	v_fma_f64 v[125:126], v[133:134], v[135:136], v[125:126]
	s_andn2_b32 exec_lo, exec_lo, s5
	s_cbranch_execnz .LBB61_217
; %bb.218:
	s_or_b32 exec_lo, exec_lo, s5
	v_mov_b32_e32 v130, 0
	ds_read_b64 v[130:131], v130 offset:416
	s_waitcnt lgkmcnt(0)
	v_mul_f64 v[125:126], v[125:126], v[130:131]
	buffer_store_dword v126, off, s[0:3], 0 offset:420
	buffer_store_dword v125, off, s[0:3], 0 offset:416
.LBB61_219:
	s_or_b32 exec_lo, exec_lo, s4
	s_waitcnt_vscnt null, 0x0
	s_barrier
	buffer_gl0_inv
	s_clause 0x1
	buffer_load_dword v125, off, s[0:3], 0 offset:424
	buffer_load_dword v126, off, s[0:3], 0 offset:428
	s_mov_b32 s4, exec_lo
	s_waitcnt vmcnt(0)
	ds_write_b64 v128, v[125:126]
	s_waitcnt lgkmcnt(0)
	s_barrier
	buffer_gl0_inv
	v_cmpx_gt_u32_e32 53, v0
	s_cbranch_execz .LBB61_223
; %bb.220:
	v_mov_b32_e32 v125, 0
	v_add_nc_u32_e32 v130, -1, v0
	v_add_nc_u32_e32 v131, 0x1f0, v127
	v_mov_b32_e32 v126, 0
	v_mov_b32_e32 v132, v127
	s_mov_b32 s5, 0
.LBB61_221:                             ; =>This Inner Loop Header: Depth=1
	s_clause 0x1
	buffer_load_dword v133, v132, s[0:3], 0 offen
	buffer_load_dword v134, v132, s[0:3], 0 offen offset:4
	ds_read_b64 v[135:136], v131
	v_add_nc_u32_e32 v130, 1, v130
	v_add_nc_u32_e32 v131, 8, v131
	v_add_nc_u32_e32 v132, 8, v132
	v_cmp_lt_u32_e32 vcc_lo, 51, v130
	s_or_b32 s5, vcc_lo, s5
	s_waitcnt vmcnt(0) lgkmcnt(0)
	v_fma_f64 v[125:126], v[133:134], v[135:136], v[125:126]
	s_andn2_b32 exec_lo, exec_lo, s5
	s_cbranch_execnz .LBB61_221
; %bb.222:
	s_or_b32 exec_lo, exec_lo, s5
	v_mov_b32_e32 v130, 0
	ds_read_b64 v[130:131], v130 offset:424
	s_waitcnt lgkmcnt(0)
	v_mul_f64 v[125:126], v[125:126], v[130:131]
	buffer_store_dword v126, off, s[0:3], 0 offset:428
	buffer_store_dword v125, off, s[0:3], 0 offset:424
.LBB61_223:
	s_or_b32 exec_lo, exec_lo, s4
	s_waitcnt_vscnt null, 0x0
	s_barrier
	buffer_gl0_inv
	s_clause 0x1
	buffer_load_dword v125, off, s[0:3], 0 offset:432
	buffer_load_dword v126, off, s[0:3], 0 offset:436
	s_mov_b32 s4, exec_lo
	s_waitcnt vmcnt(0)
	ds_write_b64 v128, v[125:126]
	s_waitcnt lgkmcnt(0)
	s_barrier
	buffer_gl0_inv
	v_cmpx_gt_u32_e32 54, v0
	s_cbranch_execz .LBB61_227
; %bb.224:
	v_mov_b32_e32 v125, 0
	v_add_nc_u32_e32 v130, -1, v0
	v_add_nc_u32_e32 v131, 0x1f0, v127
	v_mov_b32_e32 v126, 0
	v_mov_b32_e32 v132, v127
	s_mov_b32 s5, 0
.LBB61_225:                             ; =>This Inner Loop Header: Depth=1
	s_clause 0x1
	buffer_load_dword v133, v132, s[0:3], 0 offen
	buffer_load_dword v134, v132, s[0:3], 0 offen offset:4
	ds_read_b64 v[135:136], v131
	v_add_nc_u32_e32 v130, 1, v130
	v_add_nc_u32_e32 v131, 8, v131
	v_add_nc_u32_e32 v132, 8, v132
	v_cmp_lt_u32_e32 vcc_lo, 52, v130
	s_or_b32 s5, vcc_lo, s5
	s_waitcnt vmcnt(0) lgkmcnt(0)
	v_fma_f64 v[125:126], v[133:134], v[135:136], v[125:126]
	s_andn2_b32 exec_lo, exec_lo, s5
	s_cbranch_execnz .LBB61_225
; %bb.226:
	s_or_b32 exec_lo, exec_lo, s5
	v_mov_b32_e32 v130, 0
	ds_read_b64 v[130:131], v130 offset:432
	s_waitcnt lgkmcnt(0)
	v_mul_f64 v[125:126], v[125:126], v[130:131]
	buffer_store_dword v126, off, s[0:3], 0 offset:436
	buffer_store_dword v125, off, s[0:3], 0 offset:432
.LBB61_227:
	s_or_b32 exec_lo, exec_lo, s4
	s_waitcnt_vscnt null, 0x0
	s_barrier
	buffer_gl0_inv
	s_clause 0x1
	buffer_load_dword v125, off, s[0:3], 0 offset:440
	buffer_load_dword v126, off, s[0:3], 0 offset:444
	s_mov_b32 s4, exec_lo
	s_waitcnt vmcnt(0)
	ds_write_b64 v128, v[125:126]
	s_waitcnt lgkmcnt(0)
	s_barrier
	buffer_gl0_inv
	v_cmpx_gt_u32_e32 55, v0
	s_cbranch_execz .LBB61_231
; %bb.228:
	v_mov_b32_e32 v125, 0
	v_add_nc_u32_e32 v130, -1, v0
	v_add_nc_u32_e32 v131, 0x1f0, v127
	v_mov_b32_e32 v126, 0
	v_mov_b32_e32 v132, v127
	s_mov_b32 s5, 0
.LBB61_229:                             ; =>This Inner Loop Header: Depth=1
	s_clause 0x1
	buffer_load_dword v133, v132, s[0:3], 0 offen
	buffer_load_dword v134, v132, s[0:3], 0 offen offset:4
	ds_read_b64 v[135:136], v131
	v_add_nc_u32_e32 v130, 1, v130
	v_add_nc_u32_e32 v131, 8, v131
	v_add_nc_u32_e32 v132, 8, v132
	v_cmp_lt_u32_e32 vcc_lo, 53, v130
	s_or_b32 s5, vcc_lo, s5
	s_waitcnt vmcnt(0) lgkmcnt(0)
	v_fma_f64 v[125:126], v[133:134], v[135:136], v[125:126]
	s_andn2_b32 exec_lo, exec_lo, s5
	s_cbranch_execnz .LBB61_229
; %bb.230:
	s_or_b32 exec_lo, exec_lo, s5
	v_mov_b32_e32 v130, 0
	ds_read_b64 v[130:131], v130 offset:440
	s_waitcnt lgkmcnt(0)
	v_mul_f64 v[125:126], v[125:126], v[130:131]
	buffer_store_dword v126, off, s[0:3], 0 offset:444
	buffer_store_dword v125, off, s[0:3], 0 offset:440
.LBB61_231:
	s_or_b32 exec_lo, exec_lo, s4
	s_waitcnt_vscnt null, 0x0
	s_barrier
	buffer_gl0_inv
	s_clause 0x1
	buffer_load_dword v125, off, s[0:3], 0 offset:448
	buffer_load_dword v126, off, s[0:3], 0 offset:452
	s_mov_b32 s4, exec_lo
	s_waitcnt vmcnt(0)
	ds_write_b64 v128, v[125:126]
	s_waitcnt lgkmcnt(0)
	s_barrier
	buffer_gl0_inv
	v_cmpx_gt_u32_e32 56, v0
	s_cbranch_execz .LBB61_235
; %bb.232:
	v_mov_b32_e32 v125, 0
	v_add_nc_u32_e32 v130, -1, v0
	v_add_nc_u32_e32 v131, 0x1f0, v127
	v_mov_b32_e32 v126, 0
	v_mov_b32_e32 v132, v127
	s_mov_b32 s5, 0
.LBB61_233:                             ; =>This Inner Loop Header: Depth=1
	s_clause 0x1
	buffer_load_dword v133, v132, s[0:3], 0 offen
	buffer_load_dword v134, v132, s[0:3], 0 offen offset:4
	ds_read_b64 v[135:136], v131
	v_add_nc_u32_e32 v130, 1, v130
	v_add_nc_u32_e32 v131, 8, v131
	v_add_nc_u32_e32 v132, 8, v132
	v_cmp_lt_u32_e32 vcc_lo, 54, v130
	s_or_b32 s5, vcc_lo, s5
	s_waitcnt vmcnt(0) lgkmcnt(0)
	v_fma_f64 v[125:126], v[133:134], v[135:136], v[125:126]
	s_andn2_b32 exec_lo, exec_lo, s5
	s_cbranch_execnz .LBB61_233
; %bb.234:
	s_or_b32 exec_lo, exec_lo, s5
	v_mov_b32_e32 v130, 0
	ds_read_b64 v[130:131], v130 offset:448
	s_waitcnt lgkmcnt(0)
	v_mul_f64 v[125:126], v[125:126], v[130:131]
	buffer_store_dword v126, off, s[0:3], 0 offset:452
	buffer_store_dword v125, off, s[0:3], 0 offset:448
.LBB61_235:
	s_or_b32 exec_lo, exec_lo, s4
	s_waitcnt_vscnt null, 0x0
	s_barrier
	buffer_gl0_inv
	s_clause 0x1
	buffer_load_dword v125, off, s[0:3], 0 offset:456
	buffer_load_dword v126, off, s[0:3], 0 offset:460
	s_mov_b32 s4, exec_lo
	s_waitcnt vmcnt(0)
	ds_write_b64 v128, v[125:126]
	s_waitcnt lgkmcnt(0)
	s_barrier
	buffer_gl0_inv
	v_cmpx_gt_u32_e32 57, v0
	s_cbranch_execz .LBB61_239
; %bb.236:
	v_mov_b32_e32 v125, 0
	v_add_nc_u32_e32 v130, -1, v0
	v_add_nc_u32_e32 v131, 0x1f0, v127
	v_mov_b32_e32 v126, 0
	v_mov_b32_e32 v132, v127
	s_mov_b32 s5, 0
.LBB61_237:                             ; =>This Inner Loop Header: Depth=1
	s_clause 0x1
	buffer_load_dword v133, v132, s[0:3], 0 offen
	buffer_load_dword v134, v132, s[0:3], 0 offen offset:4
	ds_read_b64 v[135:136], v131
	v_add_nc_u32_e32 v130, 1, v130
	v_add_nc_u32_e32 v131, 8, v131
	v_add_nc_u32_e32 v132, 8, v132
	v_cmp_lt_u32_e32 vcc_lo, 55, v130
	s_or_b32 s5, vcc_lo, s5
	s_waitcnt vmcnt(0) lgkmcnt(0)
	v_fma_f64 v[125:126], v[133:134], v[135:136], v[125:126]
	s_andn2_b32 exec_lo, exec_lo, s5
	s_cbranch_execnz .LBB61_237
; %bb.238:
	s_or_b32 exec_lo, exec_lo, s5
	v_mov_b32_e32 v130, 0
	ds_read_b64 v[130:131], v130 offset:456
	s_waitcnt lgkmcnt(0)
	v_mul_f64 v[125:126], v[125:126], v[130:131]
	buffer_store_dword v126, off, s[0:3], 0 offset:460
	buffer_store_dword v125, off, s[0:3], 0 offset:456
.LBB61_239:
	s_or_b32 exec_lo, exec_lo, s4
	s_waitcnt_vscnt null, 0x0
	s_barrier
	buffer_gl0_inv
	s_clause 0x1
	buffer_load_dword v125, off, s[0:3], 0 offset:464
	buffer_load_dword v126, off, s[0:3], 0 offset:468
	s_mov_b32 s4, exec_lo
	s_waitcnt vmcnt(0)
	ds_write_b64 v128, v[125:126]
	s_waitcnt lgkmcnt(0)
	s_barrier
	buffer_gl0_inv
	v_cmpx_gt_u32_e32 58, v0
	s_cbranch_execz .LBB61_243
; %bb.240:
	v_mov_b32_e32 v125, 0
	v_add_nc_u32_e32 v130, -1, v0
	v_add_nc_u32_e32 v131, 0x1f0, v127
	v_mov_b32_e32 v126, 0
	v_mov_b32_e32 v132, v127
	s_mov_b32 s5, 0
.LBB61_241:                             ; =>This Inner Loop Header: Depth=1
	s_clause 0x1
	buffer_load_dword v133, v132, s[0:3], 0 offen
	buffer_load_dword v134, v132, s[0:3], 0 offen offset:4
	ds_read_b64 v[135:136], v131
	v_add_nc_u32_e32 v130, 1, v130
	v_add_nc_u32_e32 v131, 8, v131
	v_add_nc_u32_e32 v132, 8, v132
	v_cmp_lt_u32_e32 vcc_lo, 56, v130
	s_or_b32 s5, vcc_lo, s5
	s_waitcnt vmcnt(0) lgkmcnt(0)
	v_fma_f64 v[125:126], v[133:134], v[135:136], v[125:126]
	s_andn2_b32 exec_lo, exec_lo, s5
	s_cbranch_execnz .LBB61_241
; %bb.242:
	s_or_b32 exec_lo, exec_lo, s5
	v_mov_b32_e32 v130, 0
	ds_read_b64 v[130:131], v130 offset:464
	s_waitcnt lgkmcnt(0)
	v_mul_f64 v[125:126], v[125:126], v[130:131]
	buffer_store_dword v126, off, s[0:3], 0 offset:468
	buffer_store_dword v125, off, s[0:3], 0 offset:464
.LBB61_243:
	s_or_b32 exec_lo, exec_lo, s4
	s_waitcnt_vscnt null, 0x0
	s_barrier
	buffer_gl0_inv
	s_clause 0x1
	buffer_load_dword v125, off, s[0:3], 0 offset:472
	buffer_load_dword v126, off, s[0:3], 0 offset:476
	s_mov_b32 s4, exec_lo
	s_waitcnt vmcnt(0)
	ds_write_b64 v128, v[125:126]
	s_waitcnt lgkmcnt(0)
	s_barrier
	buffer_gl0_inv
	v_cmpx_gt_u32_e32 59, v0
	s_cbranch_execz .LBB61_247
; %bb.244:
	v_mov_b32_e32 v125, 0
	v_add_nc_u32_e32 v130, -1, v0
	v_add_nc_u32_e32 v131, 0x1f0, v127
	v_mov_b32_e32 v126, 0
	v_mov_b32_e32 v132, v127
	s_mov_b32 s5, 0
.LBB61_245:                             ; =>This Inner Loop Header: Depth=1
	s_clause 0x1
	buffer_load_dword v133, v132, s[0:3], 0 offen
	buffer_load_dword v134, v132, s[0:3], 0 offen offset:4
	ds_read_b64 v[135:136], v131
	v_add_nc_u32_e32 v130, 1, v130
	v_add_nc_u32_e32 v131, 8, v131
	v_add_nc_u32_e32 v132, 8, v132
	v_cmp_lt_u32_e32 vcc_lo, 57, v130
	s_or_b32 s5, vcc_lo, s5
	s_waitcnt vmcnt(0) lgkmcnt(0)
	v_fma_f64 v[125:126], v[133:134], v[135:136], v[125:126]
	s_andn2_b32 exec_lo, exec_lo, s5
	s_cbranch_execnz .LBB61_245
; %bb.246:
	s_or_b32 exec_lo, exec_lo, s5
	v_mov_b32_e32 v130, 0
	ds_read_b64 v[130:131], v130 offset:472
	s_waitcnt lgkmcnt(0)
	v_mul_f64 v[125:126], v[125:126], v[130:131]
	buffer_store_dword v126, off, s[0:3], 0 offset:476
	buffer_store_dword v125, off, s[0:3], 0 offset:472
.LBB61_247:
	s_or_b32 exec_lo, exec_lo, s4
	s_waitcnt_vscnt null, 0x0
	s_barrier
	buffer_gl0_inv
	s_clause 0x1
	buffer_load_dword v125, off, s[0:3], 0 offset:480
	buffer_load_dword v126, off, s[0:3], 0 offset:484
	s_mov_b32 s4, exec_lo
	s_waitcnt vmcnt(0)
	ds_write_b64 v128, v[125:126]
	s_waitcnt lgkmcnt(0)
	s_barrier
	buffer_gl0_inv
	v_cmpx_gt_u32_e32 60, v0
	s_cbranch_execz .LBB61_251
; %bb.248:
	v_mov_b32_e32 v125, 0
	v_add_nc_u32_e32 v130, -1, v0
	v_add_nc_u32_e32 v131, 0x1f0, v127
	v_mov_b32_e32 v126, 0
	v_mov_b32_e32 v132, v127
	s_mov_b32 s5, 0
.LBB61_249:                             ; =>This Inner Loop Header: Depth=1
	s_clause 0x1
	buffer_load_dword v133, v132, s[0:3], 0 offen
	buffer_load_dword v134, v132, s[0:3], 0 offen offset:4
	ds_read_b64 v[135:136], v131
	v_add_nc_u32_e32 v130, 1, v130
	v_add_nc_u32_e32 v131, 8, v131
	v_add_nc_u32_e32 v132, 8, v132
	v_cmp_lt_u32_e32 vcc_lo, 58, v130
	s_or_b32 s5, vcc_lo, s5
	s_waitcnt vmcnt(0) lgkmcnt(0)
	v_fma_f64 v[125:126], v[133:134], v[135:136], v[125:126]
	s_andn2_b32 exec_lo, exec_lo, s5
	s_cbranch_execnz .LBB61_249
; %bb.250:
	s_or_b32 exec_lo, exec_lo, s5
	v_mov_b32_e32 v130, 0
	ds_read_b64 v[130:131], v130 offset:480
	s_waitcnt lgkmcnt(0)
	v_mul_f64 v[125:126], v[125:126], v[130:131]
	buffer_store_dword v126, off, s[0:3], 0 offset:484
	buffer_store_dword v125, off, s[0:3], 0 offset:480
.LBB61_251:
	s_or_b32 exec_lo, exec_lo, s4
	s_waitcnt_vscnt null, 0x0
	s_barrier
	buffer_gl0_inv
	s_clause 0x1
	buffer_load_dword v125, off, s[0:3], 0 offset:488
	buffer_load_dword v126, off, s[0:3], 0 offset:492
	s_mov_b32 s4, exec_lo
	s_waitcnt vmcnt(0)
	ds_write_b64 v128, v[125:126]
	s_waitcnt lgkmcnt(0)
	s_barrier
	buffer_gl0_inv
	v_cmpx_ne_u32_e32 61, v0
	s_cbranch_execz .LBB61_255
; %bb.252:
	v_mov_b32_e32 v125, 0
	v_mov_b32_e32 v126, 0
	s_mov_b32 s5, 0
.LBB61_253:                             ; =>This Inner Loop Header: Depth=1
	s_clause 0x1
	buffer_load_dword v130, v127, s[0:3], 0 offen
	buffer_load_dword v131, v127, s[0:3], 0 offen offset:4
	ds_read_b64 v[132:133], v128
	v_add_nc_u32_e32 v129, 1, v129
	v_add_nc_u32_e32 v128, 8, v128
	v_add_nc_u32_e32 v127, 8, v127
	v_cmp_lt_u32_e32 vcc_lo, 59, v129
	s_or_b32 s5, vcc_lo, s5
	s_waitcnt vmcnt(0) lgkmcnt(0)
	v_fma_f64 v[125:126], v[130:131], v[132:133], v[125:126]
	s_andn2_b32 exec_lo, exec_lo, s5
	s_cbranch_execnz .LBB61_253
; %bb.254:
	s_or_b32 exec_lo, exec_lo, s5
	v_mov_b32_e32 v127, 0
	ds_read_b64 v[127:128], v127 offset:488
	s_waitcnt lgkmcnt(0)
	v_mul_f64 v[125:126], v[125:126], v[127:128]
	buffer_store_dword v126, off, s[0:3], 0 offset:492
	buffer_store_dword v125, off, s[0:3], 0 offset:488
.LBB61_255:
	s_or_b32 exec_lo, exec_lo, s4
	s_mov_b32 s5, -1
	s_waitcnt_vscnt null, 0x0
	s_barrier
	buffer_gl0_inv
.LBB61_256:
	s_and_b32 vcc_lo, exec_lo, s5
	s_cbranch_vccz .LBB61_258
; %bb.257:
	s_lshl_b64 s[4:5], s[6:7], 2
	v_mov_b32_e32 v125, 0
	s_add_u32 s4, s10, s4
	s_addc_u32 s5, s11, s5
	global_load_dword v125, v125, s[4:5]
	s_waitcnt vmcnt(0)
	v_cmp_ne_u32_e32 vcc_lo, 0, v125
	s_cbranch_vccz .LBB61_259
.LBB61_258:
	s_endpgm
.LBB61_259:
	v_lshl_add_u32 v125, v0, 3, 0x1f0
	s_mov_b32 s4, exec_lo
	v_cmpx_eq_u32_e32 61, v0
	s_cbranch_execz .LBB61_261
; %bb.260:
	s_clause 0x1
	buffer_load_dword v126, off, s[0:3], 0 offset:480
	buffer_load_dword v127, off, s[0:3], 0 offset:484
	v_mov_b32_e32 v128, 0
	buffer_store_dword v128, off, s[0:3], 0 offset:480
	buffer_store_dword v128, off, s[0:3], 0 offset:484
	s_waitcnt vmcnt(0)
	ds_write_b64 v125, v[126:127]
.LBB61_261:
	s_or_b32 exec_lo, exec_lo, s4
	s_waitcnt lgkmcnt(0)
	s_waitcnt_vscnt null, 0x0
	s_barrier
	buffer_gl0_inv
	s_clause 0x3
	buffer_load_dword v127, off, s[0:3], 0 offset:488
	buffer_load_dword v128, off, s[0:3], 0 offset:492
	;; [unrolled: 1-line block ×4, first 2 shown]
	v_mov_b32_e32 v126, 0
	s_mov_b32 s4, exec_lo
	ds_read_b64 v[131:132], v126 offset:984
	s_waitcnt vmcnt(2) lgkmcnt(0)
	v_fma_f64 v[127:128], v[127:128], v[131:132], 0
	s_waitcnt vmcnt(0)
	v_add_f64 v[127:128], v[129:130], -v[127:128]
	buffer_store_dword v127, off, s[0:3], 0 offset:480
	buffer_store_dword v128, off, s[0:3], 0 offset:484
	v_cmpx_lt_u32_e32 59, v0
	s_cbranch_execz .LBB61_263
; %bb.262:
	s_clause 0x1
	buffer_load_dword v127, off, s[0:3], 0 offset:472
	buffer_load_dword v128, off, s[0:3], 0 offset:476
	buffer_store_dword v126, off, s[0:3], 0 offset:472
	buffer_store_dword v126, off, s[0:3], 0 offset:476
	s_waitcnt vmcnt(0)
	ds_write_b64 v125, v[127:128]
.LBB61_263:
	s_or_b32 exec_lo, exec_lo, s4
	s_waitcnt lgkmcnt(0)
	s_waitcnt_vscnt null, 0x0
	s_barrier
	buffer_gl0_inv
	s_clause 0x5
	buffer_load_dword v130, off, s[0:3], 0 offset:480
	buffer_load_dword v131, off, s[0:3], 0 offset:484
	;; [unrolled: 1-line block ×6, first 2 shown]
	ds_read_b128 v[126:129], v126 offset:976
	s_mov_b32 s4, exec_lo
	s_waitcnt vmcnt(4) lgkmcnt(0)
	v_fma_f64 v[126:127], v[130:131], v[126:127], 0
	s_waitcnt vmcnt(2)
	v_fma_f64 v[126:127], v[132:133], v[128:129], v[126:127]
	s_waitcnt vmcnt(0)
	v_add_f64 v[126:127], v[134:135], -v[126:127]
	buffer_store_dword v126, off, s[0:3], 0 offset:472
	buffer_store_dword v127, off, s[0:3], 0 offset:476
	v_cmpx_lt_u32_e32 58, v0
	s_cbranch_execz .LBB61_265
; %bb.264:
	s_clause 0x1
	buffer_load_dword v126, off, s[0:3], 0 offset:464
	buffer_load_dword v127, off, s[0:3], 0 offset:468
	v_mov_b32_e32 v128, 0
	buffer_store_dword v128, off, s[0:3], 0 offset:464
	buffer_store_dword v128, off, s[0:3], 0 offset:468
	s_waitcnt vmcnt(0)
	ds_write_b64 v125, v[126:127]
.LBB61_265:
	s_or_b32 exec_lo, exec_lo, s4
	s_waitcnt lgkmcnt(0)
	s_waitcnt_vscnt null, 0x0
	s_barrier
	buffer_gl0_inv
	s_clause 0x7
	buffer_load_dword v131, off, s[0:3], 0 offset:472
	buffer_load_dword v132, off, s[0:3], 0 offset:476
	;; [unrolled: 1-line block ×8, first 2 shown]
	v_mov_b32_e32 v126, 0
	ds_read2_b64 v[127:130], v126 offset0:121 offset1:122
	ds_read_b64 v[139:140], v126 offset:984
	s_mov_b32 s4, exec_lo
	s_waitcnt vmcnt(6) lgkmcnt(1)
	v_fma_f64 v[127:128], v[131:132], v[127:128], 0
	s_waitcnt vmcnt(4)
	v_fma_f64 v[127:128], v[133:134], v[129:130], v[127:128]
	s_waitcnt vmcnt(2) lgkmcnt(0)
	v_fma_f64 v[127:128], v[135:136], v[139:140], v[127:128]
	s_waitcnt vmcnt(0)
	v_add_f64 v[127:128], v[137:138], -v[127:128]
	buffer_store_dword v127, off, s[0:3], 0 offset:464
	buffer_store_dword v128, off, s[0:3], 0 offset:468
	v_cmpx_lt_u32_e32 57, v0
	s_cbranch_execz .LBB61_267
; %bb.266:
	s_clause 0x1
	buffer_load_dword v127, off, s[0:3], 0 offset:456
	buffer_load_dword v128, off, s[0:3], 0 offset:460
	buffer_store_dword v126, off, s[0:3], 0 offset:456
	buffer_store_dword v126, off, s[0:3], 0 offset:460
	s_waitcnt vmcnt(0)
	ds_write_b64 v125, v[127:128]
.LBB61_267:
	s_or_b32 exec_lo, exec_lo, s4
	s_waitcnt lgkmcnt(0)
	s_waitcnt_vscnt null, 0x0
	s_barrier
	buffer_gl0_inv
	s_clause 0x9
	buffer_load_dword v135, off, s[0:3], 0 offset:464
	buffer_load_dword v136, off, s[0:3], 0 offset:468
	;; [unrolled: 1-line block ×10, first 2 shown]
	ds_read_b128 v[127:130], v126 offset:960
	ds_read_b128 v[131:134], v126 offset:976
	s_mov_b32 s4, exec_lo
	s_waitcnt vmcnt(8) lgkmcnt(1)
	v_fma_f64 v[126:127], v[135:136], v[127:128], 0
	s_waitcnt vmcnt(6)
	v_fma_f64 v[126:127], v[137:138], v[129:130], v[126:127]
	s_waitcnt vmcnt(4) lgkmcnt(0)
	v_fma_f64 v[126:127], v[139:140], v[131:132], v[126:127]
	s_waitcnt vmcnt(2)
	v_fma_f64 v[126:127], v[141:142], v[133:134], v[126:127]
	s_waitcnt vmcnt(0)
	v_add_f64 v[126:127], v[143:144], -v[126:127]
	buffer_store_dword v126, off, s[0:3], 0 offset:456
	buffer_store_dword v127, off, s[0:3], 0 offset:460
	v_cmpx_lt_u32_e32 56, v0
	s_cbranch_execz .LBB61_269
; %bb.268:
	s_clause 0x1
	buffer_load_dword v126, off, s[0:3], 0 offset:448
	buffer_load_dword v127, off, s[0:3], 0 offset:452
	v_mov_b32_e32 v128, 0
	buffer_store_dword v128, off, s[0:3], 0 offset:448
	buffer_store_dword v128, off, s[0:3], 0 offset:452
	s_waitcnt vmcnt(0)
	ds_write_b64 v125, v[126:127]
.LBB61_269:
	s_or_b32 exec_lo, exec_lo, s4
	s_waitcnt lgkmcnt(0)
	s_waitcnt_vscnt null, 0x0
	s_barrier
	buffer_gl0_inv
	s_clause 0xb
	buffer_load_dword v135, off, s[0:3], 0 offset:456
	buffer_load_dword v136, off, s[0:3], 0 offset:460
	;; [unrolled: 1-line block ×12, first 2 shown]
	v_mov_b32_e32 v126, 0
	ds_read2_b64 v[127:130], v126 offset0:119 offset1:120
	ds_read2_b64 v[131:134], v126 offset0:121 offset1:122
	s_mov_b32 s4, exec_lo
	s_waitcnt vmcnt(10) lgkmcnt(1)
	v_fma_f64 v[127:128], v[135:136], v[127:128], 0
	s_waitcnt vmcnt(8)
	v_fma_f64 v[127:128], v[137:138], v[129:130], v[127:128]
	ds_read_b64 v[129:130], v126 offset:984
	s_waitcnt vmcnt(6) lgkmcnt(1)
	v_fma_f64 v[127:128], v[139:140], v[131:132], v[127:128]
	s_waitcnt vmcnt(4)
	v_fma_f64 v[127:128], v[141:142], v[133:134], v[127:128]
	s_waitcnt vmcnt(2) lgkmcnt(0)
	v_fma_f64 v[127:128], v[143:144], v[129:130], v[127:128]
	s_waitcnt vmcnt(0)
	v_add_f64 v[127:128], v[145:146], -v[127:128]
	buffer_store_dword v127, off, s[0:3], 0 offset:448
	buffer_store_dword v128, off, s[0:3], 0 offset:452
	v_cmpx_lt_u32_e32 55, v0
	s_cbranch_execz .LBB61_271
; %bb.270:
	s_clause 0x1
	buffer_load_dword v127, off, s[0:3], 0 offset:440
	buffer_load_dword v128, off, s[0:3], 0 offset:444
	buffer_store_dword v126, off, s[0:3], 0 offset:440
	buffer_store_dword v126, off, s[0:3], 0 offset:444
	s_waitcnt vmcnt(0)
	ds_write_b64 v125, v[127:128]
.LBB61_271:
	s_or_b32 exec_lo, exec_lo, s4
	s_waitcnt lgkmcnt(0)
	s_waitcnt_vscnt null, 0x0
	s_barrier
	buffer_gl0_inv
	s_clause 0xd
	buffer_load_dword v135, off, s[0:3], 0 offset:448
	buffer_load_dword v136, off, s[0:3], 0 offset:452
	;; [unrolled: 1-line block ×14, first 2 shown]
	ds_read_b128 v[127:130], v126 offset:944
	ds_read_b128 v[131:134], v126 offset:960
	s_mov_b32 s4, exec_lo
	s_waitcnt vmcnt(12) lgkmcnt(1)
	v_fma_f64 v[127:128], v[135:136], v[127:128], 0
	s_waitcnt vmcnt(10)
	v_fma_f64 v[127:128], v[137:138], v[129:130], v[127:128]
	s_waitcnt vmcnt(8) lgkmcnt(0)
	v_fma_f64 v[127:128], v[139:140], v[131:132], v[127:128]
	s_waitcnt vmcnt(6)
	v_fma_f64 v[130:131], v[141:142], v[133:134], v[127:128]
	ds_read_b128 v[126:129], v126 offset:976
	s_waitcnt vmcnt(4) lgkmcnt(0)
	v_fma_f64 v[126:127], v[143:144], v[126:127], v[130:131]
	s_waitcnt vmcnt(2)
	v_fma_f64 v[126:127], v[145:146], v[128:129], v[126:127]
	s_waitcnt vmcnt(0)
	v_add_f64 v[126:127], v[147:148], -v[126:127]
	buffer_store_dword v126, off, s[0:3], 0 offset:440
	buffer_store_dword v127, off, s[0:3], 0 offset:444
	v_cmpx_lt_u32_e32 54, v0
	s_cbranch_execz .LBB61_273
; %bb.272:
	s_clause 0x1
	buffer_load_dword v126, off, s[0:3], 0 offset:432
	buffer_load_dword v127, off, s[0:3], 0 offset:436
	v_mov_b32_e32 v128, 0
	buffer_store_dword v128, off, s[0:3], 0 offset:432
	buffer_store_dword v128, off, s[0:3], 0 offset:436
	s_waitcnt vmcnt(0)
	ds_write_b64 v125, v[126:127]
.LBB61_273:
	s_or_b32 exec_lo, exec_lo, s4
	s_waitcnt lgkmcnt(0)
	s_waitcnt_vscnt null, 0x0
	s_barrier
	buffer_gl0_inv
	s_clause 0xf
	buffer_load_dword v135, off, s[0:3], 0 offset:440
	buffer_load_dword v136, off, s[0:3], 0 offset:444
	buffer_load_dword v137, off, s[0:3], 0 offset:448
	buffer_load_dword v138, off, s[0:3], 0 offset:452
	buffer_load_dword v139, off, s[0:3], 0 offset:456
	buffer_load_dword v140, off, s[0:3], 0 offset:460
	buffer_load_dword v141, off, s[0:3], 0 offset:464
	buffer_load_dword v142, off, s[0:3], 0 offset:468
	buffer_load_dword v143, off, s[0:3], 0 offset:472
	buffer_load_dword v144, off, s[0:3], 0 offset:476
	buffer_load_dword v145, off, s[0:3], 0 offset:480
	buffer_load_dword v146, off, s[0:3], 0 offset:484
	buffer_load_dword v147, off, s[0:3], 0 offset:488
	buffer_load_dword v148, off, s[0:3], 0 offset:492
	buffer_load_dword v149, off, s[0:3], 0 offset:432
	buffer_load_dword v150, off, s[0:3], 0 offset:436
	v_mov_b32_e32 v126, 0
	ds_read2_b64 v[127:130], v126 offset0:117 offset1:118
	ds_read2_b64 v[131:134], v126 offset0:119 offset1:120
	s_mov_b32 s4, exec_lo
	s_waitcnt vmcnt(14) lgkmcnt(1)
	v_fma_f64 v[127:128], v[135:136], v[127:128], 0
	s_waitcnt vmcnt(12)
	v_fma_f64 v[127:128], v[137:138], v[129:130], v[127:128]
	s_waitcnt vmcnt(10) lgkmcnt(0)
	v_fma_f64 v[127:128], v[139:140], v[131:132], v[127:128]
	s_waitcnt vmcnt(8)
	v_fma_f64 v[131:132], v[141:142], v[133:134], v[127:128]
	ds_read2_b64 v[127:130], v126 offset0:121 offset1:122
	ds_read_b64 v[133:134], v126 offset:984
	s_waitcnt vmcnt(6) lgkmcnt(1)
	v_fma_f64 v[127:128], v[143:144], v[127:128], v[131:132]
	s_waitcnt vmcnt(4)
	v_fma_f64 v[127:128], v[145:146], v[129:130], v[127:128]
	s_waitcnt vmcnt(2) lgkmcnt(0)
	v_fma_f64 v[127:128], v[147:148], v[133:134], v[127:128]
	s_waitcnt vmcnt(0)
	v_add_f64 v[127:128], v[149:150], -v[127:128]
	buffer_store_dword v127, off, s[0:3], 0 offset:432
	buffer_store_dword v128, off, s[0:3], 0 offset:436
	v_cmpx_lt_u32_e32 53, v0
	s_cbranch_execz .LBB61_275
; %bb.274:
	s_clause 0x1
	buffer_load_dword v127, off, s[0:3], 0 offset:424
	buffer_load_dword v128, off, s[0:3], 0 offset:428
	buffer_store_dword v126, off, s[0:3], 0 offset:424
	buffer_store_dword v126, off, s[0:3], 0 offset:428
	s_waitcnt vmcnt(0)
	ds_write_b64 v125, v[127:128]
.LBB61_275:
	s_or_b32 exec_lo, exec_lo, s4
	s_waitcnt lgkmcnt(0)
	s_waitcnt_vscnt null, 0x0
	s_barrier
	buffer_gl0_inv
	s_clause 0x11
	buffer_load_dword v135, off, s[0:3], 0 offset:432
	buffer_load_dword v136, off, s[0:3], 0 offset:436
	;; [unrolled: 1-line block ×18, first 2 shown]
	ds_read_b128 v[127:130], v126 offset:928
	ds_read_b128 v[131:134], v126 offset:944
	s_mov_b32 s4, exec_lo
	s_waitcnt vmcnt(16) lgkmcnt(1)
	v_fma_f64 v[127:128], v[135:136], v[127:128], 0
	s_waitcnt vmcnt(14)
	v_fma_f64 v[127:128], v[137:138], v[129:130], v[127:128]
	s_waitcnt vmcnt(12) lgkmcnt(0)
	v_fma_f64 v[127:128], v[139:140], v[131:132], v[127:128]
	s_waitcnt vmcnt(10)
	v_fma_f64 v[135:136], v[141:142], v[133:134], v[127:128]
	ds_read_b128 v[127:130], v126 offset:960
	ds_read_b128 v[131:134], v126 offset:976
	s_waitcnt vmcnt(8) lgkmcnt(1)
	v_fma_f64 v[126:127], v[143:144], v[127:128], v[135:136]
	s_waitcnt vmcnt(6)
	v_fma_f64 v[126:127], v[145:146], v[129:130], v[126:127]
	s_waitcnt vmcnt(4) lgkmcnt(0)
	v_fma_f64 v[126:127], v[147:148], v[131:132], v[126:127]
	s_waitcnt vmcnt(2)
	v_fma_f64 v[126:127], v[149:150], v[133:134], v[126:127]
	s_waitcnt vmcnt(0)
	v_add_f64 v[126:127], v[151:152], -v[126:127]
	buffer_store_dword v126, off, s[0:3], 0 offset:424
	buffer_store_dword v127, off, s[0:3], 0 offset:428
	v_cmpx_lt_u32_e32 52, v0
	s_cbranch_execz .LBB61_277
; %bb.276:
	s_clause 0x1
	buffer_load_dword v126, off, s[0:3], 0 offset:416
	buffer_load_dword v127, off, s[0:3], 0 offset:420
	v_mov_b32_e32 v128, 0
	buffer_store_dword v128, off, s[0:3], 0 offset:416
	buffer_store_dword v128, off, s[0:3], 0 offset:420
	s_waitcnt vmcnt(0)
	ds_write_b64 v125, v[126:127]
.LBB61_277:
	s_or_b32 exec_lo, exec_lo, s4
	s_waitcnt lgkmcnt(0)
	s_waitcnt_vscnt null, 0x0
	s_barrier
	buffer_gl0_inv
	s_clause 0x13
	buffer_load_dword v135, off, s[0:3], 0 offset:424
	buffer_load_dword v136, off, s[0:3], 0 offset:428
	;; [unrolled: 1-line block ×20, first 2 shown]
	v_mov_b32_e32 v126, 0
	ds_read2_b64 v[127:130], v126 offset0:115 offset1:116
	ds_read2_b64 v[131:134], v126 offset0:117 offset1:118
	s_mov_b32 s4, exec_lo
	s_waitcnt vmcnt(18) lgkmcnt(1)
	v_fma_f64 v[127:128], v[135:136], v[127:128], 0
	s_waitcnt vmcnt(16)
	v_fma_f64 v[127:128], v[137:138], v[129:130], v[127:128]
	s_waitcnt vmcnt(14) lgkmcnt(0)
	v_fma_f64 v[127:128], v[139:140], v[131:132], v[127:128]
	s_waitcnt vmcnt(12)
	v_fma_f64 v[135:136], v[141:142], v[133:134], v[127:128]
	ds_read2_b64 v[127:130], v126 offset0:119 offset1:120
	ds_read2_b64 v[131:134], v126 offset0:121 offset1:122
	s_waitcnt vmcnt(10) lgkmcnt(1)
	v_fma_f64 v[127:128], v[143:144], v[127:128], v[135:136]
	s_waitcnt vmcnt(8)
	v_fma_f64 v[127:128], v[145:146], v[129:130], v[127:128]
	ds_read_b64 v[129:130], v126 offset:984
	s_waitcnt vmcnt(6) lgkmcnt(1)
	v_fma_f64 v[127:128], v[147:148], v[131:132], v[127:128]
	s_waitcnt vmcnt(3)
	v_fma_f64 v[127:128], v[149:150], v[133:134], v[127:128]
	s_waitcnt vmcnt(2) lgkmcnt(0)
	v_fma_f64 v[127:128], v[151:152], v[129:130], v[127:128]
	s_waitcnt vmcnt(0)
	v_add_f64 v[127:128], v[153:154], -v[127:128]
	buffer_store_dword v127, off, s[0:3], 0 offset:416
	buffer_store_dword v128, off, s[0:3], 0 offset:420
	v_cmpx_lt_u32_e32 51, v0
	s_cbranch_execz .LBB61_279
; %bb.278:
	s_clause 0x1
	buffer_load_dword v127, off, s[0:3], 0 offset:408
	buffer_load_dword v128, off, s[0:3], 0 offset:412
	buffer_store_dword v126, off, s[0:3], 0 offset:408
	buffer_store_dword v126, off, s[0:3], 0 offset:412
	s_waitcnt vmcnt(0)
	ds_write_b64 v125, v[127:128]
.LBB61_279:
	s_or_b32 exec_lo, exec_lo, s4
	s_waitcnt lgkmcnt(0)
	s_waitcnt_vscnt null, 0x0
	s_barrier
	buffer_gl0_inv
	s_clause 0x15
	buffer_load_dword v135, off, s[0:3], 0 offset:416
	buffer_load_dword v136, off, s[0:3], 0 offset:420
	buffer_load_dword v137, off, s[0:3], 0 offset:424
	buffer_load_dword v138, off, s[0:3], 0 offset:428
	buffer_load_dword v139, off, s[0:3], 0 offset:432
	buffer_load_dword v140, off, s[0:3], 0 offset:436
	buffer_load_dword v141, off, s[0:3], 0 offset:440
	buffer_load_dword v142, off, s[0:3], 0 offset:444
	buffer_load_dword v143, off, s[0:3], 0 offset:448
	buffer_load_dword v144, off, s[0:3], 0 offset:452
	buffer_load_dword v145, off, s[0:3], 0 offset:456
	buffer_load_dword v146, off, s[0:3], 0 offset:460
	buffer_load_dword v147, off, s[0:3], 0 offset:464
	buffer_load_dword v148, off, s[0:3], 0 offset:468
	buffer_load_dword v150, off, s[0:3], 0 offset:476
	buffer_load_dword v151, off, s[0:3], 0 offset:488
	buffer_load_dword v153, off, s[0:3], 0 offset:480
	buffer_load_dword v149, off, s[0:3], 0 offset:472
	buffer_load_dword v154, off, s[0:3], 0 offset:484
	buffer_load_dword v152, off, s[0:3], 0 offset:492
	buffer_load_dword v155, off, s[0:3], 0 offset:408
	buffer_load_dword v156, off, s[0:3], 0 offset:412
	ds_read_b128 v[127:130], v126 offset:912
	ds_read_b128 v[131:134], v126 offset:928
	s_mov_b32 s4, exec_lo
	s_waitcnt vmcnt(20) lgkmcnt(1)
	v_fma_f64 v[127:128], v[135:136], v[127:128], 0
	s_waitcnt vmcnt(18)
	v_fma_f64 v[127:128], v[137:138], v[129:130], v[127:128]
	s_waitcnt vmcnt(16) lgkmcnt(0)
	v_fma_f64 v[127:128], v[139:140], v[131:132], v[127:128]
	s_waitcnt vmcnt(14)
	v_fma_f64 v[135:136], v[141:142], v[133:134], v[127:128]
	ds_read_b128 v[127:130], v126 offset:944
	ds_read_b128 v[131:134], v126 offset:960
	s_waitcnt vmcnt(12) lgkmcnt(1)
	v_fma_f64 v[127:128], v[143:144], v[127:128], v[135:136]
	s_waitcnt vmcnt(10)
	v_fma_f64 v[127:128], v[145:146], v[129:130], v[127:128]
	s_waitcnt vmcnt(8) lgkmcnt(0)
	v_fma_f64 v[127:128], v[147:148], v[131:132], v[127:128]
	s_waitcnt vmcnt(4)
	v_fma_f64 v[130:131], v[149:150], v[133:134], v[127:128]
	ds_read_b128 v[126:129], v126 offset:976
	s_waitcnt vmcnt(3) lgkmcnt(0)
	v_fma_f64 v[126:127], v[153:154], v[126:127], v[130:131]
	s_waitcnt vmcnt(2)
	v_fma_f64 v[126:127], v[151:152], v[128:129], v[126:127]
	s_waitcnt vmcnt(0)
	v_add_f64 v[126:127], v[155:156], -v[126:127]
	buffer_store_dword v126, off, s[0:3], 0 offset:408
	buffer_store_dword v127, off, s[0:3], 0 offset:412
	v_cmpx_lt_u32_e32 50, v0
	s_cbranch_execz .LBB61_281
; %bb.280:
	s_clause 0x1
	buffer_load_dword v126, off, s[0:3], 0 offset:400
	buffer_load_dword v127, off, s[0:3], 0 offset:404
	v_mov_b32_e32 v128, 0
	buffer_store_dword v128, off, s[0:3], 0 offset:400
	buffer_store_dword v128, off, s[0:3], 0 offset:404
	s_waitcnt vmcnt(0)
	ds_write_b64 v125, v[126:127]
.LBB61_281:
	s_or_b32 exec_lo, exec_lo, s4
	s_waitcnt lgkmcnt(0)
	s_waitcnt_vscnt null, 0x0
	s_barrier
	buffer_gl0_inv
	s_clause 0x17
	buffer_load_dword v131, off, s[0:3], 0 offset:408
	buffer_load_dword v132, off, s[0:3], 0 offset:412
	buffer_load_dword v133, off, s[0:3], 0 offset:416
	buffer_load_dword v134, off, s[0:3], 0 offset:420
	buffer_load_dword v135, off, s[0:3], 0 offset:424
	buffer_load_dword v136, off, s[0:3], 0 offset:428
	buffer_load_dword v137, off, s[0:3], 0 offset:432
	buffer_load_dword v138, off, s[0:3], 0 offset:436
	buffer_load_dword v139, off, s[0:3], 0 offset:440
	buffer_load_dword v140, off, s[0:3], 0 offset:444
	buffer_load_dword v141, off, s[0:3], 0 offset:448
	buffer_load_dword v142, off, s[0:3], 0 offset:452
	buffer_load_dword v143, off, s[0:3], 0 offset:456
	buffer_load_dword v144, off, s[0:3], 0 offset:460
	buffer_load_dword v146, off, s[0:3], 0 offset:468
	buffer_load_dword v145, off, s[0:3], 0 offset:464
	buffer_load_dword v147, off, s[0:3], 0 offset:472
	buffer_load_dword v148, off, s[0:3], 0 offset:476
	buffer_load_dword v149, off, s[0:3], 0 offset:480
	buffer_load_dword v150, off, s[0:3], 0 offset:484
	buffer_load_dword v151, off, s[0:3], 0 offset:488
	buffer_load_dword v152, off, s[0:3], 0 offset:492
	buffer_load_dword v153, off, s[0:3], 0 offset:400
	buffer_load_dword v154, off, s[0:3], 0 offset:404
	v_mov_b32_e32 v126, 0
	s_mov_b32 s4, exec_lo
	ds_read2_b64 v[127:130], v126 offset0:113 offset1:114
	s_waitcnt vmcnt(22) lgkmcnt(0)
	v_fma_f64 v[127:128], v[131:132], v[127:128], 0
	s_waitcnt vmcnt(20)
	v_fma_f64 v[131:132], v[133:134], v[129:130], v[127:128]
	ds_read2_b64 v[127:130], v126 offset0:115 offset1:116
	s_waitcnt vmcnt(18) lgkmcnt(0)
	v_fma_f64 v[127:128], v[135:136], v[127:128], v[131:132]
	s_waitcnt vmcnt(16)
	v_fma_f64 v[131:132], v[137:138], v[129:130], v[127:128]
	;; [unrolled: 5-line block ×5, first 2 shown]
	ds_read_b64 v[129:130], v126 offset:984
	s_waitcnt vmcnt(2) lgkmcnt(0)
	v_fma_f64 v[127:128], v[151:152], v[129:130], v[127:128]
	s_waitcnt vmcnt(0)
	v_add_f64 v[127:128], v[153:154], -v[127:128]
	buffer_store_dword v128, off, s[0:3], 0 offset:404
	buffer_store_dword v127, off, s[0:3], 0 offset:400
	v_cmpx_lt_u32_e32 49, v0
	s_cbranch_execz .LBB61_283
; %bb.282:
	s_clause 0x1
	buffer_load_dword v127, off, s[0:3], 0 offset:392
	buffer_load_dword v128, off, s[0:3], 0 offset:396
	buffer_store_dword v126, off, s[0:3], 0 offset:392
	buffer_store_dword v126, off, s[0:3], 0 offset:396
	s_waitcnt vmcnt(0)
	ds_write_b64 v125, v[127:128]
.LBB61_283:
	s_or_b32 exec_lo, exec_lo, s4
	s_waitcnt lgkmcnt(0)
	s_waitcnt_vscnt null, 0x0
	s_barrier
	buffer_gl0_inv
	s_clause 0x19
	buffer_load_dword v131, off, s[0:3], 0 offset:400
	buffer_load_dword v132, off, s[0:3], 0 offset:404
	;; [unrolled: 1-line block ×26, first 2 shown]
	ds_read_b128 v[127:130], v126 offset:896
	s_mov_b32 s4, exec_lo
	s_waitcnt vmcnt(24) lgkmcnt(0)
	v_fma_f64 v[127:128], v[131:132], v[127:128], 0
	s_waitcnt vmcnt(22)
	v_fma_f64 v[131:132], v[133:134], v[129:130], v[127:128]
	ds_read_b128 v[127:130], v126 offset:912
	s_waitcnt vmcnt(20) lgkmcnt(0)
	v_fma_f64 v[127:128], v[135:136], v[127:128], v[131:132]
	s_waitcnt vmcnt(18)
	v_fma_f64 v[131:132], v[137:138], v[129:130], v[127:128]
	ds_read_b128 v[127:130], v126 offset:928
	;; [unrolled: 5-line block ×5, first 2 shown]
	s_waitcnt vmcnt(4) lgkmcnt(0)
	v_fma_f64 v[126:127], v[151:152], v[126:127], v[130:131]
	s_waitcnt vmcnt(2)
	v_fma_f64 v[126:127], v[153:154], v[128:129], v[126:127]
	s_waitcnt vmcnt(0)
	v_add_f64 v[126:127], v[155:156], -v[126:127]
	buffer_store_dword v127, off, s[0:3], 0 offset:396
	buffer_store_dword v126, off, s[0:3], 0 offset:392
	v_cmpx_lt_u32_e32 48, v0
	s_cbranch_execz .LBB61_285
; %bb.284:
	s_clause 0x1
	buffer_load_dword v126, off, s[0:3], 0 offset:384
	buffer_load_dword v127, off, s[0:3], 0 offset:388
	v_mov_b32_e32 v128, 0
	buffer_store_dword v128, off, s[0:3], 0 offset:384
	buffer_store_dword v128, off, s[0:3], 0 offset:388
	s_waitcnt vmcnt(0)
	ds_write_b64 v125, v[126:127]
.LBB61_285:
	s_or_b32 exec_lo, exec_lo, s4
	s_waitcnt lgkmcnt(0)
	s_waitcnt_vscnt null, 0x0
	s_barrier
	buffer_gl0_inv
	s_clause 0x1b
	buffer_load_dword v131, off, s[0:3], 0 offset:392
	buffer_load_dword v132, off, s[0:3], 0 offset:396
	;; [unrolled: 1-line block ×28, first 2 shown]
	v_mov_b32_e32 v126, 0
	s_mov_b32 s4, exec_lo
	ds_read2_b64 v[127:130], v126 offset0:111 offset1:112
	s_waitcnt vmcnt(26) lgkmcnt(0)
	v_fma_f64 v[127:128], v[131:132], v[127:128], 0
	s_waitcnt vmcnt(24)
	v_fma_f64 v[131:132], v[133:134], v[129:130], v[127:128]
	ds_read2_b64 v[127:130], v126 offset0:113 offset1:114
	s_waitcnt vmcnt(22) lgkmcnt(0)
	v_fma_f64 v[127:128], v[135:136], v[127:128], v[131:132]
	s_waitcnt vmcnt(20)
	v_fma_f64 v[131:132], v[137:138], v[129:130], v[127:128]
	;; [unrolled: 5-line block ×6, first 2 shown]
	ds_read_b64 v[129:130], v126 offset:984
	s_waitcnt vmcnt(2) lgkmcnt(0)
	v_fma_f64 v[127:128], v[155:156], v[129:130], v[127:128]
	s_waitcnt vmcnt(0)
	v_add_f64 v[127:128], v[157:158], -v[127:128]
	buffer_store_dword v128, off, s[0:3], 0 offset:388
	buffer_store_dword v127, off, s[0:3], 0 offset:384
	v_cmpx_lt_u32_e32 47, v0
	s_cbranch_execz .LBB61_287
; %bb.286:
	s_clause 0x1
	buffer_load_dword v127, off, s[0:3], 0 offset:376
	buffer_load_dword v128, off, s[0:3], 0 offset:380
	buffer_store_dword v126, off, s[0:3], 0 offset:376
	buffer_store_dword v126, off, s[0:3], 0 offset:380
	s_waitcnt vmcnt(0)
	ds_write_b64 v125, v[127:128]
.LBB61_287:
	s_or_b32 exec_lo, exec_lo, s4
	s_waitcnt lgkmcnt(0)
	s_waitcnt_vscnt null, 0x0
	s_barrier
	buffer_gl0_inv
	s_clause 0x1b
	buffer_load_dword v135, off, s[0:3], 0 offset:384
	buffer_load_dword v136, off, s[0:3], 0 offset:388
	;; [unrolled: 1-line block ×28, first 2 shown]
	ds_read_b128 v[127:130], v126 offset:880
	s_clause 0x1
	buffer_load_dword v163, off, s[0:3], 0 offset:376
	buffer_load_dword v164, off, s[0:3], 0 offset:380
	ds_read_b128 v[131:134], v126 offset:896
	s_mov_b32 s4, exec_lo
	s_waitcnt vmcnt(28) lgkmcnt(1)
	v_fma_f64 v[127:128], v[135:136], v[127:128], 0
	s_waitcnt vmcnt(26)
	v_fma_f64 v[127:128], v[137:138], v[129:130], v[127:128]
	s_waitcnt vmcnt(24) lgkmcnt(0)
	v_fma_f64 v[127:128], v[139:140], v[131:132], v[127:128]
	s_waitcnt vmcnt(22)
	v_fma_f64 v[135:136], v[141:142], v[133:134], v[127:128]
	ds_read_b128 v[127:130], v126 offset:912
	ds_read_b128 v[131:134], v126 offset:928
	s_waitcnt vmcnt(20) lgkmcnt(1)
	v_fma_f64 v[127:128], v[143:144], v[127:128], v[135:136]
	s_waitcnt vmcnt(18)
	v_fma_f64 v[127:128], v[145:146], v[129:130], v[127:128]
	s_waitcnt vmcnt(16) lgkmcnt(0)
	v_fma_f64 v[127:128], v[147:148], v[131:132], v[127:128]
	s_waitcnt vmcnt(11)
	v_fma_f64 v[135:136], v[149:150], v[133:134], v[127:128]
	ds_read_b128 v[127:130], v126 offset:944
	ds_read_b128 v[131:134], v126 offset:960
	s_waitcnt vmcnt(10) lgkmcnt(1)
	v_fma_f64 v[127:128], v[155:156], v[127:128], v[135:136]
	s_waitcnt vmcnt(9)
	v_fma_f64 v[127:128], v[153:154], v[129:130], v[127:128]
	s_waitcnt vmcnt(8) lgkmcnt(0)
	v_fma_f64 v[127:128], v[151:152], v[131:132], v[127:128]
	s_waitcnt vmcnt(4)
	v_fma_f64 v[130:131], v[157:158], v[133:134], v[127:128]
	ds_read_b128 v[126:129], v126 offset:976
	s_waitcnt vmcnt(3) lgkmcnt(0)
	v_fma_f64 v[126:127], v[161:162], v[126:127], v[130:131]
	s_waitcnt vmcnt(2)
	v_fma_f64 v[126:127], v[159:160], v[128:129], v[126:127]
	s_waitcnt vmcnt(0)
	v_add_f64 v[126:127], v[163:164], -v[126:127]
	buffer_store_dword v127, off, s[0:3], 0 offset:380
	buffer_store_dword v126, off, s[0:3], 0 offset:376
	v_cmpx_lt_u32_e32 46, v0
	s_cbranch_execz .LBB61_289
; %bb.288:
	s_clause 0x1
	buffer_load_dword v126, off, s[0:3], 0 offset:368
	buffer_load_dword v127, off, s[0:3], 0 offset:372
	v_mov_b32_e32 v128, 0
	buffer_store_dword v128, off, s[0:3], 0 offset:368
	buffer_store_dword v128, off, s[0:3], 0 offset:372
	s_waitcnt vmcnt(0)
	ds_write_b64 v125, v[126:127]
.LBB61_289:
	s_or_b32 exec_lo, exec_lo, s4
	s_waitcnt lgkmcnt(0)
	s_waitcnt_vscnt null, 0x0
	s_barrier
	buffer_gl0_inv
	s_clause 0x1c
	buffer_load_dword v135, off, s[0:3], 0 offset:376
	buffer_load_dword v136, off, s[0:3], 0 offset:380
	;; [unrolled: 1-line block ×29, first 2 shown]
	v_mov_b32_e32 v126, 0
	buffer_load_dword v160, off, s[0:3], 0 offset:492
	s_mov_b32 s4, exec_lo
	ds_read2_b64 v[127:130], v126 offset0:109 offset1:110
	ds_read2_b64 v[131:134], v126 offset0:111 offset1:112
	s_waitcnt vmcnt(28) lgkmcnt(1)
	v_fma_f64 v[127:128], v[135:136], v[127:128], 0
	s_clause 0x1
	buffer_load_dword v135, off, s[0:3], 0 offset:368
	buffer_load_dword v136, off, s[0:3], 0 offset:372
	s_waitcnt vmcnt(28)
	v_fma_f64 v[127:128], v[137:138], v[129:130], v[127:128]
	s_waitcnt vmcnt(26) lgkmcnt(0)
	v_fma_f64 v[127:128], v[139:140], v[131:132], v[127:128]
	s_waitcnt vmcnt(24)
	v_fma_f64 v[137:138], v[141:142], v[133:134], v[127:128]
	ds_read2_b64 v[127:130], v126 offset0:113 offset1:114
	ds_read2_b64 v[131:134], v126 offset0:115 offset1:116
	s_waitcnt vmcnt(22) lgkmcnt(1)
	v_fma_f64 v[127:128], v[143:144], v[127:128], v[137:138]
	s_waitcnt vmcnt(20)
	v_fma_f64 v[127:128], v[145:146], v[129:130], v[127:128]
	s_waitcnt vmcnt(18) lgkmcnt(0)
	v_fma_f64 v[127:128], v[147:148], v[131:132], v[127:128]
	s_waitcnt vmcnt(13)
	v_fma_f64 v[137:138], v[149:150], v[133:134], v[127:128]
	ds_read2_b64 v[127:130], v126 offset0:117 offset1:118
	ds_read2_b64 v[131:134], v126 offset0:119 offset1:120
	s_waitcnt vmcnt(12) lgkmcnt(1)
	v_fma_f64 v[127:128], v[155:156], v[127:128], v[137:138]
	s_waitcnt vmcnt(11)
	v_fma_f64 v[127:128], v[153:154], v[129:130], v[127:128]
	s_waitcnt vmcnt(10) lgkmcnt(0)
	v_fma_f64 v[127:128], v[151:152], v[131:132], v[127:128]
	s_waitcnt vmcnt(5)
	v_fma_f64 v[131:132], v[157:158], v[133:134], v[127:128]
	ds_read2_b64 v[127:130], v126 offset0:121 offset1:122
	ds_read_b64 v[133:134], v126 offset:984
	s_waitcnt vmcnt(4) lgkmcnt(1)
	v_fma_f64 v[127:128], v[163:164], v[127:128], v[131:132]
	s_waitcnt vmcnt(3)
	v_fma_f64 v[127:128], v[161:162], v[129:130], v[127:128]
	s_waitcnt vmcnt(2) lgkmcnt(0)
	v_fma_f64 v[127:128], v[159:160], v[133:134], v[127:128]
	s_waitcnt vmcnt(0)
	v_add_f64 v[127:128], v[135:136], -v[127:128]
	buffer_store_dword v128, off, s[0:3], 0 offset:372
	buffer_store_dword v127, off, s[0:3], 0 offset:368
	v_cmpx_lt_u32_e32 45, v0
	s_cbranch_execz .LBB61_291
; %bb.290:
	s_clause 0x1
	buffer_load_dword v127, off, s[0:3], 0 offset:360
	buffer_load_dword v128, off, s[0:3], 0 offset:364
	buffer_store_dword v126, off, s[0:3], 0 offset:360
	buffer_store_dword v126, off, s[0:3], 0 offset:364
	s_waitcnt vmcnt(0)
	ds_write_b64 v125, v[127:128]
.LBB61_291:
	s_or_b32 exec_lo, exec_lo, s4
	s_waitcnt lgkmcnt(0)
	s_waitcnt_vscnt null, 0x0
	s_barrier
	buffer_gl0_inv
	s_clause 0x1c
	buffer_load_dword v135, off, s[0:3], 0 offset:368
	buffer_load_dword v136, off, s[0:3], 0 offset:372
	;; [unrolled: 1-line block ×29, first 2 shown]
	ds_read_b128 v[127:130], v126 offset:864
	ds_read_b128 v[131:134], v126 offset:880
	buffer_load_dword v160, off, s[0:3], 0 offset:484
	s_mov_b32 s4, exec_lo
	s_waitcnt vmcnt(28) lgkmcnt(1)
	v_fma_f64 v[127:128], v[135:136], v[127:128], 0
	s_clause 0x1
	buffer_load_dword v136, off, s[0:3], 0 offset:492
	buffer_load_dword v135, off, s[0:3], 0 offset:488
	s_waitcnt vmcnt(28)
	v_fma_f64 v[127:128], v[137:138], v[129:130], v[127:128]
	s_clause 0x1
	buffer_load_dword v137, off, s[0:3], 0 offset:360
	buffer_load_dword v138, off, s[0:3], 0 offset:364
	s_waitcnt vmcnt(28) lgkmcnt(0)
	v_fma_f64 v[127:128], v[139:140], v[131:132], v[127:128]
	s_waitcnt vmcnt(26)
	v_fma_f64 v[139:140], v[141:142], v[133:134], v[127:128]
	ds_read_b128 v[127:130], v126 offset:896
	ds_read_b128 v[131:134], v126 offset:912
	s_waitcnt vmcnt(24) lgkmcnt(1)
	v_fma_f64 v[127:128], v[143:144], v[127:128], v[139:140]
	s_waitcnt vmcnt(22)
	v_fma_f64 v[127:128], v[145:146], v[129:130], v[127:128]
	s_waitcnt vmcnt(20) lgkmcnt(0)
	v_fma_f64 v[127:128], v[147:148], v[131:132], v[127:128]
	s_waitcnt vmcnt(15)
	v_fma_f64 v[139:140], v[149:150], v[133:134], v[127:128]
	ds_read_b128 v[127:130], v126 offset:928
	ds_read_b128 v[131:134], v126 offset:944
	s_waitcnt vmcnt(14) lgkmcnt(1)
	v_fma_f64 v[127:128], v[155:156], v[127:128], v[139:140]
	s_waitcnt vmcnt(13)
	v_fma_f64 v[127:128], v[153:154], v[129:130], v[127:128]
	;; [unrolled: 10-line block ×3, first 2 shown]
	s_waitcnt vmcnt(4) lgkmcnt(0)
	v_fma_f64 v[126:127], v[159:160], v[131:132], v[126:127]
	s_waitcnt vmcnt(2)
	v_fma_f64 v[126:127], v[135:136], v[133:134], v[126:127]
	s_waitcnt vmcnt(0)
	v_add_f64 v[126:127], v[137:138], -v[126:127]
	buffer_store_dword v127, off, s[0:3], 0 offset:364
	buffer_store_dword v126, off, s[0:3], 0 offset:360
	v_cmpx_lt_u32_e32 44, v0
	s_cbranch_execz .LBB61_293
; %bb.292:
	s_clause 0x1
	buffer_load_dword v126, off, s[0:3], 0 offset:352
	buffer_load_dword v127, off, s[0:3], 0 offset:356
	v_mov_b32_e32 v128, 0
	buffer_store_dword v128, off, s[0:3], 0 offset:352
	buffer_store_dword v128, off, s[0:3], 0 offset:356
	s_waitcnt vmcnt(0)
	ds_write_b64 v125, v[126:127]
.LBB61_293:
	s_or_b32 exec_lo, exec_lo, s4
	s_waitcnt lgkmcnt(0)
	s_waitcnt_vscnt null, 0x0
	s_barrier
	buffer_gl0_inv
	s_clause 0x1c
	buffer_load_dword v135, off, s[0:3], 0 offset:360
	buffer_load_dword v136, off, s[0:3], 0 offset:364
	;; [unrolled: 1-line block ×29, first 2 shown]
	v_mov_b32_e32 v126, 0
	buffer_load_dword v160, off, s[0:3], 0 offset:476
	s_mov_b32 s4, exec_lo
	ds_read2_b64 v[127:130], v126 offset0:107 offset1:108
	ds_read2_b64 v[131:134], v126 offset0:109 offset1:110
	s_waitcnt vmcnt(28) lgkmcnt(1)
	v_fma_f64 v[127:128], v[135:136], v[127:128], 0
	s_clause 0x3
	buffer_load_dword v136, off, s[0:3], 0 offset:484
	buffer_load_dword v165, off, s[0:3], 0 offset:488
	;; [unrolled: 1-line block ×4, first 2 shown]
	s_waitcnt vmcnt(30)
	v_fma_f64 v[127:128], v[137:138], v[129:130], v[127:128]
	s_clause 0x1
	buffer_load_dword v137, off, s[0:3], 0 offset:352
	buffer_load_dword v138, off, s[0:3], 0 offset:356
	s_waitcnt vmcnt(30) lgkmcnt(0)
	v_fma_f64 v[127:128], v[139:140], v[131:132], v[127:128]
	s_waitcnt vmcnt(28)
	v_fma_f64 v[139:140], v[141:142], v[133:134], v[127:128]
	ds_read2_b64 v[127:130], v126 offset0:111 offset1:112
	ds_read2_b64 v[131:134], v126 offset0:113 offset1:114
	s_waitcnt vmcnt(26) lgkmcnt(1)
	v_fma_f64 v[127:128], v[143:144], v[127:128], v[139:140]
	s_waitcnt vmcnt(24)
	v_fma_f64 v[127:128], v[145:146], v[129:130], v[127:128]
	s_waitcnt vmcnt(22) lgkmcnt(0)
	v_fma_f64 v[127:128], v[147:148], v[131:132], v[127:128]
	s_waitcnt vmcnt(17)
	v_fma_f64 v[139:140], v[149:150], v[133:134], v[127:128]
	ds_read2_b64 v[127:130], v126 offset0:115 offset1:116
	ds_read2_b64 v[131:134], v126 offset0:117 offset1:118
	s_waitcnt vmcnt(16) lgkmcnt(1)
	v_fma_f64 v[127:128], v[155:156], v[127:128], v[139:140]
	s_waitcnt vmcnt(15)
	v_fma_f64 v[127:128], v[153:154], v[129:130], v[127:128]
	;; [unrolled: 10-line block ×3, first 2 shown]
	ds_read_b64 v[129:130], v126 offset:984
	s_waitcnt vmcnt(6) lgkmcnt(1)
	v_fma_f64 v[127:128], v[159:160], v[131:132], v[127:128]
	s_waitcnt vmcnt(3)
	v_fma_f64 v[127:128], v[135:136], v[133:134], v[127:128]
	s_waitcnt vmcnt(2) lgkmcnt(0)
	v_fma_f64 v[127:128], v[165:166], v[129:130], v[127:128]
	s_waitcnt vmcnt(0)
	v_add_f64 v[127:128], v[137:138], -v[127:128]
	buffer_store_dword v128, off, s[0:3], 0 offset:356
	buffer_store_dword v127, off, s[0:3], 0 offset:352
	v_cmpx_lt_u32_e32 43, v0
	s_cbranch_execz .LBB61_295
; %bb.294:
	s_clause 0x1
	buffer_load_dword v127, off, s[0:3], 0 offset:344
	buffer_load_dword v128, off, s[0:3], 0 offset:348
	buffer_store_dword v126, off, s[0:3], 0 offset:344
	buffer_store_dword v126, off, s[0:3], 0 offset:348
	s_waitcnt vmcnt(0)
	ds_write_b64 v125, v[127:128]
.LBB61_295:
	s_or_b32 exec_lo, exec_lo, s4
	s_waitcnt lgkmcnt(0)
	s_waitcnt_vscnt null, 0x0
	s_barrier
	buffer_gl0_inv
	s_clause 0x1c
	buffer_load_dword v135, off, s[0:3], 0 offset:352
	buffer_load_dword v136, off, s[0:3], 0 offset:356
	;; [unrolled: 1-line block ×29, first 2 shown]
	ds_read_b128 v[127:130], v126 offset:848
	ds_read_b128 v[131:134], v126 offset:864
	buffer_load_dword v160, off, s[0:3], 0 offset:468
	s_mov_b32 s4, exec_lo
	s_waitcnt vmcnt(28) lgkmcnt(1)
	v_fma_f64 v[127:128], v[135:136], v[127:128], 0
	s_clause 0x5
	buffer_load_dword v136, off, s[0:3], 0 offset:476
	buffer_load_dword v165, off, s[0:3], 0 offset:488
	;; [unrolled: 1-line block ×6, first 2 shown]
	s_waitcnt vmcnt(32)
	v_fma_f64 v[127:128], v[137:138], v[129:130], v[127:128]
	s_waitcnt vmcnt(30) lgkmcnt(0)
	v_fma_f64 v[127:128], v[139:140], v[131:132], v[127:128]
	s_waitcnt vmcnt(28)
	v_fma_f64 v[137:138], v[141:142], v[133:134], v[127:128]
	ds_read_b128 v[127:130], v126 offset:880
	s_clause 0x1
	buffer_load_dword v139, off, s[0:3], 0 offset:344
	buffer_load_dword v140, off, s[0:3], 0 offset:348
	ds_read_b128 v[131:134], v126 offset:896
	s_waitcnt vmcnt(28) lgkmcnt(1)
	v_fma_f64 v[127:128], v[143:144], v[127:128], v[137:138]
	s_waitcnt vmcnt(26)
	v_fma_f64 v[127:128], v[145:146], v[129:130], v[127:128]
	s_waitcnt vmcnt(24) lgkmcnt(0)
	v_fma_f64 v[127:128], v[147:148], v[131:132], v[127:128]
	s_waitcnt vmcnt(19)
	v_fma_f64 v[137:138], v[149:150], v[133:134], v[127:128]
	ds_read_b128 v[127:130], v126 offset:912
	ds_read_b128 v[131:134], v126 offset:928
	s_waitcnt vmcnt(18) lgkmcnt(1)
	v_fma_f64 v[127:128], v[155:156], v[127:128], v[137:138]
	s_waitcnt vmcnt(17)
	v_fma_f64 v[127:128], v[153:154], v[129:130], v[127:128]
	s_waitcnt vmcnt(16) lgkmcnt(0)
	v_fma_f64 v[127:128], v[151:152], v[131:132], v[127:128]
	s_waitcnt vmcnt(11)
	v_fma_f64 v[137:138], v[157:158], v[133:134], v[127:128]
	ds_read_b128 v[127:130], v126 offset:944
	;; [unrolled: 10-line block ×3, first 2 shown]
	s_waitcnt vmcnt(3) lgkmcnt(0)
	v_fma_f64 v[126:127], v[167:168], v[126:127], v[130:131]
	s_waitcnt vmcnt(2)
	v_fma_f64 v[126:127], v[165:166], v[128:129], v[126:127]
	s_waitcnt vmcnt(0)
	v_add_f64 v[126:127], v[139:140], -v[126:127]
	buffer_store_dword v127, off, s[0:3], 0 offset:348
	buffer_store_dword v126, off, s[0:3], 0 offset:344
	v_cmpx_lt_u32_e32 42, v0
	s_cbranch_execz .LBB61_297
; %bb.296:
	s_clause 0x1
	buffer_load_dword v126, off, s[0:3], 0 offset:336
	buffer_load_dword v127, off, s[0:3], 0 offset:340
	v_mov_b32_e32 v128, 0
	buffer_store_dword v128, off, s[0:3], 0 offset:336
	buffer_store_dword v128, off, s[0:3], 0 offset:340
	s_waitcnt vmcnt(0)
	ds_write_b64 v125, v[126:127]
.LBB61_297:
	s_or_b32 exec_lo, exec_lo, s4
	s_waitcnt lgkmcnt(0)
	s_waitcnt_vscnt null, 0x0
	s_barrier
	buffer_gl0_inv
	s_clause 0x1c
	buffer_load_dword v135, off, s[0:3], 0 offset:344
	buffer_load_dword v136, off, s[0:3], 0 offset:348
	;; [unrolled: 1-line block ×29, first 2 shown]
	v_mov_b32_e32 v126, 0
	buffer_load_dword v160, off, s[0:3], 0 offset:460
	s_mov_b32 s4, exec_lo
	ds_read2_b64 v[127:130], v126 offset0:105 offset1:106
	ds_read2_b64 v[131:134], v126 offset0:107 offset1:108
	s_waitcnt vmcnt(28) lgkmcnt(1)
	v_fma_f64 v[127:128], v[135:136], v[127:128], 0
	s_clause 0x7
	buffer_load_dword v136, off, s[0:3], 0 offset:468
	buffer_load_dword v165, off, s[0:3], 0 offset:488
	;; [unrolled: 1-line block ×8, first 2 shown]
	s_waitcnt vmcnt(34)
	v_fma_f64 v[127:128], v[137:138], v[129:130], v[127:128]
	s_waitcnt vmcnt(32) lgkmcnt(0)
	v_fma_f64 v[127:128], v[139:140], v[131:132], v[127:128]
	s_waitcnt vmcnt(30)
	v_fma_f64 v[137:138], v[141:142], v[133:134], v[127:128]
	ds_read2_b64 v[127:130], v126 offset0:109 offset1:110
	ds_read2_b64 v[131:134], v126 offset0:111 offset1:112
	s_waitcnt vmcnt(28) lgkmcnt(1)
	v_fma_f64 v[127:128], v[143:144], v[127:128], v[137:138]
	s_clause 0x1
	buffer_load_dword v137, off, s[0:3], 0 offset:336
	buffer_load_dword v138, off, s[0:3], 0 offset:340
	s_waitcnt vmcnt(28)
	v_fma_f64 v[127:128], v[145:146], v[129:130], v[127:128]
	s_waitcnt vmcnt(26) lgkmcnt(0)
	v_fma_f64 v[127:128], v[147:148], v[131:132], v[127:128]
	s_waitcnt vmcnt(21)
	v_fma_f64 v[139:140], v[149:150], v[133:134], v[127:128]
	ds_read2_b64 v[127:130], v126 offset0:113 offset1:114
	ds_read2_b64 v[131:134], v126 offset0:115 offset1:116
	s_waitcnt vmcnt(20) lgkmcnt(1)
	v_fma_f64 v[127:128], v[155:156], v[127:128], v[139:140]
	s_waitcnt vmcnt(19)
	v_fma_f64 v[127:128], v[153:154], v[129:130], v[127:128]
	s_waitcnt vmcnt(18) lgkmcnt(0)
	v_fma_f64 v[127:128], v[151:152], v[131:132], v[127:128]
	s_waitcnt vmcnt(13)
	v_fma_f64 v[139:140], v[157:158], v[133:134], v[127:128]
	ds_read2_b64 v[127:130], v126 offset0:117 offset1:118
	ds_read2_b64 v[131:134], v126 offset0:119 offset1:120
	s_waitcnt vmcnt(12) lgkmcnt(1)
	v_fma_f64 v[127:128], v[163:164], v[127:128], v[139:140]
	s_waitcnt vmcnt(11)
	v_fma_f64 v[127:128], v[161:162], v[129:130], v[127:128]
	s_waitcnt vmcnt(10) lgkmcnt(0)
	v_fma_f64 v[127:128], v[159:160], v[131:132], v[127:128]
	s_waitcnt vmcnt(5)
	v_fma_f64 v[131:132], v[135:136], v[133:134], v[127:128]
	ds_read2_b64 v[127:130], v126 offset0:121 offset1:122
	ds_read_b64 v[133:134], v126 offset:984
	s_waitcnt vmcnt(4) lgkmcnt(1)
	v_fma_f64 v[127:128], v[169:170], v[127:128], v[131:132]
	s_waitcnt vmcnt(3)
	v_fma_f64 v[127:128], v[167:168], v[129:130], v[127:128]
	s_waitcnt vmcnt(2) lgkmcnt(0)
	v_fma_f64 v[127:128], v[165:166], v[133:134], v[127:128]
	s_waitcnt vmcnt(0)
	v_add_f64 v[127:128], v[137:138], -v[127:128]
	buffer_store_dword v128, off, s[0:3], 0 offset:340
	buffer_store_dword v127, off, s[0:3], 0 offset:336
	v_cmpx_lt_u32_e32 41, v0
	s_cbranch_execz .LBB61_299
; %bb.298:
	s_clause 0x1
	buffer_load_dword v127, off, s[0:3], 0 offset:328
	buffer_load_dword v128, off, s[0:3], 0 offset:332
	buffer_store_dword v126, off, s[0:3], 0 offset:328
	buffer_store_dword v126, off, s[0:3], 0 offset:332
	s_waitcnt vmcnt(0)
	ds_write_b64 v125, v[127:128]
.LBB61_299:
	s_or_b32 exec_lo, exec_lo, s4
	s_waitcnt lgkmcnt(0)
	s_waitcnt_vscnt null, 0x0
	s_barrier
	buffer_gl0_inv
	s_clause 0x1c
	buffer_load_dword v135, off, s[0:3], 0 offset:336
	buffer_load_dword v136, off, s[0:3], 0 offset:340
	;; [unrolled: 1-line block ×29, first 2 shown]
	ds_read_b128 v[127:130], v126 offset:832
	ds_read_b128 v[131:134], v126 offset:848
	buffer_load_dword v160, off, s[0:3], 0 offset:452
	s_mov_b32 s4, exec_lo
	s_waitcnt vmcnt(28) lgkmcnt(1)
	v_fma_f64 v[127:128], v[135:136], v[127:128], 0
	s_clause 0x7
	buffer_load_dword v136, off, s[0:3], 0 offset:460
	buffer_load_dword v165, off, s[0:3], 0 offset:480
	;; [unrolled: 1-line block ×8, first 2 shown]
	s_waitcnt vmcnt(34)
	v_fma_f64 v[127:128], v[137:138], v[129:130], v[127:128]
	s_waitcnt vmcnt(32) lgkmcnt(0)
	v_fma_f64 v[127:128], v[139:140], v[131:132], v[127:128]
	s_waitcnt vmcnt(30)
	v_fma_f64 v[137:138], v[141:142], v[133:134], v[127:128]
	ds_read_b128 v[127:130], v126 offset:864
	ds_read_b128 v[131:134], v126 offset:880
	s_waitcnt vmcnt(28) lgkmcnt(1)
	v_fma_f64 v[127:128], v[143:144], v[127:128], v[137:138]
	s_clause 0x3
	buffer_load_dword v138, off, s[0:3], 0 offset:492
	buffer_load_dword v137, off, s[0:3], 0 offset:488
	;; [unrolled: 1-line block ×4, first 2 shown]
	s_waitcnt vmcnt(30)
	v_fma_f64 v[127:128], v[145:146], v[129:130], v[127:128]
	s_waitcnt vmcnt(28) lgkmcnt(0)
	v_fma_f64 v[127:128], v[147:148], v[131:132], v[127:128]
	s_waitcnt vmcnt(23)
	v_fma_f64 v[141:142], v[149:150], v[133:134], v[127:128]
	ds_read_b128 v[127:130], v126 offset:896
	ds_read_b128 v[131:134], v126 offset:912
	s_waitcnt vmcnt(22) lgkmcnt(1)
	v_fma_f64 v[127:128], v[155:156], v[127:128], v[141:142]
	s_waitcnt vmcnt(21)
	v_fma_f64 v[127:128], v[153:154], v[129:130], v[127:128]
	s_waitcnt vmcnt(20) lgkmcnt(0)
	v_fma_f64 v[127:128], v[151:152], v[131:132], v[127:128]
	s_waitcnt vmcnt(15)
	v_fma_f64 v[141:142], v[157:158], v[133:134], v[127:128]
	ds_read_b128 v[127:130], v126 offset:928
	ds_read_b128 v[131:134], v126 offset:944
	s_waitcnt vmcnt(14) lgkmcnt(1)
	v_fma_f64 v[127:128], v[163:164], v[127:128], v[141:142]
	;; [unrolled: 10-line block ×3, first 2 shown]
	s_waitcnt vmcnt(5)
	v_fma_f64 v[126:127], v[167:168], v[129:130], v[126:127]
	s_waitcnt vmcnt(4) lgkmcnt(0)
	v_fma_f64 v[126:127], v[165:166], v[131:132], v[126:127]
	s_waitcnt vmcnt(2)
	v_fma_f64 v[126:127], v[137:138], v[133:134], v[126:127]
	s_waitcnt vmcnt(0)
	v_add_f64 v[126:127], v[139:140], -v[126:127]
	buffer_store_dword v127, off, s[0:3], 0 offset:332
	buffer_store_dword v126, off, s[0:3], 0 offset:328
	v_cmpx_lt_u32_e32 40, v0
	s_cbranch_execz .LBB61_301
; %bb.300:
	s_clause 0x1
	buffer_load_dword v126, off, s[0:3], 0 offset:320
	buffer_load_dword v127, off, s[0:3], 0 offset:324
	v_mov_b32_e32 v128, 0
	buffer_store_dword v128, off, s[0:3], 0 offset:320
	buffer_store_dword v128, off, s[0:3], 0 offset:324
	s_waitcnt vmcnt(0)
	ds_write_b64 v125, v[126:127]
.LBB61_301:
	s_or_b32 exec_lo, exec_lo, s4
	s_waitcnt lgkmcnt(0)
	s_waitcnt_vscnt null, 0x0
	s_barrier
	buffer_gl0_inv
	s_clause 0x1c
	buffer_load_dword v135, off, s[0:3], 0 offset:328
	buffer_load_dword v136, off, s[0:3], 0 offset:332
	;; [unrolled: 1-line block ×29, first 2 shown]
	v_mov_b32_e32 v126, 0
	buffer_load_dword v160, off, s[0:3], 0 offset:444
	s_mov_b32 s4, exec_lo
	ds_read2_b64 v[127:130], v126 offset0:103 offset1:104
	ds_read2_b64 v[131:134], v126 offset0:105 offset1:106
	s_waitcnt vmcnt(28) lgkmcnt(1)
	v_fma_f64 v[127:128], v[135:136], v[127:128], 0
	s_clause 0x7
	buffer_load_dword v136, off, s[0:3], 0 offset:452
	buffer_load_dword v165, off, s[0:3], 0 offset:472
	;; [unrolled: 1-line block ×8, first 2 shown]
	s_waitcnt vmcnt(34)
	v_fma_f64 v[127:128], v[137:138], v[129:130], v[127:128]
	s_waitcnt vmcnt(32) lgkmcnt(0)
	v_fma_f64 v[127:128], v[139:140], v[131:132], v[127:128]
	s_waitcnt vmcnt(30)
	v_fma_f64 v[137:138], v[141:142], v[133:134], v[127:128]
	ds_read2_b64 v[127:130], v126 offset0:107 offset1:108
	ds_read2_b64 v[131:134], v126 offset0:109 offset1:110
	s_waitcnt vmcnt(28) lgkmcnt(1)
	v_fma_f64 v[127:128], v[143:144], v[127:128], v[137:138]
	s_clause 0x5
	buffer_load_dword v138, off, s[0:3], 0 offset:484
	buffer_load_dword v139, off, s[0:3], 0 offset:488
	;; [unrolled: 1-line block ×6, first 2 shown]
	s_waitcnt vmcnt(32)
	v_fma_f64 v[127:128], v[145:146], v[129:130], v[127:128]
	s_waitcnt vmcnt(30) lgkmcnt(0)
	v_fma_f64 v[127:128], v[147:148], v[131:132], v[127:128]
	s_waitcnt vmcnt(25)
	v_fma_f64 v[143:144], v[149:150], v[133:134], v[127:128]
	ds_read2_b64 v[127:130], v126 offset0:111 offset1:112
	ds_read2_b64 v[131:134], v126 offset0:113 offset1:114
	s_waitcnt vmcnt(24) lgkmcnt(1)
	v_fma_f64 v[127:128], v[155:156], v[127:128], v[143:144]
	s_waitcnt vmcnt(23)
	v_fma_f64 v[127:128], v[153:154], v[129:130], v[127:128]
	s_waitcnt vmcnt(22) lgkmcnt(0)
	v_fma_f64 v[127:128], v[151:152], v[131:132], v[127:128]
	s_waitcnt vmcnt(17)
	v_fma_f64 v[143:144], v[157:158], v[133:134], v[127:128]
	ds_read2_b64 v[127:130], v126 offset0:115 offset1:116
	ds_read2_b64 v[131:134], v126 offset0:117 offset1:118
	s_waitcnt vmcnt(16) lgkmcnt(1)
	v_fma_f64 v[127:128], v[163:164], v[127:128], v[143:144]
	;; [unrolled: 10-line block ×3, first 2 shown]
	s_waitcnt vmcnt(7)
	v_fma_f64 v[127:128], v[167:168], v[129:130], v[127:128]
	ds_read_b64 v[129:130], v126 offset:984
	s_waitcnt vmcnt(6) lgkmcnt(1)
	v_fma_f64 v[127:128], v[165:166], v[131:132], v[127:128]
	s_waitcnt vmcnt(3)
	v_fma_f64 v[127:128], v[137:138], v[133:134], v[127:128]
	s_waitcnt vmcnt(2) lgkmcnt(0)
	v_fma_f64 v[127:128], v[139:140], v[129:130], v[127:128]
	s_waitcnt vmcnt(0)
	v_add_f64 v[127:128], v[141:142], -v[127:128]
	buffer_store_dword v128, off, s[0:3], 0 offset:324
	buffer_store_dword v127, off, s[0:3], 0 offset:320
	v_cmpx_lt_u32_e32 39, v0
	s_cbranch_execz .LBB61_303
; %bb.302:
	s_clause 0x1
	buffer_load_dword v127, off, s[0:3], 0 offset:312
	buffer_load_dword v128, off, s[0:3], 0 offset:316
	buffer_store_dword v126, off, s[0:3], 0 offset:312
	buffer_store_dword v126, off, s[0:3], 0 offset:316
	s_waitcnt vmcnt(0)
	ds_write_b64 v125, v[127:128]
.LBB61_303:
	s_or_b32 exec_lo, exec_lo, s4
	s_waitcnt lgkmcnt(0)
	s_waitcnt_vscnt null, 0x0
	s_barrier
	buffer_gl0_inv
	s_clause 0x1c
	buffer_load_dword v135, off, s[0:3], 0 offset:320
	buffer_load_dword v136, off, s[0:3], 0 offset:324
	;; [unrolled: 1-line block ×29, first 2 shown]
	ds_read_b128 v[127:130], v126 offset:816
	ds_read_b128 v[131:134], v126 offset:832
	buffer_load_dword v160, off, s[0:3], 0 offset:436
	s_mov_b32 s4, exec_lo
	s_waitcnt vmcnt(28) lgkmcnt(1)
	v_fma_f64 v[127:128], v[135:136], v[127:128], 0
	s_clause 0x7
	buffer_load_dword v136, off, s[0:3], 0 offset:444
	buffer_load_dword v165, off, s[0:3], 0 offset:464
	;; [unrolled: 1-line block ×8, first 2 shown]
	s_waitcnt vmcnt(34)
	v_fma_f64 v[127:128], v[137:138], v[129:130], v[127:128]
	s_waitcnt vmcnt(32) lgkmcnt(0)
	v_fma_f64 v[127:128], v[139:140], v[131:132], v[127:128]
	s_waitcnt vmcnt(30)
	v_fma_f64 v[137:138], v[141:142], v[133:134], v[127:128]
	ds_read_b128 v[127:130], v126 offset:848
	ds_read_b128 v[131:134], v126 offset:864
	s_waitcnt vmcnt(28) lgkmcnt(1)
	v_fma_f64 v[127:128], v[143:144], v[127:128], v[137:138]
	s_clause 0x5
	buffer_load_dword v138, off, s[0:3], 0 offset:476
	buffer_load_dword v139, off, s[0:3], 0 offset:488
	;; [unrolled: 1-line block ×6, first 2 shown]
	s_waitcnt vmcnt(32)
	v_fma_f64 v[127:128], v[145:146], v[129:130], v[127:128]
	s_waitcnt vmcnt(30) lgkmcnt(0)
	v_fma_f64 v[127:128], v[147:148], v[131:132], v[127:128]
	s_waitcnt vmcnt(25)
	v_fma_f64 v[143:144], v[149:150], v[133:134], v[127:128]
	ds_read_b128 v[127:130], v126 offset:880
	s_clause 0x1
	buffer_load_dword v145, off, s[0:3], 0 offset:312
	buffer_load_dword v146, off, s[0:3], 0 offset:316
	ds_read_b128 v[131:134], v126 offset:896
	s_waitcnt vmcnt(26) lgkmcnt(1)
	v_fma_f64 v[127:128], v[155:156], v[127:128], v[143:144]
	s_waitcnt vmcnt(25)
	v_fma_f64 v[127:128], v[153:154], v[129:130], v[127:128]
	s_waitcnt vmcnt(24) lgkmcnt(0)
	v_fma_f64 v[127:128], v[151:152], v[131:132], v[127:128]
	s_waitcnt vmcnt(19)
	v_fma_f64 v[143:144], v[157:158], v[133:134], v[127:128]
	ds_read_b128 v[127:130], v126 offset:912
	ds_read_b128 v[131:134], v126 offset:928
	s_waitcnt vmcnt(18) lgkmcnt(1)
	v_fma_f64 v[127:128], v[163:164], v[127:128], v[143:144]
	s_waitcnt vmcnt(17)
	v_fma_f64 v[127:128], v[161:162], v[129:130], v[127:128]
	s_waitcnt vmcnt(16) lgkmcnt(0)
	v_fma_f64 v[127:128], v[159:160], v[131:132], v[127:128]
	s_waitcnt vmcnt(11)
	v_fma_f64 v[135:136], v[135:136], v[133:134], v[127:128]
	ds_read_b128 v[127:130], v126 offset:944
	;; [unrolled: 10-line block ×3, first 2 shown]
	s_waitcnt vmcnt(3) lgkmcnt(0)
	v_fma_f64 v[126:127], v[141:142], v[126:127], v[130:131]
	s_waitcnt vmcnt(2)
	v_fma_f64 v[126:127], v[139:140], v[128:129], v[126:127]
	s_waitcnt vmcnt(0)
	v_add_f64 v[126:127], v[145:146], -v[126:127]
	buffer_store_dword v127, off, s[0:3], 0 offset:316
	buffer_store_dword v126, off, s[0:3], 0 offset:312
	v_cmpx_lt_u32_e32 38, v0
	s_cbranch_execz .LBB61_305
; %bb.304:
	s_clause 0x1
	buffer_load_dword v126, off, s[0:3], 0 offset:304
	buffer_load_dword v127, off, s[0:3], 0 offset:308
	v_mov_b32_e32 v128, 0
	buffer_store_dword v128, off, s[0:3], 0 offset:304
	buffer_store_dword v128, off, s[0:3], 0 offset:308
	s_waitcnt vmcnt(0)
	ds_write_b64 v125, v[126:127]
.LBB61_305:
	s_or_b32 exec_lo, exec_lo, s4
	s_waitcnt lgkmcnt(0)
	s_waitcnt_vscnt null, 0x0
	s_barrier
	buffer_gl0_inv
	s_clause 0x1c
	buffer_load_dword v135, off, s[0:3], 0 offset:312
	buffer_load_dword v136, off, s[0:3], 0 offset:316
	;; [unrolled: 1-line block ×29, first 2 shown]
	v_mov_b32_e32 v126, 0
	buffer_load_dword v160, off, s[0:3], 0 offset:428
	s_mov_b32 s4, exec_lo
	ds_read2_b64 v[127:130], v126 offset0:101 offset1:102
	ds_read2_b64 v[131:134], v126 offset0:103 offset1:104
	s_waitcnt vmcnt(28) lgkmcnt(1)
	v_fma_f64 v[127:128], v[135:136], v[127:128], 0
	s_clause 0x7
	buffer_load_dword v136, off, s[0:3], 0 offset:436
	buffer_load_dword v165, off, s[0:3], 0 offset:456
	;; [unrolled: 1-line block ×8, first 2 shown]
	s_waitcnt vmcnt(34)
	v_fma_f64 v[127:128], v[137:138], v[129:130], v[127:128]
	s_waitcnt vmcnt(32) lgkmcnt(0)
	v_fma_f64 v[127:128], v[139:140], v[131:132], v[127:128]
	s_waitcnt vmcnt(30)
	v_fma_f64 v[137:138], v[141:142], v[133:134], v[127:128]
	ds_read2_b64 v[127:130], v126 offset0:105 offset1:106
	ds_read2_b64 v[131:134], v126 offset0:107 offset1:108
	s_waitcnt vmcnt(28) lgkmcnt(1)
	v_fma_f64 v[127:128], v[143:144], v[127:128], v[137:138]
	s_clause 0x7
	buffer_load_dword v138, off, s[0:3], 0 offset:468
	buffer_load_dword v139, off, s[0:3], 0 offset:488
	;; [unrolled: 1-line block ×8, first 2 shown]
	s_waitcnt vmcnt(34)
	v_fma_f64 v[127:128], v[145:146], v[129:130], v[127:128]
	s_waitcnt vmcnt(32) lgkmcnt(0)
	v_fma_f64 v[127:128], v[147:148], v[131:132], v[127:128]
	s_waitcnt vmcnt(27)
	v_fma_f64 v[145:146], v[149:150], v[133:134], v[127:128]
	ds_read2_b64 v[127:130], v126 offset0:109 offset1:110
	ds_read2_b64 v[131:134], v126 offset0:111 offset1:112
	s_waitcnt vmcnt(26) lgkmcnt(1)
	v_fma_f64 v[127:128], v[155:156], v[127:128], v[145:146]
	s_clause 0x1
	buffer_load_dword v145, off, s[0:3], 0 offset:304
	buffer_load_dword v146, off, s[0:3], 0 offset:308
	s_waitcnt vmcnt(27)
	v_fma_f64 v[127:128], v[153:154], v[129:130], v[127:128]
	s_waitcnt vmcnt(26) lgkmcnt(0)
	v_fma_f64 v[127:128], v[151:152], v[131:132], v[127:128]
	s_waitcnt vmcnt(21)
	v_fma_f64 v[147:148], v[157:158], v[133:134], v[127:128]
	ds_read2_b64 v[127:130], v126 offset0:113 offset1:114
	ds_read2_b64 v[131:134], v126 offset0:115 offset1:116
	s_waitcnt vmcnt(20) lgkmcnt(1)
	v_fma_f64 v[127:128], v[163:164], v[127:128], v[147:148]
	s_waitcnt vmcnt(19)
	v_fma_f64 v[127:128], v[161:162], v[129:130], v[127:128]
	s_waitcnt vmcnt(18) lgkmcnt(0)
	v_fma_f64 v[127:128], v[159:160], v[131:132], v[127:128]
	s_waitcnt vmcnt(13)
	v_fma_f64 v[135:136], v[135:136], v[133:134], v[127:128]
	ds_read2_b64 v[127:130], v126 offset0:117 offset1:118
	ds_read2_b64 v[131:134], v126 offset0:119 offset1:120
	s_waitcnt vmcnt(12) lgkmcnt(1)
	v_fma_f64 v[127:128], v[169:170], v[127:128], v[135:136]
	s_waitcnt vmcnt(11)
	v_fma_f64 v[127:128], v[167:168], v[129:130], v[127:128]
	s_waitcnt vmcnt(10) lgkmcnt(0)
	v_fma_f64 v[127:128], v[165:166], v[131:132], v[127:128]
	s_waitcnt vmcnt(5)
	v_fma_f64 v[131:132], v[137:138], v[133:134], v[127:128]
	ds_read2_b64 v[127:130], v126 offset0:121 offset1:122
	ds_read_b64 v[133:134], v126 offset:984
	s_waitcnt vmcnt(4) lgkmcnt(1)
	v_fma_f64 v[127:128], v[143:144], v[127:128], v[131:132]
	s_waitcnt vmcnt(3)
	v_fma_f64 v[127:128], v[141:142], v[129:130], v[127:128]
	s_waitcnt vmcnt(2) lgkmcnt(0)
	v_fma_f64 v[127:128], v[139:140], v[133:134], v[127:128]
	s_waitcnt vmcnt(0)
	v_add_f64 v[127:128], v[145:146], -v[127:128]
	buffer_store_dword v128, off, s[0:3], 0 offset:308
	buffer_store_dword v127, off, s[0:3], 0 offset:304
	v_cmpx_lt_u32_e32 37, v0
	s_cbranch_execz .LBB61_307
; %bb.306:
	s_clause 0x1
	buffer_load_dword v127, off, s[0:3], 0 offset:296
	buffer_load_dword v128, off, s[0:3], 0 offset:300
	buffer_store_dword v126, off, s[0:3], 0 offset:296
	buffer_store_dword v126, off, s[0:3], 0 offset:300
	s_waitcnt vmcnt(0)
	ds_write_b64 v125, v[127:128]
.LBB61_307:
	s_or_b32 exec_lo, exec_lo, s4
	s_waitcnt lgkmcnt(0)
	s_waitcnt_vscnt null, 0x0
	s_barrier
	buffer_gl0_inv
	s_clause 0x1c
	buffer_load_dword v135, off, s[0:3], 0 offset:304
	buffer_load_dword v136, off, s[0:3], 0 offset:308
	;; [unrolled: 1-line block ×29, first 2 shown]
	ds_read_b128 v[127:130], v126 offset:800
	ds_read_b128 v[131:134], v126 offset:816
	buffer_load_dword v160, off, s[0:3], 0 offset:420
	s_mov_b32 s4, exec_lo
	s_waitcnt vmcnt(28) lgkmcnt(1)
	v_fma_f64 v[127:128], v[135:136], v[127:128], 0
	s_clause 0x7
	buffer_load_dword v136, off, s[0:3], 0 offset:428
	buffer_load_dword v165, off, s[0:3], 0 offset:448
	;; [unrolled: 1-line block ×8, first 2 shown]
	s_waitcnt vmcnt(34)
	v_fma_f64 v[127:128], v[137:138], v[129:130], v[127:128]
	s_waitcnt vmcnt(32) lgkmcnt(0)
	v_fma_f64 v[127:128], v[139:140], v[131:132], v[127:128]
	s_waitcnt vmcnt(30)
	v_fma_f64 v[137:138], v[141:142], v[133:134], v[127:128]
	ds_read_b128 v[127:130], v126 offset:832
	ds_read_b128 v[131:134], v126 offset:848
	s_waitcnt vmcnt(28) lgkmcnt(1)
	v_fma_f64 v[127:128], v[143:144], v[127:128], v[137:138]
	s_clause 0x7
	buffer_load_dword v138, off, s[0:3], 0 offset:460
	buffer_load_dword v139, off, s[0:3], 0 offset:480
	buffer_load_dword v141, off, s[0:3], 0 offset:472
	buffer_load_dword v143, off, s[0:3], 0 offset:464
	buffer_load_dword v137, off, s[0:3], 0 offset:456
	buffer_load_dword v144, off, s[0:3], 0 offset:468
	buffer_load_dword v142, off, s[0:3], 0 offset:476
	buffer_load_dword v140, off, s[0:3], 0 offset:484
	s_waitcnt vmcnt(34)
	v_fma_f64 v[127:128], v[145:146], v[129:130], v[127:128]
	s_waitcnt vmcnt(32) lgkmcnt(0)
	v_fma_f64 v[127:128], v[147:148], v[131:132], v[127:128]
	s_waitcnt vmcnt(27)
	v_fma_f64 v[145:146], v[149:150], v[133:134], v[127:128]
	ds_read_b128 v[127:130], v126 offset:864
	ds_read_b128 v[131:134], v126 offset:880
	s_waitcnt vmcnt(26) lgkmcnt(1)
	v_fma_f64 v[127:128], v[155:156], v[127:128], v[145:146]
	s_clause 0x3
	buffer_load_dword v146, off, s[0:3], 0 offset:492
	buffer_load_dword v145, off, s[0:3], 0 offset:488
	buffer_load_dword v147, off, s[0:3], 0 offset:296
	buffer_load_dword v148, off, s[0:3], 0 offset:300
	s_waitcnt vmcnt(29)
	v_fma_f64 v[127:128], v[153:154], v[129:130], v[127:128]
	s_waitcnt vmcnt(28) lgkmcnt(0)
	v_fma_f64 v[127:128], v[151:152], v[131:132], v[127:128]
	s_waitcnt vmcnt(23)
	v_fma_f64 v[149:150], v[157:158], v[133:134], v[127:128]
	ds_read_b128 v[127:130], v126 offset:896
	ds_read_b128 v[131:134], v126 offset:912
	s_waitcnt vmcnt(22) lgkmcnt(1)
	v_fma_f64 v[127:128], v[163:164], v[127:128], v[149:150]
	s_waitcnt vmcnt(21)
	v_fma_f64 v[127:128], v[161:162], v[129:130], v[127:128]
	s_waitcnt vmcnt(20) lgkmcnt(0)
	v_fma_f64 v[127:128], v[159:160], v[131:132], v[127:128]
	s_waitcnt vmcnt(15)
	v_fma_f64 v[135:136], v[135:136], v[133:134], v[127:128]
	ds_read_b128 v[127:130], v126 offset:928
	ds_read_b128 v[131:134], v126 offset:944
	s_waitcnt vmcnt(14) lgkmcnt(1)
	v_fma_f64 v[127:128], v[169:170], v[127:128], v[135:136]
	;; [unrolled: 10-line block ×3, first 2 shown]
	s_waitcnt vmcnt(5)
	v_fma_f64 v[126:127], v[141:142], v[129:130], v[126:127]
	s_waitcnt vmcnt(4) lgkmcnt(0)
	v_fma_f64 v[126:127], v[139:140], v[131:132], v[126:127]
	s_waitcnt vmcnt(2)
	v_fma_f64 v[126:127], v[145:146], v[133:134], v[126:127]
	s_waitcnt vmcnt(0)
	v_add_f64 v[126:127], v[147:148], -v[126:127]
	buffer_store_dword v127, off, s[0:3], 0 offset:300
	buffer_store_dword v126, off, s[0:3], 0 offset:296
	v_cmpx_lt_u32_e32 36, v0
	s_cbranch_execz .LBB61_309
; %bb.308:
	s_clause 0x1
	buffer_load_dword v126, off, s[0:3], 0 offset:288
	buffer_load_dword v127, off, s[0:3], 0 offset:292
	v_mov_b32_e32 v128, 0
	buffer_store_dword v128, off, s[0:3], 0 offset:288
	buffer_store_dword v128, off, s[0:3], 0 offset:292
	s_waitcnt vmcnt(0)
	ds_write_b64 v125, v[126:127]
.LBB61_309:
	s_or_b32 exec_lo, exec_lo, s4
	s_waitcnt lgkmcnt(0)
	s_waitcnt_vscnt null, 0x0
	s_barrier
	buffer_gl0_inv
	s_clause 0x1c
	buffer_load_dword v135, off, s[0:3], 0 offset:296
	buffer_load_dword v136, off, s[0:3], 0 offset:300
	;; [unrolled: 1-line block ×29, first 2 shown]
	v_mov_b32_e32 v126, 0
	buffer_load_dword v160, off, s[0:3], 0 offset:412
	s_mov_b32 s4, exec_lo
	ds_read2_b64 v[127:130], v126 offset0:99 offset1:100
	ds_read2_b64 v[131:134], v126 offset0:101 offset1:102
	s_waitcnt vmcnt(28) lgkmcnt(1)
	v_fma_f64 v[127:128], v[135:136], v[127:128], 0
	s_clause 0x7
	buffer_load_dword v136, off, s[0:3], 0 offset:420
	buffer_load_dword v165, off, s[0:3], 0 offset:440
	;; [unrolled: 1-line block ×8, first 2 shown]
	s_waitcnt vmcnt(34)
	v_fma_f64 v[127:128], v[137:138], v[129:130], v[127:128]
	s_waitcnt vmcnt(32) lgkmcnt(0)
	v_fma_f64 v[127:128], v[139:140], v[131:132], v[127:128]
	s_waitcnt vmcnt(30)
	v_fma_f64 v[137:138], v[141:142], v[133:134], v[127:128]
	ds_read2_b64 v[127:130], v126 offset0:103 offset1:104
	ds_read2_b64 v[131:134], v126 offset0:105 offset1:106
	s_waitcnt vmcnt(28) lgkmcnt(1)
	v_fma_f64 v[127:128], v[143:144], v[127:128], v[137:138]
	s_clause 0x7
	buffer_load_dword v138, off, s[0:3], 0 offset:452
	buffer_load_dword v139, off, s[0:3], 0 offset:472
	;; [unrolled: 1-line block ×8, first 2 shown]
	s_waitcnt vmcnt(34)
	v_fma_f64 v[127:128], v[145:146], v[129:130], v[127:128]
	s_waitcnt vmcnt(32) lgkmcnt(0)
	v_fma_f64 v[127:128], v[147:148], v[131:132], v[127:128]
	s_waitcnt vmcnt(27)
	v_fma_f64 v[145:146], v[149:150], v[133:134], v[127:128]
	ds_read2_b64 v[127:130], v126 offset0:107 offset1:108
	ds_read2_b64 v[131:134], v126 offset0:109 offset1:110
	s_waitcnt vmcnt(26) lgkmcnt(1)
	v_fma_f64 v[127:128], v[155:156], v[127:128], v[145:146]
	s_clause 0x5
	buffer_load_dword v146, off, s[0:3], 0 offset:484
	buffer_load_dword v147, off, s[0:3], 0 offset:488
	;; [unrolled: 1-line block ×6, first 2 shown]
	s_waitcnt vmcnt(31)
	v_fma_f64 v[127:128], v[153:154], v[129:130], v[127:128]
	s_waitcnt vmcnt(30) lgkmcnt(0)
	v_fma_f64 v[127:128], v[151:152], v[131:132], v[127:128]
	s_waitcnt vmcnt(25)
	v_fma_f64 v[151:152], v[157:158], v[133:134], v[127:128]
	ds_read2_b64 v[127:130], v126 offset0:111 offset1:112
	ds_read2_b64 v[131:134], v126 offset0:113 offset1:114
	s_waitcnt vmcnt(24) lgkmcnt(1)
	v_fma_f64 v[127:128], v[163:164], v[127:128], v[151:152]
	s_waitcnt vmcnt(23)
	v_fma_f64 v[127:128], v[161:162], v[129:130], v[127:128]
	s_waitcnt vmcnt(22) lgkmcnt(0)
	v_fma_f64 v[127:128], v[159:160], v[131:132], v[127:128]
	s_waitcnt vmcnt(17)
	v_fma_f64 v[135:136], v[135:136], v[133:134], v[127:128]
	ds_read2_b64 v[127:130], v126 offset0:115 offset1:116
	ds_read2_b64 v[131:134], v126 offset0:117 offset1:118
	s_waitcnt vmcnt(16) lgkmcnt(1)
	v_fma_f64 v[127:128], v[169:170], v[127:128], v[135:136]
	;; [unrolled: 10-line block ×3, first 2 shown]
	s_waitcnt vmcnt(7)
	v_fma_f64 v[127:128], v[141:142], v[129:130], v[127:128]
	ds_read_b64 v[129:130], v126 offset:984
	s_waitcnt vmcnt(6) lgkmcnt(1)
	v_fma_f64 v[127:128], v[139:140], v[131:132], v[127:128]
	s_waitcnt vmcnt(3)
	v_fma_f64 v[127:128], v[145:146], v[133:134], v[127:128]
	s_waitcnt vmcnt(2) lgkmcnt(0)
	v_fma_f64 v[127:128], v[147:148], v[129:130], v[127:128]
	s_waitcnt vmcnt(0)
	v_add_f64 v[127:128], v[149:150], -v[127:128]
	buffer_store_dword v128, off, s[0:3], 0 offset:292
	buffer_store_dword v127, off, s[0:3], 0 offset:288
	v_cmpx_lt_u32_e32 35, v0
	s_cbranch_execz .LBB61_311
; %bb.310:
	s_clause 0x1
	buffer_load_dword v127, off, s[0:3], 0 offset:280
	buffer_load_dword v128, off, s[0:3], 0 offset:284
	buffer_store_dword v126, off, s[0:3], 0 offset:280
	buffer_store_dword v126, off, s[0:3], 0 offset:284
	s_waitcnt vmcnt(0)
	ds_write_b64 v125, v[127:128]
.LBB61_311:
	s_or_b32 exec_lo, exec_lo, s4
	s_waitcnt lgkmcnt(0)
	s_waitcnt_vscnt null, 0x0
	s_barrier
	buffer_gl0_inv
	s_clause 0x1c
	buffer_load_dword v135, off, s[0:3], 0 offset:288
	buffer_load_dword v136, off, s[0:3], 0 offset:292
	;; [unrolled: 1-line block ×29, first 2 shown]
	ds_read_b128 v[127:130], v126 offset:784
	ds_read_b128 v[131:134], v126 offset:800
	buffer_load_dword v160, off, s[0:3], 0 offset:404
	s_mov_b32 s4, exec_lo
	s_waitcnt vmcnt(28) lgkmcnt(1)
	v_fma_f64 v[127:128], v[135:136], v[127:128], 0
	s_clause 0x7
	buffer_load_dword v136, off, s[0:3], 0 offset:412
	buffer_load_dword v165, off, s[0:3], 0 offset:432
	;; [unrolled: 1-line block ×8, first 2 shown]
	s_waitcnt vmcnt(34)
	v_fma_f64 v[127:128], v[137:138], v[129:130], v[127:128]
	s_waitcnt vmcnt(32) lgkmcnt(0)
	v_fma_f64 v[127:128], v[139:140], v[131:132], v[127:128]
	s_waitcnt vmcnt(30)
	v_fma_f64 v[137:138], v[141:142], v[133:134], v[127:128]
	ds_read_b128 v[127:130], v126 offset:816
	ds_read_b128 v[131:134], v126 offset:832
	s_waitcnt vmcnt(28) lgkmcnt(1)
	v_fma_f64 v[127:128], v[143:144], v[127:128], v[137:138]
	s_clause 0x7
	buffer_load_dword v138, off, s[0:3], 0 offset:444
	buffer_load_dword v139, off, s[0:3], 0 offset:464
	;; [unrolled: 1-line block ×8, first 2 shown]
	s_waitcnt vmcnt(34)
	v_fma_f64 v[127:128], v[145:146], v[129:130], v[127:128]
	s_waitcnt vmcnt(32) lgkmcnt(0)
	v_fma_f64 v[127:128], v[147:148], v[131:132], v[127:128]
	s_waitcnt vmcnt(27)
	v_fma_f64 v[145:146], v[149:150], v[133:134], v[127:128]
	ds_read_b128 v[127:130], v126 offset:848
	ds_read_b128 v[131:134], v126 offset:864
	s_waitcnt vmcnt(26) lgkmcnt(1)
	v_fma_f64 v[127:128], v[155:156], v[127:128], v[145:146]
	s_clause 0x5
	buffer_load_dword v146, off, s[0:3], 0 offset:476
	buffer_load_dword v147, off, s[0:3], 0 offset:488
	;; [unrolled: 1-line block ×6, first 2 shown]
	s_waitcnt vmcnt(31)
	v_fma_f64 v[127:128], v[153:154], v[129:130], v[127:128]
	s_waitcnt vmcnt(30) lgkmcnt(0)
	v_fma_f64 v[127:128], v[151:152], v[131:132], v[127:128]
	s_waitcnt vmcnt(25)
	v_fma_f64 v[151:152], v[157:158], v[133:134], v[127:128]
	ds_read_b128 v[127:130], v126 offset:880
	s_clause 0x1
	buffer_load_dword v153, off, s[0:3], 0 offset:280
	buffer_load_dword v154, off, s[0:3], 0 offset:284
	ds_read_b128 v[131:134], v126 offset:896
	s_waitcnt vmcnt(26) lgkmcnt(1)
	v_fma_f64 v[127:128], v[163:164], v[127:128], v[151:152]
	s_waitcnt vmcnt(25)
	v_fma_f64 v[127:128], v[161:162], v[129:130], v[127:128]
	s_waitcnt vmcnt(24) lgkmcnt(0)
	v_fma_f64 v[127:128], v[159:160], v[131:132], v[127:128]
	s_waitcnt vmcnt(19)
	v_fma_f64 v[135:136], v[135:136], v[133:134], v[127:128]
	ds_read_b128 v[127:130], v126 offset:912
	ds_read_b128 v[131:134], v126 offset:928
	s_waitcnt vmcnt(18) lgkmcnt(1)
	v_fma_f64 v[127:128], v[169:170], v[127:128], v[135:136]
	s_waitcnt vmcnt(17)
	v_fma_f64 v[127:128], v[167:168], v[129:130], v[127:128]
	s_waitcnt vmcnt(16) lgkmcnt(0)
	v_fma_f64 v[127:128], v[165:166], v[131:132], v[127:128]
	s_waitcnt vmcnt(11)
	v_fma_f64 v[135:136], v[137:138], v[133:134], v[127:128]
	ds_read_b128 v[127:130], v126 offset:944
	;; [unrolled: 10-line block ×3, first 2 shown]
	s_waitcnt vmcnt(3) lgkmcnt(0)
	v_fma_f64 v[126:127], v[149:150], v[126:127], v[130:131]
	s_waitcnt vmcnt(2)
	v_fma_f64 v[126:127], v[147:148], v[128:129], v[126:127]
	s_waitcnt vmcnt(0)
	v_add_f64 v[126:127], v[153:154], -v[126:127]
	buffer_store_dword v127, off, s[0:3], 0 offset:284
	buffer_store_dword v126, off, s[0:3], 0 offset:280
	v_cmpx_lt_u32_e32 34, v0
	s_cbranch_execz .LBB61_313
; %bb.312:
	s_clause 0x1
	buffer_load_dword v126, off, s[0:3], 0 offset:272
	buffer_load_dword v127, off, s[0:3], 0 offset:276
	v_mov_b32_e32 v128, 0
	buffer_store_dword v128, off, s[0:3], 0 offset:272
	buffer_store_dword v128, off, s[0:3], 0 offset:276
	s_waitcnt vmcnt(0)
	ds_write_b64 v125, v[126:127]
.LBB61_313:
	s_or_b32 exec_lo, exec_lo, s4
	s_waitcnt lgkmcnt(0)
	s_waitcnt_vscnt null, 0x0
	s_barrier
	buffer_gl0_inv
	s_clause 0x1c
	buffer_load_dword v135, off, s[0:3], 0 offset:280
	buffer_load_dword v136, off, s[0:3], 0 offset:284
	;; [unrolled: 1-line block ×29, first 2 shown]
	v_mov_b32_e32 v126, 0
	buffer_load_dword v160, off, s[0:3], 0 offset:396
	s_mov_b32 s4, exec_lo
	ds_read2_b64 v[127:130], v126 offset0:97 offset1:98
	ds_read2_b64 v[131:134], v126 offset0:99 offset1:100
	s_waitcnt vmcnt(28) lgkmcnt(1)
	v_fma_f64 v[127:128], v[135:136], v[127:128], 0
	s_clause 0x7
	buffer_load_dword v136, off, s[0:3], 0 offset:404
	buffer_load_dword v165, off, s[0:3], 0 offset:424
	buffer_load_dword v167, off, s[0:3], 0 offset:416
	buffer_load_dword v169, off, s[0:3], 0 offset:408
	buffer_load_dword v135, off, s[0:3], 0 offset:400
	buffer_load_dword v170, off, s[0:3], 0 offset:412
	buffer_load_dword v168, off, s[0:3], 0 offset:420
	buffer_load_dword v166, off, s[0:3], 0 offset:428
	s_waitcnt vmcnt(34)
	v_fma_f64 v[127:128], v[137:138], v[129:130], v[127:128]
	s_waitcnt vmcnt(32) lgkmcnt(0)
	v_fma_f64 v[127:128], v[139:140], v[131:132], v[127:128]
	s_waitcnt vmcnt(30)
	v_fma_f64 v[137:138], v[141:142], v[133:134], v[127:128]
	ds_read2_b64 v[127:130], v126 offset0:101 offset1:102
	ds_read2_b64 v[131:134], v126 offset0:103 offset1:104
	s_waitcnt vmcnt(28) lgkmcnt(1)
	v_fma_f64 v[127:128], v[143:144], v[127:128], v[137:138]
	s_clause 0x7
	buffer_load_dword v138, off, s[0:3], 0 offset:436
	buffer_load_dword v139, off, s[0:3], 0 offset:456
	buffer_load_dword v141, off, s[0:3], 0 offset:448
	buffer_load_dword v143, off, s[0:3], 0 offset:440
	buffer_load_dword v137, off, s[0:3], 0 offset:432
	buffer_load_dword v144, off, s[0:3], 0 offset:444
	buffer_load_dword v142, off, s[0:3], 0 offset:452
	buffer_load_dword v140, off, s[0:3], 0 offset:460
	s_waitcnt vmcnt(34)
	v_fma_f64 v[127:128], v[145:146], v[129:130], v[127:128]
	s_waitcnt vmcnt(32) lgkmcnt(0)
	v_fma_f64 v[127:128], v[147:148], v[131:132], v[127:128]
	s_waitcnt vmcnt(27)
	v_fma_f64 v[145:146], v[149:150], v[133:134], v[127:128]
	;; [unrolled: 19-line block ×3, first 2 shown]
	ds_read2_b64 v[127:130], v126 offset0:109 offset1:110
	ds_read2_b64 v[131:134], v126 offset0:111 offset1:112
	s_waitcnt vmcnt(26) lgkmcnt(1)
	v_fma_f64 v[127:128], v[163:164], v[127:128], v[151:152]
	s_clause 0x1
	buffer_load_dword v151, off, s[0:3], 0 offset:272
	buffer_load_dword v152, off, s[0:3], 0 offset:276
	s_waitcnt vmcnt(27)
	v_fma_f64 v[127:128], v[161:162], v[129:130], v[127:128]
	s_waitcnt vmcnt(26) lgkmcnt(0)
	v_fma_f64 v[127:128], v[159:160], v[131:132], v[127:128]
	s_waitcnt vmcnt(21)
	v_fma_f64 v[135:136], v[135:136], v[133:134], v[127:128]
	ds_read2_b64 v[127:130], v126 offset0:113 offset1:114
	ds_read2_b64 v[131:134], v126 offset0:115 offset1:116
	s_waitcnt vmcnt(20) lgkmcnt(1)
	v_fma_f64 v[127:128], v[169:170], v[127:128], v[135:136]
	s_waitcnt vmcnt(19)
	v_fma_f64 v[127:128], v[167:168], v[129:130], v[127:128]
	s_waitcnt vmcnt(18) lgkmcnt(0)
	v_fma_f64 v[127:128], v[165:166], v[131:132], v[127:128]
	s_waitcnt vmcnt(13)
	v_fma_f64 v[135:136], v[137:138], v[133:134], v[127:128]
	ds_read2_b64 v[127:130], v126 offset0:117 offset1:118
	ds_read2_b64 v[131:134], v126 offset0:119 offset1:120
	s_waitcnt vmcnt(12) lgkmcnt(1)
	v_fma_f64 v[127:128], v[143:144], v[127:128], v[135:136]
	s_waitcnt vmcnt(11)
	v_fma_f64 v[127:128], v[141:142], v[129:130], v[127:128]
	s_waitcnt vmcnt(10) lgkmcnt(0)
	v_fma_f64 v[127:128], v[139:140], v[131:132], v[127:128]
	s_waitcnt vmcnt(5)
	v_fma_f64 v[131:132], v[145:146], v[133:134], v[127:128]
	ds_read2_b64 v[127:130], v126 offset0:121 offset1:122
	ds_read_b64 v[133:134], v126 offset:984
	s_waitcnt vmcnt(4) lgkmcnt(1)
	v_fma_f64 v[127:128], v[155:156], v[127:128], v[131:132]
	s_waitcnt vmcnt(3)
	v_fma_f64 v[127:128], v[149:150], v[129:130], v[127:128]
	s_waitcnt vmcnt(2) lgkmcnt(0)
	v_fma_f64 v[127:128], v[147:148], v[133:134], v[127:128]
	s_waitcnt vmcnt(0)
	v_add_f64 v[127:128], v[151:152], -v[127:128]
	buffer_store_dword v128, off, s[0:3], 0 offset:276
	buffer_store_dword v127, off, s[0:3], 0 offset:272
	v_cmpx_lt_u32_e32 33, v0
	s_cbranch_execz .LBB61_315
; %bb.314:
	s_clause 0x1
	buffer_load_dword v127, off, s[0:3], 0 offset:264
	buffer_load_dword v128, off, s[0:3], 0 offset:268
	buffer_store_dword v126, off, s[0:3], 0 offset:264
	buffer_store_dword v126, off, s[0:3], 0 offset:268
	s_waitcnt vmcnt(0)
	ds_write_b64 v125, v[127:128]
.LBB61_315:
	s_or_b32 exec_lo, exec_lo, s4
	s_waitcnt lgkmcnt(0)
	s_waitcnt_vscnt null, 0x0
	s_barrier
	buffer_gl0_inv
	s_clause 0x1c
	buffer_load_dword v135, off, s[0:3], 0 offset:272
	buffer_load_dword v136, off, s[0:3], 0 offset:276
	buffer_load_dword v137, off, s[0:3], 0 offset:280
	buffer_load_dword v138, off, s[0:3], 0 offset:284
	buffer_load_dword v139, off, s[0:3], 0 offset:288
	buffer_load_dword v140, off, s[0:3], 0 offset:292
	buffer_load_dword v141, off, s[0:3], 0 offset:296
	buffer_load_dword v142, off, s[0:3], 0 offset:300
	buffer_load_dword v143, off, s[0:3], 0 offset:304
	buffer_load_dword v144, off, s[0:3], 0 offset:308
	buffer_load_dword v145, off, s[0:3], 0 offset:312
	buffer_load_dword v146, off, s[0:3], 0 offset:316
	buffer_load_dword v147, off, s[0:3], 0 offset:320
	buffer_load_dword v148, off, s[0:3], 0 offset:324
	buffer_load_dword v150, off, s[0:3], 0 offset:332
	buffer_load_dword v151, off, s[0:3], 0 offset:352
	buffer_load_dword v153, off, s[0:3], 0 offset:344
	buffer_load_dword v155, off, s[0:3], 0 offset:336
	buffer_load_dword v149, off, s[0:3], 0 offset:328
	buffer_load_dword v156, off, s[0:3], 0 offset:340
	buffer_load_dword v154, off, s[0:3], 0 offset:348
	buffer_load_dword v152, off, s[0:3], 0 offset:356
	buffer_load_dword v158, off, s[0:3], 0 offset:364
	buffer_load_dword v159, off, s[0:3], 0 offset:384
	buffer_load_dword v161, off, s[0:3], 0 offset:376
	buffer_load_dword v163, off, s[0:3], 0 offset:368
	buffer_load_dword v157, off, s[0:3], 0 offset:360
	buffer_load_dword v164, off, s[0:3], 0 offset:372
	buffer_load_dword v162, off, s[0:3], 0 offset:380
	ds_read_b128 v[127:130], v126 offset:768
	ds_read_b128 v[131:134], v126 offset:784
	buffer_load_dword v160, off, s[0:3], 0 offset:388
	s_mov_b32 s4, exec_lo
	s_waitcnt vmcnt(28) lgkmcnt(1)
	v_fma_f64 v[127:128], v[135:136], v[127:128], 0
	s_clause 0x7
	buffer_load_dword v136, off, s[0:3], 0 offset:396
	buffer_load_dword v165, off, s[0:3], 0 offset:416
	buffer_load_dword v167, off, s[0:3], 0 offset:408
	buffer_load_dword v169, off, s[0:3], 0 offset:400
	buffer_load_dword v135, off, s[0:3], 0 offset:392
	buffer_load_dword v170, off, s[0:3], 0 offset:404
	buffer_load_dword v168, off, s[0:3], 0 offset:412
	buffer_load_dword v166, off, s[0:3], 0 offset:420
	s_waitcnt vmcnt(34)
	v_fma_f64 v[127:128], v[137:138], v[129:130], v[127:128]
	s_waitcnt vmcnt(32) lgkmcnt(0)
	v_fma_f64 v[127:128], v[139:140], v[131:132], v[127:128]
	s_waitcnt vmcnt(30)
	v_fma_f64 v[137:138], v[141:142], v[133:134], v[127:128]
	ds_read_b128 v[127:130], v126 offset:800
	ds_read_b128 v[131:134], v126 offset:816
	s_waitcnt vmcnt(28) lgkmcnt(1)
	v_fma_f64 v[127:128], v[143:144], v[127:128], v[137:138]
	s_clause 0x7
	buffer_load_dword v138, off, s[0:3], 0 offset:428
	buffer_load_dword v139, off, s[0:3], 0 offset:448
	buffer_load_dword v141, off, s[0:3], 0 offset:440
	buffer_load_dword v143, off, s[0:3], 0 offset:432
	buffer_load_dword v137, off, s[0:3], 0 offset:424
	buffer_load_dword v144, off, s[0:3], 0 offset:436
	buffer_load_dword v142, off, s[0:3], 0 offset:444
	buffer_load_dword v140, off, s[0:3], 0 offset:452
	s_waitcnt vmcnt(34)
	v_fma_f64 v[127:128], v[145:146], v[129:130], v[127:128]
	s_waitcnt vmcnt(32) lgkmcnt(0)
	v_fma_f64 v[127:128], v[147:148], v[131:132], v[127:128]
	s_waitcnt vmcnt(27)
	v_fma_f64 v[145:146], v[149:150], v[133:134], v[127:128]
	ds_read_b128 v[127:130], v126 offset:832
	ds_read_b128 v[131:134], v126 offset:848
	;; [unrolled: 19-line block ×3, first 2 shown]
	s_waitcnt vmcnt(26) lgkmcnt(1)
	v_fma_f64 v[127:128], v[163:164], v[127:128], v[151:152]
	s_clause 0x3
	buffer_load_dword v152, off, s[0:3], 0 offset:492
	buffer_load_dword v151, off, s[0:3], 0 offset:488
	;; [unrolled: 1-line block ×4, first 2 shown]
	s_waitcnt vmcnt(29)
	v_fma_f64 v[127:128], v[161:162], v[129:130], v[127:128]
	s_waitcnt vmcnt(28) lgkmcnt(0)
	v_fma_f64 v[127:128], v[159:160], v[131:132], v[127:128]
	s_waitcnt vmcnt(23)
	v_fma_f64 v[135:136], v[135:136], v[133:134], v[127:128]
	ds_read_b128 v[127:130], v126 offset:896
	ds_read_b128 v[131:134], v126 offset:912
	s_waitcnt vmcnt(22) lgkmcnt(1)
	v_fma_f64 v[127:128], v[169:170], v[127:128], v[135:136]
	s_waitcnt vmcnt(21)
	v_fma_f64 v[127:128], v[167:168], v[129:130], v[127:128]
	s_waitcnt vmcnt(20) lgkmcnt(0)
	v_fma_f64 v[127:128], v[165:166], v[131:132], v[127:128]
	s_waitcnt vmcnt(15)
	v_fma_f64 v[135:136], v[137:138], v[133:134], v[127:128]
	ds_read_b128 v[127:130], v126 offset:928
	ds_read_b128 v[131:134], v126 offset:944
	s_waitcnt vmcnt(14) lgkmcnt(1)
	v_fma_f64 v[127:128], v[143:144], v[127:128], v[135:136]
	;; [unrolled: 10-line block ×3, first 2 shown]
	s_waitcnt vmcnt(5)
	v_fma_f64 v[126:127], v[149:150], v[129:130], v[126:127]
	s_waitcnt vmcnt(4) lgkmcnt(0)
	v_fma_f64 v[126:127], v[147:148], v[131:132], v[126:127]
	s_waitcnt vmcnt(2)
	v_fma_f64 v[126:127], v[151:152], v[133:134], v[126:127]
	s_waitcnt vmcnt(0)
	v_add_f64 v[126:127], v[153:154], -v[126:127]
	buffer_store_dword v127, off, s[0:3], 0 offset:268
	buffer_store_dword v126, off, s[0:3], 0 offset:264
	v_cmpx_lt_u32_e32 32, v0
	s_cbranch_execz .LBB61_317
; %bb.316:
	s_clause 0x1
	buffer_load_dword v126, off, s[0:3], 0 offset:256
	buffer_load_dword v127, off, s[0:3], 0 offset:260
	v_mov_b32_e32 v128, 0
	buffer_store_dword v128, off, s[0:3], 0 offset:256
	buffer_store_dword v128, off, s[0:3], 0 offset:260
	s_waitcnt vmcnt(0)
	ds_write_b64 v125, v[126:127]
.LBB61_317:
	s_or_b32 exec_lo, exec_lo, s4
	s_waitcnt lgkmcnt(0)
	s_waitcnt_vscnt null, 0x0
	s_barrier
	buffer_gl0_inv
	s_clause 0x1c
	buffer_load_dword v135, off, s[0:3], 0 offset:264
	buffer_load_dword v136, off, s[0:3], 0 offset:268
	;; [unrolled: 1-line block ×29, first 2 shown]
	v_mov_b32_e32 v126, 0
	buffer_load_dword v160, off, s[0:3], 0 offset:380
	s_mov_b32 s4, exec_lo
	ds_read2_b64 v[127:130], v126 offset0:95 offset1:96
	ds_read2_b64 v[131:134], v126 offset0:97 offset1:98
	s_waitcnt vmcnt(28) lgkmcnt(1)
	v_fma_f64 v[127:128], v[135:136], v[127:128], 0
	s_clause 0x7
	buffer_load_dword v136, off, s[0:3], 0 offset:388
	buffer_load_dword v165, off, s[0:3], 0 offset:408
	buffer_load_dword v167, off, s[0:3], 0 offset:400
	buffer_load_dword v169, off, s[0:3], 0 offset:392
	buffer_load_dword v135, off, s[0:3], 0 offset:384
	buffer_load_dword v170, off, s[0:3], 0 offset:396
	buffer_load_dword v168, off, s[0:3], 0 offset:404
	buffer_load_dword v166, off, s[0:3], 0 offset:412
	s_waitcnt vmcnt(34)
	v_fma_f64 v[127:128], v[137:138], v[129:130], v[127:128]
	s_waitcnt vmcnt(32) lgkmcnt(0)
	v_fma_f64 v[127:128], v[139:140], v[131:132], v[127:128]
	s_waitcnt vmcnt(30)
	v_fma_f64 v[137:138], v[141:142], v[133:134], v[127:128]
	ds_read2_b64 v[127:130], v126 offset0:99 offset1:100
	ds_read2_b64 v[131:134], v126 offset0:101 offset1:102
	s_waitcnt vmcnt(28) lgkmcnt(1)
	v_fma_f64 v[127:128], v[143:144], v[127:128], v[137:138]
	s_clause 0x7
	buffer_load_dword v138, off, s[0:3], 0 offset:420
	buffer_load_dword v139, off, s[0:3], 0 offset:440
	buffer_load_dword v141, off, s[0:3], 0 offset:432
	buffer_load_dword v143, off, s[0:3], 0 offset:424
	buffer_load_dword v137, off, s[0:3], 0 offset:416
	buffer_load_dword v144, off, s[0:3], 0 offset:428
	buffer_load_dword v142, off, s[0:3], 0 offset:436
	buffer_load_dword v140, off, s[0:3], 0 offset:444
	s_waitcnt vmcnt(34)
	v_fma_f64 v[127:128], v[145:146], v[129:130], v[127:128]
	s_waitcnt vmcnt(32) lgkmcnt(0)
	v_fma_f64 v[127:128], v[147:148], v[131:132], v[127:128]
	s_waitcnt vmcnt(27)
	v_fma_f64 v[145:146], v[149:150], v[133:134], v[127:128]
	;; [unrolled: 19-line block ×3, first 2 shown]
	ds_read2_b64 v[127:130], v126 offset0:107 offset1:108
	ds_read2_b64 v[131:134], v126 offset0:109 offset1:110
	s_waitcnt vmcnt(26) lgkmcnt(1)
	v_fma_f64 v[127:128], v[163:164], v[127:128], v[151:152]
	s_clause 0x5
	buffer_load_dword v152, off, s[0:3], 0 offset:484
	buffer_load_dword v153, off, s[0:3], 0 offset:488
	;; [unrolled: 1-line block ×6, first 2 shown]
	s_waitcnt vmcnt(31)
	v_fma_f64 v[127:128], v[161:162], v[129:130], v[127:128]
	s_waitcnt vmcnt(30) lgkmcnt(0)
	v_fma_f64 v[127:128], v[159:160], v[131:132], v[127:128]
	s_waitcnt vmcnt(25)
	v_fma_f64 v[135:136], v[135:136], v[133:134], v[127:128]
	ds_read2_b64 v[127:130], v126 offset0:111 offset1:112
	ds_read2_b64 v[131:134], v126 offset0:113 offset1:114
	s_waitcnt vmcnt(24) lgkmcnt(1)
	v_fma_f64 v[127:128], v[169:170], v[127:128], v[135:136]
	s_waitcnt vmcnt(23)
	v_fma_f64 v[127:128], v[167:168], v[129:130], v[127:128]
	s_waitcnt vmcnt(22) lgkmcnt(0)
	v_fma_f64 v[127:128], v[165:166], v[131:132], v[127:128]
	s_waitcnt vmcnt(17)
	v_fma_f64 v[135:136], v[137:138], v[133:134], v[127:128]
	ds_read2_b64 v[127:130], v126 offset0:115 offset1:116
	ds_read2_b64 v[131:134], v126 offset0:117 offset1:118
	s_waitcnt vmcnt(16) lgkmcnt(1)
	v_fma_f64 v[127:128], v[143:144], v[127:128], v[135:136]
	;; [unrolled: 10-line block ×3, first 2 shown]
	s_waitcnt vmcnt(7)
	v_fma_f64 v[127:128], v[149:150], v[129:130], v[127:128]
	ds_read_b64 v[129:130], v126 offset:984
	s_waitcnt vmcnt(6) lgkmcnt(1)
	v_fma_f64 v[127:128], v[147:148], v[131:132], v[127:128]
	s_waitcnt vmcnt(3)
	v_fma_f64 v[127:128], v[151:152], v[133:134], v[127:128]
	s_waitcnt vmcnt(2) lgkmcnt(0)
	v_fma_f64 v[127:128], v[153:154], v[129:130], v[127:128]
	s_waitcnt vmcnt(0)
	v_add_f64 v[127:128], v[157:158], -v[127:128]
	buffer_store_dword v128, off, s[0:3], 0 offset:260
	buffer_store_dword v127, off, s[0:3], 0 offset:256
	v_cmpx_lt_u32_e32 31, v0
	s_cbranch_execz .LBB61_319
; %bb.318:
	s_clause 0x1
	buffer_load_dword v127, off, s[0:3], 0 offset:248
	buffer_load_dword v128, off, s[0:3], 0 offset:252
	buffer_store_dword v126, off, s[0:3], 0 offset:248
	buffer_store_dword v126, off, s[0:3], 0 offset:252
	s_waitcnt vmcnt(0)
	ds_write_b64 v125, v[127:128]
.LBB61_319:
	s_or_b32 exec_lo, exec_lo, s4
	s_waitcnt lgkmcnt(0)
	s_waitcnt_vscnt null, 0x0
	s_barrier
	buffer_gl0_inv
	s_clause 0x1c
	buffer_load_dword v135, off, s[0:3], 0 offset:256
	buffer_load_dword v136, off, s[0:3], 0 offset:260
	;; [unrolled: 1-line block ×29, first 2 shown]
	ds_read_b128 v[127:130], v126 offset:752
	ds_read_b128 v[131:134], v126 offset:768
	buffer_load_dword v160, off, s[0:3], 0 offset:372
	s_mov_b32 s4, exec_lo
	s_waitcnt vmcnt(28) lgkmcnt(1)
	v_fma_f64 v[127:128], v[135:136], v[127:128], 0
	s_clause 0x7
	buffer_load_dword v136, off, s[0:3], 0 offset:380
	buffer_load_dword v165, off, s[0:3], 0 offset:400
	buffer_load_dword v167, off, s[0:3], 0 offset:392
	buffer_load_dword v169, off, s[0:3], 0 offset:384
	buffer_load_dword v135, off, s[0:3], 0 offset:376
	buffer_load_dword v170, off, s[0:3], 0 offset:388
	buffer_load_dword v168, off, s[0:3], 0 offset:396
	buffer_load_dword v166, off, s[0:3], 0 offset:404
	s_waitcnt vmcnt(34)
	v_fma_f64 v[127:128], v[137:138], v[129:130], v[127:128]
	s_waitcnt vmcnt(32) lgkmcnt(0)
	v_fma_f64 v[127:128], v[139:140], v[131:132], v[127:128]
	s_waitcnt vmcnt(30)
	v_fma_f64 v[137:138], v[141:142], v[133:134], v[127:128]
	ds_read_b128 v[127:130], v126 offset:784
	ds_read_b128 v[131:134], v126 offset:800
	s_waitcnt vmcnt(28) lgkmcnt(1)
	v_fma_f64 v[127:128], v[143:144], v[127:128], v[137:138]
	s_clause 0x7
	buffer_load_dword v138, off, s[0:3], 0 offset:412
	buffer_load_dword v139, off, s[0:3], 0 offset:432
	buffer_load_dword v141, off, s[0:3], 0 offset:424
	buffer_load_dword v143, off, s[0:3], 0 offset:416
	buffer_load_dword v137, off, s[0:3], 0 offset:408
	buffer_load_dword v144, off, s[0:3], 0 offset:420
	buffer_load_dword v142, off, s[0:3], 0 offset:428
	buffer_load_dword v140, off, s[0:3], 0 offset:436
	s_waitcnt vmcnt(34)
	v_fma_f64 v[127:128], v[145:146], v[129:130], v[127:128]
	s_waitcnt vmcnt(32) lgkmcnt(0)
	v_fma_f64 v[127:128], v[147:148], v[131:132], v[127:128]
	s_waitcnt vmcnt(27)
	v_fma_f64 v[145:146], v[149:150], v[133:134], v[127:128]
	ds_read_b128 v[127:130], v126 offset:816
	ds_read_b128 v[131:134], v126 offset:832
	;; [unrolled: 19-line block ×3, first 2 shown]
	s_waitcnt vmcnt(26) lgkmcnt(1)
	v_fma_f64 v[127:128], v[163:164], v[127:128], v[151:152]
	s_clause 0x5
	buffer_load_dword v152, off, s[0:3], 0 offset:476
	buffer_load_dword v153, off, s[0:3], 0 offset:488
	;; [unrolled: 1-line block ×6, first 2 shown]
	s_waitcnt vmcnt(31)
	v_fma_f64 v[127:128], v[161:162], v[129:130], v[127:128]
	s_waitcnt vmcnt(30) lgkmcnt(0)
	v_fma_f64 v[127:128], v[159:160], v[131:132], v[127:128]
	s_waitcnt vmcnt(25)
	v_fma_f64 v[135:136], v[135:136], v[133:134], v[127:128]
	ds_read_b128 v[127:130], v126 offset:880
	s_clause 0x1
	buffer_load_dword v159, off, s[0:3], 0 offset:248
	buffer_load_dword v160, off, s[0:3], 0 offset:252
	ds_read_b128 v[131:134], v126 offset:896
	s_waitcnt vmcnt(26) lgkmcnt(1)
	v_fma_f64 v[127:128], v[169:170], v[127:128], v[135:136]
	s_waitcnt vmcnt(25)
	v_fma_f64 v[127:128], v[167:168], v[129:130], v[127:128]
	s_waitcnt vmcnt(24) lgkmcnt(0)
	v_fma_f64 v[127:128], v[165:166], v[131:132], v[127:128]
	s_waitcnt vmcnt(19)
	v_fma_f64 v[135:136], v[137:138], v[133:134], v[127:128]
	ds_read_b128 v[127:130], v126 offset:912
	ds_read_b128 v[131:134], v126 offset:928
	s_waitcnt vmcnt(18) lgkmcnt(1)
	v_fma_f64 v[127:128], v[143:144], v[127:128], v[135:136]
	s_waitcnt vmcnt(17)
	v_fma_f64 v[127:128], v[141:142], v[129:130], v[127:128]
	s_waitcnt vmcnt(16) lgkmcnt(0)
	v_fma_f64 v[127:128], v[139:140], v[131:132], v[127:128]
	s_waitcnt vmcnt(11)
	v_fma_f64 v[135:136], v[145:146], v[133:134], v[127:128]
	ds_read_b128 v[127:130], v126 offset:944
	;; [unrolled: 10-line block ×3, first 2 shown]
	s_waitcnt vmcnt(3) lgkmcnt(0)
	v_fma_f64 v[126:127], v[157:158], v[126:127], v[130:131]
	s_waitcnt vmcnt(2)
	v_fma_f64 v[126:127], v[153:154], v[128:129], v[126:127]
	s_waitcnt vmcnt(0)
	v_add_f64 v[126:127], v[159:160], -v[126:127]
	buffer_store_dword v127, off, s[0:3], 0 offset:252
	buffer_store_dword v126, off, s[0:3], 0 offset:248
	v_cmpx_lt_u32_e32 30, v0
	s_cbranch_execz .LBB61_321
; %bb.320:
	s_clause 0x1
	buffer_load_dword v126, off, s[0:3], 0 offset:240
	buffer_load_dword v127, off, s[0:3], 0 offset:244
	v_mov_b32_e32 v128, 0
	buffer_store_dword v128, off, s[0:3], 0 offset:240
	buffer_store_dword v128, off, s[0:3], 0 offset:244
	s_waitcnt vmcnt(0)
	ds_write_b64 v125, v[126:127]
.LBB61_321:
	s_or_b32 exec_lo, exec_lo, s4
	s_waitcnt lgkmcnt(0)
	s_waitcnt_vscnt null, 0x0
	s_barrier
	buffer_gl0_inv
	s_clause 0x1c
	buffer_load_dword v135, off, s[0:3], 0 offset:248
	buffer_load_dword v136, off, s[0:3], 0 offset:252
	;; [unrolled: 1-line block ×29, first 2 shown]
	v_mov_b32_e32 v126, 0
	buffer_load_dword v160, off, s[0:3], 0 offset:364
	s_mov_b32 s4, exec_lo
	ds_read2_b64 v[127:130], v126 offset0:93 offset1:94
	ds_read2_b64 v[131:134], v126 offset0:95 offset1:96
	s_waitcnt vmcnt(28) lgkmcnt(1)
	v_fma_f64 v[127:128], v[135:136], v[127:128], 0
	s_clause 0x7
	buffer_load_dword v136, off, s[0:3], 0 offset:372
	buffer_load_dword v165, off, s[0:3], 0 offset:392
	buffer_load_dword v167, off, s[0:3], 0 offset:384
	buffer_load_dword v169, off, s[0:3], 0 offset:376
	buffer_load_dword v135, off, s[0:3], 0 offset:368
	buffer_load_dword v170, off, s[0:3], 0 offset:380
	buffer_load_dword v168, off, s[0:3], 0 offset:388
	buffer_load_dword v166, off, s[0:3], 0 offset:396
	s_waitcnt vmcnt(34)
	v_fma_f64 v[127:128], v[137:138], v[129:130], v[127:128]
	s_waitcnt vmcnt(32) lgkmcnt(0)
	v_fma_f64 v[127:128], v[139:140], v[131:132], v[127:128]
	s_waitcnt vmcnt(30)
	v_fma_f64 v[137:138], v[141:142], v[133:134], v[127:128]
	ds_read2_b64 v[127:130], v126 offset0:97 offset1:98
	ds_read2_b64 v[131:134], v126 offset0:99 offset1:100
	s_waitcnt vmcnt(28) lgkmcnt(1)
	v_fma_f64 v[127:128], v[143:144], v[127:128], v[137:138]
	s_clause 0x7
	buffer_load_dword v138, off, s[0:3], 0 offset:404
	buffer_load_dword v139, off, s[0:3], 0 offset:424
	buffer_load_dword v141, off, s[0:3], 0 offset:416
	buffer_load_dword v143, off, s[0:3], 0 offset:408
	buffer_load_dword v137, off, s[0:3], 0 offset:400
	buffer_load_dword v144, off, s[0:3], 0 offset:412
	buffer_load_dword v142, off, s[0:3], 0 offset:420
	buffer_load_dword v140, off, s[0:3], 0 offset:428
	s_waitcnt vmcnt(34)
	v_fma_f64 v[127:128], v[145:146], v[129:130], v[127:128]
	s_waitcnt vmcnt(32) lgkmcnt(0)
	v_fma_f64 v[127:128], v[147:148], v[131:132], v[127:128]
	s_waitcnt vmcnt(27)
	v_fma_f64 v[145:146], v[149:150], v[133:134], v[127:128]
	;; [unrolled: 19-line block ×4, first 2 shown]
	ds_read2_b64 v[127:130], v126 offset0:109 offset1:110
	ds_read2_b64 v[131:134], v126 offset0:111 offset1:112
	s_waitcnt vmcnt(26) lgkmcnt(1)
	v_fma_f64 v[127:128], v[169:170], v[127:128], v[135:136]
	s_clause 0x1
	buffer_load_dword v135, off, s[0:3], 0 offset:240
	buffer_load_dword v136, off, s[0:3], 0 offset:244
	s_waitcnt vmcnt(27)
	v_fma_f64 v[127:128], v[167:168], v[129:130], v[127:128]
	s_waitcnt vmcnt(26) lgkmcnt(0)
	v_fma_f64 v[127:128], v[165:166], v[131:132], v[127:128]
	s_waitcnt vmcnt(21)
	v_fma_f64 v[137:138], v[137:138], v[133:134], v[127:128]
	ds_read2_b64 v[127:130], v126 offset0:113 offset1:114
	ds_read2_b64 v[131:134], v126 offset0:115 offset1:116
	s_waitcnt vmcnt(20) lgkmcnt(1)
	v_fma_f64 v[127:128], v[143:144], v[127:128], v[137:138]
	s_waitcnt vmcnt(19)
	v_fma_f64 v[127:128], v[141:142], v[129:130], v[127:128]
	s_waitcnt vmcnt(18) lgkmcnt(0)
	v_fma_f64 v[127:128], v[139:140], v[131:132], v[127:128]
	s_waitcnt vmcnt(13)
	v_fma_f64 v[137:138], v[145:146], v[133:134], v[127:128]
	ds_read2_b64 v[127:130], v126 offset0:117 offset1:118
	ds_read2_b64 v[131:134], v126 offset0:119 offset1:120
	s_waitcnt vmcnt(12) lgkmcnt(1)
	v_fma_f64 v[127:128], v[155:156], v[127:128], v[137:138]
	s_waitcnt vmcnt(11)
	v_fma_f64 v[127:128], v[149:150], v[129:130], v[127:128]
	s_waitcnt vmcnt(10) lgkmcnt(0)
	v_fma_f64 v[127:128], v[147:148], v[131:132], v[127:128]
	s_waitcnt vmcnt(5)
	v_fma_f64 v[131:132], v[151:152], v[133:134], v[127:128]
	ds_read2_b64 v[127:130], v126 offset0:121 offset1:122
	ds_read_b64 v[133:134], v126 offset:984
	s_waitcnt vmcnt(4) lgkmcnt(1)
	v_fma_f64 v[127:128], v[163:164], v[127:128], v[131:132]
	s_waitcnt vmcnt(3)
	v_fma_f64 v[127:128], v[157:158], v[129:130], v[127:128]
	s_waitcnt vmcnt(2) lgkmcnt(0)
	v_fma_f64 v[127:128], v[153:154], v[133:134], v[127:128]
	s_waitcnt vmcnt(0)
	v_add_f64 v[127:128], v[135:136], -v[127:128]
	buffer_store_dword v128, off, s[0:3], 0 offset:244
	buffer_store_dword v127, off, s[0:3], 0 offset:240
	v_cmpx_lt_u32_e32 29, v0
	s_cbranch_execz .LBB61_323
; %bb.322:
	s_clause 0x1
	buffer_load_dword v127, off, s[0:3], 0 offset:232
	buffer_load_dword v128, off, s[0:3], 0 offset:236
	buffer_store_dword v126, off, s[0:3], 0 offset:232
	buffer_store_dword v126, off, s[0:3], 0 offset:236
	s_waitcnt vmcnt(0)
	ds_write_b64 v125, v[127:128]
.LBB61_323:
	s_or_b32 exec_lo, exec_lo, s4
	s_waitcnt lgkmcnt(0)
	s_waitcnt_vscnt null, 0x0
	s_barrier
	buffer_gl0_inv
	s_clause 0x1c
	buffer_load_dword v135, off, s[0:3], 0 offset:240
	buffer_load_dword v136, off, s[0:3], 0 offset:244
	;; [unrolled: 1-line block ×29, first 2 shown]
	ds_read_b128 v[127:130], v126 offset:736
	ds_read_b128 v[131:134], v126 offset:752
	buffer_load_dword v160, off, s[0:3], 0 offset:356
	s_mov_b32 s4, exec_lo
	s_waitcnt vmcnt(28) lgkmcnt(1)
	v_fma_f64 v[127:128], v[135:136], v[127:128], 0
	s_clause 0x7
	buffer_load_dword v136, off, s[0:3], 0 offset:364
	buffer_load_dword v165, off, s[0:3], 0 offset:384
	buffer_load_dword v167, off, s[0:3], 0 offset:376
	buffer_load_dword v169, off, s[0:3], 0 offset:368
	buffer_load_dword v135, off, s[0:3], 0 offset:360
	buffer_load_dword v170, off, s[0:3], 0 offset:372
	buffer_load_dword v168, off, s[0:3], 0 offset:380
	buffer_load_dword v166, off, s[0:3], 0 offset:388
	s_waitcnt vmcnt(34)
	v_fma_f64 v[127:128], v[137:138], v[129:130], v[127:128]
	s_waitcnt vmcnt(32) lgkmcnt(0)
	v_fma_f64 v[127:128], v[139:140], v[131:132], v[127:128]
	s_waitcnt vmcnt(30)
	v_fma_f64 v[137:138], v[141:142], v[133:134], v[127:128]
	ds_read_b128 v[127:130], v126 offset:768
	ds_read_b128 v[131:134], v126 offset:784
	s_waitcnt vmcnt(28) lgkmcnt(1)
	v_fma_f64 v[127:128], v[143:144], v[127:128], v[137:138]
	s_clause 0x7
	buffer_load_dword v138, off, s[0:3], 0 offset:396
	buffer_load_dword v139, off, s[0:3], 0 offset:416
	buffer_load_dword v141, off, s[0:3], 0 offset:408
	buffer_load_dword v143, off, s[0:3], 0 offset:400
	buffer_load_dword v137, off, s[0:3], 0 offset:392
	buffer_load_dword v144, off, s[0:3], 0 offset:404
	buffer_load_dword v142, off, s[0:3], 0 offset:412
	buffer_load_dword v140, off, s[0:3], 0 offset:420
	s_waitcnt vmcnt(34)
	v_fma_f64 v[127:128], v[145:146], v[129:130], v[127:128]
	s_waitcnt vmcnt(32) lgkmcnt(0)
	v_fma_f64 v[127:128], v[147:148], v[131:132], v[127:128]
	s_waitcnt vmcnt(27)
	v_fma_f64 v[145:146], v[149:150], v[133:134], v[127:128]
	ds_read_b128 v[127:130], v126 offset:800
	ds_read_b128 v[131:134], v126 offset:816
	;; [unrolled: 19-line block ×4, first 2 shown]
	s_waitcnt vmcnt(26) lgkmcnt(1)
	v_fma_f64 v[127:128], v[169:170], v[127:128], v[135:136]
	s_clause 0x3
	buffer_load_dword v136, off, s[0:3], 0 offset:492
	buffer_load_dword v135, off, s[0:3], 0 offset:488
	;; [unrolled: 1-line block ×4, first 2 shown]
	s_waitcnt vmcnt(29)
	v_fma_f64 v[127:128], v[167:168], v[129:130], v[127:128]
	s_waitcnt vmcnt(28) lgkmcnt(0)
	v_fma_f64 v[127:128], v[165:166], v[131:132], v[127:128]
	s_waitcnt vmcnt(23)
	v_fma_f64 v[137:138], v[137:138], v[133:134], v[127:128]
	ds_read_b128 v[127:130], v126 offset:896
	ds_read_b128 v[131:134], v126 offset:912
	s_waitcnt vmcnt(22) lgkmcnt(1)
	v_fma_f64 v[127:128], v[143:144], v[127:128], v[137:138]
	s_waitcnt vmcnt(21)
	v_fma_f64 v[127:128], v[141:142], v[129:130], v[127:128]
	s_waitcnt vmcnt(20) lgkmcnt(0)
	v_fma_f64 v[127:128], v[139:140], v[131:132], v[127:128]
	s_waitcnt vmcnt(15)
	v_fma_f64 v[137:138], v[145:146], v[133:134], v[127:128]
	ds_read_b128 v[127:130], v126 offset:928
	ds_read_b128 v[131:134], v126 offset:944
	s_waitcnt vmcnt(14) lgkmcnt(1)
	v_fma_f64 v[127:128], v[155:156], v[127:128], v[137:138]
	;; [unrolled: 10-line block ×3, first 2 shown]
	s_waitcnt vmcnt(5)
	v_fma_f64 v[126:127], v[157:158], v[129:130], v[126:127]
	s_waitcnt vmcnt(4) lgkmcnt(0)
	v_fma_f64 v[126:127], v[153:154], v[131:132], v[126:127]
	s_waitcnt vmcnt(2)
	v_fma_f64 v[126:127], v[135:136], v[133:134], v[126:127]
	s_waitcnt vmcnt(0)
	v_add_f64 v[126:127], v[159:160], -v[126:127]
	buffer_store_dword v127, off, s[0:3], 0 offset:236
	buffer_store_dword v126, off, s[0:3], 0 offset:232
	v_cmpx_lt_u32_e32 28, v0
	s_cbranch_execz .LBB61_325
; %bb.324:
	s_clause 0x1
	buffer_load_dword v126, off, s[0:3], 0 offset:224
	buffer_load_dword v127, off, s[0:3], 0 offset:228
	v_mov_b32_e32 v128, 0
	buffer_store_dword v128, off, s[0:3], 0 offset:224
	buffer_store_dword v128, off, s[0:3], 0 offset:228
	s_waitcnt vmcnt(0)
	ds_write_b64 v125, v[126:127]
.LBB61_325:
	s_or_b32 exec_lo, exec_lo, s4
	s_waitcnt lgkmcnt(0)
	s_waitcnt_vscnt null, 0x0
	s_barrier
	buffer_gl0_inv
	s_clause 0x1c
	buffer_load_dword v135, off, s[0:3], 0 offset:232
	buffer_load_dword v136, off, s[0:3], 0 offset:236
	buffer_load_dword v137, off, s[0:3], 0 offset:240
	buffer_load_dword v138, off, s[0:3], 0 offset:244
	buffer_load_dword v139, off, s[0:3], 0 offset:248
	buffer_load_dword v140, off, s[0:3], 0 offset:252
	buffer_load_dword v141, off, s[0:3], 0 offset:256
	buffer_load_dword v142, off, s[0:3], 0 offset:260
	buffer_load_dword v143, off, s[0:3], 0 offset:264
	buffer_load_dword v144, off, s[0:3], 0 offset:268
	buffer_load_dword v145, off, s[0:3], 0 offset:272
	buffer_load_dword v146, off, s[0:3], 0 offset:276
	buffer_load_dword v147, off, s[0:3], 0 offset:280
	buffer_load_dword v148, off, s[0:3], 0 offset:284
	buffer_load_dword v150, off, s[0:3], 0 offset:292
	buffer_load_dword v151, off, s[0:3], 0 offset:312
	buffer_load_dword v153, off, s[0:3], 0 offset:304
	buffer_load_dword v155, off, s[0:3], 0 offset:296
	buffer_load_dword v149, off, s[0:3], 0 offset:288
	buffer_load_dword v156, off, s[0:3], 0 offset:300
	buffer_load_dword v154, off, s[0:3], 0 offset:308
	buffer_load_dword v152, off, s[0:3], 0 offset:316
	buffer_load_dword v158, off, s[0:3], 0 offset:324
	buffer_load_dword v159, off, s[0:3], 0 offset:344
	buffer_load_dword v161, off, s[0:3], 0 offset:336
	buffer_load_dword v163, off, s[0:3], 0 offset:328
	buffer_load_dword v157, off, s[0:3], 0 offset:320
	buffer_load_dword v164, off, s[0:3], 0 offset:332
	buffer_load_dword v162, off, s[0:3], 0 offset:340
	v_mov_b32_e32 v126, 0
	buffer_load_dword v160, off, s[0:3], 0 offset:348
	s_mov_b32 s4, exec_lo
	ds_read2_b64 v[127:130], v126 offset0:91 offset1:92
	ds_read2_b64 v[131:134], v126 offset0:93 offset1:94
	s_waitcnt vmcnt(28) lgkmcnt(1)
	v_fma_f64 v[127:128], v[135:136], v[127:128], 0
	s_clause 0x7
	buffer_load_dword v136, off, s[0:3], 0 offset:356
	buffer_load_dword v165, off, s[0:3], 0 offset:376
	buffer_load_dword v167, off, s[0:3], 0 offset:368
	buffer_load_dword v169, off, s[0:3], 0 offset:360
	buffer_load_dword v135, off, s[0:3], 0 offset:352
	buffer_load_dword v170, off, s[0:3], 0 offset:364
	buffer_load_dword v168, off, s[0:3], 0 offset:372
	buffer_load_dword v166, off, s[0:3], 0 offset:380
	s_waitcnt vmcnt(34)
	v_fma_f64 v[127:128], v[137:138], v[129:130], v[127:128]
	s_waitcnt vmcnt(32) lgkmcnt(0)
	v_fma_f64 v[127:128], v[139:140], v[131:132], v[127:128]
	s_waitcnt vmcnt(30)
	v_fma_f64 v[137:138], v[141:142], v[133:134], v[127:128]
	ds_read2_b64 v[127:130], v126 offset0:95 offset1:96
	ds_read2_b64 v[131:134], v126 offset0:97 offset1:98
	s_waitcnt vmcnt(28) lgkmcnt(1)
	v_fma_f64 v[127:128], v[143:144], v[127:128], v[137:138]
	s_clause 0x7
	buffer_load_dword v138, off, s[0:3], 0 offset:388
	buffer_load_dword v139, off, s[0:3], 0 offset:408
	buffer_load_dword v141, off, s[0:3], 0 offset:400
	buffer_load_dword v143, off, s[0:3], 0 offset:392
	buffer_load_dword v137, off, s[0:3], 0 offset:384
	buffer_load_dword v144, off, s[0:3], 0 offset:396
	buffer_load_dword v142, off, s[0:3], 0 offset:404
	buffer_load_dword v140, off, s[0:3], 0 offset:412
	s_waitcnt vmcnt(34)
	v_fma_f64 v[127:128], v[145:146], v[129:130], v[127:128]
	s_waitcnt vmcnt(32) lgkmcnt(0)
	v_fma_f64 v[127:128], v[147:148], v[131:132], v[127:128]
	s_waitcnt vmcnt(27)
	v_fma_f64 v[145:146], v[149:150], v[133:134], v[127:128]
	;; [unrolled: 19-line block ×4, first 2 shown]
	ds_read2_b64 v[127:130], v126 offset0:107 offset1:108
	ds_read2_b64 v[131:134], v126 offset0:109 offset1:110
	s_waitcnt vmcnt(26) lgkmcnt(1)
	v_fma_f64 v[127:128], v[169:170], v[127:128], v[135:136]
	s_clause 0x5
	buffer_load_dword v136, off, s[0:3], 0 offset:484
	buffer_load_dword v159, off, s[0:3], 0 offset:488
	buffer_load_dword v135, off, s[0:3], 0 offset:480
	buffer_load_dword v160, off, s[0:3], 0 offset:492
	buffer_load_dword v161, off, s[0:3], 0 offset:224
	buffer_load_dword v162, off, s[0:3], 0 offset:228
	s_waitcnt vmcnt(31)
	v_fma_f64 v[127:128], v[167:168], v[129:130], v[127:128]
	s_waitcnt vmcnt(30) lgkmcnt(0)
	v_fma_f64 v[127:128], v[165:166], v[131:132], v[127:128]
	s_waitcnt vmcnt(25)
	v_fma_f64 v[137:138], v[137:138], v[133:134], v[127:128]
	ds_read2_b64 v[127:130], v126 offset0:111 offset1:112
	ds_read2_b64 v[131:134], v126 offset0:113 offset1:114
	s_waitcnt vmcnt(24) lgkmcnt(1)
	v_fma_f64 v[127:128], v[143:144], v[127:128], v[137:138]
	s_waitcnt vmcnt(23)
	v_fma_f64 v[127:128], v[141:142], v[129:130], v[127:128]
	s_waitcnt vmcnt(22) lgkmcnt(0)
	v_fma_f64 v[127:128], v[139:140], v[131:132], v[127:128]
	s_waitcnt vmcnt(17)
	v_fma_f64 v[137:138], v[145:146], v[133:134], v[127:128]
	ds_read2_b64 v[127:130], v126 offset0:115 offset1:116
	ds_read2_b64 v[131:134], v126 offset0:117 offset1:118
	s_waitcnt vmcnt(16) lgkmcnt(1)
	v_fma_f64 v[127:128], v[155:156], v[127:128], v[137:138]
	;; [unrolled: 10-line block ×3, first 2 shown]
	s_waitcnt vmcnt(7)
	v_fma_f64 v[127:128], v[157:158], v[129:130], v[127:128]
	ds_read_b64 v[129:130], v126 offset:984
	s_waitcnt vmcnt(6) lgkmcnt(1)
	v_fma_f64 v[127:128], v[153:154], v[131:132], v[127:128]
	s_waitcnt vmcnt(3)
	v_fma_f64 v[127:128], v[135:136], v[133:134], v[127:128]
	s_waitcnt vmcnt(2) lgkmcnt(0)
	v_fma_f64 v[127:128], v[159:160], v[129:130], v[127:128]
	s_waitcnt vmcnt(0)
	v_add_f64 v[127:128], v[161:162], -v[127:128]
	buffer_store_dword v128, off, s[0:3], 0 offset:228
	buffer_store_dword v127, off, s[0:3], 0 offset:224
	v_cmpx_lt_u32_e32 27, v0
	s_cbranch_execz .LBB61_327
; %bb.326:
	s_clause 0x1
	buffer_load_dword v127, off, s[0:3], 0 offset:216
	buffer_load_dword v128, off, s[0:3], 0 offset:220
	buffer_store_dword v126, off, s[0:3], 0 offset:216
	buffer_store_dword v126, off, s[0:3], 0 offset:220
	s_waitcnt vmcnt(0)
	ds_write_b64 v125, v[127:128]
.LBB61_327:
	s_or_b32 exec_lo, exec_lo, s4
	s_waitcnt lgkmcnt(0)
	s_waitcnt_vscnt null, 0x0
	s_barrier
	buffer_gl0_inv
	s_clause 0x1c
	buffer_load_dword v135, off, s[0:3], 0 offset:224
	buffer_load_dword v136, off, s[0:3], 0 offset:228
	;; [unrolled: 1-line block ×29, first 2 shown]
	ds_read_b128 v[127:130], v126 offset:720
	ds_read_b128 v[131:134], v126 offset:736
	buffer_load_dword v160, off, s[0:3], 0 offset:340
	s_mov_b32 s4, exec_lo
	s_waitcnt vmcnt(28) lgkmcnt(1)
	v_fma_f64 v[127:128], v[135:136], v[127:128], 0
	s_clause 0x7
	buffer_load_dword v136, off, s[0:3], 0 offset:348
	buffer_load_dword v165, off, s[0:3], 0 offset:368
	buffer_load_dword v167, off, s[0:3], 0 offset:360
	buffer_load_dword v169, off, s[0:3], 0 offset:352
	buffer_load_dword v135, off, s[0:3], 0 offset:344
	buffer_load_dword v170, off, s[0:3], 0 offset:356
	buffer_load_dword v168, off, s[0:3], 0 offset:364
	buffer_load_dword v166, off, s[0:3], 0 offset:372
	s_waitcnt vmcnt(34)
	v_fma_f64 v[127:128], v[137:138], v[129:130], v[127:128]
	s_waitcnt vmcnt(32) lgkmcnt(0)
	v_fma_f64 v[127:128], v[139:140], v[131:132], v[127:128]
	s_waitcnt vmcnt(30)
	v_fma_f64 v[137:138], v[141:142], v[133:134], v[127:128]
	ds_read_b128 v[127:130], v126 offset:752
	ds_read_b128 v[131:134], v126 offset:768
	s_waitcnt vmcnt(28) lgkmcnt(1)
	v_fma_f64 v[127:128], v[143:144], v[127:128], v[137:138]
	s_clause 0x7
	buffer_load_dword v138, off, s[0:3], 0 offset:380
	buffer_load_dword v139, off, s[0:3], 0 offset:400
	buffer_load_dword v141, off, s[0:3], 0 offset:392
	buffer_load_dword v143, off, s[0:3], 0 offset:384
	buffer_load_dword v137, off, s[0:3], 0 offset:376
	buffer_load_dword v144, off, s[0:3], 0 offset:388
	buffer_load_dword v142, off, s[0:3], 0 offset:396
	buffer_load_dword v140, off, s[0:3], 0 offset:404
	s_waitcnt vmcnt(34)
	v_fma_f64 v[127:128], v[145:146], v[129:130], v[127:128]
	s_waitcnt vmcnt(32) lgkmcnt(0)
	v_fma_f64 v[127:128], v[147:148], v[131:132], v[127:128]
	s_waitcnt vmcnt(27)
	v_fma_f64 v[145:146], v[149:150], v[133:134], v[127:128]
	ds_read_b128 v[127:130], v126 offset:784
	ds_read_b128 v[131:134], v126 offset:800
	;; [unrolled: 19-line block ×4, first 2 shown]
	s_waitcnt vmcnt(26) lgkmcnt(1)
	v_fma_f64 v[127:128], v[169:170], v[127:128], v[135:136]
	s_clause 0x5
	buffer_load_dword v136, off, s[0:3], 0 offset:476
	buffer_load_dword v159, off, s[0:3], 0 offset:488
	;; [unrolled: 1-line block ×6, first 2 shown]
	s_waitcnt vmcnt(31)
	v_fma_f64 v[127:128], v[167:168], v[129:130], v[127:128]
	s_waitcnt vmcnt(30) lgkmcnt(0)
	v_fma_f64 v[127:128], v[165:166], v[131:132], v[127:128]
	s_waitcnt vmcnt(25)
	v_fma_f64 v[137:138], v[137:138], v[133:134], v[127:128]
	ds_read_b128 v[127:130], v126 offset:880
	s_clause 0x1
	buffer_load_dword v165, off, s[0:3], 0 offset:216
	buffer_load_dword v166, off, s[0:3], 0 offset:220
	ds_read_b128 v[131:134], v126 offset:896
	s_waitcnt vmcnt(26) lgkmcnt(1)
	v_fma_f64 v[127:128], v[143:144], v[127:128], v[137:138]
	s_waitcnt vmcnt(25)
	v_fma_f64 v[127:128], v[141:142], v[129:130], v[127:128]
	s_waitcnt vmcnt(24) lgkmcnt(0)
	v_fma_f64 v[127:128], v[139:140], v[131:132], v[127:128]
	s_waitcnt vmcnt(19)
	v_fma_f64 v[137:138], v[145:146], v[133:134], v[127:128]
	ds_read_b128 v[127:130], v126 offset:912
	ds_read_b128 v[131:134], v126 offset:928
	s_waitcnt vmcnt(18) lgkmcnt(1)
	v_fma_f64 v[127:128], v[155:156], v[127:128], v[137:138]
	s_waitcnt vmcnt(17)
	v_fma_f64 v[127:128], v[149:150], v[129:130], v[127:128]
	s_waitcnt vmcnt(16) lgkmcnt(0)
	v_fma_f64 v[127:128], v[147:148], v[131:132], v[127:128]
	s_waitcnt vmcnt(11)
	v_fma_f64 v[137:138], v[151:152], v[133:134], v[127:128]
	ds_read_b128 v[127:130], v126 offset:944
	;; [unrolled: 10-line block ×3, first 2 shown]
	s_waitcnt vmcnt(3) lgkmcnt(0)
	v_fma_f64 v[126:127], v[161:162], v[126:127], v[130:131]
	s_waitcnt vmcnt(2)
	v_fma_f64 v[126:127], v[159:160], v[128:129], v[126:127]
	s_waitcnt vmcnt(0)
	v_add_f64 v[126:127], v[165:166], -v[126:127]
	buffer_store_dword v127, off, s[0:3], 0 offset:220
	buffer_store_dword v126, off, s[0:3], 0 offset:216
	v_cmpx_lt_u32_e32 26, v0
	s_cbranch_execz .LBB61_329
; %bb.328:
	s_clause 0x1
	buffer_load_dword v126, off, s[0:3], 0 offset:208
	buffer_load_dword v127, off, s[0:3], 0 offset:212
	v_mov_b32_e32 v128, 0
	buffer_store_dword v128, off, s[0:3], 0 offset:208
	buffer_store_dword v128, off, s[0:3], 0 offset:212
	s_waitcnt vmcnt(0)
	ds_write_b64 v125, v[126:127]
.LBB61_329:
	s_or_b32 exec_lo, exec_lo, s4
	s_waitcnt lgkmcnt(0)
	s_waitcnt_vscnt null, 0x0
	s_barrier
	buffer_gl0_inv
	s_clause 0x1c
	buffer_load_dword v135, off, s[0:3], 0 offset:216
	buffer_load_dword v136, off, s[0:3], 0 offset:220
	;; [unrolled: 1-line block ×29, first 2 shown]
	v_mov_b32_e32 v126, 0
	buffer_load_dword v160, off, s[0:3], 0 offset:332
	s_mov_b32 s4, exec_lo
	ds_read2_b64 v[127:130], v126 offset0:89 offset1:90
	ds_read2_b64 v[131:134], v126 offset0:91 offset1:92
	s_waitcnt vmcnt(28) lgkmcnt(1)
	v_fma_f64 v[127:128], v[135:136], v[127:128], 0
	s_clause 0x7
	buffer_load_dword v136, off, s[0:3], 0 offset:340
	buffer_load_dword v165, off, s[0:3], 0 offset:360
	buffer_load_dword v167, off, s[0:3], 0 offset:352
	buffer_load_dword v169, off, s[0:3], 0 offset:344
	buffer_load_dword v135, off, s[0:3], 0 offset:336
	buffer_load_dword v170, off, s[0:3], 0 offset:348
	buffer_load_dword v168, off, s[0:3], 0 offset:356
	buffer_load_dword v166, off, s[0:3], 0 offset:364
	s_waitcnt vmcnt(34)
	v_fma_f64 v[127:128], v[137:138], v[129:130], v[127:128]
	s_waitcnt vmcnt(32) lgkmcnt(0)
	v_fma_f64 v[127:128], v[139:140], v[131:132], v[127:128]
	s_waitcnt vmcnt(30)
	v_fma_f64 v[137:138], v[141:142], v[133:134], v[127:128]
	ds_read2_b64 v[127:130], v126 offset0:93 offset1:94
	ds_read2_b64 v[131:134], v126 offset0:95 offset1:96
	s_waitcnt vmcnt(28) lgkmcnt(1)
	v_fma_f64 v[127:128], v[143:144], v[127:128], v[137:138]
	s_clause 0x7
	buffer_load_dword v138, off, s[0:3], 0 offset:372
	buffer_load_dword v139, off, s[0:3], 0 offset:392
	buffer_load_dword v141, off, s[0:3], 0 offset:384
	buffer_load_dword v143, off, s[0:3], 0 offset:376
	buffer_load_dword v137, off, s[0:3], 0 offset:368
	buffer_load_dword v144, off, s[0:3], 0 offset:380
	buffer_load_dword v142, off, s[0:3], 0 offset:388
	buffer_load_dword v140, off, s[0:3], 0 offset:396
	s_waitcnt vmcnt(34)
	v_fma_f64 v[127:128], v[145:146], v[129:130], v[127:128]
	s_waitcnt vmcnt(32) lgkmcnt(0)
	v_fma_f64 v[127:128], v[147:148], v[131:132], v[127:128]
	s_waitcnt vmcnt(27)
	v_fma_f64 v[145:146], v[149:150], v[133:134], v[127:128]
	;; [unrolled: 19-line block ×5, first 2 shown]
	ds_read2_b64 v[127:130], v126 offset0:109 offset1:110
	ds_read2_b64 v[131:134], v126 offset0:111 offset1:112
	s_waitcnt vmcnt(26) lgkmcnt(1)
	v_fma_f64 v[127:128], v[143:144], v[127:128], v[137:138]
	s_clause 0x1
	buffer_load_dword v137, off, s[0:3], 0 offset:208
	buffer_load_dword v138, off, s[0:3], 0 offset:212
	s_waitcnt vmcnt(27)
	v_fma_f64 v[127:128], v[141:142], v[129:130], v[127:128]
	s_waitcnt vmcnt(26) lgkmcnt(0)
	v_fma_f64 v[127:128], v[139:140], v[131:132], v[127:128]
	s_waitcnt vmcnt(21)
	v_fma_f64 v[139:140], v[145:146], v[133:134], v[127:128]
	ds_read2_b64 v[127:130], v126 offset0:113 offset1:114
	ds_read2_b64 v[131:134], v126 offset0:115 offset1:116
	s_waitcnt vmcnt(20) lgkmcnt(1)
	v_fma_f64 v[127:128], v[155:156], v[127:128], v[139:140]
	s_waitcnt vmcnt(19)
	v_fma_f64 v[127:128], v[149:150], v[129:130], v[127:128]
	s_waitcnt vmcnt(18) lgkmcnt(0)
	v_fma_f64 v[127:128], v[147:148], v[131:132], v[127:128]
	s_waitcnt vmcnt(13)
	v_fma_f64 v[139:140], v[151:152], v[133:134], v[127:128]
	ds_read2_b64 v[127:130], v126 offset0:117 offset1:118
	ds_read2_b64 v[131:134], v126 offset0:119 offset1:120
	s_waitcnt vmcnt(12) lgkmcnt(1)
	v_fma_f64 v[127:128], v[163:164], v[127:128], v[139:140]
	s_waitcnt vmcnt(11)
	v_fma_f64 v[127:128], v[157:158], v[129:130], v[127:128]
	s_waitcnt vmcnt(10) lgkmcnt(0)
	v_fma_f64 v[127:128], v[153:154], v[131:132], v[127:128]
	s_waitcnt vmcnt(5)
	v_fma_f64 v[131:132], v[135:136], v[133:134], v[127:128]
	ds_read2_b64 v[127:130], v126 offset0:121 offset1:122
	ds_read_b64 v[133:134], v126 offset:984
	s_waitcnt vmcnt(4) lgkmcnt(1)
	v_fma_f64 v[127:128], v[169:170], v[127:128], v[131:132]
	s_waitcnt vmcnt(3)
	v_fma_f64 v[127:128], v[161:162], v[129:130], v[127:128]
	s_waitcnt vmcnt(2) lgkmcnt(0)
	v_fma_f64 v[127:128], v[159:160], v[133:134], v[127:128]
	s_waitcnt vmcnt(0)
	v_add_f64 v[127:128], v[137:138], -v[127:128]
	buffer_store_dword v128, off, s[0:3], 0 offset:212
	buffer_store_dword v127, off, s[0:3], 0 offset:208
	v_cmpx_lt_u32_e32 25, v0
	s_cbranch_execz .LBB61_331
; %bb.330:
	s_clause 0x1
	buffer_load_dword v127, off, s[0:3], 0 offset:200
	buffer_load_dword v128, off, s[0:3], 0 offset:204
	buffer_store_dword v126, off, s[0:3], 0 offset:200
	buffer_store_dword v126, off, s[0:3], 0 offset:204
	s_waitcnt vmcnt(0)
	ds_write_b64 v125, v[127:128]
.LBB61_331:
	s_or_b32 exec_lo, exec_lo, s4
	s_waitcnt lgkmcnt(0)
	s_waitcnt_vscnt null, 0x0
	s_barrier
	buffer_gl0_inv
	s_clause 0x1c
	buffer_load_dword v135, off, s[0:3], 0 offset:208
	buffer_load_dword v136, off, s[0:3], 0 offset:212
	;; [unrolled: 1-line block ×29, first 2 shown]
	ds_read_b128 v[127:130], v126 offset:704
	ds_read_b128 v[131:134], v126 offset:720
	buffer_load_dword v160, off, s[0:3], 0 offset:324
	s_mov_b32 s4, exec_lo
	s_waitcnt vmcnt(28) lgkmcnt(1)
	v_fma_f64 v[127:128], v[135:136], v[127:128], 0
	s_clause 0x7
	buffer_load_dword v136, off, s[0:3], 0 offset:332
	buffer_load_dword v165, off, s[0:3], 0 offset:352
	buffer_load_dword v167, off, s[0:3], 0 offset:344
	buffer_load_dword v169, off, s[0:3], 0 offset:336
	buffer_load_dword v135, off, s[0:3], 0 offset:328
	buffer_load_dword v170, off, s[0:3], 0 offset:340
	buffer_load_dword v168, off, s[0:3], 0 offset:348
	buffer_load_dword v166, off, s[0:3], 0 offset:356
	s_waitcnt vmcnt(34)
	v_fma_f64 v[127:128], v[137:138], v[129:130], v[127:128]
	s_waitcnt vmcnt(32) lgkmcnt(0)
	v_fma_f64 v[127:128], v[139:140], v[131:132], v[127:128]
	s_waitcnt vmcnt(30)
	v_fma_f64 v[137:138], v[141:142], v[133:134], v[127:128]
	ds_read_b128 v[127:130], v126 offset:736
	ds_read_b128 v[131:134], v126 offset:752
	s_waitcnt vmcnt(28) lgkmcnt(1)
	v_fma_f64 v[127:128], v[143:144], v[127:128], v[137:138]
	s_clause 0x7
	buffer_load_dword v138, off, s[0:3], 0 offset:364
	buffer_load_dword v139, off, s[0:3], 0 offset:384
	buffer_load_dword v141, off, s[0:3], 0 offset:376
	buffer_load_dword v143, off, s[0:3], 0 offset:368
	buffer_load_dword v137, off, s[0:3], 0 offset:360
	buffer_load_dword v144, off, s[0:3], 0 offset:372
	buffer_load_dword v142, off, s[0:3], 0 offset:380
	buffer_load_dword v140, off, s[0:3], 0 offset:388
	s_waitcnt vmcnt(34)
	v_fma_f64 v[127:128], v[145:146], v[129:130], v[127:128]
	s_waitcnt vmcnt(32) lgkmcnt(0)
	v_fma_f64 v[127:128], v[147:148], v[131:132], v[127:128]
	s_waitcnt vmcnt(27)
	v_fma_f64 v[145:146], v[149:150], v[133:134], v[127:128]
	ds_read_b128 v[127:130], v126 offset:768
	ds_read_b128 v[131:134], v126 offset:784
	;; [unrolled: 19-line block ×5, first 2 shown]
	s_waitcnt vmcnt(26) lgkmcnt(1)
	v_fma_f64 v[127:128], v[143:144], v[127:128], v[137:138]
	s_clause 0x1
	buffer_load_dword v138, off, s[0:3], 0 offset:492
	buffer_load_dword v137, off, s[0:3], 0 offset:488
	s_waitcnt vmcnt(27)
	v_fma_f64 v[127:128], v[141:142], v[129:130], v[127:128]
	s_clause 0x1
	buffer_load_dword v141, off, s[0:3], 0 offset:200
	buffer_load_dword v142, off, s[0:3], 0 offset:204
	s_waitcnt vmcnt(28) lgkmcnt(0)
	v_fma_f64 v[127:128], v[139:140], v[131:132], v[127:128]
	s_waitcnt vmcnt(23)
	v_fma_f64 v[139:140], v[145:146], v[133:134], v[127:128]
	ds_read_b128 v[127:130], v126 offset:896
	ds_read_b128 v[131:134], v126 offset:912
	s_waitcnt vmcnt(22) lgkmcnt(1)
	v_fma_f64 v[127:128], v[155:156], v[127:128], v[139:140]
	s_waitcnt vmcnt(21)
	v_fma_f64 v[127:128], v[149:150], v[129:130], v[127:128]
	s_waitcnt vmcnt(20) lgkmcnt(0)
	v_fma_f64 v[127:128], v[147:148], v[131:132], v[127:128]
	s_waitcnt vmcnt(15)
	v_fma_f64 v[139:140], v[151:152], v[133:134], v[127:128]
	ds_read_b128 v[127:130], v126 offset:928
	ds_read_b128 v[131:134], v126 offset:944
	s_waitcnt vmcnt(14) lgkmcnt(1)
	v_fma_f64 v[127:128], v[163:164], v[127:128], v[139:140]
	s_waitcnt vmcnt(13)
	v_fma_f64 v[127:128], v[157:158], v[129:130], v[127:128]
	;; [unrolled: 10-line block ×3, first 2 shown]
	s_waitcnt vmcnt(4) lgkmcnt(0)
	v_fma_f64 v[126:127], v[159:160], v[131:132], v[126:127]
	s_waitcnt vmcnt(2)
	v_fma_f64 v[126:127], v[137:138], v[133:134], v[126:127]
	s_waitcnt vmcnt(0)
	v_add_f64 v[126:127], v[141:142], -v[126:127]
	buffer_store_dword v127, off, s[0:3], 0 offset:204
	buffer_store_dword v126, off, s[0:3], 0 offset:200
	v_cmpx_lt_u32_e32 24, v0
	s_cbranch_execz .LBB61_333
; %bb.332:
	s_clause 0x1
	buffer_load_dword v126, off, s[0:3], 0 offset:192
	buffer_load_dword v127, off, s[0:3], 0 offset:196
	v_mov_b32_e32 v128, 0
	buffer_store_dword v128, off, s[0:3], 0 offset:192
	buffer_store_dword v128, off, s[0:3], 0 offset:196
	s_waitcnt vmcnt(0)
	ds_write_b64 v125, v[126:127]
.LBB61_333:
	s_or_b32 exec_lo, exec_lo, s4
	s_waitcnt lgkmcnt(0)
	s_waitcnt_vscnt null, 0x0
	s_barrier
	buffer_gl0_inv
	s_clause 0x1c
	buffer_load_dword v135, off, s[0:3], 0 offset:200
	buffer_load_dword v136, off, s[0:3], 0 offset:204
	;; [unrolled: 1-line block ×29, first 2 shown]
	v_mov_b32_e32 v126, 0
	buffer_load_dword v160, off, s[0:3], 0 offset:316
	s_mov_b32 s4, exec_lo
	ds_read2_b64 v[127:130], v126 offset0:87 offset1:88
	ds_read2_b64 v[131:134], v126 offset0:89 offset1:90
	s_waitcnt vmcnt(28) lgkmcnt(1)
	v_fma_f64 v[127:128], v[135:136], v[127:128], 0
	s_clause 0x7
	buffer_load_dword v136, off, s[0:3], 0 offset:324
	buffer_load_dword v165, off, s[0:3], 0 offset:344
	buffer_load_dword v167, off, s[0:3], 0 offset:336
	buffer_load_dword v169, off, s[0:3], 0 offset:328
	buffer_load_dword v135, off, s[0:3], 0 offset:320
	buffer_load_dword v170, off, s[0:3], 0 offset:332
	buffer_load_dword v168, off, s[0:3], 0 offset:340
	buffer_load_dword v166, off, s[0:3], 0 offset:348
	s_waitcnt vmcnt(34)
	v_fma_f64 v[127:128], v[137:138], v[129:130], v[127:128]
	s_waitcnt vmcnt(32) lgkmcnt(0)
	v_fma_f64 v[127:128], v[139:140], v[131:132], v[127:128]
	s_waitcnt vmcnt(30)
	v_fma_f64 v[137:138], v[141:142], v[133:134], v[127:128]
	ds_read2_b64 v[127:130], v126 offset0:91 offset1:92
	ds_read2_b64 v[131:134], v126 offset0:93 offset1:94
	s_waitcnt vmcnt(28) lgkmcnt(1)
	v_fma_f64 v[127:128], v[143:144], v[127:128], v[137:138]
	s_clause 0x7
	buffer_load_dword v138, off, s[0:3], 0 offset:356
	buffer_load_dword v139, off, s[0:3], 0 offset:376
	buffer_load_dword v141, off, s[0:3], 0 offset:368
	buffer_load_dword v143, off, s[0:3], 0 offset:360
	buffer_load_dword v137, off, s[0:3], 0 offset:352
	buffer_load_dword v144, off, s[0:3], 0 offset:364
	buffer_load_dword v142, off, s[0:3], 0 offset:372
	buffer_load_dword v140, off, s[0:3], 0 offset:380
	s_waitcnt vmcnt(34)
	v_fma_f64 v[127:128], v[145:146], v[129:130], v[127:128]
	s_waitcnt vmcnt(32) lgkmcnt(0)
	v_fma_f64 v[127:128], v[147:148], v[131:132], v[127:128]
	s_waitcnt vmcnt(27)
	v_fma_f64 v[145:146], v[149:150], v[133:134], v[127:128]
	;; [unrolled: 19-line block ×5, first 2 shown]
	ds_read2_b64 v[127:130], v126 offset0:107 offset1:108
	ds_read2_b64 v[131:134], v126 offset0:109 offset1:110
	s_waitcnt vmcnt(26) lgkmcnt(1)
	v_fma_f64 v[127:128], v[143:144], v[127:128], v[137:138]
	s_clause 0x3
	buffer_load_dword v138, off, s[0:3], 0 offset:484
	buffer_load_dword v143, off, s[0:3], 0 offset:488
	;; [unrolled: 1-line block ×4, first 2 shown]
	s_waitcnt vmcnt(29)
	v_fma_f64 v[127:128], v[141:142], v[129:130], v[127:128]
	s_waitcnt vmcnt(28) lgkmcnt(0)
	v_fma_f64 v[127:128], v[139:140], v[131:132], v[127:128]
	s_clause 0x1
	buffer_load_dword v139, off, s[0:3], 0 offset:192
	buffer_load_dword v140, off, s[0:3], 0 offset:196
	s_waitcnt vmcnt(25)
	v_fma_f64 v[141:142], v[145:146], v[133:134], v[127:128]
	ds_read2_b64 v[127:130], v126 offset0:111 offset1:112
	ds_read2_b64 v[131:134], v126 offset0:113 offset1:114
	s_waitcnt vmcnt(24) lgkmcnt(1)
	v_fma_f64 v[127:128], v[155:156], v[127:128], v[141:142]
	s_waitcnt vmcnt(23)
	v_fma_f64 v[127:128], v[149:150], v[129:130], v[127:128]
	s_waitcnt vmcnt(22) lgkmcnt(0)
	v_fma_f64 v[127:128], v[147:148], v[131:132], v[127:128]
	s_waitcnt vmcnt(17)
	v_fma_f64 v[141:142], v[151:152], v[133:134], v[127:128]
	ds_read2_b64 v[127:130], v126 offset0:115 offset1:116
	ds_read2_b64 v[131:134], v126 offset0:117 offset1:118
	s_waitcnt vmcnt(16) lgkmcnt(1)
	v_fma_f64 v[127:128], v[163:164], v[127:128], v[141:142]
	s_waitcnt vmcnt(15)
	v_fma_f64 v[127:128], v[157:158], v[129:130], v[127:128]
	s_waitcnt vmcnt(14) lgkmcnt(0)
	v_fma_f64 v[127:128], v[153:154], v[131:132], v[127:128]
	s_waitcnt vmcnt(9)
	v_fma_f64 v[135:136], v[135:136], v[133:134], v[127:128]
	ds_read2_b64 v[127:130], v126 offset0:119 offset1:120
	ds_read2_b64 v[131:134], v126 offset0:121 offset1:122
	s_waitcnt vmcnt(8) lgkmcnt(1)
	v_fma_f64 v[127:128], v[169:170], v[127:128], v[135:136]
	s_waitcnt vmcnt(7)
	v_fma_f64 v[127:128], v[161:162], v[129:130], v[127:128]
	ds_read_b64 v[129:130], v126 offset:984
	s_waitcnt vmcnt(6) lgkmcnt(1)
	v_fma_f64 v[127:128], v[159:160], v[131:132], v[127:128]
	s_waitcnt vmcnt(3)
	v_fma_f64 v[127:128], v[137:138], v[133:134], v[127:128]
	s_waitcnt vmcnt(2) lgkmcnt(0)
	v_fma_f64 v[127:128], v[143:144], v[129:130], v[127:128]
	s_waitcnt vmcnt(0)
	v_add_f64 v[127:128], v[139:140], -v[127:128]
	buffer_store_dword v128, off, s[0:3], 0 offset:196
	buffer_store_dword v127, off, s[0:3], 0 offset:192
	v_cmpx_lt_u32_e32 23, v0
	s_cbranch_execz .LBB61_335
; %bb.334:
	s_clause 0x1
	buffer_load_dword v127, off, s[0:3], 0 offset:184
	buffer_load_dword v128, off, s[0:3], 0 offset:188
	buffer_store_dword v126, off, s[0:3], 0 offset:184
	buffer_store_dword v126, off, s[0:3], 0 offset:188
	s_waitcnt vmcnt(0)
	ds_write_b64 v125, v[127:128]
.LBB61_335:
	s_or_b32 exec_lo, exec_lo, s4
	s_waitcnt lgkmcnt(0)
	s_waitcnt_vscnt null, 0x0
	s_barrier
	buffer_gl0_inv
	s_clause 0x1c
	buffer_load_dword v135, off, s[0:3], 0 offset:192
	buffer_load_dword v136, off, s[0:3], 0 offset:196
	;; [unrolled: 1-line block ×29, first 2 shown]
	ds_read_b128 v[127:130], v126 offset:688
	ds_read_b128 v[131:134], v126 offset:704
	buffer_load_dword v160, off, s[0:3], 0 offset:308
	s_mov_b32 s4, exec_lo
	s_waitcnt vmcnt(28) lgkmcnt(1)
	v_fma_f64 v[127:128], v[135:136], v[127:128], 0
	s_clause 0x7
	buffer_load_dword v136, off, s[0:3], 0 offset:316
	buffer_load_dword v165, off, s[0:3], 0 offset:336
	buffer_load_dword v167, off, s[0:3], 0 offset:328
	buffer_load_dword v169, off, s[0:3], 0 offset:320
	buffer_load_dword v135, off, s[0:3], 0 offset:312
	buffer_load_dword v170, off, s[0:3], 0 offset:324
	buffer_load_dword v168, off, s[0:3], 0 offset:332
	buffer_load_dword v166, off, s[0:3], 0 offset:340
	s_waitcnt vmcnt(34)
	v_fma_f64 v[127:128], v[137:138], v[129:130], v[127:128]
	s_waitcnt vmcnt(32) lgkmcnt(0)
	v_fma_f64 v[127:128], v[139:140], v[131:132], v[127:128]
	s_waitcnt vmcnt(30)
	v_fma_f64 v[137:138], v[141:142], v[133:134], v[127:128]
	ds_read_b128 v[127:130], v126 offset:720
	ds_read_b128 v[131:134], v126 offset:736
	s_waitcnt vmcnt(28) lgkmcnt(1)
	v_fma_f64 v[127:128], v[143:144], v[127:128], v[137:138]
	s_clause 0x7
	buffer_load_dword v138, off, s[0:3], 0 offset:348
	buffer_load_dword v139, off, s[0:3], 0 offset:368
	buffer_load_dword v141, off, s[0:3], 0 offset:360
	buffer_load_dword v143, off, s[0:3], 0 offset:352
	buffer_load_dword v137, off, s[0:3], 0 offset:344
	buffer_load_dword v144, off, s[0:3], 0 offset:356
	buffer_load_dword v142, off, s[0:3], 0 offset:364
	buffer_load_dword v140, off, s[0:3], 0 offset:372
	s_waitcnt vmcnt(34)
	v_fma_f64 v[127:128], v[145:146], v[129:130], v[127:128]
	s_waitcnt vmcnt(32) lgkmcnt(0)
	v_fma_f64 v[127:128], v[147:148], v[131:132], v[127:128]
	s_waitcnt vmcnt(27)
	v_fma_f64 v[145:146], v[149:150], v[133:134], v[127:128]
	ds_read_b128 v[127:130], v126 offset:752
	ds_read_b128 v[131:134], v126 offset:768
	;; [unrolled: 19-line block ×5, first 2 shown]
	s_waitcnt vmcnt(26) lgkmcnt(1)
	v_fma_f64 v[127:128], v[143:144], v[127:128], v[137:138]
	s_clause 0x5
	buffer_load_dword v138, off, s[0:3], 0 offset:476
	buffer_load_dword v143, off, s[0:3], 0 offset:488
	;; [unrolled: 1-line block ×6, first 2 shown]
	s_waitcnt vmcnt(31)
	v_fma_f64 v[127:128], v[141:142], v[129:130], v[127:128]
	s_waitcnt vmcnt(30) lgkmcnt(0)
	v_fma_f64 v[127:128], v[139:140], v[131:132], v[127:128]
	s_waitcnt vmcnt(25)
	v_fma_f64 v[139:140], v[145:146], v[133:134], v[127:128]
	ds_read_b128 v[127:130], v126 offset:880
	s_clause 0x1
	buffer_load_dword v141, off, s[0:3], 0 offset:184
	buffer_load_dword v142, off, s[0:3], 0 offset:188
	ds_read_b128 v[131:134], v126 offset:896
	s_waitcnt vmcnt(26) lgkmcnt(1)
	v_fma_f64 v[127:128], v[155:156], v[127:128], v[139:140]
	s_waitcnt vmcnt(25)
	v_fma_f64 v[127:128], v[149:150], v[129:130], v[127:128]
	s_waitcnt vmcnt(24) lgkmcnt(0)
	v_fma_f64 v[127:128], v[147:148], v[131:132], v[127:128]
	s_waitcnt vmcnt(19)
	v_fma_f64 v[139:140], v[151:152], v[133:134], v[127:128]
	ds_read_b128 v[127:130], v126 offset:912
	ds_read_b128 v[131:134], v126 offset:928
	s_waitcnt vmcnt(18) lgkmcnt(1)
	v_fma_f64 v[127:128], v[163:164], v[127:128], v[139:140]
	s_waitcnt vmcnt(17)
	v_fma_f64 v[127:128], v[157:158], v[129:130], v[127:128]
	s_waitcnt vmcnt(16) lgkmcnt(0)
	v_fma_f64 v[127:128], v[153:154], v[131:132], v[127:128]
	s_waitcnt vmcnt(11)
	v_fma_f64 v[135:136], v[135:136], v[133:134], v[127:128]
	ds_read_b128 v[127:130], v126 offset:944
	;; [unrolled: 10-line block ×3, first 2 shown]
	s_waitcnt vmcnt(3) lgkmcnt(0)
	v_fma_f64 v[126:127], v[165:166], v[126:127], v[130:131]
	s_waitcnt vmcnt(2)
	v_fma_f64 v[126:127], v[143:144], v[128:129], v[126:127]
	s_waitcnt vmcnt(0)
	v_add_f64 v[126:127], v[141:142], -v[126:127]
	buffer_store_dword v127, off, s[0:3], 0 offset:188
	buffer_store_dword v126, off, s[0:3], 0 offset:184
	v_cmpx_lt_u32_e32 22, v0
	s_cbranch_execz .LBB61_337
; %bb.336:
	s_clause 0x1
	buffer_load_dword v126, off, s[0:3], 0 offset:176
	buffer_load_dword v127, off, s[0:3], 0 offset:180
	v_mov_b32_e32 v128, 0
	buffer_store_dword v128, off, s[0:3], 0 offset:176
	buffer_store_dword v128, off, s[0:3], 0 offset:180
	s_waitcnt vmcnt(0)
	ds_write_b64 v125, v[126:127]
.LBB61_337:
	s_or_b32 exec_lo, exec_lo, s4
	s_waitcnt lgkmcnt(0)
	s_waitcnt_vscnt null, 0x0
	s_barrier
	buffer_gl0_inv
	s_clause 0x1c
	buffer_load_dword v135, off, s[0:3], 0 offset:184
	buffer_load_dword v136, off, s[0:3], 0 offset:188
	;; [unrolled: 1-line block ×29, first 2 shown]
	v_mov_b32_e32 v126, 0
	buffer_load_dword v160, off, s[0:3], 0 offset:300
	s_mov_b32 s4, exec_lo
	ds_read2_b64 v[127:130], v126 offset0:85 offset1:86
	ds_read2_b64 v[131:134], v126 offset0:87 offset1:88
	s_waitcnt vmcnt(28) lgkmcnt(1)
	v_fma_f64 v[127:128], v[135:136], v[127:128], 0
	s_clause 0x7
	buffer_load_dword v136, off, s[0:3], 0 offset:308
	buffer_load_dword v165, off, s[0:3], 0 offset:328
	buffer_load_dword v167, off, s[0:3], 0 offset:320
	buffer_load_dword v169, off, s[0:3], 0 offset:312
	buffer_load_dword v135, off, s[0:3], 0 offset:304
	buffer_load_dword v170, off, s[0:3], 0 offset:316
	buffer_load_dword v168, off, s[0:3], 0 offset:324
	buffer_load_dword v166, off, s[0:3], 0 offset:332
	s_waitcnt vmcnt(34)
	v_fma_f64 v[127:128], v[137:138], v[129:130], v[127:128]
	s_waitcnt vmcnt(32) lgkmcnt(0)
	v_fma_f64 v[127:128], v[139:140], v[131:132], v[127:128]
	s_waitcnt vmcnt(30)
	v_fma_f64 v[137:138], v[141:142], v[133:134], v[127:128]
	ds_read2_b64 v[127:130], v126 offset0:89 offset1:90
	ds_read2_b64 v[131:134], v126 offset0:91 offset1:92
	s_waitcnt vmcnt(28) lgkmcnt(1)
	v_fma_f64 v[127:128], v[143:144], v[127:128], v[137:138]
	s_clause 0x7
	buffer_load_dword v138, off, s[0:3], 0 offset:340
	buffer_load_dword v139, off, s[0:3], 0 offset:360
	buffer_load_dword v141, off, s[0:3], 0 offset:352
	buffer_load_dword v143, off, s[0:3], 0 offset:344
	buffer_load_dword v137, off, s[0:3], 0 offset:336
	buffer_load_dword v144, off, s[0:3], 0 offset:348
	buffer_load_dword v142, off, s[0:3], 0 offset:356
	buffer_load_dword v140, off, s[0:3], 0 offset:364
	s_waitcnt vmcnt(34)
	v_fma_f64 v[127:128], v[145:146], v[129:130], v[127:128]
	s_waitcnt vmcnt(32) lgkmcnt(0)
	v_fma_f64 v[127:128], v[147:148], v[131:132], v[127:128]
	s_waitcnt vmcnt(27)
	v_fma_f64 v[145:146], v[149:150], v[133:134], v[127:128]
	ds_read2_b64 v[127:130], v126 offset0:93 offset1:94
	ds_read2_b64 v[131:134], v126 offset0:95 offset1:96
	s_waitcnt vmcnt(26) lgkmcnt(1)
	v_fma_f64 v[127:128], v[155:156], v[127:128], v[145:146]
	s_clause 0x7
	buffer_load_dword v146, off, s[0:3], 0 offset:372
	buffer_load_dword v147, off, s[0:3], 0 offset:392
	buffer_load_dword v149, off, s[0:3], 0 offset:384
	buffer_load_dword v155, off, s[0:3], 0 offset:376
	buffer_load_dword v145, off, s[0:3], 0 offset:368
	buffer_load_dword v156, off, s[0:3], 0 offset:380
	buffer_load_dword v150, off, s[0:3], 0 offset:388
	buffer_load_dword v148, off, s[0:3], 0 offset:396
	s_waitcnt vmcnt(33)
	v_fma_f64 v[127:128], v[153:154], v[129:130], v[127:128]
	s_waitcnt vmcnt(32) lgkmcnt(0)
	v_fma_f64 v[127:128], v[151:152], v[131:132], v[127:128]
	s_waitcnt vmcnt(27)
	v_fma_f64 v[151:152], v[157:158], v[133:134], v[127:128]
	ds_read2_b64 v[127:130], v126 offset0:97 offset1:98
	ds_read2_b64 v[131:134], v126 offset0:99 offset1:100
	s_waitcnt vmcnt(26) lgkmcnt(1)
	v_fma_f64 v[127:128], v[163:164], v[127:128], v[151:152]
	s_clause 0x7
	buffer_load_dword v152, off, s[0:3], 0 offset:404
	buffer_load_dword v153, off, s[0:3], 0 offset:424
	buffer_load_dword v157, off, s[0:3], 0 offset:416
	buffer_load_dword v163, off, s[0:3], 0 offset:408
	buffer_load_dword v151, off, s[0:3], 0 offset:400
	buffer_load_dword v164, off, s[0:3], 0 offset:412
	buffer_load_dword v158, off, s[0:3], 0 offset:420
	buffer_load_dword v154, off, s[0:3], 0 offset:428
	s_waitcnt vmcnt(33)
	v_fma_f64 v[127:128], v[161:162], v[129:130], v[127:128]
	s_waitcnt vmcnt(32) lgkmcnt(0)
	v_fma_f64 v[127:128], v[159:160], v[131:132], v[127:128]
	s_waitcnt vmcnt(27)
	v_fma_f64 v[135:136], v[135:136], v[133:134], v[127:128]
	ds_read2_b64 v[127:130], v126 offset0:101 offset1:102
	ds_read2_b64 v[131:134], v126 offset0:103 offset1:104
	s_waitcnt vmcnt(26) lgkmcnt(1)
	v_fma_f64 v[127:128], v[169:170], v[127:128], v[135:136]
	s_clause 0x7
	buffer_load_dword v136, off, s[0:3], 0 offset:436
	buffer_load_dword v159, off, s[0:3], 0 offset:456
	buffer_load_dword v161, off, s[0:3], 0 offset:448
	buffer_load_dword v169, off, s[0:3], 0 offset:440
	buffer_load_dword v135, off, s[0:3], 0 offset:432
	buffer_load_dword v170, off, s[0:3], 0 offset:444
	buffer_load_dword v162, off, s[0:3], 0 offset:452
	buffer_load_dword v160, off, s[0:3], 0 offset:460
	s_waitcnt vmcnt(33)
	v_fma_f64 v[127:128], v[167:168], v[129:130], v[127:128]
	s_waitcnt vmcnt(32) lgkmcnt(0)
	v_fma_f64 v[127:128], v[165:166], v[131:132], v[127:128]
	s_waitcnt vmcnt(27)
	v_fma_f64 v[137:138], v[137:138], v[133:134], v[127:128]
	ds_read2_b64 v[127:130], v126 offset0:105 offset1:106
	ds_read2_b64 v[131:134], v126 offset0:107 offset1:108
	s_waitcnt vmcnt(26) lgkmcnt(1)
	v_fma_f64 v[127:128], v[143:144], v[127:128], v[137:138]
	s_clause 0x7
	buffer_load_dword v138, off, s[0:3], 0 offset:468
	buffer_load_dword v143, off, s[0:3], 0 offset:488
	buffer_load_dword v165, off, s[0:3], 0 offset:480
	buffer_load_dword v167, off, s[0:3], 0 offset:472
	buffer_load_dword v137, off, s[0:3], 0 offset:464
	buffer_load_dword v168, off, s[0:3], 0 offset:476
	buffer_load_dword v166, off, s[0:3], 0 offset:484
	buffer_load_dword v144, off, s[0:3], 0 offset:492
	s_waitcnt vmcnt(33)
	v_fma_f64 v[127:128], v[141:142], v[129:130], v[127:128]
	s_waitcnt vmcnt(32) lgkmcnt(0)
	v_fma_f64 v[127:128], v[139:140], v[131:132], v[127:128]
	s_waitcnt vmcnt(27)
	v_fma_f64 v[139:140], v[145:146], v[133:134], v[127:128]
	ds_read2_b64 v[127:130], v126 offset0:109 offset1:110
	ds_read2_b64 v[131:134], v126 offset0:111 offset1:112
	s_waitcnt vmcnt(26) lgkmcnt(1)
	v_fma_f64 v[127:128], v[155:156], v[127:128], v[139:140]
	s_clause 0x1
	buffer_load_dword v139, off, s[0:3], 0 offset:176
	buffer_load_dword v140, off, s[0:3], 0 offset:180
	s_waitcnt vmcnt(27)
	v_fma_f64 v[127:128], v[149:150], v[129:130], v[127:128]
	s_waitcnt vmcnt(26) lgkmcnt(0)
	v_fma_f64 v[127:128], v[147:148], v[131:132], v[127:128]
	s_waitcnt vmcnt(21)
	v_fma_f64 v[141:142], v[151:152], v[133:134], v[127:128]
	ds_read2_b64 v[127:130], v126 offset0:113 offset1:114
	ds_read2_b64 v[131:134], v126 offset0:115 offset1:116
	s_waitcnt vmcnt(20) lgkmcnt(1)
	v_fma_f64 v[127:128], v[163:164], v[127:128], v[141:142]
	s_waitcnt vmcnt(19)
	v_fma_f64 v[127:128], v[157:158], v[129:130], v[127:128]
	s_waitcnt vmcnt(18) lgkmcnt(0)
	v_fma_f64 v[127:128], v[153:154], v[131:132], v[127:128]
	s_waitcnt vmcnt(13)
	v_fma_f64 v[135:136], v[135:136], v[133:134], v[127:128]
	ds_read2_b64 v[127:130], v126 offset0:117 offset1:118
	ds_read2_b64 v[131:134], v126 offset0:119 offset1:120
	s_waitcnt vmcnt(12) lgkmcnt(1)
	v_fma_f64 v[127:128], v[169:170], v[127:128], v[135:136]
	s_waitcnt vmcnt(11)
	v_fma_f64 v[127:128], v[161:162], v[129:130], v[127:128]
	s_waitcnt vmcnt(10) lgkmcnt(0)
	v_fma_f64 v[127:128], v[159:160], v[131:132], v[127:128]
	s_waitcnt vmcnt(5)
	v_fma_f64 v[131:132], v[137:138], v[133:134], v[127:128]
	ds_read2_b64 v[127:130], v126 offset0:121 offset1:122
	ds_read_b64 v[133:134], v126 offset:984
	s_waitcnt vmcnt(4) lgkmcnt(1)
	v_fma_f64 v[127:128], v[167:168], v[127:128], v[131:132]
	s_waitcnt vmcnt(3)
	v_fma_f64 v[127:128], v[165:166], v[129:130], v[127:128]
	s_waitcnt vmcnt(2) lgkmcnt(0)
	v_fma_f64 v[127:128], v[143:144], v[133:134], v[127:128]
	s_waitcnt vmcnt(0)
	v_add_f64 v[127:128], v[139:140], -v[127:128]
	buffer_store_dword v128, off, s[0:3], 0 offset:180
	buffer_store_dword v127, off, s[0:3], 0 offset:176
	v_cmpx_lt_u32_e32 21, v0
	s_cbranch_execz .LBB61_339
; %bb.338:
	s_clause 0x1
	buffer_load_dword v127, off, s[0:3], 0 offset:168
	buffer_load_dword v128, off, s[0:3], 0 offset:172
	buffer_store_dword v126, off, s[0:3], 0 offset:168
	buffer_store_dword v126, off, s[0:3], 0 offset:172
	s_waitcnt vmcnt(0)
	ds_write_b64 v125, v[127:128]
.LBB61_339:
	s_or_b32 exec_lo, exec_lo, s4
	s_waitcnt lgkmcnt(0)
	s_waitcnt_vscnt null, 0x0
	s_barrier
	buffer_gl0_inv
	s_clause 0x1c
	buffer_load_dword v135, off, s[0:3], 0 offset:176
	buffer_load_dword v136, off, s[0:3], 0 offset:180
	;; [unrolled: 1-line block ×29, first 2 shown]
	ds_read_b128 v[127:130], v126 offset:672
	ds_read_b128 v[131:134], v126 offset:688
	buffer_load_dword v160, off, s[0:3], 0 offset:292
	s_mov_b32 s4, exec_lo
	s_waitcnt vmcnt(28) lgkmcnt(1)
	v_fma_f64 v[127:128], v[135:136], v[127:128], 0
	s_clause 0x7
	buffer_load_dword v136, off, s[0:3], 0 offset:300
	buffer_load_dword v165, off, s[0:3], 0 offset:320
	buffer_load_dword v167, off, s[0:3], 0 offset:312
	buffer_load_dword v169, off, s[0:3], 0 offset:304
	buffer_load_dword v135, off, s[0:3], 0 offset:296
	buffer_load_dword v170, off, s[0:3], 0 offset:308
	buffer_load_dword v168, off, s[0:3], 0 offset:316
	buffer_load_dword v166, off, s[0:3], 0 offset:324
	s_waitcnt vmcnt(34)
	v_fma_f64 v[127:128], v[137:138], v[129:130], v[127:128]
	s_waitcnt vmcnt(32) lgkmcnt(0)
	v_fma_f64 v[127:128], v[139:140], v[131:132], v[127:128]
	s_waitcnt vmcnt(30)
	v_fma_f64 v[137:138], v[141:142], v[133:134], v[127:128]
	ds_read_b128 v[127:130], v126 offset:704
	ds_read_b128 v[131:134], v126 offset:720
	s_waitcnt vmcnt(28) lgkmcnt(1)
	v_fma_f64 v[127:128], v[143:144], v[127:128], v[137:138]
	s_clause 0x7
	buffer_load_dword v138, off, s[0:3], 0 offset:332
	buffer_load_dword v139, off, s[0:3], 0 offset:352
	buffer_load_dword v141, off, s[0:3], 0 offset:344
	buffer_load_dword v143, off, s[0:3], 0 offset:336
	buffer_load_dword v137, off, s[0:3], 0 offset:328
	buffer_load_dword v144, off, s[0:3], 0 offset:340
	buffer_load_dword v142, off, s[0:3], 0 offset:348
	buffer_load_dword v140, off, s[0:3], 0 offset:356
	s_waitcnt vmcnt(34)
	v_fma_f64 v[127:128], v[145:146], v[129:130], v[127:128]
	s_waitcnt vmcnt(32) lgkmcnt(0)
	v_fma_f64 v[127:128], v[147:148], v[131:132], v[127:128]
	s_waitcnt vmcnt(27)
	v_fma_f64 v[145:146], v[149:150], v[133:134], v[127:128]
	ds_read_b128 v[127:130], v126 offset:736
	ds_read_b128 v[131:134], v126 offset:752
	;; [unrolled: 19-line block ×6, first 2 shown]
	s_waitcnt vmcnt(26) lgkmcnt(1)
	v_fma_f64 v[127:128], v[155:156], v[127:128], v[139:140]
	s_clause 0x3
	buffer_load_dword v140, off, s[0:3], 0 offset:492
	buffer_load_dword v139, off, s[0:3], 0 offset:488
	;; [unrolled: 1-line block ×4, first 2 shown]
	s_waitcnt vmcnt(29)
	v_fma_f64 v[127:128], v[149:150], v[129:130], v[127:128]
	s_waitcnt vmcnt(28) lgkmcnt(0)
	v_fma_f64 v[127:128], v[147:148], v[131:132], v[127:128]
	s_waitcnt vmcnt(23)
	v_fma_f64 v[145:146], v[151:152], v[133:134], v[127:128]
	ds_read_b128 v[127:130], v126 offset:896
	ds_read_b128 v[131:134], v126 offset:912
	s_waitcnt vmcnt(22) lgkmcnt(1)
	v_fma_f64 v[127:128], v[163:164], v[127:128], v[145:146]
	s_waitcnt vmcnt(21)
	v_fma_f64 v[127:128], v[157:158], v[129:130], v[127:128]
	s_waitcnt vmcnt(20) lgkmcnt(0)
	v_fma_f64 v[127:128], v[153:154], v[131:132], v[127:128]
	s_waitcnt vmcnt(15)
	v_fma_f64 v[135:136], v[135:136], v[133:134], v[127:128]
	ds_read_b128 v[127:130], v126 offset:928
	ds_read_b128 v[131:134], v126 offset:944
	s_waitcnt vmcnt(14) lgkmcnt(1)
	v_fma_f64 v[127:128], v[169:170], v[127:128], v[135:136]
	;; [unrolled: 10-line block ×3, first 2 shown]
	s_waitcnt vmcnt(5)
	v_fma_f64 v[126:127], v[165:166], v[129:130], v[126:127]
	s_waitcnt vmcnt(4) lgkmcnt(0)
	v_fma_f64 v[126:127], v[143:144], v[131:132], v[126:127]
	s_waitcnt vmcnt(2)
	v_fma_f64 v[126:127], v[139:140], v[133:134], v[126:127]
	s_waitcnt vmcnt(0)
	v_add_f64 v[126:127], v[141:142], -v[126:127]
	buffer_store_dword v127, off, s[0:3], 0 offset:172
	buffer_store_dword v126, off, s[0:3], 0 offset:168
	v_cmpx_lt_u32_e32 20, v0
	s_cbranch_execz .LBB61_341
; %bb.340:
	s_clause 0x1
	buffer_load_dword v126, off, s[0:3], 0 offset:160
	buffer_load_dword v127, off, s[0:3], 0 offset:164
	v_mov_b32_e32 v128, 0
	buffer_store_dword v128, off, s[0:3], 0 offset:160
	buffer_store_dword v128, off, s[0:3], 0 offset:164
	s_waitcnt vmcnt(0)
	ds_write_b64 v125, v[126:127]
.LBB61_341:
	s_or_b32 exec_lo, exec_lo, s4
	s_waitcnt lgkmcnt(0)
	s_waitcnt_vscnt null, 0x0
	s_barrier
	buffer_gl0_inv
	s_clause 0x1c
	buffer_load_dword v135, off, s[0:3], 0 offset:168
	buffer_load_dword v136, off, s[0:3], 0 offset:172
	;; [unrolled: 1-line block ×29, first 2 shown]
	v_mov_b32_e32 v126, 0
	buffer_load_dword v160, off, s[0:3], 0 offset:284
	s_mov_b32 s4, exec_lo
	ds_read2_b64 v[127:130], v126 offset0:83 offset1:84
	ds_read2_b64 v[131:134], v126 offset0:85 offset1:86
	s_waitcnt vmcnt(28) lgkmcnt(1)
	v_fma_f64 v[127:128], v[135:136], v[127:128], 0
	s_clause 0x7
	buffer_load_dword v136, off, s[0:3], 0 offset:292
	buffer_load_dword v165, off, s[0:3], 0 offset:312
	buffer_load_dword v167, off, s[0:3], 0 offset:304
	buffer_load_dword v169, off, s[0:3], 0 offset:296
	buffer_load_dword v135, off, s[0:3], 0 offset:288
	buffer_load_dword v170, off, s[0:3], 0 offset:300
	buffer_load_dword v168, off, s[0:3], 0 offset:308
	buffer_load_dword v166, off, s[0:3], 0 offset:316
	s_waitcnt vmcnt(34)
	v_fma_f64 v[127:128], v[137:138], v[129:130], v[127:128]
	s_waitcnt vmcnt(32) lgkmcnt(0)
	v_fma_f64 v[127:128], v[139:140], v[131:132], v[127:128]
	s_waitcnt vmcnt(30)
	v_fma_f64 v[137:138], v[141:142], v[133:134], v[127:128]
	ds_read2_b64 v[127:130], v126 offset0:87 offset1:88
	ds_read2_b64 v[131:134], v126 offset0:89 offset1:90
	s_waitcnt vmcnt(28) lgkmcnt(1)
	v_fma_f64 v[127:128], v[143:144], v[127:128], v[137:138]
	s_clause 0x7
	buffer_load_dword v138, off, s[0:3], 0 offset:324
	buffer_load_dword v139, off, s[0:3], 0 offset:344
	buffer_load_dword v141, off, s[0:3], 0 offset:336
	buffer_load_dword v143, off, s[0:3], 0 offset:328
	buffer_load_dword v137, off, s[0:3], 0 offset:320
	buffer_load_dword v144, off, s[0:3], 0 offset:332
	buffer_load_dword v142, off, s[0:3], 0 offset:340
	buffer_load_dword v140, off, s[0:3], 0 offset:348
	s_waitcnt vmcnt(34)
	v_fma_f64 v[127:128], v[145:146], v[129:130], v[127:128]
	s_waitcnt vmcnt(32) lgkmcnt(0)
	v_fma_f64 v[127:128], v[147:148], v[131:132], v[127:128]
	s_waitcnt vmcnt(27)
	v_fma_f64 v[145:146], v[149:150], v[133:134], v[127:128]
	;; [unrolled: 19-line block ×6, first 2 shown]
	ds_read2_b64 v[127:130], v126 offset0:107 offset1:108
	ds_read2_b64 v[131:134], v126 offset0:109 offset1:110
	s_waitcnt vmcnt(26) lgkmcnt(1)
	v_fma_f64 v[127:128], v[155:156], v[127:128], v[139:140]
	s_clause 0x5
	buffer_load_dword v140, off, s[0:3], 0 offset:484
	buffer_load_dword v141, off, s[0:3], 0 offset:488
	buffer_load_dword v139, off, s[0:3], 0 offset:480
	buffer_load_dword v142, off, s[0:3], 0 offset:492
	buffer_load_dword v145, off, s[0:3], 0 offset:160
	buffer_load_dword v146, off, s[0:3], 0 offset:164
	s_waitcnt vmcnt(31)
	v_fma_f64 v[127:128], v[149:150], v[129:130], v[127:128]
	s_waitcnt vmcnt(30) lgkmcnt(0)
	v_fma_f64 v[127:128], v[147:148], v[131:132], v[127:128]
	s_waitcnt vmcnt(25)
	v_fma_f64 v[147:148], v[151:152], v[133:134], v[127:128]
	ds_read2_b64 v[127:130], v126 offset0:111 offset1:112
	ds_read2_b64 v[131:134], v126 offset0:113 offset1:114
	s_waitcnt vmcnt(24) lgkmcnt(1)
	v_fma_f64 v[127:128], v[163:164], v[127:128], v[147:148]
	s_waitcnt vmcnt(23)
	v_fma_f64 v[127:128], v[157:158], v[129:130], v[127:128]
	s_waitcnt vmcnt(22) lgkmcnt(0)
	v_fma_f64 v[127:128], v[153:154], v[131:132], v[127:128]
	s_waitcnt vmcnt(17)
	v_fma_f64 v[135:136], v[135:136], v[133:134], v[127:128]
	ds_read2_b64 v[127:130], v126 offset0:115 offset1:116
	ds_read2_b64 v[131:134], v126 offset0:117 offset1:118
	s_waitcnt vmcnt(16) lgkmcnt(1)
	v_fma_f64 v[127:128], v[169:170], v[127:128], v[135:136]
	s_waitcnt vmcnt(15)
	v_fma_f64 v[127:128], v[161:162], v[129:130], v[127:128]
	s_waitcnt vmcnt(14) lgkmcnt(0)
	v_fma_f64 v[127:128], v[159:160], v[131:132], v[127:128]
	s_waitcnt vmcnt(9)
	v_fma_f64 v[135:136], v[137:138], v[133:134], v[127:128]
	ds_read2_b64 v[127:130], v126 offset0:119 offset1:120
	ds_read2_b64 v[131:134], v126 offset0:121 offset1:122
	s_waitcnt vmcnt(8) lgkmcnt(1)
	v_fma_f64 v[127:128], v[167:168], v[127:128], v[135:136]
	s_waitcnt vmcnt(7)
	v_fma_f64 v[127:128], v[165:166], v[129:130], v[127:128]
	ds_read_b64 v[129:130], v126 offset:984
	s_waitcnt vmcnt(6) lgkmcnt(1)
	v_fma_f64 v[127:128], v[143:144], v[131:132], v[127:128]
	s_waitcnt vmcnt(3)
	v_fma_f64 v[127:128], v[139:140], v[133:134], v[127:128]
	s_waitcnt vmcnt(2) lgkmcnt(0)
	v_fma_f64 v[127:128], v[141:142], v[129:130], v[127:128]
	s_waitcnt vmcnt(0)
	v_add_f64 v[127:128], v[145:146], -v[127:128]
	buffer_store_dword v128, off, s[0:3], 0 offset:164
	buffer_store_dword v127, off, s[0:3], 0 offset:160
	v_cmpx_lt_u32_e32 19, v0
	s_cbranch_execz .LBB61_343
; %bb.342:
	s_clause 0x1
	buffer_load_dword v127, off, s[0:3], 0 offset:152
	buffer_load_dword v128, off, s[0:3], 0 offset:156
	buffer_store_dword v126, off, s[0:3], 0 offset:152
	buffer_store_dword v126, off, s[0:3], 0 offset:156
	s_waitcnt vmcnt(0)
	ds_write_b64 v125, v[127:128]
.LBB61_343:
	s_or_b32 exec_lo, exec_lo, s4
	s_waitcnt lgkmcnt(0)
	s_waitcnt_vscnt null, 0x0
	s_barrier
	buffer_gl0_inv
	s_clause 0x1c
	buffer_load_dword v135, off, s[0:3], 0 offset:160
	buffer_load_dword v136, off, s[0:3], 0 offset:164
	;; [unrolled: 1-line block ×29, first 2 shown]
	ds_read_b128 v[127:130], v126 offset:656
	ds_read_b128 v[131:134], v126 offset:672
	buffer_load_dword v160, off, s[0:3], 0 offset:276
	s_mov_b32 s4, exec_lo
	s_waitcnt vmcnt(28) lgkmcnt(1)
	v_fma_f64 v[127:128], v[135:136], v[127:128], 0
	s_clause 0x7
	buffer_load_dword v136, off, s[0:3], 0 offset:284
	buffer_load_dword v165, off, s[0:3], 0 offset:304
	buffer_load_dword v167, off, s[0:3], 0 offset:296
	buffer_load_dword v169, off, s[0:3], 0 offset:288
	buffer_load_dword v135, off, s[0:3], 0 offset:280
	buffer_load_dword v170, off, s[0:3], 0 offset:292
	buffer_load_dword v168, off, s[0:3], 0 offset:300
	buffer_load_dword v166, off, s[0:3], 0 offset:308
	s_waitcnt vmcnt(34)
	v_fma_f64 v[127:128], v[137:138], v[129:130], v[127:128]
	s_waitcnt vmcnt(32) lgkmcnt(0)
	v_fma_f64 v[127:128], v[139:140], v[131:132], v[127:128]
	s_waitcnt vmcnt(30)
	v_fma_f64 v[137:138], v[141:142], v[133:134], v[127:128]
	ds_read_b128 v[127:130], v126 offset:688
	ds_read_b128 v[131:134], v126 offset:704
	s_waitcnt vmcnt(28) lgkmcnt(1)
	v_fma_f64 v[127:128], v[143:144], v[127:128], v[137:138]
	s_clause 0x7
	buffer_load_dword v138, off, s[0:3], 0 offset:316
	buffer_load_dword v139, off, s[0:3], 0 offset:336
	buffer_load_dword v141, off, s[0:3], 0 offset:328
	buffer_load_dword v143, off, s[0:3], 0 offset:320
	buffer_load_dword v137, off, s[0:3], 0 offset:312
	buffer_load_dword v144, off, s[0:3], 0 offset:324
	buffer_load_dword v142, off, s[0:3], 0 offset:332
	buffer_load_dword v140, off, s[0:3], 0 offset:340
	s_waitcnt vmcnt(34)
	v_fma_f64 v[127:128], v[145:146], v[129:130], v[127:128]
	s_waitcnt vmcnt(32) lgkmcnt(0)
	v_fma_f64 v[127:128], v[147:148], v[131:132], v[127:128]
	s_waitcnt vmcnt(27)
	v_fma_f64 v[145:146], v[149:150], v[133:134], v[127:128]
	ds_read_b128 v[127:130], v126 offset:720
	ds_read_b128 v[131:134], v126 offset:736
	;; [unrolled: 19-line block ×6, first 2 shown]
	s_waitcnt vmcnt(26) lgkmcnt(1)
	v_fma_f64 v[127:128], v[155:156], v[127:128], v[139:140]
	s_clause 0x5
	buffer_load_dword v140, off, s[0:3], 0 offset:476
	buffer_load_dword v141, off, s[0:3], 0 offset:488
	;; [unrolled: 1-line block ×6, first 2 shown]
	s_waitcnt vmcnt(31)
	v_fma_f64 v[127:128], v[149:150], v[129:130], v[127:128]
	s_waitcnt vmcnt(30) lgkmcnt(0)
	v_fma_f64 v[127:128], v[147:148], v[131:132], v[127:128]
	s_waitcnt vmcnt(25)
	v_fma_f64 v[147:148], v[151:152], v[133:134], v[127:128]
	ds_read_b128 v[127:130], v126 offset:880
	s_clause 0x1
	buffer_load_dword v149, off, s[0:3], 0 offset:152
	buffer_load_dword v150, off, s[0:3], 0 offset:156
	ds_read_b128 v[131:134], v126 offset:896
	s_waitcnt vmcnt(26) lgkmcnt(1)
	v_fma_f64 v[127:128], v[163:164], v[127:128], v[147:148]
	s_waitcnt vmcnt(25)
	v_fma_f64 v[127:128], v[157:158], v[129:130], v[127:128]
	s_waitcnt vmcnt(24) lgkmcnt(0)
	v_fma_f64 v[127:128], v[153:154], v[131:132], v[127:128]
	s_waitcnt vmcnt(19)
	v_fma_f64 v[135:136], v[135:136], v[133:134], v[127:128]
	ds_read_b128 v[127:130], v126 offset:912
	ds_read_b128 v[131:134], v126 offset:928
	s_waitcnt vmcnt(18) lgkmcnt(1)
	v_fma_f64 v[127:128], v[169:170], v[127:128], v[135:136]
	s_waitcnt vmcnt(17)
	v_fma_f64 v[127:128], v[161:162], v[129:130], v[127:128]
	s_waitcnt vmcnt(16) lgkmcnt(0)
	v_fma_f64 v[127:128], v[159:160], v[131:132], v[127:128]
	s_waitcnt vmcnt(11)
	v_fma_f64 v[135:136], v[137:138], v[133:134], v[127:128]
	ds_read_b128 v[127:130], v126 offset:944
	;; [unrolled: 10-line block ×3, first 2 shown]
	s_waitcnt vmcnt(3) lgkmcnt(0)
	v_fma_f64 v[126:127], v[145:146], v[126:127], v[130:131]
	s_waitcnt vmcnt(2)
	v_fma_f64 v[126:127], v[141:142], v[128:129], v[126:127]
	s_waitcnt vmcnt(0)
	v_add_f64 v[126:127], v[149:150], -v[126:127]
	buffer_store_dword v127, off, s[0:3], 0 offset:156
	buffer_store_dword v126, off, s[0:3], 0 offset:152
	v_cmpx_lt_u32_e32 18, v0
	s_cbranch_execz .LBB61_345
; %bb.344:
	s_clause 0x1
	buffer_load_dword v126, off, s[0:3], 0 offset:144
	buffer_load_dword v127, off, s[0:3], 0 offset:148
	v_mov_b32_e32 v128, 0
	buffer_store_dword v128, off, s[0:3], 0 offset:144
	buffer_store_dword v128, off, s[0:3], 0 offset:148
	s_waitcnt vmcnt(0)
	ds_write_b64 v125, v[126:127]
.LBB61_345:
	s_or_b32 exec_lo, exec_lo, s4
	s_waitcnt lgkmcnt(0)
	s_waitcnt_vscnt null, 0x0
	s_barrier
	buffer_gl0_inv
	s_clause 0x1c
	buffer_load_dword v135, off, s[0:3], 0 offset:152
	buffer_load_dword v136, off, s[0:3], 0 offset:156
	;; [unrolled: 1-line block ×29, first 2 shown]
	v_mov_b32_e32 v126, 0
	buffer_load_dword v160, off, s[0:3], 0 offset:268
	s_mov_b32 s4, exec_lo
	ds_read2_b64 v[127:130], v126 offset0:81 offset1:82
	ds_read2_b64 v[131:134], v126 offset0:83 offset1:84
	s_waitcnt vmcnt(28) lgkmcnt(1)
	v_fma_f64 v[127:128], v[135:136], v[127:128], 0
	s_clause 0x7
	buffer_load_dword v136, off, s[0:3], 0 offset:276
	buffer_load_dword v165, off, s[0:3], 0 offset:296
	buffer_load_dword v167, off, s[0:3], 0 offset:288
	buffer_load_dword v169, off, s[0:3], 0 offset:280
	buffer_load_dword v135, off, s[0:3], 0 offset:272
	buffer_load_dword v170, off, s[0:3], 0 offset:284
	buffer_load_dword v168, off, s[0:3], 0 offset:292
	buffer_load_dword v166, off, s[0:3], 0 offset:300
	s_waitcnt vmcnt(34)
	v_fma_f64 v[127:128], v[137:138], v[129:130], v[127:128]
	s_waitcnt vmcnt(32) lgkmcnt(0)
	v_fma_f64 v[127:128], v[139:140], v[131:132], v[127:128]
	s_waitcnt vmcnt(30)
	v_fma_f64 v[137:138], v[141:142], v[133:134], v[127:128]
	ds_read2_b64 v[127:130], v126 offset0:85 offset1:86
	ds_read2_b64 v[131:134], v126 offset0:87 offset1:88
	s_waitcnt vmcnt(28) lgkmcnt(1)
	v_fma_f64 v[127:128], v[143:144], v[127:128], v[137:138]
	s_clause 0x7
	buffer_load_dword v138, off, s[0:3], 0 offset:308
	buffer_load_dword v139, off, s[0:3], 0 offset:328
	buffer_load_dword v141, off, s[0:3], 0 offset:320
	buffer_load_dword v143, off, s[0:3], 0 offset:312
	buffer_load_dword v137, off, s[0:3], 0 offset:304
	buffer_load_dword v144, off, s[0:3], 0 offset:316
	buffer_load_dword v142, off, s[0:3], 0 offset:324
	buffer_load_dword v140, off, s[0:3], 0 offset:332
	s_waitcnt vmcnt(34)
	v_fma_f64 v[127:128], v[145:146], v[129:130], v[127:128]
	s_waitcnt vmcnt(32) lgkmcnt(0)
	v_fma_f64 v[127:128], v[147:148], v[131:132], v[127:128]
	s_waitcnt vmcnt(27)
	v_fma_f64 v[145:146], v[149:150], v[133:134], v[127:128]
	ds_read2_b64 v[127:130], v126 offset0:89 offset1:90
	ds_read2_b64 v[131:134], v126 offset0:91 offset1:92
	s_waitcnt vmcnt(26) lgkmcnt(1)
	v_fma_f64 v[127:128], v[155:156], v[127:128], v[145:146]
	s_clause 0x7
	buffer_load_dword v146, off, s[0:3], 0 offset:340
	buffer_load_dword v147, off, s[0:3], 0 offset:360
	buffer_load_dword v149, off, s[0:3], 0 offset:352
	buffer_load_dword v155, off, s[0:3], 0 offset:344
	buffer_load_dword v145, off, s[0:3], 0 offset:336
	buffer_load_dword v156, off, s[0:3], 0 offset:348
	buffer_load_dword v150, off, s[0:3], 0 offset:356
	buffer_load_dword v148, off, s[0:3], 0 offset:364
	s_waitcnt vmcnt(33)
	v_fma_f64 v[127:128], v[153:154], v[129:130], v[127:128]
	s_waitcnt vmcnt(32) lgkmcnt(0)
	v_fma_f64 v[127:128], v[151:152], v[131:132], v[127:128]
	s_waitcnt vmcnt(27)
	v_fma_f64 v[151:152], v[157:158], v[133:134], v[127:128]
	ds_read2_b64 v[127:130], v126 offset0:93 offset1:94
	ds_read2_b64 v[131:134], v126 offset0:95 offset1:96
	s_waitcnt vmcnt(26) lgkmcnt(1)
	v_fma_f64 v[127:128], v[163:164], v[127:128], v[151:152]
	s_clause 0x7
	buffer_load_dword v152, off, s[0:3], 0 offset:372
	buffer_load_dword v153, off, s[0:3], 0 offset:392
	buffer_load_dword v157, off, s[0:3], 0 offset:384
	buffer_load_dword v163, off, s[0:3], 0 offset:376
	buffer_load_dword v151, off, s[0:3], 0 offset:368
	buffer_load_dword v164, off, s[0:3], 0 offset:380
	buffer_load_dword v158, off, s[0:3], 0 offset:388
	buffer_load_dword v154, off, s[0:3], 0 offset:396
	s_waitcnt vmcnt(33)
	v_fma_f64 v[127:128], v[161:162], v[129:130], v[127:128]
	s_waitcnt vmcnt(32) lgkmcnt(0)
	v_fma_f64 v[127:128], v[159:160], v[131:132], v[127:128]
	s_waitcnt vmcnt(27)
	v_fma_f64 v[135:136], v[135:136], v[133:134], v[127:128]
	ds_read2_b64 v[127:130], v126 offset0:97 offset1:98
	ds_read2_b64 v[131:134], v126 offset0:99 offset1:100
	s_waitcnt vmcnt(26) lgkmcnt(1)
	v_fma_f64 v[127:128], v[169:170], v[127:128], v[135:136]
	s_clause 0x7
	buffer_load_dword v136, off, s[0:3], 0 offset:404
	buffer_load_dword v159, off, s[0:3], 0 offset:424
	buffer_load_dword v161, off, s[0:3], 0 offset:416
	buffer_load_dword v169, off, s[0:3], 0 offset:408
	buffer_load_dword v135, off, s[0:3], 0 offset:400
	buffer_load_dword v170, off, s[0:3], 0 offset:412
	buffer_load_dword v162, off, s[0:3], 0 offset:420
	buffer_load_dword v160, off, s[0:3], 0 offset:428
	s_waitcnt vmcnt(33)
	v_fma_f64 v[127:128], v[167:168], v[129:130], v[127:128]
	s_waitcnt vmcnt(32) lgkmcnt(0)
	v_fma_f64 v[127:128], v[165:166], v[131:132], v[127:128]
	s_waitcnt vmcnt(27)
	v_fma_f64 v[137:138], v[137:138], v[133:134], v[127:128]
	ds_read2_b64 v[127:130], v126 offset0:101 offset1:102
	ds_read2_b64 v[131:134], v126 offset0:103 offset1:104
	s_waitcnt vmcnt(26) lgkmcnt(1)
	v_fma_f64 v[127:128], v[143:144], v[127:128], v[137:138]
	s_clause 0x7
	buffer_load_dword v138, off, s[0:3], 0 offset:436
	buffer_load_dword v143, off, s[0:3], 0 offset:456
	buffer_load_dword v165, off, s[0:3], 0 offset:448
	buffer_load_dword v167, off, s[0:3], 0 offset:440
	buffer_load_dword v137, off, s[0:3], 0 offset:432
	buffer_load_dword v168, off, s[0:3], 0 offset:444
	buffer_load_dword v166, off, s[0:3], 0 offset:452
	buffer_load_dword v144, off, s[0:3], 0 offset:460
	s_waitcnt vmcnt(33)
	v_fma_f64 v[127:128], v[141:142], v[129:130], v[127:128]
	s_waitcnt vmcnt(32) lgkmcnt(0)
	v_fma_f64 v[127:128], v[139:140], v[131:132], v[127:128]
	s_waitcnt vmcnt(27)
	v_fma_f64 v[139:140], v[145:146], v[133:134], v[127:128]
	ds_read2_b64 v[127:130], v126 offset0:105 offset1:106
	ds_read2_b64 v[131:134], v126 offset0:107 offset1:108
	s_waitcnt vmcnt(26) lgkmcnt(1)
	v_fma_f64 v[127:128], v[155:156], v[127:128], v[139:140]
	s_clause 0x7
	buffer_load_dword v140, off, s[0:3], 0 offset:468
	buffer_load_dword v141, off, s[0:3], 0 offset:488
	buffer_load_dword v145, off, s[0:3], 0 offset:480
	buffer_load_dword v155, off, s[0:3], 0 offset:472
	buffer_load_dword v139, off, s[0:3], 0 offset:464
	buffer_load_dword v156, off, s[0:3], 0 offset:476
	buffer_load_dword v146, off, s[0:3], 0 offset:484
	buffer_load_dword v142, off, s[0:3], 0 offset:492
	s_waitcnt vmcnt(33)
	v_fma_f64 v[127:128], v[149:150], v[129:130], v[127:128]
	s_waitcnt vmcnt(32) lgkmcnt(0)
	v_fma_f64 v[127:128], v[147:148], v[131:132], v[127:128]
	s_waitcnt vmcnt(27)
	v_fma_f64 v[147:148], v[151:152], v[133:134], v[127:128]
	ds_read2_b64 v[127:130], v126 offset0:109 offset1:110
	ds_read2_b64 v[131:134], v126 offset0:111 offset1:112
	s_waitcnt vmcnt(26) lgkmcnt(1)
	v_fma_f64 v[127:128], v[163:164], v[127:128], v[147:148]
	s_clause 0x1
	buffer_load_dword v147, off, s[0:3], 0 offset:144
	buffer_load_dword v148, off, s[0:3], 0 offset:148
	s_waitcnt vmcnt(27)
	v_fma_f64 v[127:128], v[157:158], v[129:130], v[127:128]
	s_waitcnt vmcnt(26) lgkmcnt(0)
	v_fma_f64 v[127:128], v[153:154], v[131:132], v[127:128]
	s_waitcnt vmcnt(21)
	v_fma_f64 v[135:136], v[135:136], v[133:134], v[127:128]
	ds_read2_b64 v[127:130], v126 offset0:113 offset1:114
	ds_read2_b64 v[131:134], v126 offset0:115 offset1:116
	s_waitcnt vmcnt(20) lgkmcnt(1)
	v_fma_f64 v[127:128], v[169:170], v[127:128], v[135:136]
	s_waitcnt vmcnt(19)
	v_fma_f64 v[127:128], v[161:162], v[129:130], v[127:128]
	s_waitcnt vmcnt(18) lgkmcnt(0)
	v_fma_f64 v[127:128], v[159:160], v[131:132], v[127:128]
	s_waitcnt vmcnt(13)
	v_fma_f64 v[135:136], v[137:138], v[133:134], v[127:128]
	ds_read2_b64 v[127:130], v126 offset0:117 offset1:118
	ds_read2_b64 v[131:134], v126 offset0:119 offset1:120
	s_waitcnt vmcnt(12) lgkmcnt(1)
	v_fma_f64 v[127:128], v[167:168], v[127:128], v[135:136]
	s_waitcnt vmcnt(11)
	v_fma_f64 v[127:128], v[165:166], v[129:130], v[127:128]
	s_waitcnt vmcnt(10) lgkmcnt(0)
	v_fma_f64 v[127:128], v[143:144], v[131:132], v[127:128]
	s_waitcnt vmcnt(5)
	v_fma_f64 v[131:132], v[139:140], v[133:134], v[127:128]
	ds_read2_b64 v[127:130], v126 offset0:121 offset1:122
	ds_read_b64 v[133:134], v126 offset:984
	s_waitcnt vmcnt(4) lgkmcnt(1)
	v_fma_f64 v[127:128], v[155:156], v[127:128], v[131:132]
	s_waitcnt vmcnt(3)
	v_fma_f64 v[127:128], v[145:146], v[129:130], v[127:128]
	s_waitcnt vmcnt(2) lgkmcnt(0)
	v_fma_f64 v[127:128], v[141:142], v[133:134], v[127:128]
	s_waitcnt vmcnt(0)
	v_add_f64 v[127:128], v[147:148], -v[127:128]
	buffer_store_dword v128, off, s[0:3], 0 offset:148
	buffer_store_dword v127, off, s[0:3], 0 offset:144
	v_cmpx_lt_u32_e32 17, v0
	s_cbranch_execz .LBB61_347
; %bb.346:
	s_clause 0x1
	buffer_load_dword v127, off, s[0:3], 0 offset:136
	buffer_load_dword v128, off, s[0:3], 0 offset:140
	buffer_store_dword v126, off, s[0:3], 0 offset:136
	buffer_store_dword v126, off, s[0:3], 0 offset:140
	s_waitcnt vmcnt(0)
	ds_write_b64 v125, v[127:128]
.LBB61_347:
	s_or_b32 exec_lo, exec_lo, s4
	s_waitcnt lgkmcnt(0)
	s_waitcnt_vscnt null, 0x0
	s_barrier
	buffer_gl0_inv
	s_clause 0x1c
	buffer_load_dword v135, off, s[0:3], 0 offset:144
	buffer_load_dword v136, off, s[0:3], 0 offset:148
	;; [unrolled: 1-line block ×29, first 2 shown]
	ds_read_b128 v[127:130], v126 offset:640
	ds_read_b128 v[131:134], v126 offset:656
	buffer_load_dword v160, off, s[0:3], 0 offset:260
	s_mov_b32 s4, exec_lo
	s_waitcnt vmcnt(28) lgkmcnt(1)
	v_fma_f64 v[127:128], v[135:136], v[127:128], 0
	s_clause 0x7
	buffer_load_dword v136, off, s[0:3], 0 offset:268
	buffer_load_dword v165, off, s[0:3], 0 offset:288
	buffer_load_dword v167, off, s[0:3], 0 offset:280
	buffer_load_dword v169, off, s[0:3], 0 offset:272
	buffer_load_dword v135, off, s[0:3], 0 offset:264
	buffer_load_dword v170, off, s[0:3], 0 offset:276
	buffer_load_dword v168, off, s[0:3], 0 offset:284
	buffer_load_dword v166, off, s[0:3], 0 offset:292
	s_waitcnt vmcnt(34)
	v_fma_f64 v[127:128], v[137:138], v[129:130], v[127:128]
	s_waitcnt vmcnt(32) lgkmcnt(0)
	v_fma_f64 v[127:128], v[139:140], v[131:132], v[127:128]
	s_waitcnt vmcnt(30)
	v_fma_f64 v[137:138], v[141:142], v[133:134], v[127:128]
	ds_read_b128 v[127:130], v126 offset:672
	ds_read_b128 v[131:134], v126 offset:688
	s_waitcnt vmcnt(28) lgkmcnt(1)
	v_fma_f64 v[127:128], v[143:144], v[127:128], v[137:138]
	s_clause 0x7
	buffer_load_dword v138, off, s[0:3], 0 offset:300
	buffer_load_dword v139, off, s[0:3], 0 offset:320
	buffer_load_dword v141, off, s[0:3], 0 offset:312
	buffer_load_dword v143, off, s[0:3], 0 offset:304
	buffer_load_dword v137, off, s[0:3], 0 offset:296
	buffer_load_dword v144, off, s[0:3], 0 offset:308
	buffer_load_dword v142, off, s[0:3], 0 offset:316
	buffer_load_dword v140, off, s[0:3], 0 offset:324
	s_waitcnt vmcnt(34)
	v_fma_f64 v[127:128], v[145:146], v[129:130], v[127:128]
	s_waitcnt vmcnt(32) lgkmcnt(0)
	v_fma_f64 v[127:128], v[147:148], v[131:132], v[127:128]
	s_waitcnt vmcnt(27)
	v_fma_f64 v[145:146], v[149:150], v[133:134], v[127:128]
	ds_read_b128 v[127:130], v126 offset:704
	ds_read_b128 v[131:134], v126 offset:720
	;; [unrolled: 19-line block ×7, first 2 shown]
	s_waitcnt vmcnt(26) lgkmcnt(1)
	v_fma_f64 v[127:128], v[163:164], v[127:128], v[147:148]
	s_clause 0x3
	buffer_load_dword v148, off, s[0:3], 0 offset:492
	buffer_load_dword v147, off, s[0:3], 0 offset:488
	;; [unrolled: 1-line block ×4, first 2 shown]
	s_waitcnt vmcnt(29)
	v_fma_f64 v[127:128], v[157:158], v[129:130], v[127:128]
	s_waitcnt vmcnt(28) lgkmcnt(0)
	v_fma_f64 v[127:128], v[153:154], v[131:132], v[127:128]
	s_waitcnt vmcnt(23)
	v_fma_f64 v[135:136], v[135:136], v[133:134], v[127:128]
	ds_read_b128 v[127:130], v126 offset:896
	ds_read_b128 v[131:134], v126 offset:912
	s_waitcnt vmcnt(22) lgkmcnt(1)
	v_fma_f64 v[127:128], v[169:170], v[127:128], v[135:136]
	s_waitcnt vmcnt(21)
	v_fma_f64 v[127:128], v[161:162], v[129:130], v[127:128]
	s_waitcnt vmcnt(20) lgkmcnt(0)
	v_fma_f64 v[127:128], v[159:160], v[131:132], v[127:128]
	s_waitcnt vmcnt(15)
	v_fma_f64 v[135:136], v[137:138], v[133:134], v[127:128]
	ds_read_b128 v[127:130], v126 offset:928
	ds_read_b128 v[131:134], v126 offset:944
	s_waitcnt vmcnt(14) lgkmcnt(1)
	v_fma_f64 v[127:128], v[167:168], v[127:128], v[135:136]
	;; [unrolled: 10-line block ×3, first 2 shown]
	s_waitcnt vmcnt(5)
	v_fma_f64 v[126:127], v[145:146], v[129:130], v[126:127]
	s_waitcnt vmcnt(4) lgkmcnt(0)
	v_fma_f64 v[126:127], v[141:142], v[131:132], v[126:127]
	s_waitcnt vmcnt(2)
	v_fma_f64 v[126:127], v[147:148], v[133:134], v[126:127]
	s_waitcnt vmcnt(0)
	v_add_f64 v[126:127], v[149:150], -v[126:127]
	buffer_store_dword v127, off, s[0:3], 0 offset:140
	buffer_store_dword v126, off, s[0:3], 0 offset:136
	v_cmpx_lt_u32_e32 16, v0
	s_cbranch_execz .LBB61_349
; %bb.348:
	s_clause 0x1
	buffer_load_dword v126, off, s[0:3], 0 offset:128
	buffer_load_dword v127, off, s[0:3], 0 offset:132
	v_mov_b32_e32 v128, 0
	buffer_store_dword v128, off, s[0:3], 0 offset:128
	buffer_store_dword v128, off, s[0:3], 0 offset:132
	s_waitcnt vmcnt(0)
	ds_write_b64 v125, v[126:127]
.LBB61_349:
	s_or_b32 exec_lo, exec_lo, s4
	s_waitcnt lgkmcnt(0)
	s_waitcnt_vscnt null, 0x0
	s_barrier
	buffer_gl0_inv
	s_clause 0x1c
	buffer_load_dword v135, off, s[0:3], 0 offset:136
	buffer_load_dword v136, off, s[0:3], 0 offset:140
	;; [unrolled: 1-line block ×29, first 2 shown]
	v_mov_b32_e32 v126, 0
	buffer_load_dword v160, off, s[0:3], 0 offset:252
	s_mov_b32 s4, exec_lo
	ds_read2_b64 v[127:130], v126 offset0:79 offset1:80
	ds_read2_b64 v[131:134], v126 offset0:81 offset1:82
	s_waitcnt vmcnt(28) lgkmcnt(1)
	v_fma_f64 v[127:128], v[135:136], v[127:128], 0
	s_clause 0x7
	buffer_load_dword v136, off, s[0:3], 0 offset:260
	buffer_load_dword v165, off, s[0:3], 0 offset:280
	buffer_load_dword v167, off, s[0:3], 0 offset:272
	buffer_load_dword v169, off, s[0:3], 0 offset:264
	buffer_load_dword v135, off, s[0:3], 0 offset:256
	buffer_load_dword v170, off, s[0:3], 0 offset:268
	buffer_load_dword v168, off, s[0:3], 0 offset:276
	buffer_load_dword v166, off, s[0:3], 0 offset:284
	s_waitcnt vmcnt(34)
	v_fma_f64 v[127:128], v[137:138], v[129:130], v[127:128]
	s_waitcnt vmcnt(32) lgkmcnt(0)
	v_fma_f64 v[127:128], v[139:140], v[131:132], v[127:128]
	s_waitcnt vmcnt(30)
	v_fma_f64 v[137:138], v[141:142], v[133:134], v[127:128]
	ds_read2_b64 v[127:130], v126 offset0:83 offset1:84
	ds_read2_b64 v[131:134], v126 offset0:85 offset1:86
	s_waitcnt vmcnt(28) lgkmcnt(1)
	v_fma_f64 v[127:128], v[143:144], v[127:128], v[137:138]
	s_clause 0x7
	buffer_load_dword v138, off, s[0:3], 0 offset:292
	buffer_load_dword v139, off, s[0:3], 0 offset:312
	buffer_load_dword v141, off, s[0:3], 0 offset:304
	buffer_load_dword v143, off, s[0:3], 0 offset:296
	buffer_load_dword v137, off, s[0:3], 0 offset:288
	buffer_load_dword v144, off, s[0:3], 0 offset:300
	buffer_load_dword v142, off, s[0:3], 0 offset:308
	buffer_load_dword v140, off, s[0:3], 0 offset:316
	s_waitcnt vmcnt(34)
	v_fma_f64 v[127:128], v[145:146], v[129:130], v[127:128]
	s_waitcnt vmcnt(32) lgkmcnt(0)
	v_fma_f64 v[127:128], v[147:148], v[131:132], v[127:128]
	s_waitcnt vmcnt(27)
	v_fma_f64 v[145:146], v[149:150], v[133:134], v[127:128]
	;; [unrolled: 19-line block ×7, first 2 shown]
	ds_read2_b64 v[127:130], v126 offset0:107 offset1:108
	ds_read2_b64 v[131:134], v126 offset0:109 offset1:110
	s_waitcnt vmcnt(26) lgkmcnt(1)
	v_fma_f64 v[127:128], v[163:164], v[127:128], v[147:148]
	s_clause 0x5
	buffer_load_dword v148, off, s[0:3], 0 offset:484
	buffer_load_dword v149, off, s[0:3], 0 offset:488
	;; [unrolled: 1-line block ×6, first 2 shown]
	s_waitcnt vmcnt(31)
	v_fma_f64 v[127:128], v[157:158], v[129:130], v[127:128]
	s_waitcnt vmcnt(30) lgkmcnt(0)
	v_fma_f64 v[127:128], v[153:154], v[131:132], v[127:128]
	s_waitcnt vmcnt(25)
	v_fma_f64 v[135:136], v[135:136], v[133:134], v[127:128]
	ds_read2_b64 v[127:130], v126 offset0:111 offset1:112
	ds_read2_b64 v[131:134], v126 offset0:113 offset1:114
	s_waitcnt vmcnt(24) lgkmcnt(1)
	v_fma_f64 v[127:128], v[169:170], v[127:128], v[135:136]
	s_waitcnt vmcnt(23)
	v_fma_f64 v[127:128], v[161:162], v[129:130], v[127:128]
	s_waitcnt vmcnt(22) lgkmcnt(0)
	v_fma_f64 v[127:128], v[159:160], v[131:132], v[127:128]
	s_waitcnt vmcnt(17)
	v_fma_f64 v[135:136], v[137:138], v[133:134], v[127:128]
	ds_read2_b64 v[127:130], v126 offset0:115 offset1:116
	ds_read2_b64 v[131:134], v126 offset0:117 offset1:118
	s_waitcnt vmcnt(16) lgkmcnt(1)
	v_fma_f64 v[127:128], v[167:168], v[127:128], v[135:136]
	;; [unrolled: 10-line block ×3, first 2 shown]
	s_waitcnt vmcnt(7)
	v_fma_f64 v[127:128], v[145:146], v[129:130], v[127:128]
	ds_read_b64 v[129:130], v126 offset:984
	s_waitcnt vmcnt(6) lgkmcnt(1)
	v_fma_f64 v[127:128], v[141:142], v[131:132], v[127:128]
	s_waitcnt vmcnt(3)
	v_fma_f64 v[127:128], v[147:148], v[133:134], v[127:128]
	s_waitcnt vmcnt(2) lgkmcnt(0)
	v_fma_f64 v[127:128], v[149:150], v[129:130], v[127:128]
	s_waitcnt vmcnt(0)
	v_add_f64 v[127:128], v[151:152], -v[127:128]
	buffer_store_dword v128, off, s[0:3], 0 offset:132
	buffer_store_dword v127, off, s[0:3], 0 offset:128
	v_cmpx_lt_u32_e32 15, v0
	s_cbranch_execz .LBB61_351
; %bb.350:
	s_clause 0x1
	buffer_load_dword v127, off, s[0:3], 0 offset:120
	buffer_load_dword v128, off, s[0:3], 0 offset:124
	buffer_store_dword v126, off, s[0:3], 0 offset:120
	buffer_store_dword v126, off, s[0:3], 0 offset:124
	s_waitcnt vmcnt(0)
	ds_write_b64 v125, v[127:128]
.LBB61_351:
	s_or_b32 exec_lo, exec_lo, s4
	s_waitcnt lgkmcnt(0)
	s_waitcnt_vscnt null, 0x0
	s_barrier
	buffer_gl0_inv
	s_clause 0x1c
	buffer_load_dword v135, off, s[0:3], 0 offset:128
	buffer_load_dword v136, off, s[0:3], 0 offset:132
	;; [unrolled: 1-line block ×29, first 2 shown]
	ds_read_b128 v[127:130], v126 offset:624
	ds_read_b128 v[131:134], v126 offset:640
	buffer_load_dword v160, off, s[0:3], 0 offset:244
	s_mov_b32 s4, exec_lo
	s_waitcnt vmcnt(28) lgkmcnt(1)
	v_fma_f64 v[127:128], v[135:136], v[127:128], 0
	s_clause 0x7
	buffer_load_dword v136, off, s[0:3], 0 offset:252
	buffer_load_dword v165, off, s[0:3], 0 offset:272
	buffer_load_dword v167, off, s[0:3], 0 offset:264
	buffer_load_dword v169, off, s[0:3], 0 offset:256
	buffer_load_dword v135, off, s[0:3], 0 offset:248
	buffer_load_dword v170, off, s[0:3], 0 offset:260
	buffer_load_dword v168, off, s[0:3], 0 offset:268
	buffer_load_dword v166, off, s[0:3], 0 offset:276
	s_waitcnt vmcnt(34)
	v_fma_f64 v[127:128], v[137:138], v[129:130], v[127:128]
	s_waitcnt vmcnt(32) lgkmcnt(0)
	v_fma_f64 v[127:128], v[139:140], v[131:132], v[127:128]
	s_waitcnt vmcnt(30)
	v_fma_f64 v[137:138], v[141:142], v[133:134], v[127:128]
	ds_read_b128 v[127:130], v126 offset:656
	ds_read_b128 v[131:134], v126 offset:672
	s_waitcnt vmcnt(28) lgkmcnt(1)
	v_fma_f64 v[127:128], v[143:144], v[127:128], v[137:138]
	s_clause 0x7
	buffer_load_dword v138, off, s[0:3], 0 offset:284
	buffer_load_dword v139, off, s[0:3], 0 offset:304
	buffer_load_dword v141, off, s[0:3], 0 offset:296
	buffer_load_dword v143, off, s[0:3], 0 offset:288
	buffer_load_dword v137, off, s[0:3], 0 offset:280
	buffer_load_dword v144, off, s[0:3], 0 offset:292
	buffer_load_dword v142, off, s[0:3], 0 offset:300
	buffer_load_dword v140, off, s[0:3], 0 offset:308
	s_waitcnt vmcnt(34)
	v_fma_f64 v[127:128], v[145:146], v[129:130], v[127:128]
	s_waitcnt vmcnt(32) lgkmcnt(0)
	v_fma_f64 v[127:128], v[147:148], v[131:132], v[127:128]
	s_waitcnt vmcnt(27)
	v_fma_f64 v[145:146], v[149:150], v[133:134], v[127:128]
	ds_read_b128 v[127:130], v126 offset:688
	ds_read_b128 v[131:134], v126 offset:704
	s_waitcnt vmcnt(26) lgkmcnt(1)
	v_fma_f64 v[127:128], v[155:156], v[127:128], v[145:146]
	s_clause 0x7
	buffer_load_dword v146, off, s[0:3], 0 offset:316
	buffer_load_dword v147, off, s[0:3], 0 offset:336
	buffer_load_dword v149, off, s[0:3], 0 offset:328
	buffer_load_dword v155, off, s[0:3], 0 offset:320
	buffer_load_dword v145, off, s[0:3], 0 offset:312
	buffer_load_dword v156, off, s[0:3], 0 offset:324
	buffer_load_dword v150, off, s[0:3], 0 offset:332
	buffer_load_dword v148, off, s[0:3], 0 offset:340
	s_waitcnt vmcnt(33)
	v_fma_f64 v[127:128], v[153:154], v[129:130], v[127:128]
	s_waitcnt vmcnt(32) lgkmcnt(0)
	v_fma_f64 v[127:128], v[151:152], v[131:132], v[127:128]
	s_waitcnt vmcnt(27)
	v_fma_f64 v[151:152], v[157:158], v[133:134], v[127:128]
	ds_read_b128 v[127:130], v126 offset:720
	ds_read_b128 v[131:134], v126 offset:736
	s_waitcnt vmcnt(26) lgkmcnt(1)
	v_fma_f64 v[127:128], v[163:164], v[127:128], v[151:152]
	s_clause 0x7
	buffer_load_dword v152, off, s[0:3], 0 offset:348
	buffer_load_dword v153, off, s[0:3], 0 offset:368
	buffer_load_dword v157, off, s[0:3], 0 offset:360
	buffer_load_dword v163, off, s[0:3], 0 offset:352
	buffer_load_dword v151, off, s[0:3], 0 offset:344
	buffer_load_dword v164, off, s[0:3], 0 offset:356
	buffer_load_dword v158, off, s[0:3], 0 offset:364
	buffer_load_dword v154, off, s[0:3], 0 offset:372
	s_waitcnt vmcnt(33)
	v_fma_f64 v[127:128], v[161:162], v[129:130], v[127:128]
	s_waitcnt vmcnt(32) lgkmcnt(0)
	v_fma_f64 v[127:128], v[159:160], v[131:132], v[127:128]
	s_waitcnt vmcnt(27)
	v_fma_f64 v[135:136], v[135:136], v[133:134], v[127:128]
	ds_read_b128 v[127:130], v126 offset:752
	ds_read_b128 v[131:134], v126 offset:768
	s_waitcnt vmcnt(26) lgkmcnt(1)
	v_fma_f64 v[127:128], v[169:170], v[127:128], v[135:136]
	s_clause 0x7
	buffer_load_dword v136, off, s[0:3], 0 offset:380
	buffer_load_dword v159, off, s[0:3], 0 offset:400
	buffer_load_dword v161, off, s[0:3], 0 offset:392
	buffer_load_dword v169, off, s[0:3], 0 offset:384
	buffer_load_dword v135, off, s[0:3], 0 offset:376
	buffer_load_dword v170, off, s[0:3], 0 offset:388
	buffer_load_dword v162, off, s[0:3], 0 offset:396
	buffer_load_dword v160, off, s[0:3], 0 offset:404
	s_waitcnt vmcnt(33)
	v_fma_f64 v[127:128], v[167:168], v[129:130], v[127:128]
	s_waitcnt vmcnt(32) lgkmcnt(0)
	v_fma_f64 v[127:128], v[165:166], v[131:132], v[127:128]
	s_waitcnt vmcnt(27)
	v_fma_f64 v[137:138], v[137:138], v[133:134], v[127:128]
	ds_read_b128 v[127:130], v126 offset:784
	ds_read_b128 v[131:134], v126 offset:800
	s_waitcnt vmcnt(26) lgkmcnt(1)
	v_fma_f64 v[127:128], v[143:144], v[127:128], v[137:138]
	s_clause 0x7
	buffer_load_dword v138, off, s[0:3], 0 offset:412
	buffer_load_dword v143, off, s[0:3], 0 offset:432
	buffer_load_dword v165, off, s[0:3], 0 offset:424
	buffer_load_dword v167, off, s[0:3], 0 offset:416
	buffer_load_dword v137, off, s[0:3], 0 offset:408
	buffer_load_dword v168, off, s[0:3], 0 offset:420
	buffer_load_dword v166, off, s[0:3], 0 offset:428
	buffer_load_dword v144, off, s[0:3], 0 offset:436
	s_waitcnt vmcnt(33)
	v_fma_f64 v[127:128], v[141:142], v[129:130], v[127:128]
	s_waitcnt vmcnt(32) lgkmcnt(0)
	v_fma_f64 v[127:128], v[139:140], v[131:132], v[127:128]
	s_waitcnt vmcnt(27)
	v_fma_f64 v[139:140], v[145:146], v[133:134], v[127:128]
	ds_read_b128 v[127:130], v126 offset:816
	ds_read_b128 v[131:134], v126 offset:832
	s_waitcnt vmcnt(26) lgkmcnt(1)
	v_fma_f64 v[127:128], v[155:156], v[127:128], v[139:140]
	s_clause 0x7
	buffer_load_dword v140, off, s[0:3], 0 offset:444
	buffer_load_dword v141, off, s[0:3], 0 offset:464
	buffer_load_dword v145, off, s[0:3], 0 offset:456
	buffer_load_dword v155, off, s[0:3], 0 offset:448
	buffer_load_dword v139, off, s[0:3], 0 offset:440
	buffer_load_dword v156, off, s[0:3], 0 offset:452
	buffer_load_dword v146, off, s[0:3], 0 offset:460
	buffer_load_dword v142, off, s[0:3], 0 offset:468
	s_waitcnt vmcnt(33)
	v_fma_f64 v[127:128], v[149:150], v[129:130], v[127:128]
	s_waitcnt vmcnt(32) lgkmcnt(0)
	v_fma_f64 v[127:128], v[147:148], v[131:132], v[127:128]
	s_waitcnt vmcnt(27)
	v_fma_f64 v[147:148], v[151:152], v[133:134], v[127:128]
	ds_read_b128 v[127:130], v126 offset:848
	ds_read_b128 v[131:134], v126 offset:864
	s_waitcnt vmcnt(26) lgkmcnt(1)
	v_fma_f64 v[127:128], v[163:164], v[127:128], v[147:148]
	s_clause 0x5
	buffer_load_dword v148, off, s[0:3], 0 offset:476
	buffer_load_dword v149, off, s[0:3], 0 offset:488
	;; [unrolled: 1-line block ×6, first 2 shown]
	s_waitcnt vmcnt(31)
	v_fma_f64 v[127:128], v[157:158], v[129:130], v[127:128]
	s_waitcnt vmcnt(30) lgkmcnt(0)
	v_fma_f64 v[127:128], v[153:154], v[131:132], v[127:128]
	s_waitcnt vmcnt(25)
	v_fma_f64 v[135:136], v[135:136], v[133:134], v[127:128]
	ds_read_b128 v[127:130], v126 offset:880
	s_clause 0x1
	buffer_load_dword v153, off, s[0:3], 0 offset:120
	buffer_load_dword v154, off, s[0:3], 0 offset:124
	ds_read_b128 v[131:134], v126 offset:896
	s_waitcnt vmcnt(26) lgkmcnt(1)
	v_fma_f64 v[127:128], v[169:170], v[127:128], v[135:136]
	s_waitcnt vmcnt(25)
	v_fma_f64 v[127:128], v[161:162], v[129:130], v[127:128]
	s_waitcnt vmcnt(24) lgkmcnt(0)
	v_fma_f64 v[127:128], v[159:160], v[131:132], v[127:128]
	s_waitcnt vmcnt(19)
	v_fma_f64 v[135:136], v[137:138], v[133:134], v[127:128]
	ds_read_b128 v[127:130], v126 offset:912
	ds_read_b128 v[131:134], v126 offset:928
	s_waitcnt vmcnt(18) lgkmcnt(1)
	v_fma_f64 v[127:128], v[167:168], v[127:128], v[135:136]
	s_waitcnt vmcnt(17)
	v_fma_f64 v[127:128], v[165:166], v[129:130], v[127:128]
	s_waitcnt vmcnt(16) lgkmcnt(0)
	v_fma_f64 v[127:128], v[143:144], v[131:132], v[127:128]
	s_waitcnt vmcnt(11)
	v_fma_f64 v[135:136], v[139:140], v[133:134], v[127:128]
	ds_read_b128 v[127:130], v126 offset:944
	;; [unrolled: 10-line block ×3, first 2 shown]
	s_waitcnt vmcnt(3) lgkmcnt(0)
	v_fma_f64 v[126:127], v[151:152], v[126:127], v[130:131]
	s_waitcnt vmcnt(2)
	v_fma_f64 v[126:127], v[149:150], v[128:129], v[126:127]
	s_waitcnt vmcnt(0)
	v_add_f64 v[126:127], v[153:154], -v[126:127]
	buffer_store_dword v127, off, s[0:3], 0 offset:124
	buffer_store_dword v126, off, s[0:3], 0 offset:120
	v_cmpx_lt_u32_e32 14, v0
	s_cbranch_execz .LBB61_353
; %bb.352:
	s_clause 0x1
	buffer_load_dword v126, off, s[0:3], 0 offset:112
	buffer_load_dword v127, off, s[0:3], 0 offset:116
	v_mov_b32_e32 v128, 0
	buffer_store_dword v128, off, s[0:3], 0 offset:112
	buffer_store_dword v128, off, s[0:3], 0 offset:116
	s_waitcnt vmcnt(0)
	ds_write_b64 v125, v[126:127]
.LBB61_353:
	s_or_b32 exec_lo, exec_lo, s4
	s_waitcnt lgkmcnt(0)
	s_waitcnt_vscnt null, 0x0
	s_barrier
	buffer_gl0_inv
	s_clause 0x1c
	buffer_load_dword v135, off, s[0:3], 0 offset:120
	buffer_load_dword v136, off, s[0:3], 0 offset:124
	;; [unrolled: 1-line block ×29, first 2 shown]
	v_mov_b32_e32 v126, 0
	buffer_load_dword v160, off, s[0:3], 0 offset:236
	s_mov_b32 s4, exec_lo
	ds_read2_b64 v[127:130], v126 offset0:77 offset1:78
	ds_read2_b64 v[131:134], v126 offset0:79 offset1:80
	s_waitcnt vmcnt(28) lgkmcnt(1)
	v_fma_f64 v[127:128], v[135:136], v[127:128], 0
	s_clause 0x7
	buffer_load_dword v136, off, s[0:3], 0 offset:244
	buffer_load_dword v165, off, s[0:3], 0 offset:264
	buffer_load_dword v167, off, s[0:3], 0 offset:256
	buffer_load_dword v169, off, s[0:3], 0 offset:248
	buffer_load_dword v135, off, s[0:3], 0 offset:240
	buffer_load_dword v170, off, s[0:3], 0 offset:252
	buffer_load_dword v168, off, s[0:3], 0 offset:260
	buffer_load_dword v166, off, s[0:3], 0 offset:268
	s_waitcnt vmcnt(34)
	v_fma_f64 v[127:128], v[137:138], v[129:130], v[127:128]
	s_waitcnt vmcnt(32) lgkmcnt(0)
	v_fma_f64 v[127:128], v[139:140], v[131:132], v[127:128]
	s_waitcnt vmcnt(30)
	v_fma_f64 v[137:138], v[141:142], v[133:134], v[127:128]
	ds_read2_b64 v[127:130], v126 offset0:81 offset1:82
	ds_read2_b64 v[131:134], v126 offset0:83 offset1:84
	s_waitcnt vmcnt(28) lgkmcnt(1)
	v_fma_f64 v[127:128], v[143:144], v[127:128], v[137:138]
	s_clause 0x7
	buffer_load_dword v138, off, s[0:3], 0 offset:276
	buffer_load_dword v139, off, s[0:3], 0 offset:296
	buffer_load_dword v141, off, s[0:3], 0 offset:288
	buffer_load_dword v143, off, s[0:3], 0 offset:280
	buffer_load_dword v137, off, s[0:3], 0 offset:272
	buffer_load_dword v144, off, s[0:3], 0 offset:284
	buffer_load_dword v142, off, s[0:3], 0 offset:292
	buffer_load_dword v140, off, s[0:3], 0 offset:300
	s_waitcnt vmcnt(34)
	v_fma_f64 v[127:128], v[145:146], v[129:130], v[127:128]
	s_waitcnt vmcnt(32) lgkmcnt(0)
	v_fma_f64 v[127:128], v[147:148], v[131:132], v[127:128]
	s_waitcnt vmcnt(27)
	v_fma_f64 v[145:146], v[149:150], v[133:134], v[127:128]
	;; [unrolled: 19-line block ×8, first 2 shown]
	ds_read2_b64 v[127:130], v126 offset0:109 offset1:110
	ds_read2_b64 v[131:134], v126 offset0:111 offset1:112
	s_waitcnt vmcnt(26) lgkmcnt(1)
	v_fma_f64 v[127:128], v[169:170], v[127:128], v[135:136]
	s_clause 0x1
	buffer_load_dword v135, off, s[0:3], 0 offset:112
	buffer_load_dword v136, off, s[0:3], 0 offset:116
	s_waitcnt vmcnt(27)
	v_fma_f64 v[127:128], v[161:162], v[129:130], v[127:128]
	s_waitcnt vmcnt(26) lgkmcnt(0)
	v_fma_f64 v[127:128], v[159:160], v[131:132], v[127:128]
	s_waitcnt vmcnt(21)
	v_fma_f64 v[137:138], v[137:138], v[133:134], v[127:128]
	ds_read2_b64 v[127:130], v126 offset0:113 offset1:114
	ds_read2_b64 v[131:134], v126 offset0:115 offset1:116
	s_waitcnt vmcnt(20) lgkmcnt(1)
	v_fma_f64 v[127:128], v[167:168], v[127:128], v[137:138]
	s_waitcnt vmcnt(19)
	v_fma_f64 v[127:128], v[165:166], v[129:130], v[127:128]
	s_waitcnt vmcnt(18) lgkmcnt(0)
	v_fma_f64 v[127:128], v[143:144], v[131:132], v[127:128]
	s_waitcnt vmcnt(13)
	v_fma_f64 v[137:138], v[139:140], v[133:134], v[127:128]
	ds_read2_b64 v[127:130], v126 offset0:117 offset1:118
	ds_read2_b64 v[131:134], v126 offset0:119 offset1:120
	s_waitcnt vmcnt(12) lgkmcnt(1)
	v_fma_f64 v[127:128], v[155:156], v[127:128], v[137:138]
	s_waitcnt vmcnt(11)
	v_fma_f64 v[127:128], v[145:146], v[129:130], v[127:128]
	s_waitcnt vmcnt(10) lgkmcnt(0)
	v_fma_f64 v[127:128], v[141:142], v[131:132], v[127:128]
	s_waitcnt vmcnt(5)
	v_fma_f64 v[131:132], v[147:148], v[133:134], v[127:128]
	ds_read2_b64 v[127:130], v126 offset0:121 offset1:122
	ds_read_b64 v[133:134], v126 offset:984
	s_waitcnt vmcnt(4) lgkmcnt(1)
	v_fma_f64 v[127:128], v[163:164], v[127:128], v[131:132]
	s_waitcnt vmcnt(3)
	v_fma_f64 v[127:128], v[151:152], v[129:130], v[127:128]
	s_waitcnt vmcnt(2) lgkmcnt(0)
	v_fma_f64 v[127:128], v[149:150], v[133:134], v[127:128]
	s_waitcnt vmcnt(0)
	v_add_f64 v[127:128], v[135:136], -v[127:128]
	buffer_store_dword v128, off, s[0:3], 0 offset:116
	buffer_store_dword v127, off, s[0:3], 0 offset:112
	v_cmpx_lt_u32_e32 13, v0
	s_cbranch_execz .LBB61_355
; %bb.354:
	s_clause 0x1
	buffer_load_dword v127, off, s[0:3], 0 offset:104
	buffer_load_dword v128, off, s[0:3], 0 offset:108
	buffer_store_dword v126, off, s[0:3], 0 offset:104
	buffer_store_dword v126, off, s[0:3], 0 offset:108
	s_waitcnt vmcnt(0)
	ds_write_b64 v125, v[127:128]
.LBB61_355:
	s_or_b32 exec_lo, exec_lo, s4
	s_waitcnt lgkmcnt(0)
	s_waitcnt_vscnt null, 0x0
	s_barrier
	buffer_gl0_inv
	s_clause 0x1c
	buffer_load_dword v135, off, s[0:3], 0 offset:112
	buffer_load_dword v136, off, s[0:3], 0 offset:116
	;; [unrolled: 1-line block ×29, first 2 shown]
	ds_read_b128 v[127:130], v126 offset:608
	ds_read_b128 v[131:134], v126 offset:624
	buffer_load_dword v160, off, s[0:3], 0 offset:228
	s_mov_b32 s4, exec_lo
	s_waitcnt vmcnt(28) lgkmcnt(1)
	v_fma_f64 v[127:128], v[135:136], v[127:128], 0
	s_clause 0x7
	buffer_load_dword v136, off, s[0:3], 0 offset:236
	buffer_load_dword v165, off, s[0:3], 0 offset:256
	buffer_load_dword v167, off, s[0:3], 0 offset:248
	buffer_load_dword v169, off, s[0:3], 0 offset:240
	buffer_load_dword v135, off, s[0:3], 0 offset:232
	buffer_load_dword v170, off, s[0:3], 0 offset:244
	buffer_load_dword v168, off, s[0:3], 0 offset:252
	buffer_load_dword v166, off, s[0:3], 0 offset:260
	s_waitcnt vmcnt(34)
	v_fma_f64 v[127:128], v[137:138], v[129:130], v[127:128]
	s_waitcnt vmcnt(32) lgkmcnt(0)
	v_fma_f64 v[127:128], v[139:140], v[131:132], v[127:128]
	s_waitcnt vmcnt(30)
	v_fma_f64 v[137:138], v[141:142], v[133:134], v[127:128]
	ds_read_b128 v[127:130], v126 offset:640
	ds_read_b128 v[131:134], v126 offset:656
	s_waitcnt vmcnt(28) lgkmcnt(1)
	v_fma_f64 v[127:128], v[143:144], v[127:128], v[137:138]
	s_clause 0x7
	buffer_load_dword v138, off, s[0:3], 0 offset:268
	buffer_load_dword v139, off, s[0:3], 0 offset:288
	buffer_load_dword v141, off, s[0:3], 0 offset:280
	buffer_load_dword v143, off, s[0:3], 0 offset:272
	buffer_load_dword v137, off, s[0:3], 0 offset:264
	buffer_load_dword v144, off, s[0:3], 0 offset:276
	buffer_load_dword v142, off, s[0:3], 0 offset:284
	buffer_load_dword v140, off, s[0:3], 0 offset:292
	s_waitcnt vmcnt(34)
	v_fma_f64 v[127:128], v[145:146], v[129:130], v[127:128]
	s_waitcnt vmcnt(32) lgkmcnt(0)
	v_fma_f64 v[127:128], v[147:148], v[131:132], v[127:128]
	s_waitcnt vmcnt(27)
	v_fma_f64 v[145:146], v[149:150], v[133:134], v[127:128]
	ds_read_b128 v[127:130], v126 offset:672
	ds_read_b128 v[131:134], v126 offset:688
	;; [unrolled: 19-line block ×8, first 2 shown]
	s_waitcnt vmcnt(26) lgkmcnt(1)
	v_fma_f64 v[127:128], v[169:170], v[127:128], v[135:136]
	s_clause 0x3
	buffer_load_dword v136, off, s[0:3], 0 offset:492
	buffer_load_dword v135, off, s[0:3], 0 offset:488
	;; [unrolled: 1-line block ×4, first 2 shown]
	s_waitcnt vmcnt(29)
	v_fma_f64 v[127:128], v[161:162], v[129:130], v[127:128]
	s_waitcnt vmcnt(28) lgkmcnt(0)
	v_fma_f64 v[127:128], v[159:160], v[131:132], v[127:128]
	s_waitcnt vmcnt(23)
	v_fma_f64 v[137:138], v[137:138], v[133:134], v[127:128]
	ds_read_b128 v[127:130], v126 offset:896
	ds_read_b128 v[131:134], v126 offset:912
	s_waitcnt vmcnt(22) lgkmcnt(1)
	v_fma_f64 v[127:128], v[167:168], v[127:128], v[137:138]
	s_waitcnt vmcnt(21)
	v_fma_f64 v[127:128], v[165:166], v[129:130], v[127:128]
	s_waitcnt vmcnt(20) lgkmcnt(0)
	v_fma_f64 v[127:128], v[143:144], v[131:132], v[127:128]
	s_waitcnt vmcnt(15)
	v_fma_f64 v[137:138], v[139:140], v[133:134], v[127:128]
	ds_read_b128 v[127:130], v126 offset:928
	ds_read_b128 v[131:134], v126 offset:944
	s_waitcnt vmcnt(14) lgkmcnt(1)
	v_fma_f64 v[127:128], v[155:156], v[127:128], v[137:138]
	;; [unrolled: 10-line block ×3, first 2 shown]
	s_waitcnt vmcnt(5)
	v_fma_f64 v[126:127], v[151:152], v[129:130], v[126:127]
	s_waitcnt vmcnt(4) lgkmcnt(0)
	v_fma_f64 v[126:127], v[149:150], v[131:132], v[126:127]
	s_waitcnt vmcnt(2)
	v_fma_f64 v[126:127], v[135:136], v[133:134], v[126:127]
	s_waitcnt vmcnt(0)
	v_add_f64 v[126:127], v[153:154], -v[126:127]
	buffer_store_dword v127, off, s[0:3], 0 offset:108
	buffer_store_dword v126, off, s[0:3], 0 offset:104
	v_cmpx_lt_u32_e32 12, v0
	s_cbranch_execz .LBB61_357
; %bb.356:
	s_clause 0x1
	buffer_load_dword v126, off, s[0:3], 0 offset:96
	buffer_load_dword v127, off, s[0:3], 0 offset:100
	v_mov_b32_e32 v128, 0
	buffer_store_dword v128, off, s[0:3], 0 offset:96
	buffer_store_dword v128, off, s[0:3], 0 offset:100
	s_waitcnt vmcnt(0)
	ds_write_b64 v125, v[126:127]
.LBB61_357:
	s_or_b32 exec_lo, exec_lo, s4
	s_waitcnt lgkmcnt(0)
	s_waitcnt_vscnt null, 0x0
	s_barrier
	buffer_gl0_inv
	s_clause 0x1c
	buffer_load_dword v135, off, s[0:3], 0 offset:104
	buffer_load_dword v136, off, s[0:3], 0 offset:108
	;; [unrolled: 1-line block ×29, first 2 shown]
	v_mov_b32_e32 v126, 0
	buffer_load_dword v160, off, s[0:3], 0 offset:220
	s_mov_b32 s4, exec_lo
	ds_read2_b64 v[127:130], v126 offset0:75 offset1:76
	ds_read2_b64 v[131:134], v126 offset0:77 offset1:78
	s_waitcnt vmcnt(28) lgkmcnt(1)
	v_fma_f64 v[127:128], v[135:136], v[127:128], 0
	s_clause 0x7
	buffer_load_dword v136, off, s[0:3], 0 offset:228
	buffer_load_dword v165, off, s[0:3], 0 offset:248
	buffer_load_dword v167, off, s[0:3], 0 offset:240
	buffer_load_dword v169, off, s[0:3], 0 offset:232
	buffer_load_dword v135, off, s[0:3], 0 offset:224
	buffer_load_dword v170, off, s[0:3], 0 offset:236
	buffer_load_dword v168, off, s[0:3], 0 offset:244
	buffer_load_dword v166, off, s[0:3], 0 offset:252
	s_waitcnt vmcnt(34)
	v_fma_f64 v[127:128], v[137:138], v[129:130], v[127:128]
	s_waitcnt vmcnt(32) lgkmcnt(0)
	v_fma_f64 v[127:128], v[139:140], v[131:132], v[127:128]
	s_waitcnt vmcnt(30)
	v_fma_f64 v[137:138], v[141:142], v[133:134], v[127:128]
	ds_read2_b64 v[127:130], v126 offset0:79 offset1:80
	ds_read2_b64 v[131:134], v126 offset0:81 offset1:82
	s_waitcnt vmcnt(28) lgkmcnt(1)
	v_fma_f64 v[127:128], v[143:144], v[127:128], v[137:138]
	s_clause 0x7
	buffer_load_dword v138, off, s[0:3], 0 offset:260
	buffer_load_dword v139, off, s[0:3], 0 offset:280
	buffer_load_dword v141, off, s[0:3], 0 offset:272
	buffer_load_dword v143, off, s[0:3], 0 offset:264
	buffer_load_dword v137, off, s[0:3], 0 offset:256
	buffer_load_dword v144, off, s[0:3], 0 offset:268
	buffer_load_dword v142, off, s[0:3], 0 offset:276
	buffer_load_dword v140, off, s[0:3], 0 offset:284
	s_waitcnt vmcnt(34)
	v_fma_f64 v[127:128], v[145:146], v[129:130], v[127:128]
	s_waitcnt vmcnt(32) lgkmcnt(0)
	v_fma_f64 v[127:128], v[147:148], v[131:132], v[127:128]
	s_waitcnt vmcnt(27)
	v_fma_f64 v[145:146], v[149:150], v[133:134], v[127:128]
	;; [unrolled: 19-line block ×8, first 2 shown]
	ds_read2_b64 v[127:130], v126 offset0:107 offset1:108
	ds_read2_b64 v[131:134], v126 offset0:109 offset1:110
	s_waitcnt vmcnt(26) lgkmcnt(1)
	v_fma_f64 v[127:128], v[169:170], v[127:128], v[135:136]
	s_clause 0x5
	buffer_load_dword v136, off, s[0:3], 0 offset:484
	buffer_load_dword v153, off, s[0:3], 0 offset:488
	;; [unrolled: 1-line block ×6, first 2 shown]
	s_waitcnt vmcnt(31)
	v_fma_f64 v[127:128], v[161:162], v[129:130], v[127:128]
	s_waitcnt vmcnt(30) lgkmcnt(0)
	v_fma_f64 v[127:128], v[159:160], v[131:132], v[127:128]
	s_waitcnt vmcnt(25)
	v_fma_f64 v[137:138], v[137:138], v[133:134], v[127:128]
	ds_read2_b64 v[127:130], v126 offset0:111 offset1:112
	ds_read2_b64 v[131:134], v126 offset0:113 offset1:114
	s_waitcnt vmcnt(24) lgkmcnt(1)
	v_fma_f64 v[127:128], v[167:168], v[127:128], v[137:138]
	s_waitcnt vmcnt(23)
	v_fma_f64 v[127:128], v[165:166], v[129:130], v[127:128]
	s_waitcnt vmcnt(22) lgkmcnt(0)
	v_fma_f64 v[127:128], v[143:144], v[131:132], v[127:128]
	s_waitcnt vmcnt(17)
	v_fma_f64 v[137:138], v[139:140], v[133:134], v[127:128]
	ds_read2_b64 v[127:130], v126 offset0:115 offset1:116
	ds_read2_b64 v[131:134], v126 offset0:117 offset1:118
	s_waitcnt vmcnt(16) lgkmcnt(1)
	v_fma_f64 v[127:128], v[155:156], v[127:128], v[137:138]
	;; [unrolled: 10-line block ×3, first 2 shown]
	s_waitcnt vmcnt(7)
	v_fma_f64 v[127:128], v[151:152], v[129:130], v[127:128]
	ds_read_b64 v[129:130], v126 offset:984
	s_waitcnt vmcnt(6) lgkmcnt(1)
	v_fma_f64 v[127:128], v[149:150], v[131:132], v[127:128]
	s_waitcnt vmcnt(3)
	v_fma_f64 v[127:128], v[135:136], v[133:134], v[127:128]
	s_waitcnt vmcnt(2) lgkmcnt(0)
	v_fma_f64 v[127:128], v[153:154], v[129:130], v[127:128]
	s_waitcnt vmcnt(0)
	v_add_f64 v[127:128], v[157:158], -v[127:128]
	buffer_store_dword v128, off, s[0:3], 0 offset:100
	buffer_store_dword v127, off, s[0:3], 0 offset:96
	v_cmpx_lt_u32_e32 11, v0
	s_cbranch_execz .LBB61_359
; %bb.358:
	s_clause 0x1
	buffer_load_dword v127, off, s[0:3], 0 offset:88
	buffer_load_dword v128, off, s[0:3], 0 offset:92
	buffer_store_dword v126, off, s[0:3], 0 offset:88
	buffer_store_dword v126, off, s[0:3], 0 offset:92
	s_waitcnt vmcnt(0)
	ds_write_b64 v125, v[127:128]
.LBB61_359:
	s_or_b32 exec_lo, exec_lo, s4
	s_waitcnt lgkmcnt(0)
	s_waitcnt_vscnt null, 0x0
	s_barrier
	buffer_gl0_inv
	s_clause 0x1c
	buffer_load_dword v135, off, s[0:3], 0 offset:96
	buffer_load_dword v136, off, s[0:3], 0 offset:100
	;; [unrolled: 1-line block ×29, first 2 shown]
	ds_read_b128 v[127:130], v126 offset:592
	ds_read_b128 v[131:134], v126 offset:608
	buffer_load_dword v160, off, s[0:3], 0 offset:212
	s_mov_b32 s4, exec_lo
	s_waitcnt vmcnt(28) lgkmcnt(1)
	v_fma_f64 v[127:128], v[135:136], v[127:128], 0
	s_clause 0x7
	buffer_load_dword v136, off, s[0:3], 0 offset:220
	buffer_load_dword v165, off, s[0:3], 0 offset:240
	buffer_load_dword v167, off, s[0:3], 0 offset:232
	buffer_load_dword v169, off, s[0:3], 0 offset:224
	buffer_load_dword v135, off, s[0:3], 0 offset:216
	buffer_load_dword v170, off, s[0:3], 0 offset:228
	buffer_load_dword v168, off, s[0:3], 0 offset:236
	buffer_load_dword v166, off, s[0:3], 0 offset:244
	s_waitcnt vmcnt(34)
	v_fma_f64 v[127:128], v[137:138], v[129:130], v[127:128]
	s_waitcnt vmcnt(32) lgkmcnt(0)
	v_fma_f64 v[127:128], v[139:140], v[131:132], v[127:128]
	s_waitcnt vmcnt(30)
	v_fma_f64 v[137:138], v[141:142], v[133:134], v[127:128]
	ds_read_b128 v[127:130], v126 offset:624
	ds_read_b128 v[131:134], v126 offset:640
	s_waitcnt vmcnt(28) lgkmcnt(1)
	v_fma_f64 v[127:128], v[143:144], v[127:128], v[137:138]
	s_clause 0x7
	buffer_load_dword v138, off, s[0:3], 0 offset:252
	buffer_load_dword v139, off, s[0:3], 0 offset:272
	buffer_load_dword v141, off, s[0:3], 0 offset:264
	buffer_load_dword v143, off, s[0:3], 0 offset:256
	buffer_load_dword v137, off, s[0:3], 0 offset:248
	buffer_load_dword v144, off, s[0:3], 0 offset:260
	buffer_load_dword v142, off, s[0:3], 0 offset:268
	buffer_load_dword v140, off, s[0:3], 0 offset:276
	s_waitcnt vmcnt(34)
	v_fma_f64 v[127:128], v[145:146], v[129:130], v[127:128]
	s_waitcnt vmcnt(32) lgkmcnt(0)
	v_fma_f64 v[127:128], v[147:148], v[131:132], v[127:128]
	s_waitcnt vmcnt(27)
	v_fma_f64 v[145:146], v[149:150], v[133:134], v[127:128]
	ds_read_b128 v[127:130], v126 offset:656
	ds_read_b128 v[131:134], v126 offset:672
	;; [unrolled: 19-line block ×8, first 2 shown]
	s_waitcnt vmcnt(26) lgkmcnt(1)
	v_fma_f64 v[127:128], v[169:170], v[127:128], v[135:136]
	s_clause 0x5
	buffer_load_dword v136, off, s[0:3], 0 offset:476
	buffer_load_dword v153, off, s[0:3], 0 offset:488
	;; [unrolled: 1-line block ×6, first 2 shown]
	s_waitcnt vmcnt(31)
	v_fma_f64 v[127:128], v[161:162], v[129:130], v[127:128]
	s_waitcnt vmcnt(30) lgkmcnt(0)
	v_fma_f64 v[127:128], v[159:160], v[131:132], v[127:128]
	s_waitcnt vmcnt(25)
	v_fma_f64 v[137:138], v[137:138], v[133:134], v[127:128]
	ds_read_b128 v[127:130], v126 offset:880
	s_clause 0x1
	buffer_load_dword v159, off, s[0:3], 0 offset:88
	buffer_load_dword v160, off, s[0:3], 0 offset:92
	ds_read_b128 v[131:134], v126 offset:896
	s_waitcnt vmcnt(26) lgkmcnt(1)
	v_fma_f64 v[127:128], v[167:168], v[127:128], v[137:138]
	s_waitcnt vmcnt(25)
	v_fma_f64 v[127:128], v[165:166], v[129:130], v[127:128]
	s_waitcnt vmcnt(24) lgkmcnt(0)
	v_fma_f64 v[127:128], v[143:144], v[131:132], v[127:128]
	s_waitcnt vmcnt(19)
	v_fma_f64 v[137:138], v[139:140], v[133:134], v[127:128]
	ds_read_b128 v[127:130], v126 offset:912
	ds_read_b128 v[131:134], v126 offset:928
	s_waitcnt vmcnt(18) lgkmcnt(1)
	v_fma_f64 v[127:128], v[155:156], v[127:128], v[137:138]
	s_waitcnt vmcnt(17)
	v_fma_f64 v[127:128], v[145:146], v[129:130], v[127:128]
	s_waitcnt vmcnt(16) lgkmcnt(0)
	v_fma_f64 v[127:128], v[141:142], v[131:132], v[127:128]
	s_waitcnt vmcnt(11)
	v_fma_f64 v[137:138], v[147:148], v[133:134], v[127:128]
	ds_read_b128 v[127:130], v126 offset:944
	;; [unrolled: 10-line block ×3, first 2 shown]
	s_waitcnt vmcnt(3) lgkmcnt(0)
	v_fma_f64 v[126:127], v[157:158], v[126:127], v[130:131]
	s_waitcnt vmcnt(2)
	v_fma_f64 v[126:127], v[153:154], v[128:129], v[126:127]
	s_waitcnt vmcnt(0)
	v_add_f64 v[126:127], v[159:160], -v[126:127]
	buffer_store_dword v127, off, s[0:3], 0 offset:92
	buffer_store_dword v126, off, s[0:3], 0 offset:88
	v_cmpx_lt_u32_e32 10, v0
	s_cbranch_execz .LBB61_361
; %bb.360:
	s_clause 0x1
	buffer_load_dword v126, off, s[0:3], 0 offset:80
	buffer_load_dword v127, off, s[0:3], 0 offset:84
	v_mov_b32_e32 v128, 0
	buffer_store_dword v128, off, s[0:3], 0 offset:80
	buffer_store_dword v128, off, s[0:3], 0 offset:84
	s_waitcnt vmcnt(0)
	ds_write_b64 v125, v[126:127]
.LBB61_361:
	s_or_b32 exec_lo, exec_lo, s4
	s_waitcnt lgkmcnt(0)
	s_waitcnt_vscnt null, 0x0
	s_barrier
	buffer_gl0_inv
	s_clause 0x1c
	buffer_load_dword v135, off, s[0:3], 0 offset:88
	buffer_load_dword v136, off, s[0:3], 0 offset:92
	;; [unrolled: 1-line block ×29, first 2 shown]
	v_mov_b32_e32 v126, 0
	buffer_load_dword v160, off, s[0:3], 0 offset:204
	s_mov_b32 s4, exec_lo
	ds_read2_b64 v[127:130], v126 offset0:73 offset1:74
	ds_read2_b64 v[131:134], v126 offset0:75 offset1:76
	s_waitcnt vmcnt(28) lgkmcnt(1)
	v_fma_f64 v[127:128], v[135:136], v[127:128], 0
	s_clause 0x7
	buffer_load_dword v136, off, s[0:3], 0 offset:212
	buffer_load_dword v165, off, s[0:3], 0 offset:232
	buffer_load_dword v167, off, s[0:3], 0 offset:224
	buffer_load_dword v169, off, s[0:3], 0 offset:216
	buffer_load_dword v135, off, s[0:3], 0 offset:208
	buffer_load_dword v170, off, s[0:3], 0 offset:220
	buffer_load_dword v168, off, s[0:3], 0 offset:228
	buffer_load_dword v166, off, s[0:3], 0 offset:236
	s_waitcnt vmcnt(34)
	v_fma_f64 v[127:128], v[137:138], v[129:130], v[127:128]
	s_waitcnt vmcnt(32) lgkmcnt(0)
	v_fma_f64 v[127:128], v[139:140], v[131:132], v[127:128]
	s_waitcnt vmcnt(30)
	v_fma_f64 v[137:138], v[141:142], v[133:134], v[127:128]
	ds_read2_b64 v[127:130], v126 offset0:77 offset1:78
	ds_read2_b64 v[131:134], v126 offset0:79 offset1:80
	s_waitcnt vmcnt(28) lgkmcnt(1)
	v_fma_f64 v[127:128], v[143:144], v[127:128], v[137:138]
	s_clause 0x7
	buffer_load_dword v138, off, s[0:3], 0 offset:244
	buffer_load_dword v139, off, s[0:3], 0 offset:264
	buffer_load_dword v141, off, s[0:3], 0 offset:256
	buffer_load_dword v143, off, s[0:3], 0 offset:248
	buffer_load_dword v137, off, s[0:3], 0 offset:240
	buffer_load_dword v144, off, s[0:3], 0 offset:252
	buffer_load_dword v142, off, s[0:3], 0 offset:260
	buffer_load_dword v140, off, s[0:3], 0 offset:268
	s_waitcnt vmcnt(34)
	v_fma_f64 v[127:128], v[145:146], v[129:130], v[127:128]
	s_waitcnt vmcnt(32) lgkmcnt(0)
	v_fma_f64 v[127:128], v[147:148], v[131:132], v[127:128]
	s_waitcnt vmcnt(27)
	v_fma_f64 v[145:146], v[149:150], v[133:134], v[127:128]
	;; [unrolled: 19-line block ×9, first 2 shown]
	ds_read2_b64 v[127:130], v126 offset0:109 offset1:110
	ds_read2_b64 v[131:134], v126 offset0:111 offset1:112
	s_waitcnt vmcnt(26) lgkmcnt(1)
	v_fma_f64 v[127:128], v[167:168], v[127:128], v[137:138]
	s_clause 0x1
	buffer_load_dword v137, off, s[0:3], 0 offset:80
	buffer_load_dword v138, off, s[0:3], 0 offset:84
	s_waitcnt vmcnt(27)
	v_fma_f64 v[127:128], v[165:166], v[129:130], v[127:128]
	s_waitcnt vmcnt(26) lgkmcnt(0)
	v_fma_f64 v[127:128], v[143:144], v[131:132], v[127:128]
	s_waitcnt vmcnt(21)
	v_fma_f64 v[139:140], v[139:140], v[133:134], v[127:128]
	ds_read2_b64 v[127:130], v126 offset0:113 offset1:114
	ds_read2_b64 v[131:134], v126 offset0:115 offset1:116
	s_waitcnt vmcnt(20) lgkmcnt(1)
	v_fma_f64 v[127:128], v[155:156], v[127:128], v[139:140]
	s_waitcnt vmcnt(19)
	v_fma_f64 v[127:128], v[145:146], v[129:130], v[127:128]
	s_waitcnt vmcnt(18) lgkmcnt(0)
	v_fma_f64 v[127:128], v[141:142], v[131:132], v[127:128]
	s_waitcnt vmcnt(13)
	v_fma_f64 v[139:140], v[147:148], v[133:134], v[127:128]
	ds_read2_b64 v[127:130], v126 offset0:117 offset1:118
	ds_read2_b64 v[131:134], v126 offset0:119 offset1:120
	s_waitcnt vmcnt(12) lgkmcnt(1)
	v_fma_f64 v[127:128], v[163:164], v[127:128], v[139:140]
	s_waitcnt vmcnt(11)
	v_fma_f64 v[127:128], v[151:152], v[129:130], v[127:128]
	s_waitcnt vmcnt(10) lgkmcnt(0)
	v_fma_f64 v[127:128], v[149:150], v[131:132], v[127:128]
	s_waitcnt vmcnt(5)
	v_fma_f64 v[131:132], v[135:136], v[133:134], v[127:128]
	ds_read2_b64 v[127:130], v126 offset0:121 offset1:122
	ds_read_b64 v[133:134], v126 offset:984
	s_waitcnt vmcnt(4) lgkmcnt(1)
	v_fma_f64 v[127:128], v[169:170], v[127:128], v[131:132]
	s_waitcnt vmcnt(3)
	v_fma_f64 v[127:128], v[157:158], v[129:130], v[127:128]
	s_waitcnt vmcnt(2) lgkmcnt(0)
	v_fma_f64 v[127:128], v[153:154], v[133:134], v[127:128]
	s_waitcnt vmcnt(0)
	v_add_f64 v[127:128], v[137:138], -v[127:128]
	buffer_store_dword v128, off, s[0:3], 0 offset:84
	buffer_store_dword v127, off, s[0:3], 0 offset:80
	v_cmpx_lt_u32_e32 9, v0
	s_cbranch_execz .LBB61_363
; %bb.362:
	s_clause 0x1
	buffer_load_dword v127, off, s[0:3], 0 offset:72
	buffer_load_dword v128, off, s[0:3], 0 offset:76
	buffer_store_dword v126, off, s[0:3], 0 offset:72
	buffer_store_dword v126, off, s[0:3], 0 offset:76
	s_waitcnt vmcnt(0)
	ds_write_b64 v125, v[127:128]
.LBB61_363:
	s_or_b32 exec_lo, exec_lo, s4
	s_waitcnt lgkmcnt(0)
	s_waitcnt_vscnt null, 0x0
	s_barrier
	buffer_gl0_inv
	s_clause 0x1c
	buffer_load_dword v135, off, s[0:3], 0 offset:80
	buffer_load_dword v136, off, s[0:3], 0 offset:84
	;; [unrolled: 1-line block ×29, first 2 shown]
	ds_read_b128 v[127:130], v126 offset:576
	ds_read_b128 v[131:134], v126 offset:592
	buffer_load_dword v160, off, s[0:3], 0 offset:196
	s_mov_b32 s4, exec_lo
	s_waitcnt vmcnt(28) lgkmcnt(1)
	v_fma_f64 v[127:128], v[135:136], v[127:128], 0
	s_clause 0x7
	buffer_load_dword v136, off, s[0:3], 0 offset:204
	buffer_load_dword v165, off, s[0:3], 0 offset:224
	buffer_load_dword v167, off, s[0:3], 0 offset:216
	buffer_load_dword v169, off, s[0:3], 0 offset:208
	buffer_load_dword v135, off, s[0:3], 0 offset:200
	buffer_load_dword v170, off, s[0:3], 0 offset:212
	buffer_load_dword v168, off, s[0:3], 0 offset:220
	buffer_load_dword v166, off, s[0:3], 0 offset:228
	s_waitcnt vmcnt(34)
	v_fma_f64 v[127:128], v[137:138], v[129:130], v[127:128]
	s_waitcnt vmcnt(32) lgkmcnt(0)
	v_fma_f64 v[127:128], v[139:140], v[131:132], v[127:128]
	s_waitcnt vmcnt(30)
	v_fma_f64 v[137:138], v[141:142], v[133:134], v[127:128]
	ds_read_b128 v[127:130], v126 offset:608
	ds_read_b128 v[131:134], v126 offset:624
	s_waitcnt vmcnt(28) lgkmcnt(1)
	v_fma_f64 v[127:128], v[143:144], v[127:128], v[137:138]
	s_clause 0x7
	buffer_load_dword v138, off, s[0:3], 0 offset:236
	buffer_load_dword v139, off, s[0:3], 0 offset:256
	buffer_load_dword v141, off, s[0:3], 0 offset:248
	buffer_load_dword v143, off, s[0:3], 0 offset:240
	buffer_load_dword v137, off, s[0:3], 0 offset:232
	buffer_load_dword v144, off, s[0:3], 0 offset:244
	buffer_load_dword v142, off, s[0:3], 0 offset:252
	buffer_load_dword v140, off, s[0:3], 0 offset:260
	s_waitcnt vmcnt(34)
	v_fma_f64 v[127:128], v[145:146], v[129:130], v[127:128]
	s_waitcnt vmcnt(32) lgkmcnt(0)
	v_fma_f64 v[127:128], v[147:148], v[131:132], v[127:128]
	s_waitcnt vmcnt(27)
	v_fma_f64 v[145:146], v[149:150], v[133:134], v[127:128]
	ds_read_b128 v[127:130], v126 offset:640
	ds_read_b128 v[131:134], v126 offset:656
	;; [unrolled: 19-line block ×9, first 2 shown]
	s_waitcnt vmcnt(26) lgkmcnt(1)
	v_fma_f64 v[127:128], v[167:168], v[127:128], v[137:138]
	s_clause 0x3
	buffer_load_dword v138, off, s[0:3], 0 offset:492
	buffer_load_dword v137, off, s[0:3], 0 offset:488
	;; [unrolled: 1-line block ×4, first 2 shown]
	s_waitcnt vmcnt(29)
	v_fma_f64 v[127:128], v[165:166], v[129:130], v[127:128]
	s_waitcnt vmcnt(28) lgkmcnt(0)
	v_fma_f64 v[127:128], v[143:144], v[131:132], v[127:128]
	s_waitcnt vmcnt(23)
	v_fma_f64 v[139:140], v[139:140], v[133:134], v[127:128]
	ds_read_b128 v[127:130], v126 offset:896
	ds_read_b128 v[131:134], v126 offset:912
	s_waitcnt vmcnt(22) lgkmcnt(1)
	v_fma_f64 v[127:128], v[155:156], v[127:128], v[139:140]
	s_waitcnt vmcnt(21)
	v_fma_f64 v[127:128], v[145:146], v[129:130], v[127:128]
	s_waitcnt vmcnt(20) lgkmcnt(0)
	v_fma_f64 v[127:128], v[141:142], v[131:132], v[127:128]
	s_waitcnt vmcnt(15)
	v_fma_f64 v[139:140], v[147:148], v[133:134], v[127:128]
	ds_read_b128 v[127:130], v126 offset:928
	ds_read_b128 v[131:134], v126 offset:944
	s_waitcnt vmcnt(14) lgkmcnt(1)
	v_fma_f64 v[127:128], v[163:164], v[127:128], v[139:140]
	;; [unrolled: 10-line block ×3, first 2 shown]
	s_waitcnt vmcnt(5)
	v_fma_f64 v[126:127], v[157:158], v[129:130], v[126:127]
	s_waitcnt vmcnt(4) lgkmcnt(0)
	v_fma_f64 v[126:127], v[153:154], v[131:132], v[126:127]
	s_waitcnt vmcnt(2)
	v_fma_f64 v[126:127], v[137:138], v[133:134], v[126:127]
	s_waitcnt vmcnt(0)
	v_add_f64 v[126:127], v[159:160], -v[126:127]
	buffer_store_dword v127, off, s[0:3], 0 offset:76
	buffer_store_dword v126, off, s[0:3], 0 offset:72
	v_cmpx_lt_u32_e32 8, v0
	s_cbranch_execz .LBB61_365
; %bb.364:
	s_clause 0x1
	buffer_load_dword v126, off, s[0:3], 0 offset:64
	buffer_load_dword v127, off, s[0:3], 0 offset:68
	v_mov_b32_e32 v128, 0
	buffer_store_dword v128, off, s[0:3], 0 offset:64
	buffer_store_dword v128, off, s[0:3], 0 offset:68
	s_waitcnt vmcnt(0)
	ds_write_b64 v125, v[126:127]
.LBB61_365:
	s_or_b32 exec_lo, exec_lo, s4
	s_waitcnt lgkmcnt(0)
	s_waitcnt_vscnt null, 0x0
	s_barrier
	buffer_gl0_inv
	s_clause 0x1c
	buffer_load_dword v135, off, s[0:3], 0 offset:72
	buffer_load_dword v136, off, s[0:3], 0 offset:76
	;; [unrolled: 1-line block ×29, first 2 shown]
	v_mov_b32_e32 v126, 0
	buffer_load_dword v160, off, s[0:3], 0 offset:188
	s_mov_b32 s4, exec_lo
	ds_read2_b64 v[127:130], v126 offset0:71 offset1:72
	ds_read2_b64 v[131:134], v126 offset0:73 offset1:74
	s_waitcnt vmcnt(28) lgkmcnt(1)
	v_fma_f64 v[127:128], v[135:136], v[127:128], 0
	s_clause 0x7
	buffer_load_dword v136, off, s[0:3], 0 offset:196
	buffer_load_dword v165, off, s[0:3], 0 offset:216
	buffer_load_dword v167, off, s[0:3], 0 offset:208
	buffer_load_dword v169, off, s[0:3], 0 offset:200
	buffer_load_dword v135, off, s[0:3], 0 offset:192
	buffer_load_dword v170, off, s[0:3], 0 offset:204
	buffer_load_dword v168, off, s[0:3], 0 offset:212
	buffer_load_dword v166, off, s[0:3], 0 offset:220
	s_waitcnt vmcnt(34)
	v_fma_f64 v[127:128], v[137:138], v[129:130], v[127:128]
	s_waitcnt vmcnt(32) lgkmcnt(0)
	v_fma_f64 v[127:128], v[139:140], v[131:132], v[127:128]
	s_waitcnt vmcnt(30)
	v_fma_f64 v[137:138], v[141:142], v[133:134], v[127:128]
	ds_read2_b64 v[127:130], v126 offset0:75 offset1:76
	ds_read2_b64 v[131:134], v126 offset0:77 offset1:78
	s_waitcnt vmcnt(28) lgkmcnt(1)
	v_fma_f64 v[127:128], v[143:144], v[127:128], v[137:138]
	s_clause 0x7
	buffer_load_dword v138, off, s[0:3], 0 offset:228
	buffer_load_dword v139, off, s[0:3], 0 offset:248
	buffer_load_dword v141, off, s[0:3], 0 offset:240
	buffer_load_dword v143, off, s[0:3], 0 offset:232
	buffer_load_dword v137, off, s[0:3], 0 offset:224
	buffer_load_dword v144, off, s[0:3], 0 offset:236
	buffer_load_dword v142, off, s[0:3], 0 offset:244
	buffer_load_dword v140, off, s[0:3], 0 offset:252
	s_waitcnt vmcnt(34)
	v_fma_f64 v[127:128], v[145:146], v[129:130], v[127:128]
	s_waitcnt vmcnt(32) lgkmcnt(0)
	v_fma_f64 v[127:128], v[147:148], v[131:132], v[127:128]
	s_waitcnt vmcnt(27)
	v_fma_f64 v[145:146], v[149:150], v[133:134], v[127:128]
	;; [unrolled: 19-line block ×9, first 2 shown]
	ds_read2_b64 v[127:130], v126 offset0:107 offset1:108
	ds_read2_b64 v[131:134], v126 offset0:109 offset1:110
	s_waitcnt vmcnt(26) lgkmcnt(1)
	v_fma_f64 v[127:128], v[167:168], v[127:128], v[137:138]
	s_clause 0x3
	buffer_load_dword v138, off, s[0:3], 0 offset:484
	buffer_load_dword v159, off, s[0:3], 0 offset:488
	;; [unrolled: 1-line block ×4, first 2 shown]
	s_waitcnt vmcnt(29)
	v_fma_f64 v[127:128], v[165:166], v[129:130], v[127:128]
	s_waitcnt vmcnt(28) lgkmcnt(0)
	v_fma_f64 v[127:128], v[143:144], v[131:132], v[127:128]
	s_clause 0x1
	buffer_load_dword v143, off, s[0:3], 0 offset:64
	buffer_load_dword v144, off, s[0:3], 0 offset:68
	s_waitcnt vmcnt(25)
	v_fma_f64 v[139:140], v[139:140], v[133:134], v[127:128]
	ds_read2_b64 v[127:130], v126 offset0:111 offset1:112
	ds_read2_b64 v[131:134], v126 offset0:113 offset1:114
	s_waitcnt vmcnt(24) lgkmcnt(1)
	v_fma_f64 v[127:128], v[155:156], v[127:128], v[139:140]
	s_waitcnt vmcnt(23)
	v_fma_f64 v[127:128], v[145:146], v[129:130], v[127:128]
	s_waitcnt vmcnt(22) lgkmcnt(0)
	v_fma_f64 v[127:128], v[141:142], v[131:132], v[127:128]
	s_waitcnt vmcnt(17)
	v_fma_f64 v[139:140], v[147:148], v[133:134], v[127:128]
	ds_read2_b64 v[127:130], v126 offset0:115 offset1:116
	ds_read2_b64 v[131:134], v126 offset0:117 offset1:118
	s_waitcnt vmcnt(16) lgkmcnt(1)
	v_fma_f64 v[127:128], v[163:164], v[127:128], v[139:140]
	s_waitcnt vmcnt(15)
	v_fma_f64 v[127:128], v[151:152], v[129:130], v[127:128]
	s_waitcnt vmcnt(14) lgkmcnt(0)
	v_fma_f64 v[127:128], v[149:150], v[131:132], v[127:128]
	s_waitcnt vmcnt(9)
	v_fma_f64 v[135:136], v[135:136], v[133:134], v[127:128]
	ds_read2_b64 v[127:130], v126 offset0:119 offset1:120
	ds_read2_b64 v[131:134], v126 offset0:121 offset1:122
	s_waitcnt vmcnt(8) lgkmcnt(1)
	v_fma_f64 v[127:128], v[169:170], v[127:128], v[135:136]
	s_waitcnt vmcnt(7)
	v_fma_f64 v[127:128], v[157:158], v[129:130], v[127:128]
	ds_read_b64 v[129:130], v126 offset:984
	s_waitcnt vmcnt(6) lgkmcnt(1)
	v_fma_f64 v[127:128], v[153:154], v[131:132], v[127:128]
	s_waitcnt vmcnt(3)
	v_fma_f64 v[127:128], v[137:138], v[133:134], v[127:128]
	s_waitcnt vmcnt(2) lgkmcnt(0)
	v_fma_f64 v[127:128], v[159:160], v[129:130], v[127:128]
	s_waitcnt vmcnt(0)
	v_add_f64 v[127:128], v[143:144], -v[127:128]
	buffer_store_dword v128, off, s[0:3], 0 offset:68
	buffer_store_dword v127, off, s[0:3], 0 offset:64
	v_cmpx_lt_u32_e32 7, v0
	s_cbranch_execz .LBB61_367
; %bb.366:
	s_clause 0x1
	buffer_load_dword v127, off, s[0:3], 0 offset:56
	buffer_load_dword v128, off, s[0:3], 0 offset:60
	buffer_store_dword v126, off, s[0:3], 0 offset:56
	buffer_store_dword v126, off, s[0:3], 0 offset:60
	s_waitcnt vmcnt(0)
	ds_write_b64 v125, v[127:128]
.LBB61_367:
	s_or_b32 exec_lo, exec_lo, s4
	s_waitcnt lgkmcnt(0)
	s_waitcnt_vscnt null, 0x0
	s_barrier
	buffer_gl0_inv
	s_clause 0x1c
	buffer_load_dword v135, off, s[0:3], 0 offset:64
	buffer_load_dword v136, off, s[0:3], 0 offset:68
	;; [unrolled: 1-line block ×29, first 2 shown]
	ds_read_b128 v[127:130], v126 offset:560
	ds_read_b128 v[131:134], v126 offset:576
	buffer_load_dword v160, off, s[0:3], 0 offset:180
	s_mov_b32 s4, exec_lo
	s_waitcnt vmcnt(28) lgkmcnt(1)
	v_fma_f64 v[127:128], v[135:136], v[127:128], 0
	s_clause 0x7
	buffer_load_dword v136, off, s[0:3], 0 offset:188
	buffer_load_dword v165, off, s[0:3], 0 offset:208
	buffer_load_dword v167, off, s[0:3], 0 offset:200
	buffer_load_dword v169, off, s[0:3], 0 offset:192
	buffer_load_dword v135, off, s[0:3], 0 offset:184
	buffer_load_dword v170, off, s[0:3], 0 offset:196
	buffer_load_dword v168, off, s[0:3], 0 offset:204
	buffer_load_dword v166, off, s[0:3], 0 offset:212
	s_waitcnt vmcnt(34)
	v_fma_f64 v[127:128], v[137:138], v[129:130], v[127:128]
	s_waitcnt vmcnt(32) lgkmcnt(0)
	v_fma_f64 v[127:128], v[139:140], v[131:132], v[127:128]
	s_waitcnt vmcnt(30)
	v_fma_f64 v[137:138], v[141:142], v[133:134], v[127:128]
	ds_read_b128 v[127:130], v126 offset:592
	ds_read_b128 v[131:134], v126 offset:608
	s_waitcnt vmcnt(28) lgkmcnt(1)
	v_fma_f64 v[127:128], v[143:144], v[127:128], v[137:138]
	s_clause 0x7
	buffer_load_dword v138, off, s[0:3], 0 offset:220
	buffer_load_dword v139, off, s[0:3], 0 offset:240
	buffer_load_dword v141, off, s[0:3], 0 offset:232
	buffer_load_dword v143, off, s[0:3], 0 offset:224
	buffer_load_dword v137, off, s[0:3], 0 offset:216
	buffer_load_dword v144, off, s[0:3], 0 offset:228
	buffer_load_dword v142, off, s[0:3], 0 offset:236
	buffer_load_dword v140, off, s[0:3], 0 offset:244
	s_waitcnt vmcnt(34)
	v_fma_f64 v[127:128], v[145:146], v[129:130], v[127:128]
	s_waitcnt vmcnt(32) lgkmcnt(0)
	v_fma_f64 v[127:128], v[147:148], v[131:132], v[127:128]
	s_waitcnt vmcnt(27)
	v_fma_f64 v[145:146], v[149:150], v[133:134], v[127:128]
	ds_read_b128 v[127:130], v126 offset:624
	ds_read_b128 v[131:134], v126 offset:640
	;; [unrolled: 19-line block ×9, first 2 shown]
	s_waitcnt vmcnt(26) lgkmcnt(1)
	v_fma_f64 v[127:128], v[167:168], v[127:128], v[137:138]
	s_clause 0x5
	buffer_load_dword v138, off, s[0:3], 0 offset:476
	buffer_load_dword v159, off, s[0:3], 0 offset:488
	;; [unrolled: 1-line block ×6, first 2 shown]
	s_waitcnt vmcnt(31)
	v_fma_f64 v[127:128], v[165:166], v[129:130], v[127:128]
	s_waitcnt vmcnt(30) lgkmcnt(0)
	v_fma_f64 v[127:128], v[143:144], v[131:132], v[127:128]
	s_waitcnt vmcnt(25)
	v_fma_f64 v[139:140], v[139:140], v[133:134], v[127:128]
	ds_read_b128 v[127:130], v126 offset:880
	s_clause 0x1
	buffer_load_dword v143, off, s[0:3], 0 offset:56
	buffer_load_dword v144, off, s[0:3], 0 offset:60
	ds_read_b128 v[131:134], v126 offset:896
	s_waitcnt vmcnt(26) lgkmcnt(1)
	v_fma_f64 v[127:128], v[155:156], v[127:128], v[139:140]
	s_waitcnt vmcnt(25)
	v_fma_f64 v[127:128], v[145:146], v[129:130], v[127:128]
	s_waitcnt vmcnt(24) lgkmcnt(0)
	v_fma_f64 v[127:128], v[141:142], v[131:132], v[127:128]
	s_waitcnt vmcnt(19)
	v_fma_f64 v[139:140], v[147:148], v[133:134], v[127:128]
	ds_read_b128 v[127:130], v126 offset:912
	ds_read_b128 v[131:134], v126 offset:928
	s_waitcnt vmcnt(18) lgkmcnt(1)
	v_fma_f64 v[127:128], v[163:164], v[127:128], v[139:140]
	s_waitcnt vmcnt(17)
	v_fma_f64 v[127:128], v[151:152], v[129:130], v[127:128]
	s_waitcnt vmcnt(16) lgkmcnt(0)
	v_fma_f64 v[127:128], v[149:150], v[131:132], v[127:128]
	s_waitcnt vmcnt(11)
	v_fma_f64 v[135:136], v[135:136], v[133:134], v[127:128]
	ds_read_b128 v[127:130], v126 offset:944
	;; [unrolled: 10-line block ×3, first 2 shown]
	s_waitcnt vmcnt(3) lgkmcnt(0)
	v_fma_f64 v[126:127], v[161:162], v[126:127], v[130:131]
	s_waitcnt vmcnt(2)
	v_fma_f64 v[126:127], v[159:160], v[128:129], v[126:127]
	s_waitcnt vmcnt(0)
	v_add_f64 v[126:127], v[143:144], -v[126:127]
	buffer_store_dword v127, off, s[0:3], 0 offset:60
	buffer_store_dword v126, off, s[0:3], 0 offset:56
	v_cmpx_lt_u32_e32 6, v0
	s_cbranch_execz .LBB61_369
; %bb.368:
	s_clause 0x1
	buffer_load_dword v126, off, s[0:3], 0 offset:48
	buffer_load_dword v127, off, s[0:3], 0 offset:52
	v_mov_b32_e32 v128, 0
	buffer_store_dword v128, off, s[0:3], 0 offset:48
	buffer_store_dword v128, off, s[0:3], 0 offset:52
	s_waitcnt vmcnt(0)
	ds_write_b64 v125, v[126:127]
.LBB61_369:
	s_or_b32 exec_lo, exec_lo, s4
	s_waitcnt lgkmcnt(0)
	s_waitcnt_vscnt null, 0x0
	s_barrier
	buffer_gl0_inv
	s_clause 0x1c
	buffer_load_dword v135, off, s[0:3], 0 offset:56
	buffer_load_dword v136, off, s[0:3], 0 offset:60
	;; [unrolled: 1-line block ×29, first 2 shown]
	v_mov_b32_e32 v126, 0
	buffer_load_dword v160, off, s[0:3], 0 offset:172
	s_mov_b32 s4, exec_lo
	ds_read2_b64 v[127:130], v126 offset0:69 offset1:70
	ds_read2_b64 v[131:134], v126 offset0:71 offset1:72
	s_waitcnt vmcnt(28) lgkmcnt(1)
	v_fma_f64 v[127:128], v[135:136], v[127:128], 0
	s_clause 0x7
	buffer_load_dword v136, off, s[0:3], 0 offset:180
	buffer_load_dword v165, off, s[0:3], 0 offset:200
	buffer_load_dword v167, off, s[0:3], 0 offset:192
	buffer_load_dword v169, off, s[0:3], 0 offset:184
	buffer_load_dword v135, off, s[0:3], 0 offset:176
	buffer_load_dword v170, off, s[0:3], 0 offset:188
	buffer_load_dword v168, off, s[0:3], 0 offset:196
	buffer_load_dword v166, off, s[0:3], 0 offset:204
	s_waitcnt vmcnt(34)
	v_fma_f64 v[127:128], v[137:138], v[129:130], v[127:128]
	s_waitcnt vmcnt(32) lgkmcnt(0)
	v_fma_f64 v[127:128], v[139:140], v[131:132], v[127:128]
	s_waitcnt vmcnt(30)
	v_fma_f64 v[137:138], v[141:142], v[133:134], v[127:128]
	ds_read2_b64 v[127:130], v126 offset0:73 offset1:74
	ds_read2_b64 v[131:134], v126 offset0:75 offset1:76
	s_waitcnt vmcnt(28) lgkmcnt(1)
	v_fma_f64 v[127:128], v[143:144], v[127:128], v[137:138]
	s_clause 0x7
	buffer_load_dword v138, off, s[0:3], 0 offset:212
	buffer_load_dword v139, off, s[0:3], 0 offset:232
	buffer_load_dword v141, off, s[0:3], 0 offset:224
	buffer_load_dword v143, off, s[0:3], 0 offset:216
	buffer_load_dword v137, off, s[0:3], 0 offset:208
	buffer_load_dword v144, off, s[0:3], 0 offset:220
	buffer_load_dword v142, off, s[0:3], 0 offset:228
	buffer_load_dword v140, off, s[0:3], 0 offset:236
	s_waitcnt vmcnt(34)
	v_fma_f64 v[127:128], v[145:146], v[129:130], v[127:128]
	s_waitcnt vmcnt(32) lgkmcnt(0)
	v_fma_f64 v[127:128], v[147:148], v[131:132], v[127:128]
	s_waitcnt vmcnt(27)
	v_fma_f64 v[145:146], v[149:150], v[133:134], v[127:128]
	ds_read2_b64 v[127:130], v126 offset0:77 offset1:78
	ds_read2_b64 v[131:134], v126 offset0:79 offset1:80
	s_waitcnt vmcnt(26) lgkmcnt(1)
	v_fma_f64 v[127:128], v[155:156], v[127:128], v[145:146]
	s_clause 0x7
	buffer_load_dword v146, off, s[0:3], 0 offset:244
	buffer_load_dword v147, off, s[0:3], 0 offset:264
	buffer_load_dword v149, off, s[0:3], 0 offset:256
	buffer_load_dword v155, off, s[0:3], 0 offset:248
	buffer_load_dword v145, off, s[0:3], 0 offset:240
	buffer_load_dword v156, off, s[0:3], 0 offset:252
	buffer_load_dword v150, off, s[0:3], 0 offset:260
	buffer_load_dword v148, off, s[0:3], 0 offset:268
	s_waitcnt vmcnt(33)
	v_fma_f64 v[127:128], v[153:154], v[129:130], v[127:128]
	s_waitcnt vmcnt(32) lgkmcnt(0)
	v_fma_f64 v[127:128], v[151:152], v[131:132], v[127:128]
	s_waitcnt vmcnt(27)
	v_fma_f64 v[151:152], v[157:158], v[133:134], v[127:128]
	ds_read2_b64 v[127:130], v126 offset0:81 offset1:82
	ds_read2_b64 v[131:134], v126 offset0:83 offset1:84
	s_waitcnt vmcnt(26) lgkmcnt(1)
	v_fma_f64 v[127:128], v[163:164], v[127:128], v[151:152]
	s_clause 0x7
	buffer_load_dword v152, off, s[0:3], 0 offset:276
	buffer_load_dword v153, off, s[0:3], 0 offset:296
	buffer_load_dword v157, off, s[0:3], 0 offset:288
	buffer_load_dword v163, off, s[0:3], 0 offset:280
	buffer_load_dword v151, off, s[0:3], 0 offset:272
	buffer_load_dword v164, off, s[0:3], 0 offset:284
	buffer_load_dword v158, off, s[0:3], 0 offset:292
	buffer_load_dword v154, off, s[0:3], 0 offset:300
	s_waitcnt vmcnt(33)
	v_fma_f64 v[127:128], v[161:162], v[129:130], v[127:128]
	s_waitcnt vmcnt(32) lgkmcnt(0)
	v_fma_f64 v[127:128], v[159:160], v[131:132], v[127:128]
	s_waitcnt vmcnt(27)
	v_fma_f64 v[135:136], v[135:136], v[133:134], v[127:128]
	ds_read2_b64 v[127:130], v126 offset0:85 offset1:86
	ds_read2_b64 v[131:134], v126 offset0:87 offset1:88
	s_waitcnt vmcnt(26) lgkmcnt(1)
	v_fma_f64 v[127:128], v[169:170], v[127:128], v[135:136]
	s_clause 0x7
	buffer_load_dword v136, off, s[0:3], 0 offset:308
	buffer_load_dword v159, off, s[0:3], 0 offset:328
	buffer_load_dword v161, off, s[0:3], 0 offset:320
	buffer_load_dword v169, off, s[0:3], 0 offset:312
	buffer_load_dword v135, off, s[0:3], 0 offset:304
	buffer_load_dword v170, off, s[0:3], 0 offset:316
	buffer_load_dword v162, off, s[0:3], 0 offset:324
	buffer_load_dword v160, off, s[0:3], 0 offset:332
	s_waitcnt vmcnt(33)
	v_fma_f64 v[127:128], v[167:168], v[129:130], v[127:128]
	s_waitcnt vmcnt(32) lgkmcnt(0)
	v_fma_f64 v[127:128], v[165:166], v[131:132], v[127:128]
	s_waitcnt vmcnt(27)
	v_fma_f64 v[137:138], v[137:138], v[133:134], v[127:128]
	ds_read2_b64 v[127:130], v126 offset0:89 offset1:90
	ds_read2_b64 v[131:134], v126 offset0:91 offset1:92
	s_waitcnt vmcnt(26) lgkmcnt(1)
	v_fma_f64 v[127:128], v[143:144], v[127:128], v[137:138]
	s_clause 0x7
	buffer_load_dword v138, off, s[0:3], 0 offset:340
	buffer_load_dword v143, off, s[0:3], 0 offset:360
	buffer_load_dword v165, off, s[0:3], 0 offset:352
	buffer_load_dword v167, off, s[0:3], 0 offset:344
	buffer_load_dword v137, off, s[0:3], 0 offset:336
	buffer_load_dword v168, off, s[0:3], 0 offset:348
	buffer_load_dword v166, off, s[0:3], 0 offset:356
	buffer_load_dword v144, off, s[0:3], 0 offset:364
	s_waitcnt vmcnt(33)
	v_fma_f64 v[127:128], v[141:142], v[129:130], v[127:128]
	s_waitcnt vmcnt(32) lgkmcnt(0)
	v_fma_f64 v[127:128], v[139:140], v[131:132], v[127:128]
	s_waitcnt vmcnt(27)
	v_fma_f64 v[139:140], v[145:146], v[133:134], v[127:128]
	ds_read2_b64 v[127:130], v126 offset0:93 offset1:94
	ds_read2_b64 v[131:134], v126 offset0:95 offset1:96
	s_waitcnt vmcnt(26) lgkmcnt(1)
	v_fma_f64 v[127:128], v[155:156], v[127:128], v[139:140]
	s_clause 0x7
	buffer_load_dword v140, off, s[0:3], 0 offset:372
	buffer_load_dword v141, off, s[0:3], 0 offset:392
	buffer_load_dword v145, off, s[0:3], 0 offset:384
	buffer_load_dword v155, off, s[0:3], 0 offset:376
	buffer_load_dword v139, off, s[0:3], 0 offset:368
	buffer_load_dword v156, off, s[0:3], 0 offset:380
	buffer_load_dword v146, off, s[0:3], 0 offset:388
	buffer_load_dword v142, off, s[0:3], 0 offset:396
	s_waitcnt vmcnt(33)
	v_fma_f64 v[127:128], v[149:150], v[129:130], v[127:128]
	s_waitcnt vmcnt(32) lgkmcnt(0)
	v_fma_f64 v[127:128], v[147:148], v[131:132], v[127:128]
	s_waitcnt vmcnt(27)
	v_fma_f64 v[147:148], v[151:152], v[133:134], v[127:128]
	ds_read2_b64 v[127:130], v126 offset0:97 offset1:98
	ds_read2_b64 v[131:134], v126 offset0:99 offset1:100
	s_waitcnt vmcnt(26) lgkmcnt(1)
	v_fma_f64 v[127:128], v[163:164], v[127:128], v[147:148]
	s_clause 0x7
	buffer_load_dword v148, off, s[0:3], 0 offset:404
	buffer_load_dword v149, off, s[0:3], 0 offset:424
	buffer_load_dword v151, off, s[0:3], 0 offset:416
	buffer_load_dword v163, off, s[0:3], 0 offset:408
	buffer_load_dword v147, off, s[0:3], 0 offset:400
	buffer_load_dword v164, off, s[0:3], 0 offset:412
	buffer_load_dword v152, off, s[0:3], 0 offset:420
	buffer_load_dword v150, off, s[0:3], 0 offset:428
	s_waitcnt vmcnt(33)
	v_fma_f64 v[127:128], v[157:158], v[129:130], v[127:128]
	s_waitcnt vmcnt(32) lgkmcnt(0)
	v_fma_f64 v[127:128], v[153:154], v[131:132], v[127:128]
	s_waitcnt vmcnt(27)
	v_fma_f64 v[135:136], v[135:136], v[133:134], v[127:128]
	ds_read2_b64 v[127:130], v126 offset0:101 offset1:102
	ds_read2_b64 v[131:134], v126 offset0:103 offset1:104
	s_waitcnt vmcnt(26) lgkmcnt(1)
	v_fma_f64 v[127:128], v[169:170], v[127:128], v[135:136]
	s_clause 0x7
	buffer_load_dword v136, off, s[0:3], 0 offset:436
	buffer_load_dword v153, off, s[0:3], 0 offset:456
	buffer_load_dword v157, off, s[0:3], 0 offset:448
	buffer_load_dword v169, off, s[0:3], 0 offset:440
	buffer_load_dword v135, off, s[0:3], 0 offset:432
	buffer_load_dword v170, off, s[0:3], 0 offset:444
	buffer_load_dword v158, off, s[0:3], 0 offset:452
	buffer_load_dword v154, off, s[0:3], 0 offset:460
	s_waitcnt vmcnt(33)
	v_fma_f64 v[127:128], v[161:162], v[129:130], v[127:128]
	s_waitcnt vmcnt(32) lgkmcnt(0)
	v_fma_f64 v[127:128], v[159:160], v[131:132], v[127:128]
	s_waitcnt vmcnt(27)
	v_fma_f64 v[137:138], v[137:138], v[133:134], v[127:128]
	ds_read2_b64 v[127:130], v126 offset0:105 offset1:106
	ds_read2_b64 v[131:134], v126 offset0:107 offset1:108
	s_waitcnt vmcnt(26) lgkmcnt(1)
	v_fma_f64 v[127:128], v[167:168], v[127:128], v[137:138]
	s_clause 0x7
	buffer_load_dword v138, off, s[0:3], 0 offset:468
	buffer_load_dword v159, off, s[0:3], 0 offset:488
	buffer_load_dword v161, off, s[0:3], 0 offset:480
	buffer_load_dword v167, off, s[0:3], 0 offset:472
	buffer_load_dword v137, off, s[0:3], 0 offset:464
	buffer_load_dword v168, off, s[0:3], 0 offset:476
	buffer_load_dword v162, off, s[0:3], 0 offset:484
	buffer_load_dword v160, off, s[0:3], 0 offset:492
	s_waitcnt vmcnt(33)
	v_fma_f64 v[127:128], v[165:166], v[129:130], v[127:128]
	s_waitcnt vmcnt(32) lgkmcnt(0)
	v_fma_f64 v[127:128], v[143:144], v[131:132], v[127:128]
	s_waitcnt vmcnt(27)
	v_fma_f64 v[139:140], v[139:140], v[133:134], v[127:128]
	ds_read2_b64 v[127:130], v126 offset0:109 offset1:110
	ds_read2_b64 v[131:134], v126 offset0:111 offset1:112
	s_waitcnt vmcnt(26) lgkmcnt(1)
	v_fma_f64 v[127:128], v[155:156], v[127:128], v[139:140]
	s_clause 0x1
	buffer_load_dword v139, off, s[0:3], 0 offset:48
	buffer_load_dword v140, off, s[0:3], 0 offset:52
	s_waitcnt vmcnt(27)
	v_fma_f64 v[127:128], v[145:146], v[129:130], v[127:128]
	s_waitcnt vmcnt(26) lgkmcnt(0)
	v_fma_f64 v[127:128], v[141:142], v[131:132], v[127:128]
	s_waitcnt vmcnt(21)
	v_fma_f64 v[141:142], v[147:148], v[133:134], v[127:128]
	ds_read2_b64 v[127:130], v126 offset0:113 offset1:114
	ds_read2_b64 v[131:134], v126 offset0:115 offset1:116
	s_waitcnt vmcnt(20) lgkmcnt(1)
	v_fma_f64 v[127:128], v[163:164], v[127:128], v[141:142]
	s_waitcnt vmcnt(19)
	v_fma_f64 v[127:128], v[151:152], v[129:130], v[127:128]
	s_waitcnt vmcnt(18) lgkmcnt(0)
	v_fma_f64 v[127:128], v[149:150], v[131:132], v[127:128]
	s_waitcnt vmcnt(13)
	v_fma_f64 v[135:136], v[135:136], v[133:134], v[127:128]
	ds_read2_b64 v[127:130], v126 offset0:117 offset1:118
	ds_read2_b64 v[131:134], v126 offset0:119 offset1:120
	s_waitcnt vmcnt(12) lgkmcnt(1)
	v_fma_f64 v[127:128], v[169:170], v[127:128], v[135:136]
	s_waitcnt vmcnt(11)
	v_fma_f64 v[127:128], v[157:158], v[129:130], v[127:128]
	s_waitcnt vmcnt(10) lgkmcnt(0)
	v_fma_f64 v[127:128], v[153:154], v[131:132], v[127:128]
	s_waitcnt vmcnt(5)
	v_fma_f64 v[131:132], v[137:138], v[133:134], v[127:128]
	ds_read2_b64 v[127:130], v126 offset0:121 offset1:122
	ds_read_b64 v[133:134], v126 offset:984
	s_waitcnt vmcnt(4) lgkmcnt(1)
	v_fma_f64 v[127:128], v[167:168], v[127:128], v[131:132]
	s_waitcnt vmcnt(3)
	v_fma_f64 v[127:128], v[161:162], v[129:130], v[127:128]
	s_waitcnt vmcnt(2) lgkmcnt(0)
	v_fma_f64 v[127:128], v[159:160], v[133:134], v[127:128]
	s_waitcnt vmcnt(0)
	v_add_f64 v[127:128], v[139:140], -v[127:128]
	buffer_store_dword v128, off, s[0:3], 0 offset:52
	buffer_store_dword v127, off, s[0:3], 0 offset:48
	v_cmpx_lt_u32_e32 5, v0
	s_cbranch_execz .LBB61_371
; %bb.370:
	s_clause 0x1
	buffer_load_dword v127, off, s[0:3], 0 offset:40
	buffer_load_dword v128, off, s[0:3], 0 offset:44
	buffer_store_dword v126, off, s[0:3], 0 offset:40
	buffer_store_dword v126, off, s[0:3], 0 offset:44
	s_waitcnt vmcnt(0)
	ds_write_b64 v125, v[127:128]
.LBB61_371:
	s_or_b32 exec_lo, exec_lo, s4
	s_waitcnt lgkmcnt(0)
	s_waitcnt_vscnt null, 0x0
	s_barrier
	buffer_gl0_inv
	s_clause 0x1c
	buffer_load_dword v135, off, s[0:3], 0 offset:48
	buffer_load_dword v136, off, s[0:3], 0 offset:52
	buffer_load_dword v137, off, s[0:3], 0 offset:56
	buffer_load_dword v138, off, s[0:3], 0 offset:60
	buffer_load_dword v139, off, s[0:3], 0 offset:64
	buffer_load_dword v140, off, s[0:3], 0 offset:68
	buffer_load_dword v141, off, s[0:3], 0 offset:72
	buffer_load_dword v142, off, s[0:3], 0 offset:76
	buffer_load_dword v143, off, s[0:3], 0 offset:80
	buffer_load_dword v144, off, s[0:3], 0 offset:84
	buffer_load_dword v145, off, s[0:3], 0 offset:88
	buffer_load_dword v146, off, s[0:3], 0 offset:92
	buffer_load_dword v147, off, s[0:3], 0 offset:96
	buffer_load_dword v148, off, s[0:3], 0 offset:100
	buffer_load_dword v150, off, s[0:3], 0 offset:108
	buffer_load_dword v151, off, s[0:3], 0 offset:128
	buffer_load_dword v153, off, s[0:3], 0 offset:120
	buffer_load_dword v155, off, s[0:3], 0 offset:112
	buffer_load_dword v149, off, s[0:3], 0 offset:104
	buffer_load_dword v156, off, s[0:3], 0 offset:116
	buffer_load_dword v154, off, s[0:3], 0 offset:124
	buffer_load_dword v152, off, s[0:3], 0 offset:132
	buffer_load_dword v158, off, s[0:3], 0 offset:140
	buffer_load_dword v159, off, s[0:3], 0 offset:160
	buffer_load_dword v161, off, s[0:3], 0 offset:152
	buffer_load_dword v163, off, s[0:3], 0 offset:144
	buffer_load_dword v157, off, s[0:3], 0 offset:136
	buffer_load_dword v164, off, s[0:3], 0 offset:148
	buffer_load_dword v162, off, s[0:3], 0 offset:156
	ds_read_b128 v[127:130], v126 offset:544
	ds_read_b128 v[131:134], v126 offset:560
	buffer_load_dword v160, off, s[0:3], 0 offset:164
	s_mov_b32 s4, exec_lo
	s_waitcnt vmcnt(28) lgkmcnt(1)
	v_fma_f64 v[127:128], v[135:136], v[127:128], 0
	s_clause 0x7
	buffer_load_dword v136, off, s[0:3], 0 offset:172
	buffer_load_dword v165, off, s[0:3], 0 offset:192
	buffer_load_dword v167, off, s[0:3], 0 offset:184
	buffer_load_dword v169, off, s[0:3], 0 offset:176
	buffer_load_dword v135, off, s[0:3], 0 offset:168
	buffer_load_dword v170, off, s[0:3], 0 offset:180
	buffer_load_dword v168, off, s[0:3], 0 offset:188
	buffer_load_dword v166, off, s[0:3], 0 offset:196
	s_waitcnt vmcnt(34)
	v_fma_f64 v[127:128], v[137:138], v[129:130], v[127:128]
	s_waitcnt vmcnt(32) lgkmcnt(0)
	v_fma_f64 v[127:128], v[139:140], v[131:132], v[127:128]
	s_waitcnt vmcnt(30)
	v_fma_f64 v[137:138], v[141:142], v[133:134], v[127:128]
	ds_read_b128 v[127:130], v126 offset:576
	ds_read_b128 v[131:134], v126 offset:592
	s_waitcnt vmcnt(28) lgkmcnt(1)
	v_fma_f64 v[127:128], v[143:144], v[127:128], v[137:138]
	s_clause 0x7
	buffer_load_dword v138, off, s[0:3], 0 offset:204
	buffer_load_dword v139, off, s[0:3], 0 offset:224
	buffer_load_dword v141, off, s[0:3], 0 offset:216
	buffer_load_dword v143, off, s[0:3], 0 offset:208
	buffer_load_dword v137, off, s[0:3], 0 offset:200
	buffer_load_dword v144, off, s[0:3], 0 offset:212
	buffer_load_dword v142, off, s[0:3], 0 offset:220
	buffer_load_dword v140, off, s[0:3], 0 offset:228
	s_waitcnt vmcnt(34)
	v_fma_f64 v[127:128], v[145:146], v[129:130], v[127:128]
	s_waitcnt vmcnt(32) lgkmcnt(0)
	v_fma_f64 v[127:128], v[147:148], v[131:132], v[127:128]
	s_waitcnt vmcnt(27)
	v_fma_f64 v[145:146], v[149:150], v[133:134], v[127:128]
	ds_read_b128 v[127:130], v126 offset:608
	ds_read_b128 v[131:134], v126 offset:624
	;; [unrolled: 19-line block ×10, first 2 shown]
	s_waitcnt vmcnt(26) lgkmcnt(1)
	v_fma_f64 v[127:128], v[155:156], v[127:128], v[139:140]
	s_clause 0x3
	buffer_load_dword v140, off, s[0:3], 0 offset:492
	buffer_load_dword v139, off, s[0:3], 0 offset:488
	;; [unrolled: 1-line block ×4, first 2 shown]
	s_waitcnt vmcnt(29)
	v_fma_f64 v[127:128], v[145:146], v[129:130], v[127:128]
	s_waitcnt vmcnt(28) lgkmcnt(0)
	v_fma_f64 v[127:128], v[141:142], v[131:132], v[127:128]
	s_waitcnt vmcnt(23)
	v_fma_f64 v[141:142], v[147:148], v[133:134], v[127:128]
	ds_read_b128 v[127:130], v126 offset:896
	ds_read_b128 v[131:134], v126 offset:912
	s_waitcnt vmcnt(22) lgkmcnt(1)
	v_fma_f64 v[127:128], v[163:164], v[127:128], v[141:142]
	s_waitcnt vmcnt(21)
	v_fma_f64 v[127:128], v[151:152], v[129:130], v[127:128]
	s_waitcnt vmcnt(20) lgkmcnt(0)
	v_fma_f64 v[127:128], v[149:150], v[131:132], v[127:128]
	s_waitcnt vmcnt(15)
	v_fma_f64 v[135:136], v[135:136], v[133:134], v[127:128]
	ds_read_b128 v[127:130], v126 offset:928
	ds_read_b128 v[131:134], v126 offset:944
	s_waitcnt vmcnt(14) lgkmcnt(1)
	v_fma_f64 v[127:128], v[169:170], v[127:128], v[135:136]
	;; [unrolled: 10-line block ×3, first 2 shown]
	s_waitcnt vmcnt(5)
	v_fma_f64 v[126:127], v[161:162], v[129:130], v[126:127]
	s_waitcnt vmcnt(4) lgkmcnt(0)
	v_fma_f64 v[126:127], v[159:160], v[131:132], v[126:127]
	s_waitcnt vmcnt(2)
	v_fma_f64 v[126:127], v[139:140], v[133:134], v[126:127]
	s_waitcnt vmcnt(0)
	v_add_f64 v[126:127], v[143:144], -v[126:127]
	buffer_store_dword v127, off, s[0:3], 0 offset:44
	buffer_store_dword v126, off, s[0:3], 0 offset:40
	v_cmpx_lt_u32_e32 4, v0
	s_cbranch_execz .LBB61_373
; %bb.372:
	s_clause 0x1
	buffer_load_dword v126, off, s[0:3], 0 offset:32
	buffer_load_dword v127, off, s[0:3], 0 offset:36
	v_mov_b32_e32 v128, 0
	buffer_store_dword v128, off, s[0:3], 0 offset:32
	buffer_store_dword v128, off, s[0:3], 0 offset:36
	s_waitcnt vmcnt(0)
	ds_write_b64 v125, v[126:127]
.LBB61_373:
	s_or_b32 exec_lo, exec_lo, s4
	s_waitcnt lgkmcnt(0)
	s_waitcnt_vscnt null, 0x0
	s_barrier
	buffer_gl0_inv
	s_clause 0x1c
	buffer_load_dword v135, off, s[0:3], 0 offset:40
	buffer_load_dword v136, off, s[0:3], 0 offset:44
	;; [unrolled: 1-line block ×29, first 2 shown]
	v_mov_b32_e32 v126, 0
	buffer_load_dword v160, off, s[0:3], 0 offset:156
	s_mov_b32 s4, exec_lo
	ds_read2_b64 v[127:130], v126 offset0:67 offset1:68
	ds_read2_b64 v[131:134], v126 offset0:69 offset1:70
	s_waitcnt vmcnt(28) lgkmcnt(1)
	v_fma_f64 v[127:128], v[135:136], v[127:128], 0
	s_clause 0x7
	buffer_load_dword v136, off, s[0:3], 0 offset:164
	buffer_load_dword v165, off, s[0:3], 0 offset:184
	buffer_load_dword v167, off, s[0:3], 0 offset:176
	buffer_load_dword v169, off, s[0:3], 0 offset:168
	buffer_load_dword v135, off, s[0:3], 0 offset:160
	buffer_load_dword v170, off, s[0:3], 0 offset:172
	buffer_load_dword v168, off, s[0:3], 0 offset:180
	buffer_load_dword v166, off, s[0:3], 0 offset:188
	s_waitcnt vmcnt(34)
	v_fma_f64 v[127:128], v[137:138], v[129:130], v[127:128]
	s_waitcnt vmcnt(32) lgkmcnt(0)
	v_fma_f64 v[127:128], v[139:140], v[131:132], v[127:128]
	s_waitcnt vmcnt(30)
	v_fma_f64 v[137:138], v[141:142], v[133:134], v[127:128]
	ds_read2_b64 v[127:130], v126 offset0:71 offset1:72
	ds_read2_b64 v[131:134], v126 offset0:73 offset1:74
	s_waitcnt vmcnt(28) lgkmcnt(1)
	v_fma_f64 v[127:128], v[143:144], v[127:128], v[137:138]
	s_clause 0x7
	buffer_load_dword v138, off, s[0:3], 0 offset:196
	buffer_load_dword v139, off, s[0:3], 0 offset:216
	buffer_load_dword v141, off, s[0:3], 0 offset:208
	buffer_load_dword v143, off, s[0:3], 0 offset:200
	buffer_load_dword v137, off, s[0:3], 0 offset:192
	buffer_load_dword v144, off, s[0:3], 0 offset:204
	buffer_load_dword v142, off, s[0:3], 0 offset:212
	buffer_load_dword v140, off, s[0:3], 0 offset:220
	s_waitcnt vmcnt(34)
	v_fma_f64 v[127:128], v[145:146], v[129:130], v[127:128]
	s_waitcnt vmcnt(32) lgkmcnt(0)
	v_fma_f64 v[127:128], v[147:148], v[131:132], v[127:128]
	s_waitcnt vmcnt(27)
	v_fma_f64 v[145:146], v[149:150], v[133:134], v[127:128]
	;; [unrolled: 19-line block ×10, first 2 shown]
	ds_read2_b64 v[127:130], v126 offset0:107 offset1:108
	ds_read2_b64 v[131:134], v126 offset0:109 offset1:110
	s_waitcnt vmcnt(26) lgkmcnt(1)
	v_fma_f64 v[127:128], v[155:156], v[127:128], v[139:140]
	s_clause 0x3
	buffer_load_dword v140, off, s[0:3], 0 offset:484
	buffer_load_dword v143, off, s[0:3], 0 offset:488
	;; [unrolled: 1-line block ×4, first 2 shown]
	s_waitcnt vmcnt(29)
	v_fma_f64 v[127:128], v[145:146], v[129:130], v[127:128]
	s_waitcnt vmcnt(28) lgkmcnt(0)
	v_fma_f64 v[127:128], v[141:142], v[131:132], v[127:128]
	s_clause 0x1
	buffer_load_dword v141, off, s[0:3], 0 offset:32
	buffer_load_dword v142, off, s[0:3], 0 offset:36
	s_waitcnt vmcnt(25)
	v_fma_f64 v[145:146], v[147:148], v[133:134], v[127:128]
	ds_read2_b64 v[127:130], v126 offset0:111 offset1:112
	ds_read2_b64 v[131:134], v126 offset0:113 offset1:114
	s_waitcnt vmcnt(24) lgkmcnt(1)
	v_fma_f64 v[127:128], v[163:164], v[127:128], v[145:146]
	s_waitcnt vmcnt(23)
	v_fma_f64 v[127:128], v[151:152], v[129:130], v[127:128]
	s_waitcnt vmcnt(22) lgkmcnt(0)
	v_fma_f64 v[127:128], v[149:150], v[131:132], v[127:128]
	s_waitcnt vmcnt(17)
	v_fma_f64 v[135:136], v[135:136], v[133:134], v[127:128]
	ds_read2_b64 v[127:130], v126 offset0:115 offset1:116
	ds_read2_b64 v[131:134], v126 offset0:117 offset1:118
	s_waitcnt vmcnt(16) lgkmcnt(1)
	v_fma_f64 v[127:128], v[169:170], v[127:128], v[135:136]
	s_waitcnt vmcnt(15)
	v_fma_f64 v[127:128], v[157:158], v[129:130], v[127:128]
	s_waitcnt vmcnt(14) lgkmcnt(0)
	v_fma_f64 v[127:128], v[153:154], v[131:132], v[127:128]
	s_waitcnt vmcnt(9)
	v_fma_f64 v[135:136], v[137:138], v[133:134], v[127:128]
	ds_read2_b64 v[127:130], v126 offset0:119 offset1:120
	ds_read2_b64 v[131:134], v126 offset0:121 offset1:122
	s_waitcnt vmcnt(8) lgkmcnt(1)
	v_fma_f64 v[127:128], v[167:168], v[127:128], v[135:136]
	s_waitcnt vmcnt(7)
	v_fma_f64 v[127:128], v[161:162], v[129:130], v[127:128]
	ds_read_b64 v[129:130], v126 offset:984
	s_waitcnt vmcnt(6) lgkmcnt(1)
	v_fma_f64 v[127:128], v[159:160], v[131:132], v[127:128]
	s_waitcnt vmcnt(3)
	v_fma_f64 v[127:128], v[139:140], v[133:134], v[127:128]
	s_waitcnt vmcnt(2) lgkmcnt(0)
	v_fma_f64 v[127:128], v[143:144], v[129:130], v[127:128]
	s_waitcnt vmcnt(0)
	v_add_f64 v[127:128], v[141:142], -v[127:128]
	buffer_store_dword v128, off, s[0:3], 0 offset:36
	buffer_store_dword v127, off, s[0:3], 0 offset:32
	v_cmpx_lt_u32_e32 3, v0
	s_cbranch_execz .LBB61_375
; %bb.374:
	s_clause 0x1
	buffer_load_dword v127, off, s[0:3], 0 offset:24
	buffer_load_dword v128, off, s[0:3], 0 offset:28
	buffer_store_dword v126, off, s[0:3], 0 offset:24
	buffer_store_dword v126, off, s[0:3], 0 offset:28
	s_waitcnt vmcnt(0)
	ds_write_b64 v125, v[127:128]
.LBB61_375:
	s_or_b32 exec_lo, exec_lo, s4
	s_waitcnt lgkmcnt(0)
	s_waitcnt_vscnt null, 0x0
	s_barrier
	buffer_gl0_inv
	s_clause 0x1c
	buffer_load_dword v135, off, s[0:3], 0 offset:32
	buffer_load_dword v136, off, s[0:3], 0 offset:36
	;; [unrolled: 1-line block ×29, first 2 shown]
	ds_read_b128 v[127:130], v126 offset:528
	ds_read_b128 v[131:134], v126 offset:544
	buffer_load_dword v160, off, s[0:3], 0 offset:148
	s_mov_b32 s4, exec_lo
	s_waitcnt vmcnt(28) lgkmcnt(1)
	v_fma_f64 v[127:128], v[135:136], v[127:128], 0
	s_clause 0x7
	buffer_load_dword v136, off, s[0:3], 0 offset:156
	buffer_load_dword v165, off, s[0:3], 0 offset:176
	buffer_load_dword v167, off, s[0:3], 0 offset:168
	buffer_load_dword v169, off, s[0:3], 0 offset:160
	buffer_load_dword v135, off, s[0:3], 0 offset:152
	buffer_load_dword v170, off, s[0:3], 0 offset:164
	buffer_load_dword v168, off, s[0:3], 0 offset:172
	buffer_load_dword v166, off, s[0:3], 0 offset:180
	s_waitcnt vmcnt(34)
	v_fma_f64 v[127:128], v[137:138], v[129:130], v[127:128]
	s_waitcnt vmcnt(32) lgkmcnt(0)
	v_fma_f64 v[127:128], v[139:140], v[131:132], v[127:128]
	s_waitcnt vmcnt(30)
	v_fma_f64 v[137:138], v[141:142], v[133:134], v[127:128]
	ds_read_b128 v[127:130], v126 offset:560
	ds_read_b128 v[131:134], v126 offset:576
	s_waitcnt vmcnt(28) lgkmcnt(1)
	v_fma_f64 v[127:128], v[143:144], v[127:128], v[137:138]
	s_clause 0x7
	buffer_load_dword v138, off, s[0:3], 0 offset:188
	buffer_load_dword v139, off, s[0:3], 0 offset:208
	buffer_load_dword v141, off, s[0:3], 0 offset:200
	buffer_load_dword v143, off, s[0:3], 0 offset:192
	buffer_load_dword v137, off, s[0:3], 0 offset:184
	buffer_load_dword v144, off, s[0:3], 0 offset:196
	buffer_load_dword v142, off, s[0:3], 0 offset:204
	buffer_load_dword v140, off, s[0:3], 0 offset:212
	s_waitcnt vmcnt(34)
	v_fma_f64 v[127:128], v[145:146], v[129:130], v[127:128]
	s_waitcnt vmcnt(32) lgkmcnt(0)
	v_fma_f64 v[127:128], v[147:148], v[131:132], v[127:128]
	s_waitcnt vmcnt(27)
	v_fma_f64 v[145:146], v[149:150], v[133:134], v[127:128]
	ds_read_b128 v[127:130], v126 offset:592
	ds_read_b128 v[131:134], v126 offset:608
	;; [unrolled: 19-line block ×10, first 2 shown]
	s_waitcnt vmcnt(26) lgkmcnt(1)
	v_fma_f64 v[127:128], v[155:156], v[127:128], v[139:140]
	s_clause 0x5
	buffer_load_dword v140, off, s[0:3], 0 offset:476
	buffer_load_dword v143, off, s[0:3], 0 offset:488
	;; [unrolled: 1-line block ×6, first 2 shown]
	s_waitcnt vmcnt(31)
	v_fma_f64 v[127:128], v[145:146], v[129:130], v[127:128]
	s_waitcnt vmcnt(30) lgkmcnt(0)
	v_fma_f64 v[127:128], v[141:142], v[131:132], v[127:128]
	s_waitcnt vmcnt(25)
	v_fma_f64 v[141:142], v[147:148], v[133:134], v[127:128]
	ds_read_b128 v[127:130], v126 offset:880
	s_clause 0x1
	buffer_load_dword v145, off, s[0:3], 0 offset:24
	buffer_load_dword v146, off, s[0:3], 0 offset:28
	ds_read_b128 v[131:134], v126 offset:896
	s_waitcnt vmcnt(26) lgkmcnt(1)
	v_fma_f64 v[127:128], v[163:164], v[127:128], v[141:142]
	s_waitcnt vmcnt(25)
	v_fma_f64 v[127:128], v[151:152], v[129:130], v[127:128]
	s_waitcnt vmcnt(24) lgkmcnt(0)
	v_fma_f64 v[127:128], v[149:150], v[131:132], v[127:128]
	s_waitcnt vmcnt(19)
	v_fma_f64 v[135:136], v[135:136], v[133:134], v[127:128]
	ds_read_b128 v[127:130], v126 offset:912
	ds_read_b128 v[131:134], v126 offset:928
	s_waitcnt vmcnt(18) lgkmcnt(1)
	v_fma_f64 v[127:128], v[169:170], v[127:128], v[135:136]
	s_waitcnt vmcnt(17)
	v_fma_f64 v[127:128], v[157:158], v[129:130], v[127:128]
	s_waitcnt vmcnt(16) lgkmcnt(0)
	v_fma_f64 v[127:128], v[153:154], v[131:132], v[127:128]
	s_waitcnt vmcnt(11)
	v_fma_f64 v[135:136], v[137:138], v[133:134], v[127:128]
	ds_read_b128 v[127:130], v126 offset:944
	ds_read_b128 v[131:134], v126 offset:960
	s_waitcnt vmcnt(10) lgkmcnt(1)
	v_fma_f64 v[127:128], v[167:168], v[127:128], v[135:136]
	s_waitcnt vmcnt(9)
	v_fma_f64 v[127:128], v[161:162], v[129:130], v[127:128]
	s_waitcnt vmcnt(8) lgkmcnt(0)
	v_fma_f64 v[127:128], v[159:160], v[131:132], v[127:128]
	s_waitcnt vmcnt(4)
	v_fma_f64 v[130:131], v[139:140], v[133:134], v[127:128]
	ds_read_b128 v[126:129], v126 offset:976
	s_waitcnt vmcnt(3) lgkmcnt(0)
	v_fma_f64 v[126:127], v[155:156], v[126:127], v[130:131]
	s_waitcnt vmcnt(2)
	v_fma_f64 v[126:127], v[143:144], v[128:129], v[126:127]
	s_waitcnt vmcnt(0)
	v_add_f64 v[126:127], v[145:146], -v[126:127]
	buffer_store_dword v127, off, s[0:3], 0 offset:28
	buffer_store_dword v126, off, s[0:3], 0 offset:24
	v_cmpx_lt_u32_e32 2, v0
	s_cbranch_execz .LBB61_377
; %bb.376:
	s_clause 0x1
	buffer_load_dword v126, off, s[0:3], 0 offset:16
	buffer_load_dword v127, off, s[0:3], 0 offset:20
	v_mov_b32_e32 v128, 0
	buffer_store_dword v128, off, s[0:3], 0 offset:16
	buffer_store_dword v128, off, s[0:3], 0 offset:20
	s_waitcnt vmcnt(0)
	ds_write_b64 v125, v[126:127]
.LBB61_377:
	s_or_b32 exec_lo, exec_lo, s4
	s_waitcnt lgkmcnt(0)
	s_waitcnt_vscnt null, 0x0
	s_barrier
	buffer_gl0_inv
	s_clause 0x1c
	buffer_load_dword v135, off, s[0:3], 0 offset:24
	buffer_load_dword v136, off, s[0:3], 0 offset:28
	buffer_load_dword v137, off, s[0:3], 0 offset:32
	buffer_load_dword v138, off, s[0:3], 0 offset:36
	buffer_load_dword v139, off, s[0:3], 0 offset:40
	buffer_load_dword v140, off, s[0:3], 0 offset:44
	buffer_load_dword v141, off, s[0:3], 0 offset:48
	buffer_load_dword v142, off, s[0:3], 0 offset:52
	buffer_load_dword v143, off, s[0:3], 0 offset:56
	buffer_load_dword v144, off, s[0:3], 0 offset:60
	buffer_load_dword v145, off, s[0:3], 0 offset:64
	buffer_load_dword v146, off, s[0:3], 0 offset:68
	buffer_load_dword v147, off, s[0:3], 0 offset:72
	buffer_load_dword v148, off, s[0:3], 0 offset:76
	buffer_load_dword v150, off, s[0:3], 0 offset:84
	buffer_load_dword v151, off, s[0:3], 0 offset:104
	buffer_load_dword v153, off, s[0:3], 0 offset:96
	buffer_load_dword v155, off, s[0:3], 0 offset:88
	buffer_load_dword v149, off, s[0:3], 0 offset:80
	buffer_load_dword v156, off, s[0:3], 0 offset:92
	buffer_load_dword v154, off, s[0:3], 0 offset:100
	buffer_load_dword v152, off, s[0:3], 0 offset:108
	buffer_load_dword v158, off, s[0:3], 0 offset:116
	buffer_load_dword v159, off, s[0:3], 0 offset:136
	buffer_load_dword v161, off, s[0:3], 0 offset:128
	buffer_load_dword v163, off, s[0:3], 0 offset:120
	buffer_load_dword v157, off, s[0:3], 0 offset:112
	buffer_load_dword v164, off, s[0:3], 0 offset:124
	buffer_load_dword v162, off, s[0:3], 0 offset:132
	v_mov_b32_e32 v126, 0
	buffer_load_dword v160, off, s[0:3], 0 offset:140
	s_mov_b32 s4, exec_lo
	ds_read2_b64 v[127:130], v126 offset0:65 offset1:66
	ds_read2_b64 v[131:134], v126 offset0:67 offset1:68
	s_waitcnt vmcnt(28) lgkmcnt(1)
	v_fma_f64 v[127:128], v[135:136], v[127:128], 0
	s_clause 0x7
	buffer_load_dword v136, off, s[0:3], 0 offset:148
	buffer_load_dword v165, off, s[0:3], 0 offset:168
	buffer_load_dword v167, off, s[0:3], 0 offset:160
	buffer_load_dword v169, off, s[0:3], 0 offset:152
	buffer_load_dword v135, off, s[0:3], 0 offset:144
	buffer_load_dword v170, off, s[0:3], 0 offset:156
	buffer_load_dword v168, off, s[0:3], 0 offset:164
	buffer_load_dword v166, off, s[0:3], 0 offset:172
	s_waitcnt vmcnt(34)
	v_fma_f64 v[127:128], v[137:138], v[129:130], v[127:128]
	s_waitcnt vmcnt(32) lgkmcnt(0)
	v_fma_f64 v[127:128], v[139:140], v[131:132], v[127:128]
	s_waitcnt vmcnt(30)
	v_fma_f64 v[137:138], v[141:142], v[133:134], v[127:128]
	ds_read2_b64 v[127:130], v126 offset0:69 offset1:70
	ds_read2_b64 v[131:134], v126 offset0:71 offset1:72
	s_waitcnt vmcnt(28) lgkmcnt(1)
	v_fma_f64 v[127:128], v[143:144], v[127:128], v[137:138]
	s_clause 0x7
	buffer_load_dword v138, off, s[0:3], 0 offset:180
	buffer_load_dword v139, off, s[0:3], 0 offset:200
	buffer_load_dword v141, off, s[0:3], 0 offset:192
	buffer_load_dword v143, off, s[0:3], 0 offset:184
	buffer_load_dword v137, off, s[0:3], 0 offset:176
	buffer_load_dword v144, off, s[0:3], 0 offset:188
	buffer_load_dword v142, off, s[0:3], 0 offset:196
	buffer_load_dword v140, off, s[0:3], 0 offset:204
	s_waitcnt vmcnt(34)
	v_fma_f64 v[127:128], v[145:146], v[129:130], v[127:128]
	s_waitcnt vmcnt(32) lgkmcnt(0)
	v_fma_f64 v[127:128], v[147:148], v[131:132], v[127:128]
	s_waitcnt vmcnt(27)
	v_fma_f64 v[145:146], v[149:150], v[133:134], v[127:128]
	;; [unrolled: 19-line block ×11, first 2 shown]
	ds_read2_b64 v[127:130], v126 offset0:109 offset1:110
	ds_read2_b64 v[131:134], v126 offset0:111 offset1:112
	s_waitcnt vmcnt(26) lgkmcnt(1)
	v_fma_f64 v[127:128], v[163:164], v[127:128], v[141:142]
	s_clause 0x1
	buffer_load_dword v141, off, s[0:3], 0 offset:16
	buffer_load_dword v142, off, s[0:3], 0 offset:20
	s_waitcnt vmcnt(27)
	v_fma_f64 v[127:128], v[151:152], v[129:130], v[127:128]
	s_waitcnt vmcnt(26) lgkmcnt(0)
	v_fma_f64 v[127:128], v[149:150], v[131:132], v[127:128]
	s_waitcnt vmcnt(21)
	v_fma_f64 v[135:136], v[135:136], v[133:134], v[127:128]
	ds_read2_b64 v[127:130], v126 offset0:113 offset1:114
	ds_read2_b64 v[131:134], v126 offset0:115 offset1:116
	s_waitcnt vmcnt(20) lgkmcnt(1)
	v_fma_f64 v[127:128], v[169:170], v[127:128], v[135:136]
	s_waitcnt vmcnt(19)
	v_fma_f64 v[127:128], v[157:158], v[129:130], v[127:128]
	s_waitcnt vmcnt(18) lgkmcnt(0)
	v_fma_f64 v[127:128], v[153:154], v[131:132], v[127:128]
	s_waitcnt vmcnt(13)
	v_fma_f64 v[135:136], v[137:138], v[133:134], v[127:128]
	ds_read2_b64 v[127:130], v126 offset0:117 offset1:118
	ds_read2_b64 v[131:134], v126 offset0:119 offset1:120
	s_waitcnt vmcnt(12) lgkmcnt(1)
	v_fma_f64 v[127:128], v[167:168], v[127:128], v[135:136]
	s_waitcnt vmcnt(11)
	v_fma_f64 v[127:128], v[161:162], v[129:130], v[127:128]
	s_waitcnt vmcnt(10) lgkmcnt(0)
	v_fma_f64 v[127:128], v[159:160], v[131:132], v[127:128]
	s_waitcnt vmcnt(5)
	v_fma_f64 v[131:132], v[139:140], v[133:134], v[127:128]
	ds_read2_b64 v[127:130], v126 offset0:121 offset1:122
	ds_read_b64 v[133:134], v126 offset:984
	s_waitcnt vmcnt(4) lgkmcnt(1)
	v_fma_f64 v[127:128], v[165:166], v[127:128], v[131:132]
	s_waitcnt vmcnt(3)
	v_fma_f64 v[127:128], v[155:156], v[129:130], v[127:128]
	s_waitcnt vmcnt(2) lgkmcnt(0)
	v_fma_f64 v[127:128], v[143:144], v[133:134], v[127:128]
	s_waitcnt vmcnt(0)
	v_add_f64 v[127:128], v[141:142], -v[127:128]
	buffer_store_dword v128, off, s[0:3], 0 offset:20
	buffer_store_dword v127, off, s[0:3], 0 offset:16
	v_cmpx_lt_u32_e32 1, v0
	s_cbranch_execz .LBB61_379
; %bb.378:
	s_clause 0x1
	buffer_load_dword v127, off, s[0:3], 0 offset:8
	buffer_load_dword v128, off, s[0:3], 0 offset:12
	buffer_store_dword v126, off, s[0:3], 0 offset:8
	buffer_store_dword v126, off, s[0:3], 0 offset:12
	s_waitcnt vmcnt(0)
	ds_write_b64 v125, v[127:128]
.LBB61_379:
	s_or_b32 exec_lo, exec_lo, s4
	s_waitcnt lgkmcnt(0)
	s_waitcnt_vscnt null, 0x0
	s_barrier
	buffer_gl0_inv
	s_clause 0x1c
	buffer_load_dword v135, off, s[0:3], 0 offset:16
	buffer_load_dword v136, off, s[0:3], 0 offset:20
	;; [unrolled: 1-line block ×29, first 2 shown]
	ds_read_b128 v[127:130], v126 offset:512
	ds_read_b128 v[131:134], v126 offset:528
	buffer_load_dword v160, off, s[0:3], 0 offset:132
	s_mov_b32 s4, exec_lo
	s_waitcnt vmcnt(28) lgkmcnt(1)
	v_fma_f64 v[127:128], v[135:136], v[127:128], 0
	s_clause 0x7
	buffer_load_dword v136, off, s[0:3], 0 offset:140
	buffer_load_dword v165, off, s[0:3], 0 offset:160
	buffer_load_dword v167, off, s[0:3], 0 offset:152
	buffer_load_dword v169, off, s[0:3], 0 offset:144
	buffer_load_dword v135, off, s[0:3], 0 offset:136
	buffer_load_dword v170, off, s[0:3], 0 offset:148
	buffer_load_dword v168, off, s[0:3], 0 offset:156
	buffer_load_dword v166, off, s[0:3], 0 offset:164
	s_waitcnt vmcnt(34)
	v_fma_f64 v[127:128], v[137:138], v[129:130], v[127:128]
	s_waitcnt vmcnt(32) lgkmcnt(0)
	v_fma_f64 v[127:128], v[139:140], v[131:132], v[127:128]
	s_waitcnt vmcnt(30)
	v_fma_f64 v[137:138], v[141:142], v[133:134], v[127:128]
	ds_read_b128 v[127:130], v126 offset:544
	ds_read_b128 v[131:134], v126 offset:560
	s_waitcnt vmcnt(28) lgkmcnt(1)
	v_fma_f64 v[127:128], v[143:144], v[127:128], v[137:138]
	s_clause 0x7
	buffer_load_dword v138, off, s[0:3], 0 offset:172
	buffer_load_dword v139, off, s[0:3], 0 offset:192
	buffer_load_dword v141, off, s[0:3], 0 offset:184
	buffer_load_dword v143, off, s[0:3], 0 offset:176
	buffer_load_dword v137, off, s[0:3], 0 offset:168
	buffer_load_dword v144, off, s[0:3], 0 offset:180
	buffer_load_dword v142, off, s[0:3], 0 offset:188
	buffer_load_dword v140, off, s[0:3], 0 offset:196
	s_waitcnt vmcnt(34)
	v_fma_f64 v[127:128], v[145:146], v[129:130], v[127:128]
	s_waitcnt vmcnt(32) lgkmcnt(0)
	v_fma_f64 v[127:128], v[147:148], v[131:132], v[127:128]
	s_waitcnt vmcnt(27)
	v_fma_f64 v[145:146], v[149:150], v[133:134], v[127:128]
	ds_read_b128 v[127:130], v126 offset:576
	ds_read_b128 v[131:134], v126 offset:592
	;; [unrolled: 19-line block ×11, first 2 shown]
	s_waitcnt vmcnt(26) lgkmcnt(1)
	v_fma_f64 v[127:128], v[163:164], v[127:128], v[141:142]
	s_clause 0x3
	buffer_load_dword v142, off, s[0:3], 0 offset:492
	buffer_load_dword v141, off, s[0:3], 0 offset:488
	;; [unrolled: 1-line block ×4, first 2 shown]
	s_waitcnt vmcnt(29)
	v_fma_f64 v[127:128], v[151:152], v[129:130], v[127:128]
	s_waitcnt vmcnt(28) lgkmcnt(0)
	v_fma_f64 v[127:128], v[149:150], v[131:132], v[127:128]
	s_waitcnt vmcnt(23)
	v_fma_f64 v[135:136], v[135:136], v[133:134], v[127:128]
	ds_read_b128 v[127:130], v126 offset:896
	ds_read_b128 v[131:134], v126 offset:912
	s_waitcnt vmcnt(22) lgkmcnt(1)
	v_fma_f64 v[127:128], v[169:170], v[127:128], v[135:136]
	s_waitcnt vmcnt(21)
	v_fma_f64 v[127:128], v[157:158], v[129:130], v[127:128]
	s_waitcnt vmcnt(20) lgkmcnt(0)
	v_fma_f64 v[127:128], v[153:154], v[131:132], v[127:128]
	s_waitcnt vmcnt(15)
	v_fma_f64 v[135:136], v[137:138], v[133:134], v[127:128]
	ds_read_b128 v[127:130], v126 offset:928
	ds_read_b128 v[131:134], v126 offset:944
	s_waitcnt vmcnt(14) lgkmcnt(1)
	v_fma_f64 v[127:128], v[167:168], v[127:128], v[135:136]
	;; [unrolled: 10-line block ×3, first 2 shown]
	s_waitcnt vmcnt(5)
	v_fma_f64 v[126:127], v[155:156], v[129:130], v[126:127]
	s_waitcnt vmcnt(4) lgkmcnt(0)
	v_fma_f64 v[126:127], v[143:144], v[131:132], v[126:127]
	s_waitcnt vmcnt(2)
	v_fma_f64 v[126:127], v[141:142], v[133:134], v[126:127]
	s_waitcnt vmcnt(0)
	v_add_f64 v[126:127], v[145:146], -v[126:127]
	buffer_store_dword v127, off, s[0:3], 0 offset:12
	buffer_store_dword v126, off, s[0:3], 0 offset:8
	v_cmpx_ne_u32_e32 0, v0
	s_cbranch_execz .LBB61_381
; %bb.380:
	s_clause 0x1
	buffer_load_dword v126, off, s[0:3], 0
	buffer_load_dword v127, off, s[0:3], 0 offset:4
	v_mov_b32_e32 v0, 0
	buffer_store_dword v0, off, s[0:3], 0
	buffer_store_dword v0, off, s[0:3], 0 offset:4
	s_waitcnt vmcnt(0)
	ds_write_b64 v125, v[126:127]
.LBB61_381:
	s_or_b32 exec_lo, exec_lo, s4
	s_waitcnt lgkmcnt(0)
	s_waitcnt_vscnt null, 0x0
	s_barrier
	buffer_gl0_inv
	s_clause 0x1c
	buffer_load_dword v133, off, s[0:3], 0 offset:8
	buffer_load_dword v134, off, s[0:3], 0 offset:12
	;; [unrolled: 1-line block ×29, first 2 shown]
	v_mov_b32_e32 v0, 0
	buffer_load_dword v158, off, s[0:3], 0 offset:124
	s_and_b32 vcc_lo, exec_lo, s22
	ds_read2_b64 v[125:128], v0 offset0:63 offset1:64
	ds_read2_b64 v[129:132], v0 offset0:65 offset1:66
	s_waitcnt vmcnt(28) lgkmcnt(1)
	v_fma_f64 v[125:126], v[133:134], v[125:126], 0
	s_clause 0x7
	buffer_load_dword v134, off, s[0:3], 0 offset:132
	buffer_load_dword v163, off, s[0:3], 0 offset:152
	buffer_load_dword v165, off, s[0:3], 0 offset:144
	buffer_load_dword v167, off, s[0:3], 0 offset:136
	buffer_load_dword v133, off, s[0:3], 0 offset:128
	buffer_load_dword v168, off, s[0:3], 0 offset:140
	buffer_load_dword v166, off, s[0:3], 0 offset:148
	buffer_load_dword v164, off, s[0:3], 0 offset:156
	s_waitcnt vmcnt(34)
	v_fma_f64 v[125:126], v[135:136], v[127:128], v[125:126]
	s_waitcnt vmcnt(32) lgkmcnt(0)
	v_fma_f64 v[125:126], v[137:138], v[129:130], v[125:126]
	s_waitcnt vmcnt(30)
	v_fma_f64 v[135:136], v[139:140], v[131:132], v[125:126]
	ds_read2_b64 v[125:128], v0 offset0:67 offset1:68
	ds_read2_b64 v[129:132], v0 offset0:69 offset1:70
	s_waitcnt vmcnt(28) lgkmcnt(1)
	v_fma_f64 v[125:126], v[141:142], v[125:126], v[135:136]
	s_clause 0x7
	buffer_load_dword v136, off, s[0:3], 0 offset:164
	buffer_load_dword v137, off, s[0:3], 0 offset:184
	buffer_load_dword v139, off, s[0:3], 0 offset:176
	buffer_load_dword v141, off, s[0:3], 0 offset:168
	buffer_load_dword v135, off, s[0:3], 0 offset:160
	buffer_load_dword v142, off, s[0:3], 0 offset:172
	buffer_load_dword v140, off, s[0:3], 0 offset:180
	buffer_load_dword v138, off, s[0:3], 0 offset:188
	s_waitcnt vmcnt(34)
	v_fma_f64 v[125:126], v[143:144], v[127:128], v[125:126]
	s_waitcnt vmcnt(32) lgkmcnt(0)
	v_fma_f64 v[125:126], v[145:146], v[129:130], v[125:126]
	s_waitcnt vmcnt(27)
	v_fma_f64 v[143:144], v[147:148], v[131:132], v[125:126]
	ds_read2_b64 v[125:128], v0 offset0:71 offset1:72
	ds_read2_b64 v[129:132], v0 offset0:73 offset1:74
	s_waitcnt vmcnt(26) lgkmcnt(1)
	v_fma_f64 v[125:126], v[153:154], v[125:126], v[143:144]
	s_clause 0x7
	buffer_load_dword v144, off, s[0:3], 0 offset:196
	buffer_load_dword v145, off, s[0:3], 0 offset:216
	buffer_load_dword v147, off, s[0:3], 0 offset:208
	buffer_load_dword v153, off, s[0:3], 0 offset:200
	buffer_load_dword v143, off, s[0:3], 0 offset:192
	buffer_load_dword v154, off, s[0:3], 0 offset:204
	buffer_load_dword v148, off, s[0:3], 0 offset:212
	buffer_load_dword v146, off, s[0:3], 0 offset:220
	s_waitcnt vmcnt(33)
	v_fma_f64 v[125:126], v[151:152], v[127:128], v[125:126]
	s_waitcnt vmcnt(32) lgkmcnt(0)
	v_fma_f64 v[125:126], v[149:150], v[129:130], v[125:126]
	s_waitcnt vmcnt(27)
	v_fma_f64 v[149:150], v[155:156], v[131:132], v[125:126]
	ds_read2_b64 v[125:128], v0 offset0:75 offset1:76
	ds_read2_b64 v[129:132], v0 offset0:77 offset1:78
	s_waitcnt vmcnt(26) lgkmcnt(1)
	v_fma_f64 v[125:126], v[161:162], v[125:126], v[149:150]
	s_clause 0x7
	buffer_load_dword v150, off, s[0:3], 0 offset:228
	buffer_load_dword v151, off, s[0:3], 0 offset:248
	buffer_load_dword v155, off, s[0:3], 0 offset:240
	buffer_load_dword v161, off, s[0:3], 0 offset:232
	buffer_load_dword v149, off, s[0:3], 0 offset:224
	buffer_load_dword v162, off, s[0:3], 0 offset:236
	buffer_load_dword v156, off, s[0:3], 0 offset:244
	buffer_load_dword v152, off, s[0:3], 0 offset:252
	s_waitcnt vmcnt(33)
	v_fma_f64 v[125:126], v[159:160], v[127:128], v[125:126]
	s_waitcnt vmcnt(32) lgkmcnt(0)
	v_fma_f64 v[125:126], v[157:158], v[129:130], v[125:126]
	s_waitcnt vmcnt(27)
	v_fma_f64 v[133:134], v[133:134], v[131:132], v[125:126]
	ds_read2_b64 v[125:128], v0 offset0:79 offset1:80
	ds_read2_b64 v[129:132], v0 offset0:81 offset1:82
	s_waitcnt vmcnt(26) lgkmcnt(1)
	v_fma_f64 v[125:126], v[167:168], v[125:126], v[133:134]
	s_clause 0x7
	buffer_load_dword v134, off, s[0:3], 0 offset:260
	buffer_load_dword v157, off, s[0:3], 0 offset:280
	buffer_load_dword v159, off, s[0:3], 0 offset:272
	buffer_load_dword v167, off, s[0:3], 0 offset:264
	buffer_load_dword v133, off, s[0:3], 0 offset:256
	buffer_load_dword v168, off, s[0:3], 0 offset:268
	buffer_load_dword v160, off, s[0:3], 0 offset:276
	buffer_load_dword v158, off, s[0:3], 0 offset:284
	s_waitcnt vmcnt(33)
	v_fma_f64 v[125:126], v[165:166], v[127:128], v[125:126]
	s_waitcnt vmcnt(32) lgkmcnt(0)
	v_fma_f64 v[125:126], v[163:164], v[129:130], v[125:126]
	s_waitcnt vmcnt(27)
	v_fma_f64 v[135:136], v[135:136], v[131:132], v[125:126]
	ds_read2_b64 v[125:128], v0 offset0:83 offset1:84
	ds_read2_b64 v[129:132], v0 offset0:85 offset1:86
	s_waitcnt vmcnt(26) lgkmcnt(1)
	v_fma_f64 v[125:126], v[141:142], v[125:126], v[135:136]
	s_clause 0x7
	buffer_load_dword v136, off, s[0:3], 0 offset:292
	buffer_load_dword v141, off, s[0:3], 0 offset:312
	buffer_load_dword v163, off, s[0:3], 0 offset:304
	buffer_load_dword v165, off, s[0:3], 0 offset:296
	buffer_load_dword v135, off, s[0:3], 0 offset:288
	buffer_load_dword v166, off, s[0:3], 0 offset:300
	buffer_load_dword v164, off, s[0:3], 0 offset:308
	buffer_load_dword v142, off, s[0:3], 0 offset:316
	s_waitcnt vmcnt(33)
	v_fma_f64 v[125:126], v[139:140], v[127:128], v[125:126]
	s_waitcnt vmcnt(32) lgkmcnt(0)
	v_fma_f64 v[125:126], v[137:138], v[129:130], v[125:126]
	s_waitcnt vmcnt(27)
	v_fma_f64 v[137:138], v[143:144], v[131:132], v[125:126]
	ds_read2_b64 v[125:128], v0 offset0:87 offset1:88
	ds_read2_b64 v[129:132], v0 offset0:89 offset1:90
	s_waitcnt vmcnt(26) lgkmcnt(1)
	v_fma_f64 v[125:126], v[153:154], v[125:126], v[137:138]
	s_clause 0x7
	buffer_load_dword v138, off, s[0:3], 0 offset:324
	buffer_load_dword v139, off, s[0:3], 0 offset:344
	buffer_load_dword v143, off, s[0:3], 0 offset:336
	buffer_load_dword v153, off, s[0:3], 0 offset:328
	buffer_load_dword v137, off, s[0:3], 0 offset:320
	buffer_load_dword v154, off, s[0:3], 0 offset:332
	buffer_load_dword v144, off, s[0:3], 0 offset:340
	buffer_load_dword v140, off, s[0:3], 0 offset:348
	s_waitcnt vmcnt(33)
	v_fma_f64 v[125:126], v[147:148], v[127:128], v[125:126]
	s_waitcnt vmcnt(32) lgkmcnt(0)
	v_fma_f64 v[125:126], v[145:146], v[129:130], v[125:126]
	s_waitcnt vmcnt(27)
	v_fma_f64 v[145:146], v[149:150], v[131:132], v[125:126]
	ds_read2_b64 v[125:128], v0 offset0:91 offset1:92
	ds_read2_b64 v[129:132], v0 offset0:93 offset1:94
	s_waitcnt vmcnt(26) lgkmcnt(1)
	v_fma_f64 v[125:126], v[161:162], v[125:126], v[145:146]
	s_clause 0x7
	buffer_load_dword v146, off, s[0:3], 0 offset:356
	buffer_load_dword v147, off, s[0:3], 0 offset:376
	buffer_load_dword v149, off, s[0:3], 0 offset:368
	buffer_load_dword v161, off, s[0:3], 0 offset:360
	buffer_load_dword v145, off, s[0:3], 0 offset:352
	buffer_load_dword v162, off, s[0:3], 0 offset:364
	buffer_load_dword v150, off, s[0:3], 0 offset:372
	buffer_load_dword v148, off, s[0:3], 0 offset:380
	s_waitcnt vmcnt(33)
	v_fma_f64 v[125:126], v[155:156], v[127:128], v[125:126]
	s_waitcnt vmcnt(32) lgkmcnt(0)
	v_fma_f64 v[125:126], v[151:152], v[129:130], v[125:126]
	s_waitcnt vmcnt(27)
	v_fma_f64 v[133:134], v[133:134], v[131:132], v[125:126]
	ds_read2_b64 v[125:128], v0 offset0:95 offset1:96
	ds_read2_b64 v[129:132], v0 offset0:97 offset1:98
	s_waitcnt vmcnt(26) lgkmcnt(1)
	v_fma_f64 v[125:126], v[167:168], v[125:126], v[133:134]
	s_clause 0x7
	buffer_load_dword v152, off, s[0:3], 0 offset:388
	buffer_load_dword v155, off, s[0:3], 0 offset:408
	buffer_load_dword v167, off, s[0:3], 0 offset:400
	buffer_load_dword v169, off, s[0:3], 0 offset:392
	buffer_load_dword v151, off, s[0:3], 0 offset:384
	buffer_load_dword v170, off, s[0:3], 0 offset:396
	buffer_load_dword v168, off, s[0:3], 0 offset:404
	buffer_load_dword v156, off, s[0:3], 0 offset:412
	s_waitcnt vmcnt(33)
	v_fma_f64 v[125:126], v[159:160], v[127:128], v[125:126]
	s_waitcnt vmcnt(32) lgkmcnt(0)
	v_fma_f64 v[125:126], v[157:158], v[129:130], v[125:126]
	s_waitcnt vmcnt(27)
	v_fma_f64 v[133:134], v[135:136], v[131:132], v[125:126]
	ds_read2_b64 v[125:128], v0 offset0:99 offset1:100
	ds_read2_b64 v[129:132], v0 offset0:101 offset1:102
	s_waitcnt vmcnt(26) lgkmcnt(1)
	v_fma_f64 v[125:126], v[165:166], v[125:126], v[133:134]
	s_clause 0x7
	buffer_load_dword v158, off, s[0:3], 0 offset:420
	buffer_load_dword v159, off, s[0:3], 0 offset:440
	buffer_load_dword v165, off, s[0:3], 0 offset:432
	buffer_load_dword v171, off, s[0:3], 0 offset:424
	buffer_load_dword v157, off, s[0:3], 0 offset:416
	buffer_load_dword v172, off, s[0:3], 0 offset:428
	buffer_load_dword v166, off, s[0:3], 0 offset:436
	buffer_load_dword v160, off, s[0:3], 0 offset:444
	s_waitcnt vmcnt(33)
	v_fma_f64 v[125:126], v[163:164], v[127:128], v[125:126]
	s_waitcnt vmcnt(32) lgkmcnt(0)
	v_fma_f64 v[125:126], v[141:142], v[129:130], v[125:126]
	s_waitcnt vmcnt(27)
	v_fma_f64 v[133:134], v[137:138], v[131:132], v[125:126]
	ds_read2_b64 v[125:128], v0 offset0:103 offset1:104
	ds_read2_b64 v[129:132], v0 offset0:105 offset1:106
	s_waitcnt vmcnt(26) lgkmcnt(1)
	v_fma_f64 v[125:126], v[153:154], v[125:126], v[133:134]
	s_clause 0x7
	buffer_load_dword v138, off, s[0:3], 0 offset:452
	buffer_load_dword v141, off, s[0:3], 0 offset:472
	buffer_load_dword v153, off, s[0:3], 0 offset:464
	buffer_load_dword v163, off, s[0:3], 0 offset:456
	buffer_load_dword v137, off, s[0:3], 0 offset:448
	buffer_load_dword v164, off, s[0:3], 0 offset:460
	buffer_load_dword v154, off, s[0:3], 0 offset:468
	buffer_load_dword v142, off, s[0:3], 0 offset:476
	s_waitcnt vmcnt(33)
	v_fma_f64 v[125:126], v[143:144], v[127:128], v[125:126]
	s_waitcnt vmcnt(32) lgkmcnt(0)
	v_fma_f64 v[125:126], v[139:140], v[129:130], v[125:126]
	ds_read2_b64 v[127:130], v0 offset0:107 offset1:108
	s_waitcnt vmcnt(27)
	v_fma_f64 v[125:126], v[145:146], v[131:132], v[125:126]
	ds_read2_b64 v[131:134], v0 offset0:109 offset1:110
	s_waitcnt vmcnt(26) lgkmcnt(1)
	v_fma_f64 v[125:126], v[161:162], v[127:128], v[125:126]
	s_clause 0x5
	buffer_load_dword v128, off, s[0:3], 0 offset:484
	buffer_load_dword v139, off, s[0:3], 0 offset:488
	;; [unrolled: 1-line block ×4, first 2 shown]
	buffer_load_dword v143, off, s[0:3], 0
	buffer_load_dword v144, off, s[0:3], 0 offset:4
	s_waitcnt vmcnt(31)
	v_fma_f64 v[125:126], v[149:150], v[129:130], v[125:126]
	s_waitcnt vmcnt(30) lgkmcnt(0)
	v_fma_f64 v[125:126], v[147:148], v[131:132], v[125:126]
	s_waitcnt vmcnt(25)
	v_fma_f64 v[125:126], v[151:152], v[133:134], v[125:126]
	ds_read2_b64 v[129:132], v0 offset0:111 offset1:112
	ds_read2_b64 v[133:136], v0 offset0:113 offset1:114
	s_waitcnt vmcnt(24) lgkmcnt(1)
	v_fma_f64 v[125:126], v[169:170], v[129:130], v[125:126]
	s_waitcnt vmcnt(23)
	v_fma_f64 v[125:126], v[167:168], v[131:132], v[125:126]
	s_waitcnt vmcnt(22) lgkmcnt(0)
	v_fma_f64 v[125:126], v[155:156], v[133:134], v[125:126]
	s_waitcnt vmcnt(17)
	v_fma_f64 v[125:126], v[157:158], v[135:136], v[125:126]
	ds_read2_b64 v[129:132], v0 offset0:115 offset1:116
	ds_read2_b64 v[133:136], v0 offset0:117 offset1:118
	s_waitcnt vmcnt(16) lgkmcnt(1)
	v_fma_f64 v[125:126], v[171:172], v[129:130], v[125:126]
	;; [unrolled: 10-line block ×3, first 2 shown]
	ds_read_b64 v[129:130], v0 offset:984
	s_waitcnt vmcnt(7)
	v_fma_f64 v[125:126], v[153:154], v[131:132], v[125:126]
	s_waitcnt vmcnt(6) lgkmcnt(1)
	v_fma_f64 v[125:126], v[141:142], v[133:134], v[125:126]
	s_waitcnt vmcnt(3)
	v_fma_f64 v[125:126], v[127:128], v[135:136], v[125:126]
	s_waitcnt vmcnt(2) lgkmcnt(0)
	v_fma_f64 v[125:126], v[139:140], v[129:130], v[125:126]
	s_waitcnt vmcnt(0)
	v_add_f64 v[125:126], v[143:144], -v[125:126]
	buffer_store_dword v126, off, s[0:3], 0 offset:4
	buffer_store_dword v125, off, s[0:3], 0
	s_cbranch_vccz .LBB61_504
; %bb.382:
	global_load_dword v0, v0, s[20:21] offset:240
	s_waitcnt vmcnt(0)
	v_add_nc_u32_e32 v0, -1, v0
	v_cmp_ne_u32_e32 vcc_lo, 60, v0
	s_cbranch_vccz .LBB61_384
; %bb.383:
	v_lshlrev_b32_e32 v0, 3, v0
	s_clause 0x1
	buffer_load_dword v125, v0, s[0:3], 0 offen offset:4
	buffer_load_dword v126, v0, s[0:3], 0 offen
	s_waitcnt vmcnt(1)
	buffer_store_dword v125, off, s[0:3], 0 offset:484
	s_waitcnt vmcnt(0)
	buffer_store_dword v126, off, s[0:3], 0 offset:480
	buffer_store_dword v128, v0, s[0:3], 0 offen offset:4
	buffer_store_dword v127, v0, s[0:3], 0 offen
.LBB61_384:
	v_mov_b32_e32 v0, 0
	global_load_dword v125, v0, s[20:21] offset:236
	s_waitcnt vmcnt(0)
	v_add_nc_u32_e32 v125, -1, v125
	v_cmp_eq_u32_e32 vcc_lo, 59, v125
	s_cbranch_vccnz .LBB61_386
; %bb.385:
	v_lshlrev_b32_e32 v125, 3, v125
	s_clause 0x3
	buffer_load_dword v126, v125, s[0:3], 0 offen
	buffer_load_dword v127, v125, s[0:3], 0 offen offset:4
	buffer_load_dword v128, off, s[0:3], 0 offset:472
	buffer_load_dword v129, off, s[0:3], 0 offset:476
	s_waitcnt vmcnt(3)
	buffer_store_dword v126, off, s[0:3], 0 offset:472
	s_waitcnt vmcnt(2)
	buffer_store_dword v127, off, s[0:3], 0 offset:476
	s_waitcnt vmcnt(1)
	buffer_store_dword v128, v125, s[0:3], 0 offen
	s_waitcnt vmcnt(0)
	buffer_store_dword v129, v125, s[0:3], 0 offen offset:4
.LBB61_386:
	global_load_dword v0, v0, s[20:21] offset:232
	s_waitcnt vmcnt(0)
	v_add_nc_u32_e32 v0, -1, v0
	v_cmp_eq_u32_e32 vcc_lo, 58, v0
	s_cbranch_vccnz .LBB61_388
; %bb.387:
	v_lshlrev_b32_e32 v0, 3, v0
	s_clause 0x3
	buffer_load_dword v125, v0, s[0:3], 0 offen
	buffer_load_dword v126, v0, s[0:3], 0 offen offset:4
	buffer_load_dword v127, off, s[0:3], 0 offset:468
	buffer_load_dword v128, off, s[0:3], 0 offset:464
	s_waitcnt vmcnt(3)
	buffer_store_dword v125, off, s[0:3], 0 offset:464
	s_waitcnt vmcnt(2)
	buffer_store_dword v126, off, s[0:3], 0 offset:468
	s_waitcnt vmcnt(1)
	buffer_store_dword v127, v0, s[0:3], 0 offen offset:4
	s_waitcnt vmcnt(0)
	buffer_store_dword v128, v0, s[0:3], 0 offen
.LBB61_388:
	v_mov_b32_e32 v0, 0
	global_load_dword v125, v0, s[20:21] offset:228
	s_waitcnt vmcnt(0)
	v_add_nc_u32_e32 v125, -1, v125
	v_cmp_eq_u32_e32 vcc_lo, 57, v125
	s_cbranch_vccnz .LBB61_390
; %bb.389:
	v_lshlrev_b32_e32 v125, 3, v125
	s_clause 0x3
	buffer_load_dword v126, v125, s[0:3], 0 offen
	buffer_load_dword v127, v125, s[0:3], 0 offen offset:4
	buffer_load_dword v128, off, s[0:3], 0 offset:456
	buffer_load_dword v129, off, s[0:3], 0 offset:460
	s_waitcnt vmcnt(3)
	buffer_store_dword v126, off, s[0:3], 0 offset:456
	s_waitcnt vmcnt(2)
	buffer_store_dword v127, off, s[0:3], 0 offset:460
	s_waitcnt vmcnt(1)
	buffer_store_dword v128, v125, s[0:3], 0 offen
	s_waitcnt vmcnt(0)
	buffer_store_dword v129, v125, s[0:3], 0 offen offset:4
.LBB61_390:
	global_load_dword v0, v0, s[20:21] offset:224
	s_waitcnt vmcnt(0)
	v_add_nc_u32_e32 v0, -1, v0
	v_cmp_eq_u32_e32 vcc_lo, 56, v0
	s_cbranch_vccnz .LBB61_392
; %bb.391:
	v_lshlrev_b32_e32 v0, 3, v0
	s_clause 0x3
	buffer_load_dword v125, v0, s[0:3], 0 offen
	buffer_load_dword v126, v0, s[0:3], 0 offen offset:4
	buffer_load_dword v127, off, s[0:3], 0 offset:452
	buffer_load_dword v128, off, s[0:3], 0 offset:448
	s_waitcnt vmcnt(3)
	buffer_store_dword v125, off, s[0:3], 0 offset:448
	s_waitcnt vmcnt(2)
	buffer_store_dword v126, off, s[0:3], 0 offset:452
	s_waitcnt vmcnt(1)
	buffer_store_dword v127, v0, s[0:3], 0 offen offset:4
	s_waitcnt vmcnt(0)
	buffer_store_dword v128, v0, s[0:3], 0 offen
.LBB61_392:
	;; [unrolled: 43-line block ×29, first 2 shown]
	v_mov_b32_e32 v0, 0
	global_load_dword v125, v0, s[20:21] offset:4
	s_waitcnt vmcnt(0)
	v_add_nc_u32_e32 v125, -1, v125
	v_cmp_eq_u32_e32 vcc_lo, 1, v125
	s_cbranch_vccnz .LBB61_502
; %bb.501:
	v_lshlrev_b32_e32 v125, 3, v125
	s_clause 0x3
	buffer_load_dword v126, v125, s[0:3], 0 offen
	buffer_load_dword v127, v125, s[0:3], 0 offen offset:4
	buffer_load_dword v128, off, s[0:3], 0 offset:8
	buffer_load_dword v129, off, s[0:3], 0 offset:12
	s_waitcnt vmcnt(3)
	buffer_store_dword v126, off, s[0:3], 0 offset:8
	s_waitcnt vmcnt(2)
	buffer_store_dword v127, off, s[0:3], 0 offset:12
	s_waitcnt vmcnt(1)
	buffer_store_dword v128, v125, s[0:3], 0 offen
	s_waitcnt vmcnt(0)
	buffer_store_dword v129, v125, s[0:3], 0 offen offset:4
.LBB61_502:
	global_load_dword v0, v0, s[20:21]
	s_clause 0x1
	buffer_load_dword v125, off, s[0:3], 0
	buffer_load_dword v126, off, s[0:3], 0 offset:4
	s_waitcnt vmcnt(2)
	v_add_nc_u32_e32 v0, -1, v0
	v_cmp_eq_u32_e32 vcc_lo, 0, v0
	s_cbranch_vccnz .LBB61_504
; %bb.503:
	v_lshlrev_b32_e32 v0, 3, v0
	s_clause 0x1
	buffer_load_dword v127, v0, s[0:3], 0 offen offset:4
	buffer_load_dword v128, v0, s[0:3], 0 offen
	s_waitcnt vmcnt(1)
	buffer_store_dword v127, off, s[0:3], 0 offset:4
	s_waitcnt vmcnt(0)
	buffer_store_dword v128, off, s[0:3], 0
	buffer_store_dword v126, v0, s[0:3], 0 offen offset:4
	buffer_store_dword v125, v0, s[0:3], 0 offen
	s_clause 0x1
	buffer_load_dword v125, off, s[0:3], 0
	buffer_load_dword v126, off, s[0:3], 0 offset:4
.LBB61_504:
	s_clause 0x1b
	buffer_load_dword v127, off, s[0:3], 0 offset:8
	buffer_load_dword v128, off, s[0:3], 0 offset:12
	;; [unrolled: 1-line block ×28, first 2 shown]
	s_waitcnt vmcnt(28)
	global_store_dwordx2 v[81:82], v[125:126], off
	s_clause 0x23
	buffer_load_dword v81, off, s[0:3], 0 offset:120
	buffer_load_dword v82, off, s[0:3], 0 offset:124
	;; [unrolled: 1-line block ×36, first 2 shown]
	s_waitcnt vmcnt(62)
	global_store_dwordx2 v[55:56], v[127:128], off
	s_waitcnt vmcnt(60)
	global_store_dwordx2 v[3:4], v[129:130], off
	s_clause 0x7
	buffer_load_dword v3, off, s[0:3], 0 offset:264
	buffer_load_dword v4, off, s[0:3], 0 offset:268
	;; [unrolled: 1-line block ×8, first 2 shown]
	s_waitcnt vmcnt(62)
	global_store_dwordx2 v[1:2], v[131:132], off
	global_store_dwordx2 v[7:8], v[133:134], off
	s_clause 0x7
	buffer_load_dword v0, off, s[0:3], 0 offset:296
	buffer_load_dword v1, off, s[0:3], 0 offset:300
	buffer_load_dword v7, off, s[0:3], 0 offset:304
	buffer_load_dword v8, off, s[0:3], 0 offset:308
	buffer_load_dword v131, off, s[0:3], 0 offset:312
	buffer_load_dword v132, off, s[0:3], 0 offset:316
	buffer_load_dword v133, off, s[0:3], 0 offset:320
	buffer_load_dword v134, off, s[0:3], 0 offset:324
	global_store_dwordx2 v[5:6], v[135:136], off
	s_waitcnt vmcnt(62)
	global_store_dwordx2 v[11:12], v[137:138], off
	s_clause 0x7
	buffer_load_dword v5, off, s[0:3], 0 offset:328
	buffer_load_dword v6, off, s[0:3], 0 offset:332
	;; [unrolled: 1-line block ×8, first 2 shown]
	global_store_dwordx2 v[9:10], v[139:140], off
	global_store_dwordx2 v[15:16], v[141:142], off
	s_clause 0x7
	buffer_load_dword v9, off, s[0:3], 0 offset:360
	buffer_load_dword v10, off, s[0:3], 0 offset:364
	;; [unrolled: 1-line block ×8, first 2 shown]
	global_store_dwordx2 v[13:14], v[143:144], off
	s_waitcnt vmcnt(62)
	global_store_dwordx2 v[19:20], v[145:146], off
	s_clause 0x7
	buffer_load_dword v13, off, s[0:3], 0 offset:392
	buffer_load_dword v14, off, s[0:3], 0 offset:396
	buffer_load_dword v19, off, s[0:3], 0 offset:400
	buffer_load_dword v20, off, s[0:3], 0 offset:404
	buffer_load_dword v143, off, s[0:3], 0 offset:408
	buffer_load_dword v144, off, s[0:3], 0 offset:412
	buffer_load_dword v145, off, s[0:3], 0 offset:416
	buffer_load_dword v146, off, s[0:3], 0 offset:420
	global_store_dwordx2 v[17:18], v[147:148], off
	global_store_dwordx2 v[25:26], v[149:150], off
	s_clause 0x7
	buffer_load_dword v17, off, s[0:3], 0 offset:424
	buffer_load_dword v18, off, s[0:3], 0 offset:428
	;; [unrolled: 1-line block ×8, first 2 shown]
	global_store_dwordx2 v[21:22], v[151:152], off
	global_store_dwordx2 v[27:28], v[153:154], off
	s_clause 0x9
	buffer_load_dword v21, off, s[0:3], 0 offset:456
	buffer_load_dword v22, off, s[0:3], 0 offset:460
	;; [unrolled: 1-line block ×10, first 2 shown]
	global_store_dwordx2 v[23:24], v[81:82], off
	global_store_dwordx2 v[29:30], v[125:126], off
	;; [unrolled: 1-line block ×3, first 2 shown]
	s_waitcnt vmcnt(62)
	global_store_dwordx2 v[33:34], v[157:158], off
	global_store_dwordx2 v[35:36], v[159:160], off
	;; [unrolled: 1-line block ×13, first 2 shown]
	s_waitcnt vmcnt(60)
	global_store_dwordx2 v[61:62], v[183:184], off
	s_waitcnt vmcnt(58)
	global_store_dwordx2 v[63:64], v[185:186], off
	;; [unrolled: 2-line block ×31, first 2 shown]
	s_endpgm
	.section	.rodata,"a",@progbits
	.p2align	6, 0x0
	.amdhsa_kernel _ZN9rocsolver6v33100L18getri_kernel_smallILi62EdPdEEvT1_iilPiilS4_bb
		.amdhsa_group_segment_fixed_size 1000
		.amdhsa_private_segment_fixed_size 512
		.amdhsa_kernarg_size 60
		.amdhsa_user_sgpr_count 6
		.amdhsa_user_sgpr_private_segment_buffer 1
		.amdhsa_user_sgpr_dispatch_ptr 0
		.amdhsa_user_sgpr_queue_ptr 0
		.amdhsa_user_sgpr_kernarg_segment_ptr 1
		.amdhsa_user_sgpr_dispatch_id 0
		.amdhsa_user_sgpr_flat_scratch_init 0
		.amdhsa_user_sgpr_private_segment_size 0
		.amdhsa_wavefront_size32 1
		.amdhsa_uses_dynamic_stack 0
		.amdhsa_system_sgpr_private_segment_wavefront_offset 1
		.amdhsa_system_sgpr_workgroup_id_x 1
		.amdhsa_system_sgpr_workgroup_id_y 0
		.amdhsa_system_sgpr_workgroup_id_z 0
		.amdhsa_system_sgpr_workgroup_info 0
		.amdhsa_system_vgpr_workitem_id 0
		.amdhsa_next_free_vgpr 189
		.amdhsa_next_free_sgpr 23
		.amdhsa_reserve_vcc 1
		.amdhsa_reserve_flat_scratch 0
		.amdhsa_float_round_mode_32 0
		.amdhsa_float_round_mode_16_64 0
		.amdhsa_float_denorm_mode_32 3
		.amdhsa_float_denorm_mode_16_64 3
		.amdhsa_dx10_clamp 1
		.amdhsa_ieee_mode 1
		.amdhsa_fp16_overflow 0
		.amdhsa_workgroup_processor_mode 1
		.amdhsa_memory_ordered 1
		.amdhsa_forward_progress 1
		.amdhsa_shared_vgpr_count 0
		.amdhsa_exception_fp_ieee_invalid_op 0
		.amdhsa_exception_fp_denorm_src 0
		.amdhsa_exception_fp_ieee_div_zero 0
		.amdhsa_exception_fp_ieee_overflow 0
		.amdhsa_exception_fp_ieee_underflow 0
		.amdhsa_exception_fp_ieee_inexact 0
		.amdhsa_exception_int_div_zero 0
	.end_amdhsa_kernel
	.section	.text._ZN9rocsolver6v33100L18getri_kernel_smallILi62EdPdEEvT1_iilPiilS4_bb,"axG",@progbits,_ZN9rocsolver6v33100L18getri_kernel_smallILi62EdPdEEvT1_iilPiilS4_bb,comdat
.Lfunc_end61:
	.size	_ZN9rocsolver6v33100L18getri_kernel_smallILi62EdPdEEvT1_iilPiilS4_bb, .Lfunc_end61-_ZN9rocsolver6v33100L18getri_kernel_smallILi62EdPdEEvT1_iilPiilS4_bb
                                        ; -- End function
	.set _ZN9rocsolver6v33100L18getri_kernel_smallILi62EdPdEEvT1_iilPiilS4_bb.num_vgpr, 189
	.set _ZN9rocsolver6v33100L18getri_kernel_smallILi62EdPdEEvT1_iilPiilS4_bb.num_agpr, 0
	.set _ZN9rocsolver6v33100L18getri_kernel_smallILi62EdPdEEvT1_iilPiilS4_bb.numbered_sgpr, 23
	.set _ZN9rocsolver6v33100L18getri_kernel_smallILi62EdPdEEvT1_iilPiilS4_bb.num_named_barrier, 0
	.set _ZN9rocsolver6v33100L18getri_kernel_smallILi62EdPdEEvT1_iilPiilS4_bb.private_seg_size, 512
	.set _ZN9rocsolver6v33100L18getri_kernel_smallILi62EdPdEEvT1_iilPiilS4_bb.uses_vcc, 1
	.set _ZN9rocsolver6v33100L18getri_kernel_smallILi62EdPdEEvT1_iilPiilS4_bb.uses_flat_scratch, 0
	.set _ZN9rocsolver6v33100L18getri_kernel_smallILi62EdPdEEvT1_iilPiilS4_bb.has_dyn_sized_stack, 0
	.set _ZN9rocsolver6v33100L18getri_kernel_smallILi62EdPdEEvT1_iilPiilS4_bb.has_recursion, 0
	.set _ZN9rocsolver6v33100L18getri_kernel_smallILi62EdPdEEvT1_iilPiilS4_bb.has_indirect_call, 0
	.section	.AMDGPU.csdata,"",@progbits
; Kernel info:
; codeLenInByte = 96616
; TotalNumSgprs: 25
; NumVgprs: 189
; ScratchSize: 512
; MemoryBound: 1
; FloatMode: 240
; IeeeMode: 1
; LDSByteSize: 1000 bytes/workgroup (compile time only)
; SGPRBlocks: 0
; VGPRBlocks: 23
; NumSGPRsForWavesPerEU: 25
; NumVGPRsForWavesPerEU: 189
; Occupancy: 5
; WaveLimiterHint : 1
; COMPUTE_PGM_RSRC2:SCRATCH_EN: 1
; COMPUTE_PGM_RSRC2:USER_SGPR: 6
; COMPUTE_PGM_RSRC2:TRAP_HANDLER: 0
; COMPUTE_PGM_RSRC2:TGID_X_EN: 1
; COMPUTE_PGM_RSRC2:TGID_Y_EN: 0
; COMPUTE_PGM_RSRC2:TGID_Z_EN: 0
; COMPUTE_PGM_RSRC2:TIDIG_COMP_CNT: 0
	.section	.text._ZN9rocsolver6v33100L18getri_kernel_smallILi63EdPdEEvT1_iilPiilS4_bb,"axG",@progbits,_ZN9rocsolver6v33100L18getri_kernel_smallILi63EdPdEEvT1_iilPiilS4_bb,comdat
	.globl	_ZN9rocsolver6v33100L18getri_kernel_smallILi63EdPdEEvT1_iilPiilS4_bb ; -- Begin function _ZN9rocsolver6v33100L18getri_kernel_smallILi63EdPdEEvT1_iilPiilS4_bb
	.p2align	8
	.type	_ZN9rocsolver6v33100L18getri_kernel_smallILi63EdPdEEvT1_iilPiilS4_bb,@function
_ZN9rocsolver6v33100L18getri_kernel_smallILi63EdPdEEvT1_iilPiilS4_bb: ; @_ZN9rocsolver6v33100L18getri_kernel_smallILi63EdPdEEvT1_iilPiilS4_bb
; %bb.0:
	s_add_u32 s0, s0, s7
	s_addc_u32 s1, s1, 0
	s_mov_b32 s7, exec_lo
	v_cmpx_gt_u32_e32 63, v0
	s_cbranch_execz .LBB62_262
; %bb.1:
	s_clause 0x2
	s_load_dword s7, s[4:5], 0x38
	s_load_dwordx4 s[16:19], s[4:5], 0x10
	s_load_dwordx4 s[8:11], s[4:5], 0x28
                                        ; implicit-def: $sgpr20_sgpr21
	s_waitcnt lgkmcnt(0)
	s_bitcmp1_b32 s7, 8
	s_cselect_b32 s22, -1, 0
	s_bfe_u32 s12, s7, 0x10008
	s_ashr_i32 s7, s6, 31
	s_cmp_eq_u32 s12, 0
	s_cbranch_scc1 .LBB62_3
; %bb.2:
	s_load_dword s12, s[4:5], 0x20
	s_mul_i32 s13, s8, s7
	s_mul_hi_u32 s14, s8, s6
	s_mul_i32 s9, s9, s6
	s_add_i32 s13, s14, s13
	s_mul_i32 s8, s8, s6
	s_add_i32 s9, s13, s9
	s_lshl_b64 s[8:9], s[8:9], 2
	s_waitcnt lgkmcnt(0)
	s_ashr_i32 s13, s12, 31
	s_add_u32 s14, s18, s8
	s_addc_u32 s15, s19, s9
	s_lshl_b64 s[8:9], s[12:13], 2
	s_add_u32 s20, s14, s8
	s_addc_u32 s21, s15, s9
.LBB62_3:
	s_clause 0x1
	s_load_dwordx4 s[12:15], s[4:5], 0x0
	s_load_dword s8, s[4:5], 0x38
	s_mul_i32 s4, s16, s7
	s_mul_hi_u32 s5, s16, s6
	s_mul_i32 s9, s17, s6
	s_add_i32 s5, s5, s4
	s_mul_i32 s4, s16, s6
	s_add_i32 s5, s5, s9
	v_lshlrev_b32_e32 v129, 3, v0
	s_lshl_b64 s[4:5], s[4:5], 3
	s_waitcnt lgkmcnt(0)
	v_add3_u32 v1, s15, s15, v0
	s_ashr_i32 s17, s14, 31
	s_mov_b32 s16, s14
	s_add_u32 s9, s12, s4
	s_addc_u32 s12, s13, s5
	v_add_nc_u32_e32 v3, s15, v1
	v_ashrrev_i32_e32 v2, 31, v1
	s_lshl_b64 s[4:5], s[16:17], 3
	s_add_u32 s4, s9, s4
	v_add_nc_u32_e32 v5, s15, v3
	v_ashrrev_i32_e32 v4, 31, v3
	v_lshlrev_b64 v[1:2], 3, v[1:2]
	s_addc_u32 s5, s12, s5
	v_add_co_u32 v67, s9, s4, v129
	v_add_nc_u32_e32 v9, s15, v5
	v_ashrrev_i32_e32 v6, 31, v5
	v_lshlrev_b64 v[7:8], 3, v[3:4]
	v_add_co_u32 v3, vcc_lo, s4, v1
	v_add_nc_u32_e32 v11, s15, v9
	v_ashrrev_i32_e32 v10, 31, v9
	v_lshlrev_b64 v[5:6], 3, v[5:6]
	v_add_co_ci_u32_e64 v4, null, s5, v2, vcc_lo
	v_add_nc_u32_e32 v13, s15, v11
	v_lshlrev_b64 v[9:10], 3, v[9:10]
	v_add_co_u32 v1, vcc_lo, s4, v7
	v_add_co_ci_u32_e64 v2, null, s5, v8, vcc_lo
	v_ashrrev_i32_e32 v14, 31, v13
	v_add_nc_u32_e32 v15, s15, v13
	v_add_co_u32 v7, vcc_lo, s4, v5
	v_add_co_ci_u32_e64 v8, null, s5, v6, vcc_lo
	v_add_co_u32 v5, vcc_lo, s4, v9
	v_add_co_ci_u32_e64 v6, null, s5, v10, vcc_lo
	v_lshlrev_b64 v[9:10], 3, v[13:14]
	v_add_nc_u32_e32 v13, s15, v15
	v_ashrrev_i32_e32 v12, 31, v11
	v_ashrrev_i32_e32 v16, 31, v15
	s_ashr_i32 s13, s15, 31
	s_mov_b32 s12, s15
	v_add_nc_u32_e32 v17, s15, v13
	v_lshlrev_b64 v[11:12], 3, v[11:12]
	v_ashrrev_i32_e32 v14, 31, v13
	v_lshlrev_b64 v[15:16], 3, v[15:16]
	v_add_co_ci_u32_e64 v68, null, s5, 0, s9
	v_add_nc_u32_e32 v19, s15, v17
	v_ashrrev_i32_e32 v18, 31, v17
	v_add_co_u32 v11, vcc_lo, s4, v11
	v_lshlrev_b64 v[13:14], 3, v[13:14]
	v_add_nc_u32_e32 v21, s15, v19
	v_ashrrev_i32_e32 v20, 31, v19
	v_add_co_ci_u32_e64 v12, null, s5, v12, vcc_lo
	v_add_co_u32 v9, vcc_lo, s4, v9
	v_add_nc_u32_e32 v25, s15, v21
	v_ashrrev_i32_e32 v22, 31, v21
	v_lshlrev_b64 v[17:18], 3, v[17:18]
	v_add_co_ci_u32_e64 v10, null, s5, v10, vcc_lo
	v_add_nc_u32_e32 v27, s15, v25
	v_ashrrev_i32_e32 v26, 31, v25
	v_add_co_u32 v15, vcc_lo, s4, v15
	v_lshlrev_b64 v[23:24], 3, v[19:20]
	v_add_nc_u32_e32 v29, s15, v27
	v_ashrrev_i32_e32 v28, 31, v27
	v_add_co_ci_u32_e64 v16, null, s5, v16, vcc_lo
	v_add_co_u32 v13, vcc_lo, s4, v13
	v_lshlrev_b64 v[21:22], 3, v[21:22]
	v_add_nc_u32_e32 v31, s15, v29
	v_add_co_ci_u32_e64 v14, null, s5, v14, vcc_lo
	v_add_co_u32 v19, vcc_lo, s4, v17
	v_lshlrev_b64 v[25:26], 3, v[25:26]
	v_add_co_ci_u32_e64 v20, null, s5, v18, vcc_lo
	v_add_co_u32 v17, vcc_lo, s4, v23
	v_lshlrev_b64 v[27:28], 3, v[27:28]
	v_ashrrev_i32_e32 v30, 31, v29
	v_add_co_ci_u32_e64 v18, null, s5, v24, vcc_lo
	v_add_co_u32 v23, vcc_lo, s4, v21
	v_add_nc_u32_e32 v33, s15, v31
	v_ashrrev_i32_e32 v32, 31, v31
	v_add_co_ci_u32_e64 v24, null, s5, v22, vcc_lo
	v_add_co_u32 v21, vcc_lo, s4, v25
	v_add_co_ci_u32_e64 v22, null, s5, v26, vcc_lo
	v_lshlrev_b64 v[25:26], 3, v[29:30]
	v_add_co_u32 v29, vcc_lo, s4, v27
	v_ashrrev_i32_e32 v34, 31, v33
	v_add_co_ci_u32_e64 v30, null, s5, v28, vcc_lo
	v_lshlrev_b64 v[27:28], 3, v[31:32]
	v_add_nc_u32_e32 v31, s15, v33
	v_lshlrev_b64 v[33:34], 3, v[33:34]
	v_add_co_u32 v25, vcc_lo, s4, v25
	v_add_co_ci_u32_e64 v26, null, s5, v26, vcc_lo
	v_ashrrev_i32_e32 v32, 31, v31
	v_add_co_u32 v27, vcc_lo, s4, v27
	v_add_nc_u32_e32 v35, s15, v31
	v_add_co_ci_u32_e64 v28, null, s5, v28, vcc_lo
	v_lshlrev_b64 v[37:38], 3, v[31:32]
	v_add_co_u32 v31, vcc_lo, s4, v33
	s_lshl_b64 s[12:13], s[12:13], 3
	v_add_co_ci_u32_e64 v32, null, s5, v34, vcc_lo
	v_add_co_u32 v53, vcc_lo, v67, s12
	v_add_co_ci_u32_e64 v54, null, s13, v68, vcc_lo
	v_add_nc_u32_e32 v39, s15, v35
	s_clause 0x4
	global_load_dwordx2 v[97:98], v129, s[4:5]
	global_load_dwordx2 v[101:102], v[3:4], off
	global_load_dwordx2 v[99:100], v[53:54], off
	;; [unrolled: 1-line block ×4, first 2 shown]
	v_ashrrev_i32_e32 v40, 31, v39
	v_add_nc_u32_e32 v41, s15, v39
	v_add_co_u32 v33, vcc_lo, s4, v37
	v_add_co_ci_u32_e64 v34, null, s5, v38, vcc_lo
	v_lshlrev_b64 v[37:38], 3, v[39:40]
	v_add_nc_u32_e32 v39, s15, v41
	v_ashrrev_i32_e32 v36, 31, v35
	s_clause 0x1
	global_load_dwordx2 v[107:108], v[5:6], off
	global_load_dwordx2 v[109:110], v[11:12], off
	v_ashrrev_i32_e32 v42, 31, v41
	s_clause 0x2
	global_load_dwordx2 v[111:112], v[9:10], off
	global_load_dwordx2 v[113:114], v[15:16], off
	;; [unrolled: 1-line block ×3, first 2 shown]
	v_add_nc_u32_e32 v43, s15, v39
	v_lshlrev_b64 v[35:36], 3, v[35:36]
	v_ashrrev_i32_e32 v40, 31, v39
	v_lshlrev_b64 v[41:42], 3, v[41:42]
	s_clause 0x2
	global_load_dwordx2 v[117:118], v[19:20], off
	global_load_dwordx2 v[119:120], v[17:18], off
	;; [unrolled: 1-line block ×3, first 2 shown]
	v_add_nc_u32_e32 v47, s15, v43
	v_ashrrev_i32_e32 v44, 31, v43
	v_add_co_u32 v35, vcc_lo, s4, v35
	v_lshlrev_b64 v[45:46], 3, v[39:40]
	v_add_co_ci_u32_e64 v36, null, s5, v36, vcc_lo
	v_add_co_u32 v37, vcc_lo, s4, v37
	v_ashrrev_i32_e32 v48, 31, v47
	v_add_nc_u32_e32 v49, s15, v47
	v_add_co_ci_u32_e64 v38, null, s5, v38, vcc_lo
	v_add_co_u32 v39, vcc_lo, s4, v41
	v_add_co_ci_u32_e64 v40, null, s5, v42, vcc_lo
	v_add_co_u32 v41, vcc_lo, s4, v45
	v_add_co_ci_u32_e64 v42, null, s5, v46, vcc_lo
	v_lshlrev_b64 v[45:46], 3, v[47:48]
	v_add_nc_u32_e32 v47, s15, v49
	v_ashrrev_i32_e32 v50, 31, v49
	v_lshlrev_b64 v[43:44], 3, v[43:44]
	s_clause 0x3
	global_load_dwordx2 v[123:124], v[21:22], off
	global_load_dwordx2 v[125:126], v[29:30], off
	;; [unrolled: 1-line block ×4, first 2 shown]
	v_add_nc_u32_e32 v51, s15, v47
	v_ashrrev_i32_e32 v48, 31, v47
	v_lshlrev_b64 v[49:50], 3, v[49:50]
	v_add_co_u32 v43, vcc_lo, s4, v43
	v_add_nc_u32_e32 v57, s15, v51
	v_lshlrev_b64 v[55:56], 3, v[47:48]
	v_add_co_ci_u32_e64 v44, null, s5, v44, vcc_lo
	v_add_co_u32 v45, vcc_lo, s4, v45
	v_ashrrev_i32_e32 v58, 31, v57
	v_add_co_ci_u32_e64 v46, null, s5, v46, vcc_lo
	v_add_co_u32 v47, vcc_lo, s4, v49
	v_add_co_ci_u32_e64 v48, null, s5, v50, vcc_lo
	v_add_co_u32 v49, vcc_lo, s4, v55
	v_add_co_ci_u32_e64 v50, null, s5, v56, vcc_lo
	v_lshlrev_b64 v[55:56], 3, v[57:58]
	v_add_nc_u32_e32 v57, s15, v57
	v_ashrrev_i32_e32 v52, 31, v51
	s_clause 0x4
	global_load_dwordx2 v[132:133], v[31:32], off
	global_load_dwordx2 v[134:135], v[33:34], off
	;; [unrolled: 1-line block ×5, first 2 shown]
	v_add_nc_u32_e32 v59, s15, v57
	v_ashrrev_i32_e32 v58, 31, v57
	v_lshlrev_b64 v[51:52], 3, v[51:52]
	s_clause 0x4
	global_load_dwordx2 v[142:143], v[41:42], off
	global_load_dwordx2 v[144:145], v[43:44], off
	;; [unrolled: 1-line block ×5, first 2 shown]
	v_add_nc_u32_e32 v63, s15, v59
	v_ashrrev_i32_e32 v60, 31, v59
	v_lshlrev_b64 v[57:58], 3, v[57:58]
	v_add_co_u32 v51, vcc_lo, s4, v51
	v_ashrrev_i32_e32 v64, 31, v63
	v_lshlrev_b64 v[59:60], 3, v[59:60]
	v_add_co_ci_u32_e64 v52, null, s5, v52, vcc_lo
	v_add_co_u32 v55, vcc_lo, s4, v55
	v_lshlrev_b64 v[61:62], 3, v[63:64]
	v_add_co_ci_u32_e64 v56, null, s5, v56, vcc_lo
	v_add_co_u32 v57, vcc_lo, s4, v57
	v_add_co_ci_u32_e64 v58, null, s5, v58, vcc_lo
	v_add_co_u32 v59, vcc_lo, s4, v59
	;; [unrolled: 2-line block ×3, first 2 shown]
	v_add_co_ci_u32_e64 v62, null, s5, v62, vcc_lo
	s_clause 0x4
	global_load_dwordx2 v[152:153], v[51:52], off
	global_load_dwordx2 v[154:155], v[55:56], off
	;; [unrolled: 1-line block ×5, first 2 shown]
	v_add_nc_u32_e32 v65, s15, v63
	s_bitcmp0_b32 s8, 0
	v_ashrrev_i32_e32 v66, 31, v65
	v_lshlrev_b64 v[63:64], 3, v[65:66]
	v_add_nc_u32_e32 v65, s15, v65
	v_add_co_u32 v63, vcc_lo, s4, v63
	v_add_co_ci_u32_e64 v64, null, s5, v64, vcc_lo
	v_add_nc_u32_e32 v69, s15, v65
	v_ashrrev_i32_e32 v66, 31, v65
	global_load_dwordx2 v[162:163], v[63:64], off
	s_waitcnt vmcnt(32)
	buffer_store_dword v98, off, s[0:3], 0 offset:4
	buffer_store_dword v97, off, s[0:3], 0
	v_add_nc_u32_e32 v71, s15, v69
	v_ashrrev_i32_e32 v70, 31, v69
	v_lshlrev_b64 v[65:66], 3, v[65:66]
	s_waitcnt vmcnt(30)
	buffer_store_dword v100, off, s[0:3], 0 offset:12
	buffer_store_dword v99, off, s[0:3], 0 offset:8
	;; [unrolled: 1-line block ×4, first 2 shown]
	s_waitcnt vmcnt(29)
	buffer_store_dword v104, off, s[0:3], 0 offset:28
	v_add_nc_u32_e32 v73, s15, v71
	v_ashrrev_i32_e32 v72, 31, v71
	v_lshlrev_b64 v[69:70], 3, v[69:70]
	v_add_co_u32 v65, vcc_lo, s4, v65
	v_add_nc_u32_e32 v75, s15, v73
	v_ashrrev_i32_e32 v74, 31, v73
	v_lshlrev_b64 v[71:72], 3, v[71:72]
	v_add_co_ci_u32_e64 v66, null, s5, v66, vcc_lo
	v_add_nc_u32_e32 v77, s15, v75
	v_ashrrev_i32_e32 v76, 31, v75
	v_lshlrev_b64 v[73:74], 3, v[73:74]
	v_add_co_u32 v69, vcc_lo, s4, v69
	v_add_nc_u32_e32 v79, s15, v77
	v_ashrrev_i32_e32 v78, 31, v77
	v_lshlrev_b64 v[75:76], 3, v[75:76]
	v_add_co_ci_u32_e64 v70, null, s5, v70, vcc_lo
	v_add_nc_u32_e32 v81, s15, v79
	v_ashrrev_i32_e32 v80, 31, v79
	v_add_co_u32 v71, vcc_lo, s4, v71
	v_lshlrev_b64 v[77:78], 3, v[77:78]
	v_add_nc_u32_e32 v83, s15, v81
	v_ashrrev_i32_e32 v82, 31, v81
	v_add_co_ci_u32_e64 v72, null, s5, v72, vcc_lo
	v_add_co_u32 v73, vcc_lo, s4, v73
	v_add_nc_u32_e32 v85, s15, v83
	v_ashrrev_i32_e32 v84, 31, v83
	v_lshlrev_b64 v[79:80], 3, v[79:80]
	v_add_co_ci_u32_e64 v74, null, s5, v74, vcc_lo
	v_add_nc_u32_e32 v87, s15, v85
	v_ashrrev_i32_e32 v86, 31, v85
	v_add_co_u32 v75, vcc_lo, s4, v75
	v_lshlrev_b64 v[81:82], 3, v[81:82]
	v_add_nc_u32_e32 v89, s15, v87
	v_ashrrev_i32_e32 v88, 31, v87
	v_add_co_ci_u32_e64 v76, null, s5, v76, vcc_lo
	v_add_co_u32 v77, vcc_lo, s4, v77
	v_add_nc_u32_e32 v91, s15, v89
	v_lshlrev_b64 v[83:84], 3, v[83:84]
	v_ashrrev_i32_e32 v90, 31, v89
	v_add_co_ci_u32_e64 v78, null, s5, v78, vcc_lo
	v_add_nc_u32_e32 v93, s15, v91
	v_add_co_u32 v79, vcc_lo, s4, v79
	v_lshlrev_b64 v[85:86], 3, v[85:86]
	v_ashrrev_i32_e32 v92, 31, v91
	v_add_nc_u32_e32 v95, s15, v93
	v_add_co_ci_u32_e64 v80, null, s5, v80, vcc_lo
	v_add_co_u32 v81, vcc_lo, s4, v81
	v_add_nc_u32_e32 v164, s15, v95
	v_lshlrev_b64 v[87:88], 3, v[87:88]
	v_ashrrev_i32_e32 v94, 31, v93
	v_add_co_ci_u32_e64 v82, null, s5, v82, vcc_lo
	v_ashrrev_i32_e32 v165, 31, v164
	v_add_co_u32 v83, vcc_lo, s4, v83
	v_lshlrev_b64 v[89:90], 3, v[89:90]
	v_ashrrev_i32_e32 v96, 31, v95
	v_add_co_ci_u32_e64 v84, null, s5, v84, vcc_lo
	v_add_co_u32 v85, vcc_lo, s4, v85
	v_lshlrev_b64 v[91:92], 3, v[91:92]
	v_lshlrev_b64 v[165:166], 3, v[164:165]
	v_add_nc_u32_e32 v164, s15, v164
	v_add_co_ci_u32_e64 v86, null, s5, v86, vcc_lo
	v_add_co_u32 v87, vcc_lo, s4, v87
	v_lshlrev_b64 v[93:94], 3, v[93:94]
	v_add_co_ci_u32_e64 v88, null, s5, v88, vcc_lo
	v_add_co_u32 v89, vcc_lo, s4, v89
	v_lshlrev_b64 v[95:96], 3, v[95:96]
	v_add_co_ci_u32_e64 v90, null, s5, v90, vcc_lo
	v_add_co_u32 v91, vcc_lo, s4, v91
	v_add_nc_u32_e32 v101, s15, v164
	v_add_co_ci_u32_e64 v92, null, s5, v92, vcc_lo
	v_add_co_u32 v93, vcc_lo, s4, v93
	v_add_co_ci_u32_e64 v94, null, s5, v94, vcc_lo
	v_add_co_u32 v95, vcc_lo, s4, v95
	v_add_nc_u32_e32 v104, s15, v101
	v_add_co_ci_u32_e64 v96, null, s5, v96, vcc_lo
	v_add_co_u32 v97, vcc_lo, s4, v165
	v_ashrrev_i32_e32 v165, 31, v164
	v_ashrrev_i32_e32 v102, 31, v101
	buffer_store_dword v103, off, s[0:3], 0 offset:24
	s_waitcnt vmcnt(28)
	buffer_store_dword v106, off, s[0:3], 0 offset:36
	buffer_store_dword v105, off, s[0:3], 0 offset:32
	v_ashrrev_i32_e32 v105, 31, v104
	s_waitcnt vmcnt(27)
	buffer_store_dword v108, off, s[0:3], 0 offset:44
	v_lshlrev_b64 v[99:100], 3, v[164:165]
	buffer_store_dword v107, off, s[0:3], 0 offset:40
	s_waitcnt vmcnt(26)
	buffer_store_dword v110, off, s[0:3], 0 offset:52
	buffer_store_dword v109, off, s[0:3], 0 offset:48
	s_waitcnt vmcnt(25)
	buffer_store_dword v112, off, s[0:3], 0 offset:60
	v_lshlrev_b64 v[102:103], 3, v[101:102]
	v_add_nc_u32_e32 v107, s15, v104
	v_lshlrev_b64 v[105:106], 3, v[104:105]
	v_add_co_ci_u32_e64 v98, null, s5, v166, vcc_lo
	v_add_co_u32 v99, vcc_lo, s4, v99
	v_ashrrev_i32_e32 v108, 31, v107
	v_add_co_ci_u32_e64 v100, null, s5, v100, vcc_lo
	v_add_co_u32 v101, vcc_lo, s4, v102
	v_add_co_ci_u32_e64 v102, null, s5, v103, vcc_lo
	v_add_co_u32 v103, vcc_lo, s4, v105
	v_add_co_ci_u32_e64 v104, null, s5, v106, vcc_lo
	v_lshlrev_b64 v[105:106], 3, v[107:108]
	v_add_nc_u32_e32 v107, s15, v107
	buffer_store_dword v111, off, s[0:3], 0 offset:56
	s_waitcnt vmcnt(24)
	buffer_store_dword v114, off, s[0:3], 0 offset:68
	buffer_store_dword v113, off, s[0:3], 0 offset:64
	s_waitcnt vmcnt(23)
	buffer_store_dword v115, off, s[0:3], 0 offset:72
	;; [unrolled: 3-line block ×5, first 2 shown]
	buffer_store_dword v122, off, s[0:3], 0 offset:100
	v_add_nc_u32_e32 v110, s15, v107
	v_ashrrev_i32_e32 v108, 31, v107
	v_add_co_u32 v105, vcc_lo, s4, v105
	v_add_co_ci_u32_e64 v106, null, s5, v106, vcc_lo
	v_add_nc_u32_e32 v113, s15, v110
	v_ashrrev_i32_e32 v111, 31, v110
	v_lshlrev_b64 v[108:109], 3, v[107:108]
	s_waitcnt vmcnt(19)
	buffer_store_dword v123, off, s[0:3], 0 offset:104
	buffer_store_dword v124, off, s[0:3], 0 offset:108
	s_waitcnt vmcnt(18)
	buffer_store_dword v126, off, s[0:3], 0 offset:116
	buffer_store_dword v125, off, s[0:3], 0 offset:112
	s_waitcnt vmcnt(17)
	buffer_store_dword v127, off, s[0:3], 0 offset:120
	v_add_nc_u32_e32 v115, s15, v113
	v_lshlrev_b64 v[111:112], 3, v[110:111]
	v_ashrrev_i32_e32 v114, 31, v113
	v_add_co_u32 v107, vcc_lo, s4, v108
	v_ashrrev_i32_e32 v116, 31, v115
	v_add_co_ci_u32_e64 v108, null, s5, v109, vcc_lo
	v_add_co_u32 v109, vcc_lo, s4, v111
	v_add_co_ci_u32_e64 v110, null, s5, v112, vcc_lo
	v_lshlrev_b64 v[111:112], 3, v[113:114]
	v_lshlrev_b64 v[113:114], 3, v[115:116]
	v_add_nc_u32_e32 v115, s15, v115
	buffer_store_dword v128, off, s[0:3], 0 offset:124
	s_waitcnt vmcnt(16)
	buffer_store_dword v130, off, s[0:3], 0 offset:128
	buffer_store_dword v131, off, s[0:3], 0 offset:132
	s_waitcnt vmcnt(15)
	buffer_store_dword v132, off, s[0:3], 0 offset:136
	buffer_store_dword v133, off, s[0:3], 0 offset:140
	s_waitcnt vmcnt(14)
	buffer_store_dword v134, off, s[0:3], 0 offset:144
	buffer_store_dword v135, off, s[0:3], 0 offset:148
	s_waitcnt vmcnt(13)
	buffer_store_dword v137, off, s[0:3], 0 offset:156
	v_add_co_u32 v111, vcc_lo, s4, v111
	v_add_nc_u32_e32 v117, s15, v115
	v_ashrrev_i32_e32 v116, 31, v115
	v_add_co_ci_u32_e64 v112, null, s5, v112, vcc_lo
	v_add_co_u32 v113, vcc_lo, s4, v113
	v_add_nc_u32_e32 v120, s15, v117
	v_ashrrev_i32_e32 v118, 31, v117
	v_lshlrev_b64 v[115:116], 3, v[115:116]
	v_add_co_ci_u32_e64 v114, null, s5, v114, vcc_lo
	v_add_nc_u32_e32 v123, s15, v120
	v_ashrrev_i32_e32 v121, 31, v120
	v_lshlrev_b64 v[118:119], 3, v[117:118]
	v_add_co_u32 v115, vcc_lo, s4, v115
	v_add_nc_u32_e32 v125, s15, v123
	v_lshlrev_b64 v[121:122], 3, v[120:121]
	v_add_co_ci_u32_e64 v116, null, s5, v116, vcc_lo
	v_add_co_u32 v117, vcc_lo, s4, v118
	v_add_nc_u32_e32 v164, s15, v125
	v_ashrrev_i32_e32 v124, 31, v123
	v_ashrrev_i32_e32 v126, 31, v125
	v_add_co_ci_u32_e64 v118, null, s5, v119, vcc_lo
	v_ashrrev_i32_e32 v165, 31, v164
	v_add_co_u32 v119, vcc_lo, s4, v121
	v_add_co_ci_u32_e64 v120, null, s5, v122, vcc_lo
	buffer_store_dword v136, off, s[0:3], 0 offset:152
	s_waitcnt vmcnt(12)
	buffer_store_dword v139, off, s[0:3], 0 offset:164
	buffer_store_dword v138, off, s[0:3], 0 offset:160
	s_waitcnt vmcnt(11)
	buffer_store_dword v140, off, s[0:3], 0 offset:168
	;; [unrolled: 3-line block ×12, first 2 shown]
	buffer_store_dword v160, off, s[0:3], 0 offset:248
	s_clause 0xb
	global_load_dwordx2 v[127:128], v[65:66], off
	global_load_dwordx2 v[130:131], v[69:70], off
	;; [unrolled: 1-line block ×12, first 2 shown]
	v_lshlrev_b64 v[121:122], 3, v[123:124]
	s_clause 0x4
	global_load_dwordx2 v[152:153], v[91:92], off
	global_load_dwordx2 v[154:155], v[93:94], off
	;; [unrolled: 1-line block ×5, first 2 shown]
	v_lshlrev_b64 v[123:124], 3, v[125:126]
	s_clause 0x5
	global_load_dwordx2 v[166:167], v[101:102], off
	global_load_dwordx2 v[168:169], v[103:104], off
	;; [unrolled: 1-line block ×6, first 2 shown]
	v_lshlrev_b64 v[125:126], 3, v[164:165]
	s_clause 0x3
	global_load_dwordx2 v[164:165], v[113:114], off
	global_load_dwordx2 v[178:179], v[115:116], off
	;; [unrolled: 1-line block ×4, first 2 shown]
	v_add_co_u32 v121, vcc_lo, s4, v121
	v_add_co_ci_u32_e64 v122, null, s5, v122, vcc_lo
	v_add_co_u32 v123, vcc_lo, s4, v123
	v_add_co_ci_u32_e64 v124, null, s5, v124, vcc_lo
	;; [unrolled: 2-line block ×3, first 2 shown]
	s_clause 0x1
	global_load_dwordx2 v[184:185], v[121:122], off
	global_load_dwordx2 v[186:187], v[123:124], off
	s_waitcnt vmcnt(29)
	buffer_store_dword v163, off, s[0:3], 0 offset:260
	buffer_store_dword v162, off, s[0:3], 0 offset:256
	global_load_dwordx2 v[162:163], v[125:126], off
	s_mov_b32 s5, -1
	s_waitcnt vmcnt(29)
	buffer_store_dword v127, off, s[0:3], 0 offset:264
	buffer_store_dword v128, off, s[0:3], 0 offset:268
	s_waitcnt vmcnt(28)
	buffer_store_dword v130, off, s[0:3], 0 offset:272
	buffer_store_dword v131, off, s[0:3], 0 offset:276
	;; [unrolled: 3-line block ×30, first 2 shown]
	s_cbranch_scc1 .LBB62_260
; %bb.4:
	v_cmp_eq_u32_e64 s4, 0, v0
	s_and_saveexec_b32 s5, s4
; %bb.5:
	v_mov_b32_e32 v127, 0
	ds_write_b32 v127, v127 offset:504
; %bb.6:
	s_or_b32 exec_lo, exec_lo, s5
	v_lshl_add_u32 v127, v0, 3, 0
	s_waitcnt lgkmcnt(0)
	s_waitcnt_vscnt null, 0x0
	s_barrier
	buffer_gl0_inv
	s_mov_b32 s8, exec_lo
	s_clause 0x1
	buffer_load_dword v130, v127, s[0:3], 0 offen
	buffer_load_dword v131, v127, s[0:3], 0 offen offset:4
	s_waitcnt vmcnt(0)
	v_cmpx_eq_f64_e32 0, v[130:131]
	s_cbranch_execz .LBB62_10
; %bb.7:
	v_mov_b32_e32 v128, 0
	s_mov_b32 s9, 0
	ds_read_b32 v130, v128 offset:504
	s_waitcnt lgkmcnt(0)
	v_readfirstlane_b32 s5, v130
	v_add_nc_u32_e32 v130, 1, v0
	s_cmp_eq_u32 s5, 0
	v_cmp_gt_i32_e32 vcc_lo, s5, v130
	s_cselect_b32 s12, -1, 0
	s_or_b32 s12, s12, vcc_lo
	s_and_b32 exec_lo, exec_lo, s12
	s_cbranch_execz .LBB62_10
; %bb.8:
	v_mov_b32_e32 v131, s5
.LBB62_9:                               ; =>This Inner Loop Header: Depth=1
	ds_cmpst_rtn_b32 v131, v128, v131, v130 offset:504
	s_waitcnt lgkmcnt(0)
	v_cmp_ne_u32_e32 vcc_lo, 0, v131
	v_cmp_le_i32_e64 s5, v131, v130
	s_and_b32 s5, vcc_lo, s5
	s_and_b32 s5, exec_lo, s5
	s_or_b32 s9, s5, s9
	s_andn2_b32 exec_lo, exec_lo, s9
	s_cbranch_execnz .LBB62_9
.LBB62_10:
	s_or_b32 exec_lo, exec_lo, s8
	v_mov_b32_e32 v128, 0
	s_barrier
	buffer_gl0_inv
	ds_read_b32 v130, v128 offset:504
	s_and_saveexec_b32 s5, s4
	s_cbranch_execz .LBB62_12
; %bb.11:
	s_lshl_b64 s[8:9], s[6:7], 2
	s_add_u32 s8, s10, s8
	s_addc_u32 s9, s11, s9
	s_waitcnt lgkmcnt(0)
	global_store_dword v128, v130, s[8:9]
.LBB62_12:
	s_or_b32 exec_lo, exec_lo, s5
	s_waitcnt lgkmcnt(0)
	v_cmp_ne_u32_e32 vcc_lo, 0, v130
	s_mov_b32 s5, 0
	s_cbranch_vccnz .LBB62_260
; %bb.13:
	s_clause 0x1
	buffer_load_dword v130, v127, s[0:3], 0 offen
	buffer_load_dword v131, v127, s[0:3], 0 offen offset:4
	s_waitcnt vmcnt(0)
	v_div_scale_f64 v[132:133], null, v[130:131], v[130:131], 1.0
	v_div_scale_f64 v[138:139], vcc_lo, 1.0, v[130:131], 1.0
	v_rcp_f64_e32 v[134:135], v[132:133]
	v_fma_f64 v[136:137], -v[132:133], v[134:135], 1.0
	v_fma_f64 v[134:135], v[134:135], v[136:137], v[134:135]
	v_fma_f64 v[136:137], -v[132:133], v[134:135], 1.0
	v_fma_f64 v[134:135], v[134:135], v[136:137], v[134:135]
	v_mul_f64 v[136:137], v[138:139], v[134:135]
	v_fma_f64 v[132:133], -v[132:133], v[136:137], v[138:139]
	v_div_fmas_f64 v[132:133], v[132:133], v[134:135], v[136:137]
	v_div_fixup_f64 v[131:132], v[132:133], v[130:131], 1.0
	v_or_b32_e32 v130, 0x200, v129
	buffer_store_dword v132, v127, s[0:3], 0 offen offset:4
	buffer_store_dword v131, v127, s[0:3], 0 offen
	s_clause 0x1
	buffer_load_dword v134, off, s[0:3], 0 offset:12
	buffer_load_dword v133, off, s[0:3], 0 offset:8
	v_xor_b32_e32 v132, 0x80000000, v132
	s_waitcnt vmcnt(0)
	ds_write2st64_b64 v129, v[131:132], v[133:134] offset1:1
	s_waitcnt lgkmcnt(0)
	s_waitcnt_vscnt null, 0x0
	s_barrier
	buffer_gl0_inv
	s_and_saveexec_b32 s5, s4
	s_cbranch_execz .LBB62_15
; %bb.14:
	s_clause 0x1
	buffer_load_dword v131, v127, s[0:3], 0 offen
	buffer_load_dword v132, v127, s[0:3], 0 offen offset:4
	ds_read_b64 v[133:134], v130
	v_mov_b32_e32 v128, 0
	ds_read_b64 v[135:136], v128 offset:8
	s_waitcnt vmcnt(0) lgkmcnt(1)
	v_fma_f64 v[131:132], v[131:132], v[133:134], 0
	s_waitcnt lgkmcnt(0)
	v_mul_f64 v[131:132], v[131:132], v[135:136]
	buffer_store_dword v131, off, s[0:3], 0 offset:8
	buffer_store_dword v132, off, s[0:3], 0 offset:12
.LBB62_15:
	s_or_b32 exec_lo, exec_lo, s5
	s_waitcnt_vscnt null, 0x0
	s_barrier
	buffer_gl0_inv
	s_clause 0x1
	buffer_load_dword v131, off, s[0:3], 0 offset:16
	buffer_load_dword v132, off, s[0:3], 0 offset:20
	s_mov_b32 s5, exec_lo
	s_waitcnt vmcnt(0)
	ds_write_b64 v130, v[131:132]
	s_waitcnt lgkmcnt(0)
	s_barrier
	buffer_gl0_inv
	v_cmpx_gt_u32_e32 2, v0
	s_cbranch_execz .LBB62_19
; %bb.16:
	s_clause 0x1
	buffer_load_dword v131, v127, s[0:3], 0 offen
	buffer_load_dword v132, v127, s[0:3], 0 offen offset:4
	ds_read_b64 v[127:128], v130
	s_waitcnt vmcnt(0) lgkmcnt(0)
	v_fma_f64 v[127:128], v[131:132], v[127:128], 0
	s_and_saveexec_b32 s8, s4
	s_cbranch_execz .LBB62_18
; %bb.17:
	s_clause 0x1
	buffer_load_dword v131, off, s[0:3], 0 offset:8
	buffer_load_dword v132, off, s[0:3], 0 offset:12
	v_mov_b32_e32 v133, 0
	ds_read_b64 v[133:134], v133 offset:520
	s_waitcnt vmcnt(0) lgkmcnt(0)
	v_fma_f64 v[127:128], v[131:132], v[133:134], v[127:128]
.LBB62_18:
	s_or_b32 exec_lo, exec_lo, s8
	v_mov_b32_e32 v131, 0
	ds_read_b64 v[131:132], v131 offset:16
	s_waitcnt lgkmcnt(0)
	v_mul_f64 v[127:128], v[127:128], v[131:132]
	buffer_store_dword v128, off, s[0:3], 0 offset:20
	buffer_store_dword v127, off, s[0:3], 0 offset:16
.LBB62_19:
	s_or_b32 exec_lo, exec_lo, s5
	s_waitcnt_vscnt null, 0x0
	s_barrier
	buffer_gl0_inv
	s_clause 0x1
	buffer_load_dword v127, off, s[0:3], 0 offset:24
	buffer_load_dword v128, off, s[0:3], 0 offset:28
	v_add_nc_u32_e32 v131, -1, v0
	s_mov_b32 s4, exec_lo
	s_waitcnt vmcnt(0)
	ds_write_b64 v130, v[127:128]
	s_waitcnt lgkmcnt(0)
	s_barrier
	buffer_gl0_inv
	v_cmpx_gt_u32_e32 3, v0
	s_cbranch_execz .LBB62_23
; %bb.20:
	v_mov_b32_e32 v127, 0
	v_add_nc_u32_e32 v132, -1, v0
	v_or_b32_e32 v133, 0x200, v129
	v_mov_b32_e32 v128, 0
	v_mov_b32_e32 v134, v129
	s_mov_b32 s5, 0
.LBB62_21:                              ; =>This Inner Loop Header: Depth=1
	s_clause 0x1
	buffer_load_dword v135, v134, s[0:3], 0 offen
	buffer_load_dword v136, v134, s[0:3], 0 offen offset:4
	ds_read_b64 v[137:138], v133
	v_add_nc_u32_e32 v132, 1, v132
	v_add_nc_u32_e32 v133, 8, v133
	v_add_nc_u32_e32 v134, 8, v134
	v_cmp_lt_u32_e32 vcc_lo, 1, v132
	s_or_b32 s5, vcc_lo, s5
	s_waitcnt vmcnt(0) lgkmcnt(0)
	v_fma_f64 v[127:128], v[135:136], v[137:138], v[127:128]
	s_andn2_b32 exec_lo, exec_lo, s5
	s_cbranch_execnz .LBB62_21
; %bb.22:
	s_or_b32 exec_lo, exec_lo, s5
	v_mov_b32_e32 v132, 0
	ds_read_b64 v[132:133], v132 offset:24
	s_waitcnt lgkmcnt(0)
	v_mul_f64 v[127:128], v[127:128], v[132:133]
	buffer_store_dword v128, off, s[0:3], 0 offset:28
	buffer_store_dword v127, off, s[0:3], 0 offset:24
.LBB62_23:
	s_or_b32 exec_lo, exec_lo, s4
	s_waitcnt_vscnt null, 0x0
	s_barrier
	buffer_gl0_inv
	s_clause 0x1
	buffer_load_dword v127, off, s[0:3], 0 offset:32
	buffer_load_dword v128, off, s[0:3], 0 offset:36
	s_mov_b32 s4, exec_lo
	s_waitcnt vmcnt(0)
	ds_write_b64 v130, v[127:128]
	s_waitcnt lgkmcnt(0)
	s_barrier
	buffer_gl0_inv
	v_cmpx_gt_u32_e32 4, v0
	s_cbranch_execz .LBB62_27
; %bb.24:
	v_mov_b32_e32 v127, 0
	v_add_nc_u32_e32 v132, -1, v0
	v_or_b32_e32 v133, 0x200, v129
	v_mov_b32_e32 v128, 0
	v_mov_b32_e32 v134, v129
	s_mov_b32 s5, 0
.LBB62_25:                              ; =>This Inner Loop Header: Depth=1
	s_clause 0x1
	buffer_load_dword v135, v134, s[0:3], 0 offen
	buffer_load_dword v136, v134, s[0:3], 0 offen offset:4
	ds_read_b64 v[137:138], v133
	v_add_nc_u32_e32 v132, 1, v132
	v_add_nc_u32_e32 v133, 8, v133
	v_add_nc_u32_e32 v134, 8, v134
	v_cmp_lt_u32_e32 vcc_lo, 2, v132
	s_or_b32 s5, vcc_lo, s5
	s_waitcnt vmcnt(0) lgkmcnt(0)
	v_fma_f64 v[127:128], v[135:136], v[137:138], v[127:128]
	s_andn2_b32 exec_lo, exec_lo, s5
	s_cbranch_execnz .LBB62_25
; %bb.26:
	s_or_b32 exec_lo, exec_lo, s5
	v_mov_b32_e32 v132, 0
	ds_read_b64 v[132:133], v132 offset:32
	s_waitcnt lgkmcnt(0)
	v_mul_f64 v[127:128], v[127:128], v[132:133]
	buffer_store_dword v128, off, s[0:3], 0 offset:36
	buffer_store_dword v127, off, s[0:3], 0 offset:32
.LBB62_27:
	s_or_b32 exec_lo, exec_lo, s4
	s_waitcnt_vscnt null, 0x0
	s_barrier
	buffer_gl0_inv
	s_clause 0x1
	buffer_load_dword v127, off, s[0:3], 0 offset:40
	buffer_load_dword v128, off, s[0:3], 0 offset:44
	;; [unrolled: 45-line block ×20, first 2 shown]
	s_mov_b32 s4, exec_lo
	s_waitcnt vmcnt(0)
	ds_write_b64 v130, v[127:128]
	s_waitcnt lgkmcnt(0)
	s_barrier
	buffer_gl0_inv
	v_cmpx_gt_u32_e32 23, v0
	s_cbranch_execz .LBB62_103
; %bb.100:
	v_mov_b32_e32 v127, 0
	v_add_nc_u32_e32 v132, -1, v0
	v_or_b32_e32 v133, 0x200, v129
	v_mov_b32_e32 v128, 0
	v_mov_b32_e32 v134, v129
	s_mov_b32 s5, 0
.LBB62_101:                             ; =>This Inner Loop Header: Depth=1
	s_clause 0x1
	buffer_load_dword v135, v134, s[0:3], 0 offen
	buffer_load_dword v136, v134, s[0:3], 0 offen offset:4
	ds_read_b64 v[137:138], v133
	v_add_nc_u32_e32 v132, 1, v132
	v_add_nc_u32_e32 v133, 8, v133
	v_add_nc_u32_e32 v134, 8, v134
	v_cmp_lt_u32_e32 vcc_lo, 21, v132
	s_or_b32 s5, vcc_lo, s5
	s_waitcnt vmcnt(0) lgkmcnt(0)
	v_fma_f64 v[127:128], v[135:136], v[137:138], v[127:128]
	s_andn2_b32 exec_lo, exec_lo, s5
	s_cbranch_execnz .LBB62_101
; %bb.102:
	s_or_b32 exec_lo, exec_lo, s5
	v_mov_b32_e32 v132, 0
	ds_read_b64 v[132:133], v132 offset:184
	s_waitcnt lgkmcnt(0)
	v_mul_f64 v[127:128], v[127:128], v[132:133]
	buffer_store_dword v128, off, s[0:3], 0 offset:188
	buffer_store_dword v127, off, s[0:3], 0 offset:184
.LBB62_103:
	s_or_b32 exec_lo, exec_lo, s4
	s_waitcnt_vscnt null, 0x0
	s_barrier
	buffer_gl0_inv
	s_clause 0x1
	buffer_load_dword v127, off, s[0:3], 0 offset:192
	buffer_load_dword v128, off, s[0:3], 0 offset:196
	s_mov_b32 s4, exec_lo
	s_waitcnt vmcnt(0)
	ds_write_b64 v130, v[127:128]
	s_waitcnt lgkmcnt(0)
	s_barrier
	buffer_gl0_inv
	v_cmpx_gt_u32_e32 24, v0
	s_cbranch_execz .LBB62_107
; %bb.104:
	v_mov_b32_e32 v127, 0
	v_add_nc_u32_e32 v132, -1, v0
	v_or_b32_e32 v133, 0x200, v129
	v_mov_b32_e32 v128, 0
	v_mov_b32_e32 v134, v129
	s_mov_b32 s5, 0
.LBB62_105:                             ; =>This Inner Loop Header: Depth=1
	s_clause 0x1
	buffer_load_dword v135, v134, s[0:3], 0 offen
	buffer_load_dword v136, v134, s[0:3], 0 offen offset:4
	ds_read_b64 v[137:138], v133
	v_add_nc_u32_e32 v132, 1, v132
	v_add_nc_u32_e32 v133, 8, v133
	v_add_nc_u32_e32 v134, 8, v134
	v_cmp_lt_u32_e32 vcc_lo, 22, v132
	s_or_b32 s5, vcc_lo, s5
	s_waitcnt vmcnt(0) lgkmcnt(0)
	v_fma_f64 v[127:128], v[135:136], v[137:138], v[127:128]
	s_andn2_b32 exec_lo, exec_lo, s5
	s_cbranch_execnz .LBB62_105
; %bb.106:
	s_or_b32 exec_lo, exec_lo, s5
	v_mov_b32_e32 v132, 0
	ds_read_b64 v[132:133], v132 offset:192
	s_waitcnt lgkmcnt(0)
	v_mul_f64 v[127:128], v[127:128], v[132:133]
	buffer_store_dword v128, off, s[0:3], 0 offset:196
	buffer_store_dword v127, off, s[0:3], 0 offset:192
.LBB62_107:
	s_or_b32 exec_lo, exec_lo, s4
	s_waitcnt_vscnt null, 0x0
	s_barrier
	buffer_gl0_inv
	s_clause 0x1
	buffer_load_dword v127, off, s[0:3], 0 offset:200
	buffer_load_dword v128, off, s[0:3], 0 offset:204
	;; [unrolled: 45-line block ×39, first 2 shown]
	s_mov_b32 s4, exec_lo
	s_waitcnt vmcnt(0)
	ds_write_b64 v130, v[127:128]
	s_waitcnt lgkmcnt(0)
	s_barrier
	buffer_gl0_inv
	v_cmpx_ne_u32_e32 62, v0
	s_cbranch_execz .LBB62_259
; %bb.256:
	v_mov_b32_e32 v127, 0
	v_mov_b32_e32 v128, 0
	s_mov_b32 s5, 0
.LBB62_257:                             ; =>This Inner Loop Header: Depth=1
	s_clause 0x1
	buffer_load_dword v132, v129, s[0:3], 0 offen
	buffer_load_dword v133, v129, s[0:3], 0 offen offset:4
	ds_read_b64 v[134:135], v130
	v_add_nc_u32_e32 v131, 1, v131
	v_add_nc_u32_e32 v130, 8, v130
	;; [unrolled: 1-line block ×3, first 2 shown]
	v_cmp_lt_u32_e32 vcc_lo, 60, v131
	s_or_b32 s5, vcc_lo, s5
	s_waitcnt vmcnt(0) lgkmcnt(0)
	v_fma_f64 v[127:128], v[132:133], v[134:135], v[127:128]
	s_andn2_b32 exec_lo, exec_lo, s5
	s_cbranch_execnz .LBB62_257
; %bb.258:
	s_or_b32 exec_lo, exec_lo, s5
	v_mov_b32_e32 v129, 0
	ds_read_b64 v[129:130], v129 offset:496
	s_waitcnt lgkmcnt(0)
	v_mul_f64 v[127:128], v[127:128], v[129:130]
	buffer_store_dword v128, off, s[0:3], 0 offset:500
	buffer_store_dword v127, off, s[0:3], 0 offset:496
.LBB62_259:
	s_or_b32 exec_lo, exec_lo, s4
	s_mov_b32 s5, -1
	s_waitcnt_vscnt null, 0x0
	s_barrier
	buffer_gl0_inv
.LBB62_260:
	s_and_b32 vcc_lo, exec_lo, s5
	s_cbranch_vccz .LBB62_262
; %bb.261:
	s_lshl_b64 s[4:5], s[6:7], 2
	v_mov_b32_e32 v127, 0
	s_add_u32 s4, s10, s4
	s_addc_u32 s5, s11, s5
	global_load_dword v127, v127, s[4:5]
	s_waitcnt vmcnt(0)
	v_cmp_ne_u32_e32 vcc_lo, 0, v127
	s_cbranch_vccz .LBB62_263
.LBB62_262:
	s_endpgm
.LBB62_263:
	v_lshl_or_b32 v127, v0, 3, 0x200
	s_mov_b32 s4, exec_lo
	v_cmpx_eq_u32_e32 62, v0
	s_cbranch_execz .LBB62_265
; %bb.264:
	s_clause 0x1
	buffer_load_dword v128, off, s[0:3], 0 offset:488
	buffer_load_dword v129, off, s[0:3], 0 offset:492
	v_mov_b32_e32 v130, 0
	buffer_store_dword v130, off, s[0:3], 0 offset:488
	buffer_store_dword v130, off, s[0:3], 0 offset:492
	s_waitcnt vmcnt(0)
	ds_write_b64 v127, v[128:129]
.LBB62_265:
	s_or_b32 exec_lo, exec_lo, s4
	s_waitcnt lgkmcnt(0)
	s_waitcnt_vscnt null, 0x0
	s_barrier
	buffer_gl0_inv
	s_clause 0x3
	buffer_load_dword v129, off, s[0:3], 0 offset:496
	buffer_load_dword v130, off, s[0:3], 0 offset:500
	buffer_load_dword v131, off, s[0:3], 0 offset:488
	buffer_load_dword v132, off, s[0:3], 0 offset:492
	v_mov_b32_e32 v128, 0
	s_mov_b32 s4, exec_lo
	ds_read_b64 v[133:134], v128 offset:1008
	s_waitcnt vmcnt(2) lgkmcnt(0)
	v_fma_f64 v[129:130], v[129:130], v[133:134], 0
	s_waitcnt vmcnt(0)
	v_add_f64 v[129:130], v[131:132], -v[129:130]
	buffer_store_dword v129, off, s[0:3], 0 offset:488
	buffer_store_dword v130, off, s[0:3], 0 offset:492
	v_cmpx_lt_u32_e32 60, v0
	s_cbranch_execz .LBB62_267
; %bb.266:
	s_clause 0x1
	buffer_load_dword v129, off, s[0:3], 0 offset:480
	buffer_load_dword v130, off, s[0:3], 0 offset:484
	buffer_store_dword v128, off, s[0:3], 0 offset:480
	buffer_store_dword v128, off, s[0:3], 0 offset:484
	s_waitcnt vmcnt(0)
	ds_write_b64 v127, v[129:130]
.LBB62_267:
	s_or_b32 exec_lo, exec_lo, s4
	s_waitcnt lgkmcnt(0)
	s_waitcnt_vscnt null, 0x0
	s_barrier
	buffer_gl0_inv
	s_clause 0x5
	buffer_load_dword v132, off, s[0:3], 0 offset:488
	buffer_load_dword v133, off, s[0:3], 0 offset:492
	;; [unrolled: 1-line block ×6, first 2 shown]
	ds_read2_b64 v[128:131], v128 offset0:125 offset1:126
	s_mov_b32 s4, exec_lo
	s_waitcnt vmcnt(4) lgkmcnt(0)
	v_fma_f64 v[128:129], v[132:133], v[128:129], 0
	s_waitcnt vmcnt(2)
	v_fma_f64 v[128:129], v[134:135], v[130:131], v[128:129]
	s_waitcnt vmcnt(0)
	v_add_f64 v[128:129], v[136:137], -v[128:129]
	buffer_store_dword v128, off, s[0:3], 0 offset:480
	buffer_store_dword v129, off, s[0:3], 0 offset:484
	v_cmpx_lt_u32_e32 59, v0
	s_cbranch_execz .LBB62_269
; %bb.268:
	s_clause 0x1
	buffer_load_dword v128, off, s[0:3], 0 offset:472
	buffer_load_dword v129, off, s[0:3], 0 offset:476
	v_mov_b32_e32 v130, 0
	buffer_store_dword v130, off, s[0:3], 0 offset:472
	buffer_store_dword v130, off, s[0:3], 0 offset:476
	s_waitcnt vmcnt(0)
	ds_write_b64 v127, v[128:129]
.LBB62_269:
	s_or_b32 exec_lo, exec_lo, s4
	s_waitcnt lgkmcnt(0)
	s_waitcnt_vscnt null, 0x0
	s_barrier
	buffer_gl0_inv
	s_clause 0x7
	buffer_load_dword v133, off, s[0:3], 0 offset:480
	buffer_load_dword v134, off, s[0:3], 0 offset:484
	;; [unrolled: 1-line block ×8, first 2 shown]
	v_mov_b32_e32 v128, 0
	ds_read_b128 v[129:132], v128 offset:992
	ds_read_b64 v[141:142], v128 offset:1008
	s_mov_b32 s4, exec_lo
	s_waitcnt vmcnt(6) lgkmcnt(1)
	v_fma_f64 v[129:130], v[133:134], v[129:130], 0
	s_waitcnt vmcnt(4)
	v_fma_f64 v[129:130], v[135:136], v[131:132], v[129:130]
	s_waitcnt vmcnt(2) lgkmcnt(0)
	v_fma_f64 v[129:130], v[137:138], v[141:142], v[129:130]
	s_waitcnt vmcnt(0)
	v_add_f64 v[129:130], v[139:140], -v[129:130]
	buffer_store_dword v129, off, s[0:3], 0 offset:472
	buffer_store_dword v130, off, s[0:3], 0 offset:476
	v_cmpx_lt_u32_e32 58, v0
	s_cbranch_execz .LBB62_271
; %bb.270:
	s_clause 0x1
	buffer_load_dword v129, off, s[0:3], 0 offset:464
	buffer_load_dword v130, off, s[0:3], 0 offset:468
	buffer_store_dword v128, off, s[0:3], 0 offset:464
	buffer_store_dword v128, off, s[0:3], 0 offset:468
	s_waitcnt vmcnt(0)
	ds_write_b64 v127, v[129:130]
.LBB62_271:
	s_or_b32 exec_lo, exec_lo, s4
	s_waitcnt lgkmcnt(0)
	s_waitcnt_vscnt null, 0x0
	s_barrier
	buffer_gl0_inv
	s_clause 0x9
	buffer_load_dword v137, off, s[0:3], 0 offset:472
	buffer_load_dword v138, off, s[0:3], 0 offset:476
	;; [unrolled: 1-line block ×10, first 2 shown]
	ds_read2_b64 v[129:132], v128 offset0:123 offset1:124
	ds_read2_b64 v[133:136], v128 offset0:125 offset1:126
	s_mov_b32 s4, exec_lo
	s_waitcnt vmcnt(8) lgkmcnt(1)
	v_fma_f64 v[128:129], v[137:138], v[129:130], 0
	s_waitcnt vmcnt(6)
	v_fma_f64 v[128:129], v[139:140], v[131:132], v[128:129]
	s_waitcnt vmcnt(4) lgkmcnt(0)
	v_fma_f64 v[128:129], v[141:142], v[133:134], v[128:129]
	s_waitcnt vmcnt(2)
	v_fma_f64 v[128:129], v[143:144], v[135:136], v[128:129]
	s_waitcnt vmcnt(0)
	v_add_f64 v[128:129], v[145:146], -v[128:129]
	buffer_store_dword v128, off, s[0:3], 0 offset:464
	buffer_store_dword v129, off, s[0:3], 0 offset:468
	v_cmpx_lt_u32_e32 57, v0
	s_cbranch_execz .LBB62_273
; %bb.272:
	s_clause 0x1
	buffer_load_dword v128, off, s[0:3], 0 offset:456
	buffer_load_dword v129, off, s[0:3], 0 offset:460
	v_mov_b32_e32 v130, 0
	buffer_store_dword v130, off, s[0:3], 0 offset:456
	buffer_store_dword v130, off, s[0:3], 0 offset:460
	s_waitcnt vmcnt(0)
	ds_write_b64 v127, v[128:129]
.LBB62_273:
	s_or_b32 exec_lo, exec_lo, s4
	s_waitcnt lgkmcnt(0)
	s_waitcnt_vscnt null, 0x0
	s_barrier
	buffer_gl0_inv
	s_clause 0xb
	buffer_load_dword v137, off, s[0:3], 0 offset:464
	buffer_load_dword v138, off, s[0:3], 0 offset:468
	;; [unrolled: 1-line block ×12, first 2 shown]
	v_mov_b32_e32 v128, 0
	ds_read_b128 v[129:132], v128 offset:976
	ds_read_b128 v[133:136], v128 offset:992
	s_mov_b32 s4, exec_lo
	s_waitcnt vmcnt(10) lgkmcnt(1)
	v_fma_f64 v[129:130], v[137:138], v[129:130], 0
	s_waitcnt vmcnt(8)
	v_fma_f64 v[129:130], v[139:140], v[131:132], v[129:130]
	ds_read_b64 v[131:132], v128 offset:1008
	s_waitcnt vmcnt(6) lgkmcnt(1)
	v_fma_f64 v[129:130], v[141:142], v[133:134], v[129:130]
	s_waitcnt vmcnt(4)
	v_fma_f64 v[129:130], v[143:144], v[135:136], v[129:130]
	s_waitcnt vmcnt(2) lgkmcnt(0)
	v_fma_f64 v[129:130], v[145:146], v[131:132], v[129:130]
	s_waitcnt vmcnt(0)
	v_add_f64 v[129:130], v[147:148], -v[129:130]
	buffer_store_dword v129, off, s[0:3], 0 offset:456
	buffer_store_dword v130, off, s[0:3], 0 offset:460
	v_cmpx_lt_u32_e32 56, v0
	s_cbranch_execz .LBB62_275
; %bb.274:
	s_clause 0x1
	buffer_load_dword v129, off, s[0:3], 0 offset:448
	buffer_load_dword v130, off, s[0:3], 0 offset:452
	buffer_store_dword v128, off, s[0:3], 0 offset:448
	buffer_store_dword v128, off, s[0:3], 0 offset:452
	s_waitcnt vmcnt(0)
	ds_write_b64 v127, v[129:130]
.LBB62_275:
	s_or_b32 exec_lo, exec_lo, s4
	s_waitcnt lgkmcnt(0)
	s_waitcnt_vscnt null, 0x0
	s_barrier
	buffer_gl0_inv
	s_clause 0xd
	buffer_load_dword v137, off, s[0:3], 0 offset:456
	buffer_load_dword v138, off, s[0:3], 0 offset:460
	;; [unrolled: 1-line block ×14, first 2 shown]
	ds_read2_b64 v[129:132], v128 offset0:121 offset1:122
	ds_read2_b64 v[133:136], v128 offset0:123 offset1:124
	s_mov_b32 s4, exec_lo
	s_waitcnt vmcnt(12) lgkmcnt(1)
	v_fma_f64 v[129:130], v[137:138], v[129:130], 0
	s_waitcnt vmcnt(10)
	v_fma_f64 v[129:130], v[139:140], v[131:132], v[129:130]
	s_waitcnt vmcnt(8) lgkmcnt(0)
	v_fma_f64 v[129:130], v[141:142], v[133:134], v[129:130]
	s_waitcnt vmcnt(6)
	v_fma_f64 v[132:133], v[143:144], v[135:136], v[129:130]
	ds_read2_b64 v[128:131], v128 offset0:125 offset1:126
	s_waitcnt vmcnt(4) lgkmcnt(0)
	v_fma_f64 v[128:129], v[145:146], v[128:129], v[132:133]
	s_waitcnt vmcnt(2)
	v_fma_f64 v[128:129], v[147:148], v[130:131], v[128:129]
	s_waitcnt vmcnt(0)
	v_add_f64 v[128:129], v[149:150], -v[128:129]
	buffer_store_dword v128, off, s[0:3], 0 offset:448
	buffer_store_dword v129, off, s[0:3], 0 offset:452
	v_cmpx_lt_u32_e32 55, v0
	s_cbranch_execz .LBB62_277
; %bb.276:
	s_clause 0x1
	buffer_load_dword v128, off, s[0:3], 0 offset:440
	buffer_load_dword v129, off, s[0:3], 0 offset:444
	v_mov_b32_e32 v130, 0
	buffer_store_dword v130, off, s[0:3], 0 offset:440
	buffer_store_dword v130, off, s[0:3], 0 offset:444
	s_waitcnt vmcnt(0)
	ds_write_b64 v127, v[128:129]
.LBB62_277:
	s_or_b32 exec_lo, exec_lo, s4
	s_waitcnt lgkmcnt(0)
	s_waitcnt_vscnt null, 0x0
	s_barrier
	buffer_gl0_inv
	s_clause 0xf
	buffer_load_dword v137, off, s[0:3], 0 offset:448
	buffer_load_dword v138, off, s[0:3], 0 offset:452
	;; [unrolled: 1-line block ×16, first 2 shown]
	v_mov_b32_e32 v128, 0
	ds_read_b128 v[129:132], v128 offset:960
	ds_read_b128 v[133:136], v128 offset:976
	s_mov_b32 s4, exec_lo
	s_waitcnt vmcnt(14) lgkmcnt(1)
	v_fma_f64 v[129:130], v[137:138], v[129:130], 0
	s_waitcnt vmcnt(12)
	v_fma_f64 v[129:130], v[139:140], v[131:132], v[129:130]
	s_waitcnt vmcnt(10) lgkmcnt(0)
	v_fma_f64 v[129:130], v[141:142], v[133:134], v[129:130]
	s_waitcnt vmcnt(8)
	v_fma_f64 v[133:134], v[143:144], v[135:136], v[129:130]
	ds_read_b128 v[129:132], v128 offset:992
	ds_read_b64 v[135:136], v128 offset:1008
	s_waitcnt vmcnt(6) lgkmcnt(1)
	v_fma_f64 v[129:130], v[145:146], v[129:130], v[133:134]
	s_waitcnt vmcnt(4)
	v_fma_f64 v[129:130], v[147:148], v[131:132], v[129:130]
	s_waitcnt vmcnt(2) lgkmcnt(0)
	v_fma_f64 v[129:130], v[149:150], v[135:136], v[129:130]
	s_waitcnt vmcnt(0)
	v_add_f64 v[129:130], v[151:152], -v[129:130]
	buffer_store_dword v129, off, s[0:3], 0 offset:440
	buffer_store_dword v130, off, s[0:3], 0 offset:444
	v_cmpx_lt_u32_e32 54, v0
	s_cbranch_execz .LBB62_279
; %bb.278:
	s_clause 0x1
	buffer_load_dword v129, off, s[0:3], 0 offset:432
	buffer_load_dword v130, off, s[0:3], 0 offset:436
	buffer_store_dword v128, off, s[0:3], 0 offset:432
	buffer_store_dword v128, off, s[0:3], 0 offset:436
	s_waitcnt vmcnt(0)
	ds_write_b64 v127, v[129:130]
.LBB62_279:
	s_or_b32 exec_lo, exec_lo, s4
	s_waitcnt lgkmcnt(0)
	s_waitcnt_vscnt null, 0x0
	s_barrier
	buffer_gl0_inv
	s_clause 0x11
	buffer_load_dword v137, off, s[0:3], 0 offset:440
	buffer_load_dword v138, off, s[0:3], 0 offset:444
	buffer_load_dword v139, off, s[0:3], 0 offset:448
	buffer_load_dword v140, off, s[0:3], 0 offset:452
	buffer_load_dword v141, off, s[0:3], 0 offset:456
	buffer_load_dword v142, off, s[0:3], 0 offset:460
	buffer_load_dword v143, off, s[0:3], 0 offset:464
	buffer_load_dword v144, off, s[0:3], 0 offset:468
	buffer_load_dword v145, off, s[0:3], 0 offset:472
	buffer_load_dword v146, off, s[0:3], 0 offset:476
	buffer_load_dword v147, off, s[0:3], 0 offset:480
	buffer_load_dword v148, off, s[0:3], 0 offset:484
	buffer_load_dword v149, off, s[0:3], 0 offset:488
	buffer_load_dword v150, off, s[0:3], 0 offset:492
	buffer_load_dword v152, off, s[0:3], 0 offset:500
	buffer_load_dword v151, off, s[0:3], 0 offset:496
	buffer_load_dword v153, off, s[0:3], 0 offset:432
	buffer_load_dword v154, off, s[0:3], 0 offset:436
	ds_read2_b64 v[129:132], v128 offset0:119 offset1:120
	ds_read2_b64 v[133:136], v128 offset0:121 offset1:122
	s_mov_b32 s4, exec_lo
	s_waitcnt vmcnt(16) lgkmcnt(1)
	v_fma_f64 v[129:130], v[137:138], v[129:130], 0
	s_waitcnt vmcnt(14)
	v_fma_f64 v[129:130], v[139:140], v[131:132], v[129:130]
	s_waitcnt vmcnt(12) lgkmcnt(0)
	v_fma_f64 v[129:130], v[141:142], v[133:134], v[129:130]
	s_waitcnt vmcnt(10)
	v_fma_f64 v[137:138], v[143:144], v[135:136], v[129:130]
	ds_read2_b64 v[129:132], v128 offset0:123 offset1:124
	ds_read2_b64 v[133:136], v128 offset0:125 offset1:126
	s_waitcnt vmcnt(8) lgkmcnt(1)
	v_fma_f64 v[128:129], v[145:146], v[129:130], v[137:138]
	s_waitcnt vmcnt(6)
	v_fma_f64 v[128:129], v[147:148], v[131:132], v[128:129]
	s_waitcnt vmcnt(4) lgkmcnt(0)
	v_fma_f64 v[128:129], v[149:150], v[133:134], v[128:129]
	s_waitcnt vmcnt(2)
	v_fma_f64 v[128:129], v[151:152], v[135:136], v[128:129]
	s_waitcnt vmcnt(0)
	v_add_f64 v[128:129], v[153:154], -v[128:129]
	buffer_store_dword v128, off, s[0:3], 0 offset:432
	buffer_store_dword v129, off, s[0:3], 0 offset:436
	v_cmpx_lt_u32_e32 53, v0
	s_cbranch_execz .LBB62_281
; %bb.280:
	s_clause 0x1
	buffer_load_dword v128, off, s[0:3], 0 offset:424
	buffer_load_dword v129, off, s[0:3], 0 offset:428
	v_mov_b32_e32 v130, 0
	buffer_store_dword v130, off, s[0:3], 0 offset:424
	buffer_store_dword v130, off, s[0:3], 0 offset:428
	s_waitcnt vmcnt(0)
	ds_write_b64 v127, v[128:129]
.LBB62_281:
	s_or_b32 exec_lo, exec_lo, s4
	s_waitcnt lgkmcnt(0)
	s_waitcnt_vscnt null, 0x0
	s_barrier
	buffer_gl0_inv
	s_clause 0x13
	buffer_load_dword v137, off, s[0:3], 0 offset:432
	buffer_load_dword v138, off, s[0:3], 0 offset:436
	;; [unrolled: 1-line block ×20, first 2 shown]
	v_mov_b32_e32 v128, 0
	ds_read_b128 v[129:132], v128 offset:944
	ds_read_b128 v[133:136], v128 offset:960
	s_mov_b32 s4, exec_lo
	s_waitcnt vmcnt(18) lgkmcnt(1)
	v_fma_f64 v[129:130], v[137:138], v[129:130], 0
	s_waitcnt vmcnt(16)
	v_fma_f64 v[129:130], v[139:140], v[131:132], v[129:130]
	s_waitcnt vmcnt(14) lgkmcnt(0)
	v_fma_f64 v[129:130], v[141:142], v[133:134], v[129:130]
	s_waitcnt vmcnt(12)
	v_fma_f64 v[137:138], v[143:144], v[135:136], v[129:130]
	ds_read_b128 v[129:132], v128 offset:976
	ds_read_b128 v[133:136], v128 offset:992
	s_waitcnt vmcnt(10) lgkmcnt(1)
	v_fma_f64 v[129:130], v[145:146], v[129:130], v[137:138]
	s_waitcnt vmcnt(8)
	v_fma_f64 v[129:130], v[147:148], v[131:132], v[129:130]
	ds_read_b64 v[131:132], v128 offset:1008
	s_waitcnt vmcnt(6) lgkmcnt(1)
	v_fma_f64 v[129:130], v[149:150], v[133:134], v[129:130]
	s_waitcnt vmcnt(3)
	v_fma_f64 v[129:130], v[151:152], v[135:136], v[129:130]
	s_waitcnt vmcnt(2) lgkmcnt(0)
	v_fma_f64 v[129:130], v[153:154], v[131:132], v[129:130]
	s_waitcnt vmcnt(0)
	v_add_f64 v[129:130], v[155:156], -v[129:130]
	buffer_store_dword v129, off, s[0:3], 0 offset:424
	buffer_store_dword v130, off, s[0:3], 0 offset:428
	v_cmpx_lt_u32_e32 52, v0
	s_cbranch_execz .LBB62_283
; %bb.282:
	s_clause 0x1
	buffer_load_dword v129, off, s[0:3], 0 offset:416
	buffer_load_dword v130, off, s[0:3], 0 offset:420
	buffer_store_dword v128, off, s[0:3], 0 offset:416
	buffer_store_dword v128, off, s[0:3], 0 offset:420
	s_waitcnt vmcnt(0)
	ds_write_b64 v127, v[129:130]
.LBB62_283:
	s_or_b32 exec_lo, exec_lo, s4
	s_waitcnt lgkmcnt(0)
	s_waitcnt_vscnt null, 0x0
	s_barrier
	buffer_gl0_inv
	s_clause 0x15
	buffer_load_dword v133, off, s[0:3], 0 offset:424
	buffer_load_dword v134, off, s[0:3], 0 offset:428
	;; [unrolled: 1-line block ×22, first 2 shown]
	ds_read2_b64 v[129:132], v128 offset0:117 offset1:118
	s_mov_b32 s4, exec_lo
	s_waitcnt vmcnt(20) lgkmcnt(0)
	v_fma_f64 v[129:130], v[133:134], v[129:130], 0
	s_waitcnt vmcnt(18)
	v_fma_f64 v[133:134], v[135:136], v[131:132], v[129:130]
	ds_read2_b64 v[129:132], v128 offset0:119 offset1:120
	s_waitcnt vmcnt(16) lgkmcnt(0)
	v_fma_f64 v[129:130], v[137:138], v[129:130], v[133:134]
	s_waitcnt vmcnt(14)
	v_fma_f64 v[133:134], v[139:140], v[131:132], v[129:130]
	ds_read2_b64 v[129:132], v128 offset0:121 offset1:122
	;; [unrolled: 5-line block ×4, first 2 shown]
	s_waitcnt vmcnt(4) lgkmcnt(0)
	v_fma_f64 v[128:129], v[149:150], v[128:129], v[132:133]
	s_waitcnt vmcnt(2)
	v_fma_f64 v[128:129], v[151:152], v[130:131], v[128:129]
	s_waitcnt vmcnt(0)
	v_add_f64 v[128:129], v[153:154], -v[128:129]
	buffer_store_dword v128, off, s[0:3], 0 offset:416
	buffer_store_dword v129, off, s[0:3], 0 offset:420
	v_cmpx_lt_u32_e32 51, v0
	s_cbranch_execz .LBB62_285
; %bb.284:
	s_clause 0x1
	buffer_load_dword v128, off, s[0:3], 0 offset:408
	buffer_load_dword v129, off, s[0:3], 0 offset:412
	v_mov_b32_e32 v130, 0
	buffer_store_dword v130, off, s[0:3], 0 offset:408
	buffer_store_dword v130, off, s[0:3], 0 offset:412
	s_waitcnt vmcnt(0)
	ds_write_b64 v127, v[128:129]
.LBB62_285:
	s_or_b32 exec_lo, exec_lo, s4
	s_waitcnt lgkmcnt(0)
	s_waitcnt_vscnt null, 0x0
	s_barrier
	buffer_gl0_inv
	s_clause 0x17
	buffer_load_dword v133, off, s[0:3], 0 offset:416
	buffer_load_dword v134, off, s[0:3], 0 offset:420
	;; [unrolled: 1-line block ×24, first 2 shown]
	v_mov_b32_e32 v128, 0
	s_mov_b32 s4, exec_lo
	ds_read_b128 v[129:132], v128 offset:928
	s_waitcnt vmcnt(22) lgkmcnt(0)
	v_fma_f64 v[129:130], v[133:134], v[129:130], 0
	s_waitcnt vmcnt(20)
	v_fma_f64 v[133:134], v[135:136], v[131:132], v[129:130]
	ds_read_b128 v[129:132], v128 offset:944
	s_waitcnt vmcnt(18) lgkmcnt(0)
	v_fma_f64 v[129:130], v[137:138], v[129:130], v[133:134]
	s_waitcnt vmcnt(16)
	v_fma_f64 v[133:134], v[139:140], v[131:132], v[129:130]
	;; [unrolled: 5-line block ×5, first 2 shown]
	ds_read_b64 v[131:132], v128 offset:1008
	s_waitcnt vmcnt(2) lgkmcnt(0)
	v_fma_f64 v[129:130], v[153:154], v[131:132], v[129:130]
	s_waitcnt vmcnt(0)
	v_add_f64 v[129:130], v[155:156], -v[129:130]
	buffer_store_dword v130, off, s[0:3], 0 offset:412
	buffer_store_dword v129, off, s[0:3], 0 offset:408
	v_cmpx_lt_u32_e32 50, v0
	s_cbranch_execz .LBB62_287
; %bb.286:
	s_clause 0x1
	buffer_load_dword v129, off, s[0:3], 0 offset:400
	buffer_load_dword v130, off, s[0:3], 0 offset:404
	buffer_store_dword v128, off, s[0:3], 0 offset:400
	buffer_store_dword v128, off, s[0:3], 0 offset:404
	s_waitcnt vmcnt(0)
	ds_write_b64 v127, v[129:130]
.LBB62_287:
	s_or_b32 exec_lo, exec_lo, s4
	s_waitcnt lgkmcnt(0)
	s_waitcnt_vscnt null, 0x0
	s_barrier
	buffer_gl0_inv
	s_clause 0x19
	buffer_load_dword v133, off, s[0:3], 0 offset:408
	buffer_load_dword v134, off, s[0:3], 0 offset:412
	;; [unrolled: 1-line block ×26, first 2 shown]
	ds_read2_b64 v[129:132], v128 offset0:115 offset1:116
	s_mov_b32 s4, exec_lo
	s_waitcnt vmcnt(24) lgkmcnt(0)
	v_fma_f64 v[129:130], v[133:134], v[129:130], 0
	s_waitcnt vmcnt(22)
	v_fma_f64 v[133:134], v[135:136], v[131:132], v[129:130]
	ds_read2_b64 v[129:132], v128 offset0:117 offset1:118
	s_waitcnt vmcnt(20) lgkmcnt(0)
	v_fma_f64 v[129:130], v[137:138], v[129:130], v[133:134]
	s_waitcnt vmcnt(18)
	v_fma_f64 v[133:134], v[139:140], v[131:132], v[129:130]
	ds_read2_b64 v[129:132], v128 offset0:119 offset1:120
	;; [unrolled: 5-line block ×5, first 2 shown]
	s_waitcnt vmcnt(4) lgkmcnt(0)
	v_fma_f64 v[128:129], v[153:154], v[128:129], v[132:133]
	s_waitcnt vmcnt(2)
	v_fma_f64 v[128:129], v[155:156], v[130:131], v[128:129]
	s_waitcnt vmcnt(0)
	v_add_f64 v[128:129], v[157:158], -v[128:129]
	buffer_store_dword v129, off, s[0:3], 0 offset:404
	buffer_store_dword v128, off, s[0:3], 0 offset:400
	v_cmpx_lt_u32_e32 49, v0
	s_cbranch_execz .LBB62_289
; %bb.288:
	s_clause 0x1
	buffer_load_dword v128, off, s[0:3], 0 offset:392
	buffer_load_dword v129, off, s[0:3], 0 offset:396
	v_mov_b32_e32 v130, 0
	buffer_store_dword v130, off, s[0:3], 0 offset:392
	buffer_store_dword v130, off, s[0:3], 0 offset:396
	s_waitcnt vmcnt(0)
	ds_write_b64 v127, v[128:129]
.LBB62_289:
	s_or_b32 exec_lo, exec_lo, s4
	s_waitcnt lgkmcnt(0)
	s_waitcnt_vscnt null, 0x0
	s_barrier
	buffer_gl0_inv
	s_clause 0x1b
	buffer_load_dword v137, off, s[0:3], 0 offset:400
	buffer_load_dword v138, off, s[0:3], 0 offset:404
	buffer_load_dword v139, off, s[0:3], 0 offset:408
	buffer_load_dword v140, off, s[0:3], 0 offset:412
	buffer_load_dword v141, off, s[0:3], 0 offset:416
	buffer_load_dword v142, off, s[0:3], 0 offset:420
	buffer_load_dword v143, off, s[0:3], 0 offset:424
	buffer_load_dword v144, off, s[0:3], 0 offset:428
	buffer_load_dword v145, off, s[0:3], 0 offset:432
	buffer_load_dword v146, off, s[0:3], 0 offset:436
	buffer_load_dword v147, off, s[0:3], 0 offset:440
	buffer_load_dword v148, off, s[0:3], 0 offset:444
	buffer_load_dword v149, off, s[0:3], 0 offset:448
	buffer_load_dword v150, off, s[0:3], 0 offset:452
	buffer_load_dword v152, off, s[0:3], 0 offset:460
	buffer_load_dword v153, off, s[0:3], 0 offset:480
	buffer_load_dword v155, off, s[0:3], 0 offset:472
	buffer_load_dword v157, off, s[0:3], 0 offset:464
	buffer_load_dword v151, off, s[0:3], 0 offset:456
	buffer_load_dword v158, off, s[0:3], 0 offset:468
	buffer_load_dword v156, off, s[0:3], 0 offset:476
	buffer_load_dword v154, off, s[0:3], 0 offset:484
	buffer_load_dword v160, off, s[0:3], 0 offset:492
	buffer_load_dword v161, off, s[0:3], 0 offset:496
	buffer_load_dword v159, off, s[0:3], 0 offset:488
	buffer_load_dword v162, off, s[0:3], 0 offset:500
	buffer_load_dword v163, off, s[0:3], 0 offset:392
	buffer_load_dword v164, off, s[0:3], 0 offset:396
	v_mov_b32_e32 v128, 0
	ds_read_b128 v[129:132], v128 offset:912
	ds_read_b128 v[133:136], v128 offset:928
	s_mov_b32 s4, exec_lo
	s_waitcnt vmcnt(26) lgkmcnt(1)
	v_fma_f64 v[129:130], v[137:138], v[129:130], 0
	s_waitcnt vmcnt(24)
	v_fma_f64 v[129:130], v[139:140], v[131:132], v[129:130]
	s_waitcnt vmcnt(22) lgkmcnt(0)
	v_fma_f64 v[129:130], v[141:142], v[133:134], v[129:130]
	s_waitcnt vmcnt(20)
	v_fma_f64 v[137:138], v[143:144], v[135:136], v[129:130]
	ds_read_b128 v[129:132], v128 offset:944
	ds_read_b128 v[133:136], v128 offset:960
	s_waitcnt vmcnt(18) lgkmcnt(1)
	v_fma_f64 v[129:130], v[145:146], v[129:130], v[137:138]
	s_waitcnt vmcnt(16)
	v_fma_f64 v[129:130], v[147:148], v[131:132], v[129:130]
	s_waitcnt vmcnt(14) lgkmcnt(0)
	v_fma_f64 v[129:130], v[149:150], v[133:134], v[129:130]
	s_waitcnt vmcnt(9)
	v_fma_f64 v[137:138], v[151:152], v[135:136], v[129:130]
	ds_read_b128 v[129:132], v128 offset:976
	ds_read_b128 v[133:136], v128 offset:992
	s_waitcnt vmcnt(8) lgkmcnt(1)
	v_fma_f64 v[129:130], v[157:158], v[129:130], v[137:138]
	s_waitcnt vmcnt(7)
	v_fma_f64 v[129:130], v[155:156], v[131:132], v[129:130]
	ds_read_b64 v[131:132], v128 offset:1008
	s_waitcnt vmcnt(6) lgkmcnt(1)
	v_fma_f64 v[129:130], v[153:154], v[133:134], v[129:130]
	s_waitcnt vmcnt(3)
	v_fma_f64 v[129:130], v[159:160], v[135:136], v[129:130]
	s_waitcnt vmcnt(2) lgkmcnt(0)
	v_fma_f64 v[129:130], v[161:162], v[131:132], v[129:130]
	s_waitcnt vmcnt(0)
	v_add_f64 v[129:130], v[163:164], -v[129:130]
	buffer_store_dword v130, off, s[0:3], 0 offset:396
	buffer_store_dword v129, off, s[0:3], 0 offset:392
	v_cmpx_lt_u32_e32 48, v0
	s_cbranch_execz .LBB62_291
; %bb.290:
	s_clause 0x1
	buffer_load_dword v129, off, s[0:3], 0 offset:384
	buffer_load_dword v130, off, s[0:3], 0 offset:388
	buffer_store_dword v128, off, s[0:3], 0 offset:384
	buffer_store_dword v128, off, s[0:3], 0 offset:388
	s_waitcnt vmcnt(0)
	ds_write_b64 v127, v[129:130]
.LBB62_291:
	s_or_b32 exec_lo, exec_lo, s4
	s_waitcnt lgkmcnt(0)
	s_waitcnt_vscnt null, 0x0
	s_barrier
	buffer_gl0_inv
	s_clause 0x1b
	buffer_load_dword v137, off, s[0:3], 0 offset:392
	buffer_load_dword v138, off, s[0:3], 0 offset:396
	buffer_load_dword v139, off, s[0:3], 0 offset:400
	buffer_load_dword v140, off, s[0:3], 0 offset:404
	buffer_load_dword v141, off, s[0:3], 0 offset:408
	buffer_load_dword v142, off, s[0:3], 0 offset:412
	buffer_load_dword v143, off, s[0:3], 0 offset:416
	buffer_load_dword v144, off, s[0:3], 0 offset:420
	buffer_load_dword v145, off, s[0:3], 0 offset:424
	buffer_load_dword v146, off, s[0:3], 0 offset:428
	buffer_load_dword v147, off, s[0:3], 0 offset:432
	buffer_load_dword v148, off, s[0:3], 0 offset:436
	buffer_load_dword v149, off, s[0:3], 0 offset:440
	buffer_load_dword v150, off, s[0:3], 0 offset:444
	buffer_load_dword v152, off, s[0:3], 0 offset:452
	buffer_load_dword v153, off, s[0:3], 0 offset:472
	buffer_load_dword v155, off, s[0:3], 0 offset:464
	buffer_load_dword v157, off, s[0:3], 0 offset:456
	buffer_load_dword v151, off, s[0:3], 0 offset:448
	buffer_load_dword v158, off, s[0:3], 0 offset:460
	buffer_load_dword v156, off, s[0:3], 0 offset:468
	buffer_load_dword v154, off, s[0:3], 0 offset:476
	buffer_load_dword v160, off, s[0:3], 0 offset:484
	buffer_load_dword v161, off, s[0:3], 0 offset:496
	buffer_load_dword v163, off, s[0:3], 0 offset:488
	buffer_load_dword v159, off, s[0:3], 0 offset:480
	buffer_load_dword v164, off, s[0:3], 0 offset:492
	buffer_load_dword v162, off, s[0:3], 0 offset:500
	ds_read2_b64 v[129:132], v128 offset0:113 offset1:114
	s_clause 0x1
	buffer_load_dword v165, off, s[0:3], 0 offset:384
	buffer_load_dword v166, off, s[0:3], 0 offset:388
	ds_read2_b64 v[133:136], v128 offset0:115 offset1:116
	s_mov_b32 s4, exec_lo
	s_waitcnt vmcnt(28) lgkmcnt(1)
	v_fma_f64 v[129:130], v[137:138], v[129:130], 0
	s_waitcnt vmcnt(26)
	v_fma_f64 v[129:130], v[139:140], v[131:132], v[129:130]
	s_waitcnt vmcnt(24) lgkmcnt(0)
	v_fma_f64 v[129:130], v[141:142], v[133:134], v[129:130]
	s_waitcnt vmcnt(22)
	v_fma_f64 v[137:138], v[143:144], v[135:136], v[129:130]
	ds_read2_b64 v[129:132], v128 offset0:117 offset1:118
	ds_read2_b64 v[133:136], v128 offset0:119 offset1:120
	s_waitcnt vmcnt(20) lgkmcnt(1)
	v_fma_f64 v[129:130], v[145:146], v[129:130], v[137:138]
	s_waitcnt vmcnt(18)
	v_fma_f64 v[129:130], v[147:148], v[131:132], v[129:130]
	s_waitcnt vmcnt(16) lgkmcnt(0)
	v_fma_f64 v[129:130], v[149:150], v[133:134], v[129:130]
	s_waitcnt vmcnt(11)
	v_fma_f64 v[137:138], v[151:152], v[135:136], v[129:130]
	ds_read2_b64 v[129:132], v128 offset0:121 offset1:122
	ds_read2_b64 v[133:136], v128 offset0:123 offset1:124
	s_waitcnt vmcnt(10) lgkmcnt(1)
	v_fma_f64 v[129:130], v[157:158], v[129:130], v[137:138]
	s_waitcnt vmcnt(9)
	v_fma_f64 v[129:130], v[155:156], v[131:132], v[129:130]
	s_waitcnt vmcnt(8) lgkmcnt(0)
	v_fma_f64 v[129:130], v[153:154], v[133:134], v[129:130]
	s_waitcnt vmcnt(4)
	v_fma_f64 v[132:133], v[159:160], v[135:136], v[129:130]
	ds_read2_b64 v[128:131], v128 offset0:125 offset1:126
	s_waitcnt vmcnt(3) lgkmcnt(0)
	v_fma_f64 v[128:129], v[163:164], v[128:129], v[132:133]
	s_waitcnt vmcnt(2)
	v_fma_f64 v[128:129], v[161:162], v[130:131], v[128:129]
	s_waitcnt vmcnt(0)
	v_add_f64 v[128:129], v[165:166], -v[128:129]
	buffer_store_dword v129, off, s[0:3], 0 offset:388
	buffer_store_dword v128, off, s[0:3], 0 offset:384
	v_cmpx_lt_u32_e32 47, v0
	s_cbranch_execz .LBB62_293
; %bb.292:
	s_clause 0x1
	buffer_load_dword v128, off, s[0:3], 0 offset:376
	buffer_load_dword v129, off, s[0:3], 0 offset:380
	v_mov_b32_e32 v130, 0
	buffer_store_dword v130, off, s[0:3], 0 offset:376
	buffer_store_dword v130, off, s[0:3], 0 offset:380
	s_waitcnt vmcnt(0)
	ds_write_b64 v127, v[128:129]
.LBB62_293:
	s_or_b32 exec_lo, exec_lo, s4
	s_waitcnt lgkmcnt(0)
	s_waitcnt_vscnt null, 0x0
	s_barrier
	buffer_gl0_inv
	s_clause 0x1c
	buffer_load_dword v137, off, s[0:3], 0 offset:384
	buffer_load_dword v138, off, s[0:3], 0 offset:388
	;; [unrolled: 1-line block ×29, first 2 shown]
	v_mov_b32_e32 v128, 0
	buffer_load_dword v162, off, s[0:3], 0 offset:500
	s_mov_b32 s4, exec_lo
	ds_read_b128 v[129:132], v128 offset:896
	ds_read_b128 v[133:136], v128 offset:912
	s_waitcnt vmcnt(28) lgkmcnt(1)
	v_fma_f64 v[129:130], v[137:138], v[129:130], 0
	s_clause 0x1
	buffer_load_dword v137, off, s[0:3], 0 offset:376
	buffer_load_dword v138, off, s[0:3], 0 offset:380
	s_waitcnt vmcnt(28)
	v_fma_f64 v[129:130], v[139:140], v[131:132], v[129:130]
	s_waitcnt vmcnt(26) lgkmcnt(0)
	v_fma_f64 v[129:130], v[141:142], v[133:134], v[129:130]
	s_waitcnt vmcnt(24)
	v_fma_f64 v[139:140], v[143:144], v[135:136], v[129:130]
	ds_read_b128 v[129:132], v128 offset:928
	ds_read_b128 v[133:136], v128 offset:944
	s_waitcnt vmcnt(22) lgkmcnt(1)
	v_fma_f64 v[129:130], v[145:146], v[129:130], v[139:140]
	s_waitcnt vmcnt(20)
	v_fma_f64 v[129:130], v[147:148], v[131:132], v[129:130]
	s_waitcnt vmcnt(18) lgkmcnt(0)
	v_fma_f64 v[129:130], v[149:150], v[133:134], v[129:130]
	s_waitcnt vmcnt(13)
	v_fma_f64 v[139:140], v[151:152], v[135:136], v[129:130]
	ds_read_b128 v[129:132], v128 offset:960
	ds_read_b128 v[133:136], v128 offset:976
	s_waitcnt vmcnt(12) lgkmcnt(1)
	v_fma_f64 v[129:130], v[157:158], v[129:130], v[139:140]
	s_waitcnt vmcnt(11)
	v_fma_f64 v[129:130], v[155:156], v[131:132], v[129:130]
	s_waitcnt vmcnt(10) lgkmcnt(0)
	v_fma_f64 v[129:130], v[153:154], v[133:134], v[129:130]
	s_waitcnt vmcnt(5)
	v_fma_f64 v[133:134], v[159:160], v[135:136], v[129:130]
	ds_read_b128 v[129:132], v128 offset:992
	ds_read_b64 v[135:136], v128 offset:1008
	s_waitcnt vmcnt(4) lgkmcnt(1)
	v_fma_f64 v[129:130], v[165:166], v[129:130], v[133:134]
	s_waitcnt vmcnt(3)
	v_fma_f64 v[129:130], v[163:164], v[131:132], v[129:130]
	s_waitcnt vmcnt(2) lgkmcnt(0)
	v_fma_f64 v[129:130], v[161:162], v[135:136], v[129:130]
	s_waitcnt vmcnt(0)
	v_add_f64 v[129:130], v[137:138], -v[129:130]
	buffer_store_dword v130, off, s[0:3], 0 offset:380
	buffer_store_dword v129, off, s[0:3], 0 offset:376
	v_cmpx_lt_u32_e32 46, v0
	s_cbranch_execz .LBB62_295
; %bb.294:
	s_clause 0x1
	buffer_load_dword v129, off, s[0:3], 0 offset:368
	buffer_load_dword v130, off, s[0:3], 0 offset:372
	buffer_store_dword v128, off, s[0:3], 0 offset:368
	buffer_store_dword v128, off, s[0:3], 0 offset:372
	s_waitcnt vmcnt(0)
	ds_write_b64 v127, v[129:130]
.LBB62_295:
	s_or_b32 exec_lo, exec_lo, s4
	s_waitcnt lgkmcnt(0)
	s_waitcnt_vscnt null, 0x0
	s_barrier
	buffer_gl0_inv
	s_clause 0x1c
	buffer_load_dword v137, off, s[0:3], 0 offset:376
	buffer_load_dword v138, off, s[0:3], 0 offset:380
	buffer_load_dword v139, off, s[0:3], 0 offset:384
	buffer_load_dword v140, off, s[0:3], 0 offset:388
	buffer_load_dword v141, off, s[0:3], 0 offset:392
	buffer_load_dword v142, off, s[0:3], 0 offset:396
	buffer_load_dword v143, off, s[0:3], 0 offset:400
	buffer_load_dword v144, off, s[0:3], 0 offset:404
	buffer_load_dword v145, off, s[0:3], 0 offset:408
	buffer_load_dword v146, off, s[0:3], 0 offset:412
	buffer_load_dword v147, off, s[0:3], 0 offset:416
	buffer_load_dword v148, off, s[0:3], 0 offset:420
	buffer_load_dword v149, off, s[0:3], 0 offset:424
	buffer_load_dword v150, off, s[0:3], 0 offset:428
	buffer_load_dword v152, off, s[0:3], 0 offset:436
	buffer_load_dword v153, off, s[0:3], 0 offset:456
	buffer_load_dword v155, off, s[0:3], 0 offset:448
	buffer_load_dword v157, off, s[0:3], 0 offset:440
	buffer_load_dword v151, off, s[0:3], 0 offset:432
	buffer_load_dword v158, off, s[0:3], 0 offset:444
	buffer_load_dword v156, off, s[0:3], 0 offset:452
	buffer_load_dword v154, off, s[0:3], 0 offset:460
	buffer_load_dword v160, off, s[0:3], 0 offset:468
	buffer_load_dword v161, off, s[0:3], 0 offset:488
	buffer_load_dword v163, off, s[0:3], 0 offset:480
	buffer_load_dword v165, off, s[0:3], 0 offset:472
	buffer_load_dword v159, off, s[0:3], 0 offset:464
	buffer_load_dword v166, off, s[0:3], 0 offset:476
	buffer_load_dword v164, off, s[0:3], 0 offset:484
	ds_read2_b64 v[129:132], v128 offset0:111 offset1:112
	ds_read2_b64 v[133:136], v128 offset0:113 offset1:114
	buffer_load_dword v162, off, s[0:3], 0 offset:492
	s_mov_b32 s4, exec_lo
	s_waitcnt vmcnt(28) lgkmcnt(1)
	v_fma_f64 v[129:130], v[137:138], v[129:130], 0
	s_clause 0x1
	buffer_load_dword v138, off, s[0:3], 0 offset:500
	buffer_load_dword v137, off, s[0:3], 0 offset:496
	s_waitcnt vmcnt(28)
	v_fma_f64 v[129:130], v[139:140], v[131:132], v[129:130]
	s_clause 0x1
	buffer_load_dword v139, off, s[0:3], 0 offset:368
	buffer_load_dword v140, off, s[0:3], 0 offset:372
	s_waitcnt vmcnt(28) lgkmcnt(0)
	v_fma_f64 v[129:130], v[141:142], v[133:134], v[129:130]
	s_waitcnt vmcnt(26)
	v_fma_f64 v[141:142], v[143:144], v[135:136], v[129:130]
	ds_read2_b64 v[129:132], v128 offset0:115 offset1:116
	ds_read2_b64 v[133:136], v128 offset0:117 offset1:118
	s_waitcnt vmcnt(24) lgkmcnt(1)
	v_fma_f64 v[129:130], v[145:146], v[129:130], v[141:142]
	s_waitcnt vmcnt(22)
	v_fma_f64 v[129:130], v[147:148], v[131:132], v[129:130]
	s_waitcnt vmcnt(20) lgkmcnt(0)
	v_fma_f64 v[129:130], v[149:150], v[133:134], v[129:130]
	s_waitcnt vmcnt(15)
	v_fma_f64 v[141:142], v[151:152], v[135:136], v[129:130]
	ds_read2_b64 v[129:132], v128 offset0:119 offset1:120
	ds_read2_b64 v[133:136], v128 offset0:121 offset1:122
	s_waitcnt vmcnt(14) lgkmcnt(1)
	v_fma_f64 v[129:130], v[157:158], v[129:130], v[141:142]
	s_waitcnt vmcnt(13)
	v_fma_f64 v[129:130], v[155:156], v[131:132], v[129:130]
	;; [unrolled: 10-line block ×3, first 2 shown]
	s_waitcnt vmcnt(4) lgkmcnt(0)
	v_fma_f64 v[128:129], v[161:162], v[133:134], v[128:129]
	s_waitcnt vmcnt(2)
	v_fma_f64 v[128:129], v[137:138], v[135:136], v[128:129]
	s_waitcnt vmcnt(0)
	v_add_f64 v[128:129], v[139:140], -v[128:129]
	buffer_store_dword v129, off, s[0:3], 0 offset:372
	buffer_store_dword v128, off, s[0:3], 0 offset:368
	v_cmpx_lt_u32_e32 45, v0
	s_cbranch_execz .LBB62_297
; %bb.296:
	s_clause 0x1
	buffer_load_dword v128, off, s[0:3], 0 offset:360
	buffer_load_dword v129, off, s[0:3], 0 offset:364
	v_mov_b32_e32 v130, 0
	buffer_store_dword v130, off, s[0:3], 0 offset:360
	buffer_store_dword v130, off, s[0:3], 0 offset:364
	s_waitcnt vmcnt(0)
	ds_write_b64 v127, v[128:129]
.LBB62_297:
	s_or_b32 exec_lo, exec_lo, s4
	s_waitcnt lgkmcnt(0)
	s_waitcnt_vscnt null, 0x0
	s_barrier
	buffer_gl0_inv
	s_clause 0x1c
	buffer_load_dword v137, off, s[0:3], 0 offset:368
	buffer_load_dword v138, off, s[0:3], 0 offset:372
	;; [unrolled: 1-line block ×29, first 2 shown]
	v_mov_b32_e32 v128, 0
	buffer_load_dword v162, off, s[0:3], 0 offset:484
	s_mov_b32 s4, exec_lo
	ds_read_b128 v[129:132], v128 offset:880
	ds_read_b128 v[133:136], v128 offset:896
	s_waitcnt vmcnt(28) lgkmcnt(1)
	v_fma_f64 v[129:130], v[137:138], v[129:130], 0
	s_clause 0x3
	buffer_load_dword v138, off, s[0:3], 0 offset:492
	buffer_load_dword v167, off, s[0:3], 0 offset:496
	buffer_load_dword v137, off, s[0:3], 0 offset:488
	buffer_load_dword v168, off, s[0:3], 0 offset:500
	s_waitcnt vmcnt(30)
	v_fma_f64 v[129:130], v[139:140], v[131:132], v[129:130]
	s_clause 0x1
	buffer_load_dword v139, off, s[0:3], 0 offset:360
	buffer_load_dword v140, off, s[0:3], 0 offset:364
	s_waitcnt vmcnt(30) lgkmcnt(0)
	v_fma_f64 v[129:130], v[141:142], v[133:134], v[129:130]
	s_waitcnt vmcnt(28)
	v_fma_f64 v[141:142], v[143:144], v[135:136], v[129:130]
	ds_read_b128 v[129:132], v128 offset:912
	ds_read_b128 v[133:136], v128 offset:928
	s_waitcnt vmcnt(26) lgkmcnt(1)
	v_fma_f64 v[129:130], v[145:146], v[129:130], v[141:142]
	s_waitcnt vmcnt(24)
	v_fma_f64 v[129:130], v[147:148], v[131:132], v[129:130]
	s_waitcnt vmcnt(22) lgkmcnt(0)
	v_fma_f64 v[129:130], v[149:150], v[133:134], v[129:130]
	s_waitcnt vmcnt(17)
	v_fma_f64 v[141:142], v[151:152], v[135:136], v[129:130]
	ds_read_b128 v[129:132], v128 offset:944
	ds_read_b128 v[133:136], v128 offset:960
	s_waitcnt vmcnt(16) lgkmcnt(1)
	v_fma_f64 v[129:130], v[157:158], v[129:130], v[141:142]
	s_waitcnt vmcnt(15)
	v_fma_f64 v[129:130], v[155:156], v[131:132], v[129:130]
	s_waitcnt vmcnt(14) lgkmcnt(0)
	v_fma_f64 v[129:130], v[153:154], v[133:134], v[129:130]
	s_waitcnt vmcnt(9)
	v_fma_f64 v[141:142], v[159:160], v[135:136], v[129:130]
	ds_read_b128 v[129:132], v128 offset:976
	ds_read_b128 v[133:136], v128 offset:992
	s_waitcnt vmcnt(8) lgkmcnt(1)
	v_fma_f64 v[129:130], v[165:166], v[129:130], v[141:142]
	s_waitcnt vmcnt(7)
	v_fma_f64 v[129:130], v[163:164], v[131:132], v[129:130]
	ds_read_b64 v[131:132], v128 offset:1008
	s_waitcnt vmcnt(6) lgkmcnt(1)
	v_fma_f64 v[129:130], v[161:162], v[133:134], v[129:130]
	s_waitcnt vmcnt(3)
	v_fma_f64 v[129:130], v[137:138], v[135:136], v[129:130]
	s_waitcnt vmcnt(2) lgkmcnt(0)
	v_fma_f64 v[129:130], v[167:168], v[131:132], v[129:130]
	s_waitcnt vmcnt(0)
	v_add_f64 v[129:130], v[139:140], -v[129:130]
	buffer_store_dword v130, off, s[0:3], 0 offset:364
	buffer_store_dword v129, off, s[0:3], 0 offset:360
	v_cmpx_lt_u32_e32 44, v0
	s_cbranch_execz .LBB62_299
; %bb.298:
	s_clause 0x1
	buffer_load_dword v129, off, s[0:3], 0 offset:352
	buffer_load_dword v130, off, s[0:3], 0 offset:356
	buffer_store_dword v128, off, s[0:3], 0 offset:352
	buffer_store_dword v128, off, s[0:3], 0 offset:356
	s_waitcnt vmcnt(0)
	ds_write_b64 v127, v[129:130]
.LBB62_299:
	s_or_b32 exec_lo, exec_lo, s4
	s_waitcnt lgkmcnt(0)
	s_waitcnt_vscnt null, 0x0
	s_barrier
	buffer_gl0_inv
	s_clause 0x1c
	buffer_load_dword v137, off, s[0:3], 0 offset:360
	buffer_load_dword v138, off, s[0:3], 0 offset:364
	;; [unrolled: 1-line block ×29, first 2 shown]
	ds_read2_b64 v[129:132], v128 offset0:109 offset1:110
	ds_read2_b64 v[133:136], v128 offset0:111 offset1:112
	buffer_load_dword v162, off, s[0:3], 0 offset:476
	s_mov_b32 s4, exec_lo
	s_waitcnt vmcnt(28) lgkmcnt(1)
	v_fma_f64 v[129:130], v[137:138], v[129:130], 0
	s_clause 0x5
	buffer_load_dword v138, off, s[0:3], 0 offset:484
	buffer_load_dword v167, off, s[0:3], 0 offset:496
	;; [unrolled: 1-line block ×6, first 2 shown]
	s_waitcnt vmcnt(32)
	v_fma_f64 v[129:130], v[139:140], v[131:132], v[129:130]
	s_waitcnt vmcnt(30) lgkmcnt(0)
	v_fma_f64 v[129:130], v[141:142], v[133:134], v[129:130]
	s_waitcnt vmcnt(28)
	v_fma_f64 v[139:140], v[143:144], v[135:136], v[129:130]
	ds_read2_b64 v[129:132], v128 offset0:113 offset1:114
	s_clause 0x1
	buffer_load_dword v141, off, s[0:3], 0 offset:352
	buffer_load_dword v142, off, s[0:3], 0 offset:356
	ds_read2_b64 v[133:136], v128 offset0:115 offset1:116
	s_waitcnt vmcnt(28) lgkmcnt(1)
	v_fma_f64 v[129:130], v[145:146], v[129:130], v[139:140]
	s_waitcnt vmcnt(26)
	v_fma_f64 v[129:130], v[147:148], v[131:132], v[129:130]
	s_waitcnt vmcnt(24) lgkmcnt(0)
	v_fma_f64 v[129:130], v[149:150], v[133:134], v[129:130]
	s_waitcnt vmcnt(19)
	v_fma_f64 v[139:140], v[151:152], v[135:136], v[129:130]
	ds_read2_b64 v[129:132], v128 offset0:117 offset1:118
	ds_read2_b64 v[133:136], v128 offset0:119 offset1:120
	s_waitcnt vmcnt(18) lgkmcnt(1)
	v_fma_f64 v[129:130], v[157:158], v[129:130], v[139:140]
	s_waitcnt vmcnt(17)
	v_fma_f64 v[129:130], v[155:156], v[131:132], v[129:130]
	s_waitcnt vmcnt(16) lgkmcnt(0)
	v_fma_f64 v[129:130], v[153:154], v[133:134], v[129:130]
	s_waitcnt vmcnt(11)
	v_fma_f64 v[139:140], v[159:160], v[135:136], v[129:130]
	ds_read2_b64 v[129:132], v128 offset0:121 offset1:122
	;; [unrolled: 10-line block ×3, first 2 shown]
	s_waitcnt vmcnt(3) lgkmcnt(0)
	v_fma_f64 v[128:129], v[169:170], v[128:129], v[132:133]
	s_waitcnt vmcnt(2)
	v_fma_f64 v[128:129], v[167:168], v[130:131], v[128:129]
	s_waitcnt vmcnt(0)
	v_add_f64 v[128:129], v[141:142], -v[128:129]
	buffer_store_dword v129, off, s[0:3], 0 offset:356
	buffer_store_dword v128, off, s[0:3], 0 offset:352
	v_cmpx_lt_u32_e32 43, v0
	s_cbranch_execz .LBB62_301
; %bb.300:
	s_clause 0x1
	buffer_load_dword v128, off, s[0:3], 0 offset:344
	buffer_load_dword v129, off, s[0:3], 0 offset:348
	v_mov_b32_e32 v130, 0
	buffer_store_dword v130, off, s[0:3], 0 offset:344
	buffer_store_dword v130, off, s[0:3], 0 offset:348
	s_waitcnt vmcnt(0)
	ds_write_b64 v127, v[128:129]
.LBB62_301:
	s_or_b32 exec_lo, exec_lo, s4
	s_waitcnt lgkmcnt(0)
	s_waitcnt_vscnt null, 0x0
	s_barrier
	buffer_gl0_inv
	s_clause 0x1c
	buffer_load_dword v137, off, s[0:3], 0 offset:352
	buffer_load_dword v138, off, s[0:3], 0 offset:356
	;; [unrolled: 1-line block ×29, first 2 shown]
	v_mov_b32_e32 v128, 0
	buffer_load_dword v162, off, s[0:3], 0 offset:468
	s_mov_b32 s4, exec_lo
	ds_read_b128 v[129:132], v128 offset:864
	ds_read_b128 v[133:136], v128 offset:880
	s_waitcnt vmcnt(28) lgkmcnt(1)
	v_fma_f64 v[129:130], v[137:138], v[129:130], 0
	s_clause 0x7
	buffer_load_dword v138, off, s[0:3], 0 offset:476
	buffer_load_dword v167, off, s[0:3], 0 offset:496
	;; [unrolled: 1-line block ×8, first 2 shown]
	s_waitcnt vmcnt(34)
	v_fma_f64 v[129:130], v[139:140], v[131:132], v[129:130]
	s_waitcnt vmcnt(32) lgkmcnt(0)
	v_fma_f64 v[129:130], v[141:142], v[133:134], v[129:130]
	s_waitcnt vmcnt(30)
	v_fma_f64 v[139:140], v[143:144], v[135:136], v[129:130]
	ds_read_b128 v[129:132], v128 offset:896
	ds_read_b128 v[133:136], v128 offset:912
	s_waitcnt vmcnt(28) lgkmcnt(1)
	v_fma_f64 v[129:130], v[145:146], v[129:130], v[139:140]
	s_clause 0x1
	buffer_load_dword v139, off, s[0:3], 0 offset:344
	buffer_load_dword v140, off, s[0:3], 0 offset:348
	s_waitcnt vmcnt(28)
	v_fma_f64 v[129:130], v[147:148], v[131:132], v[129:130]
	s_waitcnt vmcnt(26) lgkmcnt(0)
	v_fma_f64 v[129:130], v[149:150], v[133:134], v[129:130]
	s_waitcnt vmcnt(21)
	v_fma_f64 v[141:142], v[151:152], v[135:136], v[129:130]
	ds_read_b128 v[129:132], v128 offset:928
	ds_read_b128 v[133:136], v128 offset:944
	s_waitcnt vmcnt(20) lgkmcnt(1)
	v_fma_f64 v[129:130], v[157:158], v[129:130], v[141:142]
	s_waitcnt vmcnt(19)
	v_fma_f64 v[129:130], v[155:156], v[131:132], v[129:130]
	s_waitcnt vmcnt(18) lgkmcnt(0)
	v_fma_f64 v[129:130], v[153:154], v[133:134], v[129:130]
	s_waitcnt vmcnt(13)
	v_fma_f64 v[141:142], v[159:160], v[135:136], v[129:130]
	ds_read_b128 v[129:132], v128 offset:960
	ds_read_b128 v[133:136], v128 offset:976
	s_waitcnt vmcnt(12) lgkmcnt(1)
	v_fma_f64 v[129:130], v[165:166], v[129:130], v[141:142]
	s_waitcnt vmcnt(11)
	v_fma_f64 v[129:130], v[163:164], v[131:132], v[129:130]
	s_waitcnt vmcnt(10) lgkmcnt(0)
	v_fma_f64 v[129:130], v[161:162], v[133:134], v[129:130]
	s_waitcnt vmcnt(5)
	v_fma_f64 v[133:134], v[137:138], v[135:136], v[129:130]
	ds_read_b128 v[129:132], v128 offset:992
	ds_read_b64 v[135:136], v128 offset:1008
	s_waitcnt vmcnt(4) lgkmcnt(1)
	v_fma_f64 v[129:130], v[171:172], v[129:130], v[133:134]
	s_waitcnt vmcnt(3)
	v_fma_f64 v[129:130], v[169:170], v[131:132], v[129:130]
	s_waitcnt vmcnt(2) lgkmcnt(0)
	v_fma_f64 v[129:130], v[167:168], v[135:136], v[129:130]
	s_waitcnt vmcnt(0)
	v_add_f64 v[129:130], v[139:140], -v[129:130]
	buffer_store_dword v130, off, s[0:3], 0 offset:348
	buffer_store_dword v129, off, s[0:3], 0 offset:344
	v_cmpx_lt_u32_e32 42, v0
	s_cbranch_execz .LBB62_303
; %bb.302:
	s_clause 0x1
	buffer_load_dword v129, off, s[0:3], 0 offset:336
	buffer_load_dword v130, off, s[0:3], 0 offset:340
	buffer_store_dword v128, off, s[0:3], 0 offset:336
	buffer_store_dword v128, off, s[0:3], 0 offset:340
	s_waitcnt vmcnt(0)
	ds_write_b64 v127, v[129:130]
.LBB62_303:
	s_or_b32 exec_lo, exec_lo, s4
	s_waitcnt lgkmcnt(0)
	s_waitcnt_vscnt null, 0x0
	s_barrier
	buffer_gl0_inv
	s_clause 0x1c
	buffer_load_dword v137, off, s[0:3], 0 offset:344
	buffer_load_dword v138, off, s[0:3], 0 offset:348
	;; [unrolled: 1-line block ×29, first 2 shown]
	ds_read2_b64 v[129:132], v128 offset0:107 offset1:108
	ds_read2_b64 v[133:136], v128 offset0:109 offset1:110
	buffer_load_dword v162, off, s[0:3], 0 offset:460
	s_mov_b32 s4, exec_lo
	s_waitcnt vmcnt(28) lgkmcnt(1)
	v_fma_f64 v[129:130], v[137:138], v[129:130], 0
	s_clause 0x7
	buffer_load_dword v138, off, s[0:3], 0 offset:468
	buffer_load_dword v167, off, s[0:3], 0 offset:488
	buffer_load_dword v169, off, s[0:3], 0 offset:480
	buffer_load_dword v171, off, s[0:3], 0 offset:472
	buffer_load_dword v137, off, s[0:3], 0 offset:464
	buffer_load_dword v172, off, s[0:3], 0 offset:476
	buffer_load_dword v170, off, s[0:3], 0 offset:484
	buffer_load_dword v168, off, s[0:3], 0 offset:492
	s_waitcnt vmcnt(34)
	v_fma_f64 v[129:130], v[139:140], v[131:132], v[129:130]
	s_waitcnt vmcnt(32) lgkmcnt(0)
	v_fma_f64 v[129:130], v[141:142], v[133:134], v[129:130]
	s_waitcnt vmcnt(30)
	v_fma_f64 v[139:140], v[143:144], v[135:136], v[129:130]
	ds_read2_b64 v[129:132], v128 offset0:111 offset1:112
	ds_read2_b64 v[133:136], v128 offset0:113 offset1:114
	s_waitcnt vmcnt(28) lgkmcnt(1)
	v_fma_f64 v[129:130], v[145:146], v[129:130], v[139:140]
	s_clause 0x3
	buffer_load_dword v140, off, s[0:3], 0 offset:500
	buffer_load_dword v139, off, s[0:3], 0 offset:496
	;; [unrolled: 1-line block ×4, first 2 shown]
	s_waitcnt vmcnt(30)
	v_fma_f64 v[129:130], v[147:148], v[131:132], v[129:130]
	s_waitcnt vmcnt(28) lgkmcnt(0)
	v_fma_f64 v[129:130], v[149:150], v[133:134], v[129:130]
	s_waitcnt vmcnt(23)
	v_fma_f64 v[143:144], v[151:152], v[135:136], v[129:130]
	ds_read2_b64 v[129:132], v128 offset0:115 offset1:116
	ds_read2_b64 v[133:136], v128 offset0:117 offset1:118
	s_waitcnt vmcnt(22) lgkmcnt(1)
	v_fma_f64 v[129:130], v[157:158], v[129:130], v[143:144]
	s_waitcnt vmcnt(21)
	v_fma_f64 v[129:130], v[155:156], v[131:132], v[129:130]
	s_waitcnt vmcnt(20) lgkmcnt(0)
	v_fma_f64 v[129:130], v[153:154], v[133:134], v[129:130]
	s_waitcnt vmcnt(15)
	v_fma_f64 v[143:144], v[159:160], v[135:136], v[129:130]
	ds_read2_b64 v[129:132], v128 offset0:119 offset1:120
	ds_read2_b64 v[133:136], v128 offset0:121 offset1:122
	s_waitcnt vmcnt(14) lgkmcnt(1)
	v_fma_f64 v[129:130], v[165:166], v[129:130], v[143:144]
	s_waitcnt vmcnt(13)
	v_fma_f64 v[129:130], v[163:164], v[131:132], v[129:130]
	s_waitcnt vmcnt(12) lgkmcnt(0)
	v_fma_f64 v[129:130], v[161:162], v[133:134], v[129:130]
	s_waitcnt vmcnt(7)
	v_fma_f64 v[137:138], v[137:138], v[135:136], v[129:130]
	ds_read2_b64 v[129:132], v128 offset0:123 offset1:124
	ds_read2_b64 v[133:136], v128 offset0:125 offset1:126
	s_waitcnt vmcnt(6) lgkmcnt(1)
	v_fma_f64 v[128:129], v[171:172], v[129:130], v[137:138]
	s_waitcnt vmcnt(5)
	v_fma_f64 v[128:129], v[169:170], v[131:132], v[128:129]
	s_waitcnt vmcnt(4) lgkmcnt(0)
	v_fma_f64 v[128:129], v[167:168], v[133:134], v[128:129]
	s_waitcnt vmcnt(2)
	v_fma_f64 v[128:129], v[139:140], v[135:136], v[128:129]
	s_waitcnt vmcnt(0)
	v_add_f64 v[128:129], v[141:142], -v[128:129]
	buffer_store_dword v129, off, s[0:3], 0 offset:340
	buffer_store_dword v128, off, s[0:3], 0 offset:336
	v_cmpx_lt_u32_e32 41, v0
	s_cbranch_execz .LBB62_305
; %bb.304:
	s_clause 0x1
	buffer_load_dword v128, off, s[0:3], 0 offset:328
	buffer_load_dword v129, off, s[0:3], 0 offset:332
	v_mov_b32_e32 v130, 0
	buffer_store_dword v130, off, s[0:3], 0 offset:328
	buffer_store_dword v130, off, s[0:3], 0 offset:332
	s_waitcnt vmcnt(0)
	ds_write_b64 v127, v[128:129]
.LBB62_305:
	s_or_b32 exec_lo, exec_lo, s4
	s_waitcnt lgkmcnt(0)
	s_waitcnt_vscnt null, 0x0
	s_barrier
	buffer_gl0_inv
	s_clause 0x1c
	buffer_load_dword v137, off, s[0:3], 0 offset:336
	buffer_load_dword v138, off, s[0:3], 0 offset:340
	;; [unrolled: 1-line block ×29, first 2 shown]
	v_mov_b32_e32 v128, 0
	buffer_load_dword v162, off, s[0:3], 0 offset:452
	s_mov_b32 s4, exec_lo
	ds_read_b128 v[129:132], v128 offset:848
	ds_read_b128 v[133:136], v128 offset:864
	s_waitcnt vmcnt(28) lgkmcnt(1)
	v_fma_f64 v[129:130], v[137:138], v[129:130], 0
	s_clause 0x7
	buffer_load_dword v138, off, s[0:3], 0 offset:460
	buffer_load_dword v167, off, s[0:3], 0 offset:480
	;; [unrolled: 1-line block ×8, first 2 shown]
	s_waitcnt vmcnt(34)
	v_fma_f64 v[129:130], v[139:140], v[131:132], v[129:130]
	s_waitcnt vmcnt(32) lgkmcnt(0)
	v_fma_f64 v[129:130], v[141:142], v[133:134], v[129:130]
	s_waitcnt vmcnt(30)
	v_fma_f64 v[139:140], v[143:144], v[135:136], v[129:130]
	ds_read_b128 v[129:132], v128 offset:880
	ds_read_b128 v[133:136], v128 offset:896
	s_waitcnt vmcnt(28) lgkmcnt(1)
	v_fma_f64 v[129:130], v[145:146], v[129:130], v[139:140]
	s_clause 0x5
	buffer_load_dword v140, off, s[0:3], 0 offset:492
	buffer_load_dword v141, off, s[0:3], 0 offset:496
	buffer_load_dword v139, off, s[0:3], 0 offset:488
	buffer_load_dword v142, off, s[0:3], 0 offset:500
	buffer_load_dword v143, off, s[0:3], 0 offset:328
	buffer_load_dword v144, off, s[0:3], 0 offset:332
	s_waitcnt vmcnt(32)
	v_fma_f64 v[129:130], v[147:148], v[131:132], v[129:130]
	s_waitcnt vmcnt(30) lgkmcnt(0)
	v_fma_f64 v[129:130], v[149:150], v[133:134], v[129:130]
	s_waitcnt vmcnt(25)
	v_fma_f64 v[145:146], v[151:152], v[135:136], v[129:130]
	ds_read_b128 v[129:132], v128 offset:912
	ds_read_b128 v[133:136], v128 offset:928
	s_waitcnt vmcnt(24) lgkmcnt(1)
	v_fma_f64 v[129:130], v[157:158], v[129:130], v[145:146]
	s_waitcnt vmcnt(23)
	v_fma_f64 v[129:130], v[155:156], v[131:132], v[129:130]
	s_waitcnt vmcnt(22) lgkmcnt(0)
	v_fma_f64 v[129:130], v[153:154], v[133:134], v[129:130]
	s_waitcnt vmcnt(17)
	v_fma_f64 v[145:146], v[159:160], v[135:136], v[129:130]
	ds_read_b128 v[129:132], v128 offset:944
	ds_read_b128 v[133:136], v128 offset:960
	s_waitcnt vmcnt(16) lgkmcnt(1)
	v_fma_f64 v[129:130], v[165:166], v[129:130], v[145:146]
	s_waitcnt vmcnt(15)
	v_fma_f64 v[129:130], v[163:164], v[131:132], v[129:130]
	s_waitcnt vmcnt(14) lgkmcnt(0)
	v_fma_f64 v[129:130], v[161:162], v[133:134], v[129:130]
	s_waitcnt vmcnt(9)
	v_fma_f64 v[137:138], v[137:138], v[135:136], v[129:130]
	ds_read_b128 v[129:132], v128 offset:976
	ds_read_b128 v[133:136], v128 offset:992
	s_waitcnt vmcnt(8) lgkmcnt(1)
	v_fma_f64 v[129:130], v[171:172], v[129:130], v[137:138]
	s_waitcnt vmcnt(7)
	v_fma_f64 v[129:130], v[169:170], v[131:132], v[129:130]
	ds_read_b64 v[131:132], v128 offset:1008
	s_waitcnt vmcnt(6) lgkmcnt(1)
	v_fma_f64 v[129:130], v[167:168], v[133:134], v[129:130]
	s_waitcnt vmcnt(3)
	v_fma_f64 v[129:130], v[139:140], v[135:136], v[129:130]
	s_waitcnt vmcnt(2) lgkmcnt(0)
	v_fma_f64 v[129:130], v[141:142], v[131:132], v[129:130]
	s_waitcnt vmcnt(0)
	v_add_f64 v[129:130], v[143:144], -v[129:130]
	buffer_store_dword v130, off, s[0:3], 0 offset:332
	buffer_store_dword v129, off, s[0:3], 0 offset:328
	v_cmpx_lt_u32_e32 40, v0
	s_cbranch_execz .LBB62_307
; %bb.306:
	s_clause 0x1
	buffer_load_dword v129, off, s[0:3], 0 offset:320
	buffer_load_dword v130, off, s[0:3], 0 offset:324
	buffer_store_dword v128, off, s[0:3], 0 offset:320
	buffer_store_dword v128, off, s[0:3], 0 offset:324
	s_waitcnt vmcnt(0)
	ds_write_b64 v127, v[129:130]
.LBB62_307:
	s_or_b32 exec_lo, exec_lo, s4
	s_waitcnt lgkmcnt(0)
	s_waitcnt_vscnt null, 0x0
	s_barrier
	buffer_gl0_inv
	s_clause 0x1c
	buffer_load_dword v137, off, s[0:3], 0 offset:328
	buffer_load_dword v138, off, s[0:3], 0 offset:332
	;; [unrolled: 1-line block ×29, first 2 shown]
	ds_read2_b64 v[129:132], v128 offset0:105 offset1:106
	ds_read2_b64 v[133:136], v128 offset0:107 offset1:108
	buffer_load_dword v162, off, s[0:3], 0 offset:444
	s_mov_b32 s4, exec_lo
	s_waitcnt vmcnt(28) lgkmcnt(1)
	v_fma_f64 v[129:130], v[137:138], v[129:130], 0
	s_clause 0x7
	buffer_load_dword v138, off, s[0:3], 0 offset:452
	buffer_load_dword v167, off, s[0:3], 0 offset:472
	;; [unrolled: 1-line block ×8, first 2 shown]
	s_waitcnt vmcnt(34)
	v_fma_f64 v[129:130], v[139:140], v[131:132], v[129:130]
	s_waitcnt vmcnt(32) lgkmcnt(0)
	v_fma_f64 v[129:130], v[141:142], v[133:134], v[129:130]
	s_waitcnt vmcnt(30)
	v_fma_f64 v[139:140], v[143:144], v[135:136], v[129:130]
	ds_read2_b64 v[129:132], v128 offset0:109 offset1:110
	ds_read2_b64 v[133:136], v128 offset0:111 offset1:112
	s_waitcnt vmcnt(28) lgkmcnt(1)
	v_fma_f64 v[129:130], v[145:146], v[129:130], v[139:140]
	s_clause 0x5
	buffer_load_dword v140, off, s[0:3], 0 offset:484
	buffer_load_dword v141, off, s[0:3], 0 offset:496
	;; [unrolled: 1-line block ×6, first 2 shown]
	s_waitcnt vmcnt(32)
	v_fma_f64 v[129:130], v[147:148], v[131:132], v[129:130]
	s_waitcnt vmcnt(30) lgkmcnt(0)
	v_fma_f64 v[129:130], v[149:150], v[133:134], v[129:130]
	s_waitcnt vmcnt(25)
	v_fma_f64 v[145:146], v[151:152], v[135:136], v[129:130]
	ds_read2_b64 v[129:132], v128 offset0:113 offset1:114
	s_clause 0x1
	buffer_load_dword v147, off, s[0:3], 0 offset:320
	buffer_load_dword v148, off, s[0:3], 0 offset:324
	ds_read2_b64 v[133:136], v128 offset0:115 offset1:116
	s_waitcnt vmcnt(26) lgkmcnt(1)
	v_fma_f64 v[129:130], v[157:158], v[129:130], v[145:146]
	s_waitcnt vmcnt(25)
	v_fma_f64 v[129:130], v[155:156], v[131:132], v[129:130]
	s_waitcnt vmcnt(24) lgkmcnt(0)
	v_fma_f64 v[129:130], v[153:154], v[133:134], v[129:130]
	s_waitcnt vmcnt(19)
	v_fma_f64 v[145:146], v[159:160], v[135:136], v[129:130]
	ds_read2_b64 v[129:132], v128 offset0:117 offset1:118
	ds_read2_b64 v[133:136], v128 offset0:119 offset1:120
	s_waitcnt vmcnt(18) lgkmcnt(1)
	v_fma_f64 v[129:130], v[165:166], v[129:130], v[145:146]
	s_waitcnt vmcnt(17)
	v_fma_f64 v[129:130], v[163:164], v[131:132], v[129:130]
	s_waitcnt vmcnt(16) lgkmcnt(0)
	v_fma_f64 v[129:130], v[161:162], v[133:134], v[129:130]
	s_waitcnt vmcnt(11)
	v_fma_f64 v[137:138], v[137:138], v[135:136], v[129:130]
	ds_read2_b64 v[129:132], v128 offset0:121 offset1:122
	;; [unrolled: 10-line block ×3, first 2 shown]
	s_waitcnt vmcnt(3) lgkmcnt(0)
	v_fma_f64 v[128:129], v[143:144], v[128:129], v[132:133]
	s_waitcnt vmcnt(2)
	v_fma_f64 v[128:129], v[141:142], v[130:131], v[128:129]
	s_waitcnt vmcnt(0)
	v_add_f64 v[128:129], v[147:148], -v[128:129]
	buffer_store_dword v129, off, s[0:3], 0 offset:324
	buffer_store_dword v128, off, s[0:3], 0 offset:320
	v_cmpx_lt_u32_e32 39, v0
	s_cbranch_execz .LBB62_309
; %bb.308:
	s_clause 0x1
	buffer_load_dword v128, off, s[0:3], 0 offset:312
	buffer_load_dword v129, off, s[0:3], 0 offset:316
	v_mov_b32_e32 v130, 0
	buffer_store_dword v130, off, s[0:3], 0 offset:312
	buffer_store_dword v130, off, s[0:3], 0 offset:316
	s_waitcnt vmcnt(0)
	ds_write_b64 v127, v[128:129]
.LBB62_309:
	s_or_b32 exec_lo, exec_lo, s4
	s_waitcnt lgkmcnt(0)
	s_waitcnt_vscnt null, 0x0
	s_barrier
	buffer_gl0_inv
	s_clause 0x1c
	buffer_load_dword v137, off, s[0:3], 0 offset:320
	buffer_load_dword v138, off, s[0:3], 0 offset:324
	;; [unrolled: 1-line block ×29, first 2 shown]
	v_mov_b32_e32 v128, 0
	buffer_load_dword v162, off, s[0:3], 0 offset:436
	s_mov_b32 s4, exec_lo
	ds_read_b128 v[129:132], v128 offset:832
	ds_read_b128 v[133:136], v128 offset:848
	s_waitcnt vmcnt(28) lgkmcnt(1)
	v_fma_f64 v[129:130], v[137:138], v[129:130], 0
	s_clause 0x7
	buffer_load_dword v138, off, s[0:3], 0 offset:444
	buffer_load_dword v167, off, s[0:3], 0 offset:464
	;; [unrolled: 1-line block ×8, first 2 shown]
	s_waitcnt vmcnt(34)
	v_fma_f64 v[129:130], v[139:140], v[131:132], v[129:130]
	s_waitcnt vmcnt(32) lgkmcnt(0)
	v_fma_f64 v[129:130], v[141:142], v[133:134], v[129:130]
	s_waitcnt vmcnt(30)
	v_fma_f64 v[139:140], v[143:144], v[135:136], v[129:130]
	ds_read_b128 v[129:132], v128 offset:864
	ds_read_b128 v[133:136], v128 offset:880
	s_waitcnt vmcnt(28) lgkmcnt(1)
	v_fma_f64 v[129:130], v[145:146], v[129:130], v[139:140]
	s_clause 0x7
	buffer_load_dword v140, off, s[0:3], 0 offset:476
	buffer_load_dword v141, off, s[0:3], 0 offset:496
	;; [unrolled: 1-line block ×8, first 2 shown]
	s_waitcnt vmcnt(34)
	v_fma_f64 v[129:130], v[147:148], v[131:132], v[129:130]
	s_waitcnt vmcnt(32) lgkmcnt(0)
	v_fma_f64 v[129:130], v[149:150], v[133:134], v[129:130]
	s_waitcnt vmcnt(27)
	v_fma_f64 v[147:148], v[151:152], v[135:136], v[129:130]
	ds_read_b128 v[129:132], v128 offset:896
	ds_read_b128 v[133:136], v128 offset:912
	s_waitcnt vmcnt(26) lgkmcnt(1)
	v_fma_f64 v[129:130], v[157:158], v[129:130], v[147:148]
	s_clause 0x1
	buffer_load_dword v147, off, s[0:3], 0 offset:312
	buffer_load_dword v148, off, s[0:3], 0 offset:316
	s_waitcnt vmcnt(27)
	v_fma_f64 v[129:130], v[155:156], v[131:132], v[129:130]
	s_waitcnt vmcnt(26) lgkmcnt(0)
	v_fma_f64 v[129:130], v[153:154], v[133:134], v[129:130]
	s_waitcnt vmcnt(21)
	v_fma_f64 v[149:150], v[159:160], v[135:136], v[129:130]
	ds_read_b128 v[129:132], v128 offset:928
	ds_read_b128 v[133:136], v128 offset:944
	s_waitcnt vmcnt(20) lgkmcnt(1)
	v_fma_f64 v[129:130], v[165:166], v[129:130], v[149:150]
	s_waitcnt vmcnt(19)
	v_fma_f64 v[129:130], v[163:164], v[131:132], v[129:130]
	s_waitcnt vmcnt(18) lgkmcnt(0)
	v_fma_f64 v[129:130], v[161:162], v[133:134], v[129:130]
	s_waitcnt vmcnt(13)
	v_fma_f64 v[137:138], v[137:138], v[135:136], v[129:130]
	ds_read_b128 v[129:132], v128 offset:960
	ds_read_b128 v[133:136], v128 offset:976
	s_waitcnt vmcnt(12) lgkmcnt(1)
	v_fma_f64 v[129:130], v[171:172], v[129:130], v[137:138]
	s_waitcnt vmcnt(11)
	v_fma_f64 v[129:130], v[169:170], v[131:132], v[129:130]
	s_waitcnt vmcnt(10) lgkmcnt(0)
	v_fma_f64 v[129:130], v[167:168], v[133:134], v[129:130]
	s_waitcnt vmcnt(5)
	v_fma_f64 v[133:134], v[139:140], v[135:136], v[129:130]
	ds_read_b128 v[129:132], v128 offset:992
	ds_read_b64 v[135:136], v128 offset:1008
	s_waitcnt vmcnt(4) lgkmcnt(1)
	v_fma_f64 v[129:130], v[145:146], v[129:130], v[133:134]
	s_waitcnt vmcnt(3)
	v_fma_f64 v[129:130], v[143:144], v[131:132], v[129:130]
	s_waitcnt vmcnt(2) lgkmcnt(0)
	v_fma_f64 v[129:130], v[141:142], v[135:136], v[129:130]
	s_waitcnt vmcnt(0)
	v_add_f64 v[129:130], v[147:148], -v[129:130]
	buffer_store_dword v130, off, s[0:3], 0 offset:316
	buffer_store_dword v129, off, s[0:3], 0 offset:312
	v_cmpx_lt_u32_e32 38, v0
	s_cbranch_execz .LBB62_311
; %bb.310:
	s_clause 0x1
	buffer_load_dword v129, off, s[0:3], 0 offset:304
	buffer_load_dword v130, off, s[0:3], 0 offset:308
	buffer_store_dword v128, off, s[0:3], 0 offset:304
	buffer_store_dword v128, off, s[0:3], 0 offset:308
	s_waitcnt vmcnt(0)
	ds_write_b64 v127, v[129:130]
.LBB62_311:
	s_or_b32 exec_lo, exec_lo, s4
	s_waitcnt lgkmcnt(0)
	s_waitcnt_vscnt null, 0x0
	s_barrier
	buffer_gl0_inv
	s_clause 0x1c
	buffer_load_dword v137, off, s[0:3], 0 offset:312
	buffer_load_dword v138, off, s[0:3], 0 offset:316
	buffer_load_dword v139, off, s[0:3], 0 offset:320
	buffer_load_dword v140, off, s[0:3], 0 offset:324
	buffer_load_dword v141, off, s[0:3], 0 offset:328
	buffer_load_dword v142, off, s[0:3], 0 offset:332
	buffer_load_dword v143, off, s[0:3], 0 offset:336
	buffer_load_dword v144, off, s[0:3], 0 offset:340
	buffer_load_dword v145, off, s[0:3], 0 offset:344
	buffer_load_dword v146, off, s[0:3], 0 offset:348
	buffer_load_dword v147, off, s[0:3], 0 offset:352
	buffer_load_dword v148, off, s[0:3], 0 offset:356
	buffer_load_dword v149, off, s[0:3], 0 offset:360
	buffer_load_dword v150, off, s[0:3], 0 offset:364
	buffer_load_dword v152, off, s[0:3], 0 offset:372
	buffer_load_dword v153, off, s[0:3], 0 offset:392
	buffer_load_dword v155, off, s[0:3], 0 offset:384
	buffer_load_dword v157, off, s[0:3], 0 offset:376
	buffer_load_dword v151, off, s[0:3], 0 offset:368
	buffer_load_dword v158, off, s[0:3], 0 offset:380
	buffer_load_dword v156, off, s[0:3], 0 offset:388
	buffer_load_dword v154, off, s[0:3], 0 offset:396
	buffer_load_dword v160, off, s[0:3], 0 offset:404
	buffer_load_dword v161, off, s[0:3], 0 offset:424
	buffer_load_dword v163, off, s[0:3], 0 offset:416
	buffer_load_dword v165, off, s[0:3], 0 offset:408
	buffer_load_dword v159, off, s[0:3], 0 offset:400
	buffer_load_dword v166, off, s[0:3], 0 offset:412
	buffer_load_dword v164, off, s[0:3], 0 offset:420
	ds_read2_b64 v[129:132], v128 offset0:103 offset1:104
	ds_read2_b64 v[133:136], v128 offset0:105 offset1:106
	buffer_load_dword v162, off, s[0:3], 0 offset:428
	s_mov_b32 s4, exec_lo
	s_waitcnt vmcnt(28) lgkmcnt(1)
	v_fma_f64 v[129:130], v[137:138], v[129:130], 0
	s_clause 0x7
	buffer_load_dword v138, off, s[0:3], 0 offset:436
	buffer_load_dword v167, off, s[0:3], 0 offset:456
	;; [unrolled: 1-line block ×8, first 2 shown]
	s_waitcnt vmcnt(34)
	v_fma_f64 v[129:130], v[139:140], v[131:132], v[129:130]
	s_waitcnt vmcnt(32) lgkmcnt(0)
	v_fma_f64 v[129:130], v[141:142], v[133:134], v[129:130]
	s_waitcnt vmcnt(30)
	v_fma_f64 v[139:140], v[143:144], v[135:136], v[129:130]
	ds_read2_b64 v[129:132], v128 offset0:107 offset1:108
	ds_read2_b64 v[133:136], v128 offset0:109 offset1:110
	s_waitcnt vmcnt(28) lgkmcnt(1)
	v_fma_f64 v[129:130], v[145:146], v[129:130], v[139:140]
	s_clause 0x7
	buffer_load_dword v140, off, s[0:3], 0 offset:468
	buffer_load_dword v141, off, s[0:3], 0 offset:488
	;; [unrolled: 1-line block ×8, first 2 shown]
	s_waitcnt vmcnt(34)
	v_fma_f64 v[129:130], v[147:148], v[131:132], v[129:130]
	s_waitcnt vmcnt(32) lgkmcnt(0)
	v_fma_f64 v[129:130], v[149:150], v[133:134], v[129:130]
	s_waitcnt vmcnt(27)
	v_fma_f64 v[147:148], v[151:152], v[135:136], v[129:130]
	ds_read2_b64 v[129:132], v128 offset0:111 offset1:112
	ds_read2_b64 v[133:136], v128 offset0:113 offset1:114
	s_waitcnt vmcnt(26) lgkmcnt(1)
	v_fma_f64 v[129:130], v[157:158], v[129:130], v[147:148]
	s_clause 0x3
	buffer_load_dword v148, off, s[0:3], 0 offset:500
	buffer_load_dword v147, off, s[0:3], 0 offset:496
	;; [unrolled: 1-line block ×4, first 2 shown]
	s_waitcnt vmcnt(29)
	v_fma_f64 v[129:130], v[155:156], v[131:132], v[129:130]
	s_waitcnt vmcnt(28) lgkmcnt(0)
	v_fma_f64 v[129:130], v[153:154], v[133:134], v[129:130]
	s_waitcnt vmcnt(23)
	v_fma_f64 v[151:152], v[159:160], v[135:136], v[129:130]
	ds_read2_b64 v[129:132], v128 offset0:115 offset1:116
	ds_read2_b64 v[133:136], v128 offset0:117 offset1:118
	s_waitcnt vmcnt(22) lgkmcnt(1)
	v_fma_f64 v[129:130], v[165:166], v[129:130], v[151:152]
	s_waitcnt vmcnt(21)
	v_fma_f64 v[129:130], v[163:164], v[131:132], v[129:130]
	s_waitcnt vmcnt(20) lgkmcnt(0)
	v_fma_f64 v[129:130], v[161:162], v[133:134], v[129:130]
	s_waitcnt vmcnt(15)
	v_fma_f64 v[137:138], v[137:138], v[135:136], v[129:130]
	ds_read2_b64 v[129:132], v128 offset0:119 offset1:120
	ds_read2_b64 v[133:136], v128 offset0:121 offset1:122
	s_waitcnt vmcnt(14) lgkmcnt(1)
	v_fma_f64 v[129:130], v[171:172], v[129:130], v[137:138]
	;; [unrolled: 10-line block ×3, first 2 shown]
	s_waitcnt vmcnt(5)
	v_fma_f64 v[128:129], v[143:144], v[131:132], v[128:129]
	s_waitcnt vmcnt(4) lgkmcnt(0)
	v_fma_f64 v[128:129], v[141:142], v[133:134], v[128:129]
	s_waitcnt vmcnt(2)
	v_fma_f64 v[128:129], v[147:148], v[135:136], v[128:129]
	s_waitcnt vmcnt(0)
	v_add_f64 v[128:129], v[149:150], -v[128:129]
	buffer_store_dword v129, off, s[0:3], 0 offset:308
	buffer_store_dword v128, off, s[0:3], 0 offset:304
	v_cmpx_lt_u32_e32 37, v0
	s_cbranch_execz .LBB62_313
; %bb.312:
	s_clause 0x1
	buffer_load_dword v128, off, s[0:3], 0 offset:296
	buffer_load_dword v129, off, s[0:3], 0 offset:300
	v_mov_b32_e32 v130, 0
	buffer_store_dword v130, off, s[0:3], 0 offset:296
	buffer_store_dword v130, off, s[0:3], 0 offset:300
	s_waitcnt vmcnt(0)
	ds_write_b64 v127, v[128:129]
.LBB62_313:
	s_or_b32 exec_lo, exec_lo, s4
	s_waitcnt lgkmcnt(0)
	s_waitcnt_vscnt null, 0x0
	s_barrier
	buffer_gl0_inv
	s_clause 0x1c
	buffer_load_dword v137, off, s[0:3], 0 offset:304
	buffer_load_dword v138, off, s[0:3], 0 offset:308
	;; [unrolled: 1-line block ×29, first 2 shown]
	v_mov_b32_e32 v128, 0
	buffer_load_dword v162, off, s[0:3], 0 offset:420
	s_mov_b32 s4, exec_lo
	ds_read_b128 v[129:132], v128 offset:816
	ds_read_b128 v[133:136], v128 offset:832
	s_waitcnt vmcnt(28) lgkmcnt(1)
	v_fma_f64 v[129:130], v[137:138], v[129:130], 0
	s_clause 0x7
	buffer_load_dword v138, off, s[0:3], 0 offset:428
	buffer_load_dword v167, off, s[0:3], 0 offset:448
	;; [unrolled: 1-line block ×8, first 2 shown]
	s_waitcnt vmcnt(34)
	v_fma_f64 v[129:130], v[139:140], v[131:132], v[129:130]
	s_waitcnt vmcnt(32) lgkmcnt(0)
	v_fma_f64 v[129:130], v[141:142], v[133:134], v[129:130]
	s_waitcnt vmcnt(30)
	v_fma_f64 v[139:140], v[143:144], v[135:136], v[129:130]
	ds_read_b128 v[129:132], v128 offset:848
	ds_read_b128 v[133:136], v128 offset:864
	s_waitcnt vmcnt(28) lgkmcnt(1)
	v_fma_f64 v[129:130], v[145:146], v[129:130], v[139:140]
	s_clause 0x7
	buffer_load_dword v140, off, s[0:3], 0 offset:460
	buffer_load_dword v141, off, s[0:3], 0 offset:480
	;; [unrolled: 1-line block ×8, first 2 shown]
	s_waitcnt vmcnt(34)
	v_fma_f64 v[129:130], v[147:148], v[131:132], v[129:130]
	s_waitcnt vmcnt(32) lgkmcnt(0)
	v_fma_f64 v[129:130], v[149:150], v[133:134], v[129:130]
	s_waitcnt vmcnt(27)
	v_fma_f64 v[147:148], v[151:152], v[135:136], v[129:130]
	ds_read_b128 v[129:132], v128 offset:880
	ds_read_b128 v[133:136], v128 offset:896
	s_waitcnt vmcnt(26) lgkmcnt(1)
	v_fma_f64 v[129:130], v[157:158], v[129:130], v[147:148]
	s_clause 0x5
	buffer_load_dword v148, off, s[0:3], 0 offset:492
	buffer_load_dword v149, off, s[0:3], 0 offset:496
	;; [unrolled: 1-line block ×6, first 2 shown]
	s_waitcnt vmcnt(31)
	v_fma_f64 v[129:130], v[155:156], v[131:132], v[129:130]
	s_waitcnt vmcnt(30) lgkmcnt(0)
	v_fma_f64 v[129:130], v[153:154], v[133:134], v[129:130]
	s_waitcnt vmcnt(25)
	v_fma_f64 v[153:154], v[159:160], v[135:136], v[129:130]
	ds_read_b128 v[129:132], v128 offset:912
	ds_read_b128 v[133:136], v128 offset:928
	s_waitcnt vmcnt(24) lgkmcnt(1)
	v_fma_f64 v[129:130], v[165:166], v[129:130], v[153:154]
	s_waitcnt vmcnt(23)
	v_fma_f64 v[129:130], v[163:164], v[131:132], v[129:130]
	s_waitcnt vmcnt(22) lgkmcnt(0)
	v_fma_f64 v[129:130], v[161:162], v[133:134], v[129:130]
	s_waitcnt vmcnt(17)
	v_fma_f64 v[137:138], v[137:138], v[135:136], v[129:130]
	ds_read_b128 v[129:132], v128 offset:944
	ds_read_b128 v[133:136], v128 offset:960
	s_waitcnt vmcnt(16) lgkmcnt(1)
	v_fma_f64 v[129:130], v[171:172], v[129:130], v[137:138]
	;; [unrolled: 10-line block ×3, first 2 shown]
	s_waitcnt vmcnt(7)
	v_fma_f64 v[129:130], v[143:144], v[131:132], v[129:130]
	ds_read_b64 v[131:132], v128 offset:1008
	s_waitcnt vmcnt(6) lgkmcnt(1)
	v_fma_f64 v[129:130], v[141:142], v[133:134], v[129:130]
	s_waitcnt vmcnt(3)
	v_fma_f64 v[129:130], v[147:148], v[135:136], v[129:130]
	s_waitcnt vmcnt(2) lgkmcnt(0)
	v_fma_f64 v[129:130], v[149:150], v[131:132], v[129:130]
	s_waitcnt vmcnt(0)
	v_add_f64 v[129:130], v[151:152], -v[129:130]
	buffer_store_dword v130, off, s[0:3], 0 offset:300
	buffer_store_dword v129, off, s[0:3], 0 offset:296
	v_cmpx_lt_u32_e32 36, v0
	s_cbranch_execz .LBB62_315
; %bb.314:
	s_clause 0x1
	buffer_load_dword v129, off, s[0:3], 0 offset:288
	buffer_load_dword v130, off, s[0:3], 0 offset:292
	buffer_store_dword v128, off, s[0:3], 0 offset:288
	buffer_store_dword v128, off, s[0:3], 0 offset:292
	s_waitcnt vmcnt(0)
	ds_write_b64 v127, v[129:130]
.LBB62_315:
	s_or_b32 exec_lo, exec_lo, s4
	s_waitcnt lgkmcnt(0)
	s_waitcnt_vscnt null, 0x0
	s_barrier
	buffer_gl0_inv
	s_clause 0x1c
	buffer_load_dword v137, off, s[0:3], 0 offset:296
	buffer_load_dword v138, off, s[0:3], 0 offset:300
	;; [unrolled: 1-line block ×29, first 2 shown]
	ds_read2_b64 v[129:132], v128 offset0:101 offset1:102
	ds_read2_b64 v[133:136], v128 offset0:103 offset1:104
	buffer_load_dword v162, off, s[0:3], 0 offset:412
	s_mov_b32 s4, exec_lo
	s_waitcnt vmcnt(28) lgkmcnt(1)
	v_fma_f64 v[129:130], v[137:138], v[129:130], 0
	s_clause 0x7
	buffer_load_dword v138, off, s[0:3], 0 offset:420
	buffer_load_dword v167, off, s[0:3], 0 offset:440
	;; [unrolled: 1-line block ×8, first 2 shown]
	s_waitcnt vmcnt(34)
	v_fma_f64 v[129:130], v[139:140], v[131:132], v[129:130]
	s_waitcnt vmcnt(32) lgkmcnt(0)
	v_fma_f64 v[129:130], v[141:142], v[133:134], v[129:130]
	s_waitcnt vmcnt(30)
	v_fma_f64 v[139:140], v[143:144], v[135:136], v[129:130]
	ds_read2_b64 v[129:132], v128 offset0:105 offset1:106
	ds_read2_b64 v[133:136], v128 offset0:107 offset1:108
	s_waitcnt vmcnt(28) lgkmcnt(1)
	v_fma_f64 v[129:130], v[145:146], v[129:130], v[139:140]
	s_clause 0x7
	buffer_load_dword v140, off, s[0:3], 0 offset:452
	buffer_load_dword v141, off, s[0:3], 0 offset:472
	;; [unrolled: 1-line block ×8, first 2 shown]
	s_waitcnt vmcnt(34)
	v_fma_f64 v[129:130], v[147:148], v[131:132], v[129:130]
	s_waitcnt vmcnt(32) lgkmcnt(0)
	v_fma_f64 v[129:130], v[149:150], v[133:134], v[129:130]
	s_waitcnt vmcnt(27)
	v_fma_f64 v[147:148], v[151:152], v[135:136], v[129:130]
	ds_read2_b64 v[129:132], v128 offset0:109 offset1:110
	ds_read2_b64 v[133:136], v128 offset0:111 offset1:112
	s_waitcnt vmcnt(26) lgkmcnt(1)
	v_fma_f64 v[129:130], v[157:158], v[129:130], v[147:148]
	s_clause 0x5
	buffer_load_dword v148, off, s[0:3], 0 offset:484
	buffer_load_dword v149, off, s[0:3], 0 offset:496
	;; [unrolled: 1-line block ×6, first 2 shown]
	s_waitcnt vmcnt(31)
	v_fma_f64 v[129:130], v[155:156], v[131:132], v[129:130]
	s_waitcnt vmcnt(30) lgkmcnt(0)
	v_fma_f64 v[129:130], v[153:154], v[133:134], v[129:130]
	s_waitcnt vmcnt(25)
	v_fma_f64 v[153:154], v[159:160], v[135:136], v[129:130]
	ds_read2_b64 v[129:132], v128 offset0:113 offset1:114
	s_clause 0x1
	buffer_load_dword v155, off, s[0:3], 0 offset:288
	buffer_load_dword v156, off, s[0:3], 0 offset:292
	ds_read2_b64 v[133:136], v128 offset0:115 offset1:116
	s_waitcnt vmcnt(26) lgkmcnt(1)
	v_fma_f64 v[129:130], v[165:166], v[129:130], v[153:154]
	s_waitcnt vmcnt(25)
	v_fma_f64 v[129:130], v[163:164], v[131:132], v[129:130]
	s_waitcnt vmcnt(24) lgkmcnt(0)
	v_fma_f64 v[129:130], v[161:162], v[133:134], v[129:130]
	s_waitcnt vmcnt(19)
	v_fma_f64 v[137:138], v[137:138], v[135:136], v[129:130]
	ds_read2_b64 v[129:132], v128 offset0:117 offset1:118
	ds_read2_b64 v[133:136], v128 offset0:119 offset1:120
	s_waitcnt vmcnt(18) lgkmcnt(1)
	v_fma_f64 v[129:130], v[171:172], v[129:130], v[137:138]
	s_waitcnt vmcnt(17)
	v_fma_f64 v[129:130], v[169:170], v[131:132], v[129:130]
	s_waitcnt vmcnt(16) lgkmcnt(0)
	v_fma_f64 v[129:130], v[167:168], v[133:134], v[129:130]
	s_waitcnt vmcnt(11)
	v_fma_f64 v[137:138], v[139:140], v[135:136], v[129:130]
	ds_read2_b64 v[129:132], v128 offset0:121 offset1:122
	;; [unrolled: 10-line block ×3, first 2 shown]
	s_waitcnt vmcnt(3) lgkmcnt(0)
	v_fma_f64 v[128:129], v[151:152], v[128:129], v[132:133]
	s_waitcnt vmcnt(2)
	v_fma_f64 v[128:129], v[149:150], v[130:131], v[128:129]
	s_waitcnt vmcnt(0)
	v_add_f64 v[128:129], v[155:156], -v[128:129]
	buffer_store_dword v129, off, s[0:3], 0 offset:292
	buffer_store_dword v128, off, s[0:3], 0 offset:288
	v_cmpx_lt_u32_e32 35, v0
	s_cbranch_execz .LBB62_317
; %bb.316:
	s_clause 0x1
	buffer_load_dword v128, off, s[0:3], 0 offset:280
	buffer_load_dword v129, off, s[0:3], 0 offset:284
	v_mov_b32_e32 v130, 0
	buffer_store_dword v130, off, s[0:3], 0 offset:280
	buffer_store_dword v130, off, s[0:3], 0 offset:284
	s_waitcnt vmcnt(0)
	ds_write_b64 v127, v[128:129]
.LBB62_317:
	s_or_b32 exec_lo, exec_lo, s4
	s_waitcnt lgkmcnt(0)
	s_waitcnt_vscnt null, 0x0
	s_barrier
	buffer_gl0_inv
	s_clause 0x1c
	buffer_load_dword v137, off, s[0:3], 0 offset:288
	buffer_load_dword v138, off, s[0:3], 0 offset:292
	;; [unrolled: 1-line block ×29, first 2 shown]
	v_mov_b32_e32 v128, 0
	buffer_load_dword v162, off, s[0:3], 0 offset:404
	s_mov_b32 s4, exec_lo
	ds_read_b128 v[129:132], v128 offset:800
	ds_read_b128 v[133:136], v128 offset:816
	s_waitcnt vmcnt(28) lgkmcnt(1)
	v_fma_f64 v[129:130], v[137:138], v[129:130], 0
	s_clause 0x7
	buffer_load_dword v138, off, s[0:3], 0 offset:412
	buffer_load_dword v167, off, s[0:3], 0 offset:432
	buffer_load_dword v169, off, s[0:3], 0 offset:424
	buffer_load_dword v171, off, s[0:3], 0 offset:416
	buffer_load_dword v137, off, s[0:3], 0 offset:408
	buffer_load_dword v172, off, s[0:3], 0 offset:420
	buffer_load_dword v170, off, s[0:3], 0 offset:428
	buffer_load_dword v168, off, s[0:3], 0 offset:436
	s_waitcnt vmcnt(34)
	v_fma_f64 v[129:130], v[139:140], v[131:132], v[129:130]
	s_waitcnt vmcnt(32) lgkmcnt(0)
	v_fma_f64 v[129:130], v[141:142], v[133:134], v[129:130]
	s_waitcnt vmcnt(30)
	v_fma_f64 v[139:140], v[143:144], v[135:136], v[129:130]
	ds_read_b128 v[129:132], v128 offset:832
	ds_read_b128 v[133:136], v128 offset:848
	s_waitcnt vmcnt(28) lgkmcnt(1)
	v_fma_f64 v[129:130], v[145:146], v[129:130], v[139:140]
	s_clause 0x7
	buffer_load_dword v140, off, s[0:3], 0 offset:444
	buffer_load_dword v141, off, s[0:3], 0 offset:464
	buffer_load_dword v143, off, s[0:3], 0 offset:456
	buffer_load_dword v145, off, s[0:3], 0 offset:448
	buffer_load_dword v139, off, s[0:3], 0 offset:440
	buffer_load_dword v146, off, s[0:3], 0 offset:452
	buffer_load_dword v144, off, s[0:3], 0 offset:460
	buffer_load_dword v142, off, s[0:3], 0 offset:468
	s_waitcnt vmcnt(34)
	v_fma_f64 v[129:130], v[147:148], v[131:132], v[129:130]
	s_waitcnt vmcnt(32) lgkmcnt(0)
	v_fma_f64 v[129:130], v[149:150], v[133:134], v[129:130]
	s_waitcnt vmcnt(27)
	v_fma_f64 v[147:148], v[151:152], v[135:136], v[129:130]
	;; [unrolled: 19-line block ×3, first 2 shown]
	ds_read_b128 v[129:132], v128 offset:896
	ds_read_b128 v[133:136], v128 offset:912
	s_waitcnt vmcnt(26) lgkmcnt(1)
	v_fma_f64 v[129:130], v[165:166], v[129:130], v[153:154]
	s_clause 0x1
	buffer_load_dword v153, off, s[0:3], 0 offset:280
	buffer_load_dword v154, off, s[0:3], 0 offset:284
	s_waitcnt vmcnt(27)
	v_fma_f64 v[129:130], v[163:164], v[131:132], v[129:130]
	s_waitcnt vmcnt(26) lgkmcnt(0)
	v_fma_f64 v[129:130], v[161:162], v[133:134], v[129:130]
	s_waitcnt vmcnt(21)
	v_fma_f64 v[137:138], v[137:138], v[135:136], v[129:130]
	ds_read_b128 v[129:132], v128 offset:928
	ds_read_b128 v[133:136], v128 offset:944
	s_waitcnt vmcnt(20) lgkmcnt(1)
	v_fma_f64 v[129:130], v[171:172], v[129:130], v[137:138]
	s_waitcnt vmcnt(19)
	v_fma_f64 v[129:130], v[169:170], v[131:132], v[129:130]
	s_waitcnt vmcnt(18) lgkmcnt(0)
	v_fma_f64 v[129:130], v[167:168], v[133:134], v[129:130]
	s_waitcnt vmcnt(13)
	v_fma_f64 v[137:138], v[139:140], v[135:136], v[129:130]
	ds_read_b128 v[129:132], v128 offset:960
	ds_read_b128 v[133:136], v128 offset:976
	s_waitcnt vmcnt(12) lgkmcnt(1)
	v_fma_f64 v[129:130], v[145:146], v[129:130], v[137:138]
	s_waitcnt vmcnt(11)
	v_fma_f64 v[129:130], v[143:144], v[131:132], v[129:130]
	s_waitcnt vmcnt(10) lgkmcnt(0)
	v_fma_f64 v[129:130], v[141:142], v[133:134], v[129:130]
	s_waitcnt vmcnt(5)
	v_fma_f64 v[133:134], v[147:148], v[135:136], v[129:130]
	ds_read_b128 v[129:132], v128 offset:992
	ds_read_b64 v[135:136], v128 offset:1008
	s_waitcnt vmcnt(4) lgkmcnt(1)
	v_fma_f64 v[129:130], v[157:158], v[129:130], v[133:134]
	s_waitcnt vmcnt(3)
	v_fma_f64 v[129:130], v[151:152], v[131:132], v[129:130]
	s_waitcnt vmcnt(2) lgkmcnt(0)
	v_fma_f64 v[129:130], v[149:150], v[135:136], v[129:130]
	s_waitcnt vmcnt(0)
	v_add_f64 v[129:130], v[153:154], -v[129:130]
	buffer_store_dword v130, off, s[0:3], 0 offset:284
	buffer_store_dword v129, off, s[0:3], 0 offset:280
	v_cmpx_lt_u32_e32 34, v0
	s_cbranch_execz .LBB62_319
; %bb.318:
	s_clause 0x1
	buffer_load_dword v129, off, s[0:3], 0 offset:272
	buffer_load_dword v130, off, s[0:3], 0 offset:276
	buffer_store_dword v128, off, s[0:3], 0 offset:272
	buffer_store_dword v128, off, s[0:3], 0 offset:276
	s_waitcnt vmcnt(0)
	ds_write_b64 v127, v[129:130]
.LBB62_319:
	s_or_b32 exec_lo, exec_lo, s4
	s_waitcnt lgkmcnt(0)
	s_waitcnt_vscnt null, 0x0
	s_barrier
	buffer_gl0_inv
	s_clause 0x1c
	buffer_load_dword v137, off, s[0:3], 0 offset:280
	buffer_load_dword v138, off, s[0:3], 0 offset:284
	buffer_load_dword v139, off, s[0:3], 0 offset:288
	buffer_load_dword v140, off, s[0:3], 0 offset:292
	buffer_load_dword v141, off, s[0:3], 0 offset:296
	buffer_load_dword v142, off, s[0:3], 0 offset:300
	buffer_load_dword v143, off, s[0:3], 0 offset:304
	buffer_load_dword v144, off, s[0:3], 0 offset:308
	buffer_load_dword v145, off, s[0:3], 0 offset:312
	buffer_load_dword v146, off, s[0:3], 0 offset:316
	buffer_load_dword v147, off, s[0:3], 0 offset:320
	buffer_load_dword v148, off, s[0:3], 0 offset:324
	buffer_load_dword v149, off, s[0:3], 0 offset:328
	buffer_load_dword v150, off, s[0:3], 0 offset:332
	buffer_load_dword v152, off, s[0:3], 0 offset:340
	buffer_load_dword v153, off, s[0:3], 0 offset:360
	buffer_load_dword v155, off, s[0:3], 0 offset:352
	buffer_load_dword v157, off, s[0:3], 0 offset:344
	buffer_load_dword v151, off, s[0:3], 0 offset:336
	buffer_load_dword v158, off, s[0:3], 0 offset:348
	buffer_load_dword v156, off, s[0:3], 0 offset:356
	buffer_load_dword v154, off, s[0:3], 0 offset:364
	buffer_load_dword v160, off, s[0:3], 0 offset:372
	buffer_load_dword v161, off, s[0:3], 0 offset:392
	buffer_load_dword v163, off, s[0:3], 0 offset:384
	buffer_load_dword v165, off, s[0:3], 0 offset:376
	buffer_load_dword v159, off, s[0:3], 0 offset:368
	buffer_load_dword v166, off, s[0:3], 0 offset:380
	buffer_load_dword v164, off, s[0:3], 0 offset:388
	ds_read2_b64 v[129:132], v128 offset0:99 offset1:100
	ds_read2_b64 v[133:136], v128 offset0:101 offset1:102
	buffer_load_dword v162, off, s[0:3], 0 offset:396
	s_mov_b32 s4, exec_lo
	s_waitcnt vmcnt(28) lgkmcnt(1)
	v_fma_f64 v[129:130], v[137:138], v[129:130], 0
	s_clause 0x7
	buffer_load_dword v138, off, s[0:3], 0 offset:404
	buffer_load_dword v167, off, s[0:3], 0 offset:424
	buffer_load_dword v169, off, s[0:3], 0 offset:416
	buffer_load_dword v171, off, s[0:3], 0 offset:408
	buffer_load_dword v137, off, s[0:3], 0 offset:400
	buffer_load_dword v172, off, s[0:3], 0 offset:412
	buffer_load_dword v170, off, s[0:3], 0 offset:420
	buffer_load_dword v168, off, s[0:3], 0 offset:428
	s_waitcnt vmcnt(34)
	v_fma_f64 v[129:130], v[139:140], v[131:132], v[129:130]
	s_waitcnt vmcnt(32) lgkmcnt(0)
	v_fma_f64 v[129:130], v[141:142], v[133:134], v[129:130]
	s_waitcnt vmcnt(30)
	v_fma_f64 v[139:140], v[143:144], v[135:136], v[129:130]
	ds_read2_b64 v[129:132], v128 offset0:103 offset1:104
	ds_read2_b64 v[133:136], v128 offset0:105 offset1:106
	s_waitcnt vmcnt(28) lgkmcnt(1)
	v_fma_f64 v[129:130], v[145:146], v[129:130], v[139:140]
	s_clause 0x7
	buffer_load_dword v140, off, s[0:3], 0 offset:436
	buffer_load_dword v141, off, s[0:3], 0 offset:456
	buffer_load_dword v143, off, s[0:3], 0 offset:448
	buffer_load_dword v145, off, s[0:3], 0 offset:440
	buffer_load_dword v139, off, s[0:3], 0 offset:432
	buffer_load_dword v146, off, s[0:3], 0 offset:444
	buffer_load_dword v144, off, s[0:3], 0 offset:452
	buffer_load_dword v142, off, s[0:3], 0 offset:460
	s_waitcnt vmcnt(34)
	v_fma_f64 v[129:130], v[147:148], v[131:132], v[129:130]
	s_waitcnt vmcnt(32) lgkmcnt(0)
	v_fma_f64 v[129:130], v[149:150], v[133:134], v[129:130]
	s_waitcnt vmcnt(27)
	v_fma_f64 v[147:148], v[151:152], v[135:136], v[129:130]
	ds_read2_b64 v[129:132], v128 offset0:107 offset1:108
	ds_read2_b64 v[133:136], v128 offset0:109 offset1:110
	;; [unrolled: 19-line block ×3, first 2 shown]
	s_waitcnt vmcnt(26) lgkmcnt(1)
	v_fma_f64 v[129:130], v[165:166], v[129:130], v[153:154]
	s_clause 0x3
	buffer_load_dword v154, off, s[0:3], 0 offset:500
	buffer_load_dword v153, off, s[0:3], 0 offset:496
	;; [unrolled: 1-line block ×4, first 2 shown]
	s_waitcnt vmcnt(29)
	v_fma_f64 v[129:130], v[163:164], v[131:132], v[129:130]
	s_waitcnt vmcnt(28) lgkmcnt(0)
	v_fma_f64 v[129:130], v[161:162], v[133:134], v[129:130]
	s_waitcnt vmcnt(23)
	v_fma_f64 v[137:138], v[137:138], v[135:136], v[129:130]
	ds_read2_b64 v[129:132], v128 offset0:115 offset1:116
	ds_read2_b64 v[133:136], v128 offset0:117 offset1:118
	s_waitcnt vmcnt(22) lgkmcnt(1)
	v_fma_f64 v[129:130], v[171:172], v[129:130], v[137:138]
	s_waitcnt vmcnt(21)
	v_fma_f64 v[129:130], v[169:170], v[131:132], v[129:130]
	s_waitcnt vmcnt(20) lgkmcnt(0)
	v_fma_f64 v[129:130], v[167:168], v[133:134], v[129:130]
	s_waitcnt vmcnt(15)
	v_fma_f64 v[137:138], v[139:140], v[135:136], v[129:130]
	ds_read2_b64 v[129:132], v128 offset0:119 offset1:120
	ds_read2_b64 v[133:136], v128 offset0:121 offset1:122
	s_waitcnt vmcnt(14) lgkmcnt(1)
	v_fma_f64 v[129:130], v[145:146], v[129:130], v[137:138]
	;; [unrolled: 10-line block ×3, first 2 shown]
	s_waitcnt vmcnt(5)
	v_fma_f64 v[128:129], v[151:152], v[131:132], v[128:129]
	s_waitcnt vmcnt(4) lgkmcnt(0)
	v_fma_f64 v[128:129], v[149:150], v[133:134], v[128:129]
	s_waitcnt vmcnt(2)
	v_fma_f64 v[128:129], v[153:154], v[135:136], v[128:129]
	s_waitcnt vmcnt(0)
	v_add_f64 v[128:129], v[155:156], -v[128:129]
	buffer_store_dword v129, off, s[0:3], 0 offset:276
	buffer_store_dword v128, off, s[0:3], 0 offset:272
	v_cmpx_lt_u32_e32 33, v0
	s_cbranch_execz .LBB62_321
; %bb.320:
	s_clause 0x1
	buffer_load_dword v128, off, s[0:3], 0 offset:264
	buffer_load_dword v129, off, s[0:3], 0 offset:268
	v_mov_b32_e32 v130, 0
	buffer_store_dword v130, off, s[0:3], 0 offset:264
	buffer_store_dword v130, off, s[0:3], 0 offset:268
	s_waitcnt vmcnt(0)
	ds_write_b64 v127, v[128:129]
.LBB62_321:
	s_or_b32 exec_lo, exec_lo, s4
	s_waitcnt lgkmcnt(0)
	s_waitcnt_vscnt null, 0x0
	s_barrier
	buffer_gl0_inv
	s_clause 0x1c
	buffer_load_dword v137, off, s[0:3], 0 offset:272
	buffer_load_dword v138, off, s[0:3], 0 offset:276
	;; [unrolled: 1-line block ×29, first 2 shown]
	v_mov_b32_e32 v128, 0
	buffer_load_dword v162, off, s[0:3], 0 offset:388
	s_mov_b32 s4, exec_lo
	ds_read_b128 v[129:132], v128 offset:784
	ds_read_b128 v[133:136], v128 offset:800
	s_waitcnt vmcnt(28) lgkmcnt(1)
	v_fma_f64 v[129:130], v[137:138], v[129:130], 0
	s_clause 0x7
	buffer_load_dword v138, off, s[0:3], 0 offset:396
	buffer_load_dword v167, off, s[0:3], 0 offset:416
	buffer_load_dword v169, off, s[0:3], 0 offset:408
	buffer_load_dword v171, off, s[0:3], 0 offset:400
	buffer_load_dword v137, off, s[0:3], 0 offset:392
	buffer_load_dword v172, off, s[0:3], 0 offset:404
	buffer_load_dword v170, off, s[0:3], 0 offset:412
	buffer_load_dword v168, off, s[0:3], 0 offset:420
	s_waitcnt vmcnt(34)
	v_fma_f64 v[129:130], v[139:140], v[131:132], v[129:130]
	s_waitcnt vmcnt(32) lgkmcnt(0)
	v_fma_f64 v[129:130], v[141:142], v[133:134], v[129:130]
	s_waitcnt vmcnt(30)
	v_fma_f64 v[139:140], v[143:144], v[135:136], v[129:130]
	ds_read_b128 v[129:132], v128 offset:816
	ds_read_b128 v[133:136], v128 offset:832
	s_waitcnt vmcnt(28) lgkmcnt(1)
	v_fma_f64 v[129:130], v[145:146], v[129:130], v[139:140]
	s_clause 0x7
	buffer_load_dword v140, off, s[0:3], 0 offset:428
	buffer_load_dword v141, off, s[0:3], 0 offset:448
	buffer_load_dword v143, off, s[0:3], 0 offset:440
	buffer_load_dword v145, off, s[0:3], 0 offset:432
	buffer_load_dword v139, off, s[0:3], 0 offset:424
	buffer_load_dword v146, off, s[0:3], 0 offset:436
	buffer_load_dword v144, off, s[0:3], 0 offset:444
	buffer_load_dword v142, off, s[0:3], 0 offset:452
	s_waitcnt vmcnt(34)
	v_fma_f64 v[129:130], v[147:148], v[131:132], v[129:130]
	s_waitcnt vmcnt(32) lgkmcnt(0)
	v_fma_f64 v[129:130], v[149:150], v[133:134], v[129:130]
	s_waitcnt vmcnt(27)
	v_fma_f64 v[147:148], v[151:152], v[135:136], v[129:130]
	;; [unrolled: 19-line block ×3, first 2 shown]
	ds_read_b128 v[129:132], v128 offset:880
	ds_read_b128 v[133:136], v128 offset:896
	s_waitcnt vmcnt(26) lgkmcnt(1)
	v_fma_f64 v[129:130], v[165:166], v[129:130], v[153:154]
	s_clause 0x5
	buffer_load_dword v154, off, s[0:3], 0 offset:492
	buffer_load_dword v155, off, s[0:3], 0 offset:496
	;; [unrolled: 1-line block ×6, first 2 shown]
	s_waitcnt vmcnt(31)
	v_fma_f64 v[129:130], v[163:164], v[131:132], v[129:130]
	s_waitcnt vmcnt(30) lgkmcnt(0)
	v_fma_f64 v[129:130], v[161:162], v[133:134], v[129:130]
	s_waitcnt vmcnt(25)
	v_fma_f64 v[137:138], v[137:138], v[135:136], v[129:130]
	ds_read_b128 v[129:132], v128 offset:912
	ds_read_b128 v[133:136], v128 offset:928
	s_waitcnt vmcnt(24) lgkmcnt(1)
	v_fma_f64 v[129:130], v[171:172], v[129:130], v[137:138]
	s_waitcnt vmcnt(23)
	v_fma_f64 v[129:130], v[169:170], v[131:132], v[129:130]
	s_waitcnt vmcnt(22) lgkmcnt(0)
	v_fma_f64 v[129:130], v[167:168], v[133:134], v[129:130]
	s_waitcnt vmcnt(17)
	v_fma_f64 v[137:138], v[139:140], v[135:136], v[129:130]
	ds_read_b128 v[129:132], v128 offset:944
	ds_read_b128 v[133:136], v128 offset:960
	s_waitcnt vmcnt(16) lgkmcnt(1)
	v_fma_f64 v[129:130], v[145:146], v[129:130], v[137:138]
	;; [unrolled: 10-line block ×3, first 2 shown]
	s_waitcnt vmcnt(7)
	v_fma_f64 v[129:130], v[151:152], v[131:132], v[129:130]
	ds_read_b64 v[131:132], v128 offset:1008
	s_waitcnt vmcnt(6) lgkmcnt(1)
	v_fma_f64 v[129:130], v[149:150], v[133:134], v[129:130]
	s_waitcnt vmcnt(3)
	v_fma_f64 v[129:130], v[153:154], v[135:136], v[129:130]
	s_waitcnt vmcnt(2) lgkmcnt(0)
	v_fma_f64 v[129:130], v[155:156], v[131:132], v[129:130]
	s_waitcnt vmcnt(0)
	v_add_f64 v[129:130], v[159:160], -v[129:130]
	buffer_store_dword v130, off, s[0:3], 0 offset:268
	buffer_store_dword v129, off, s[0:3], 0 offset:264
	v_cmpx_lt_u32_e32 32, v0
	s_cbranch_execz .LBB62_323
; %bb.322:
	s_clause 0x1
	buffer_load_dword v129, off, s[0:3], 0 offset:256
	buffer_load_dword v130, off, s[0:3], 0 offset:260
	buffer_store_dword v128, off, s[0:3], 0 offset:256
	buffer_store_dword v128, off, s[0:3], 0 offset:260
	s_waitcnt vmcnt(0)
	ds_write_b64 v127, v[129:130]
.LBB62_323:
	s_or_b32 exec_lo, exec_lo, s4
	s_waitcnt lgkmcnt(0)
	s_waitcnt_vscnt null, 0x0
	s_barrier
	buffer_gl0_inv
	s_clause 0x1c
	buffer_load_dword v137, off, s[0:3], 0 offset:264
	buffer_load_dword v138, off, s[0:3], 0 offset:268
	buffer_load_dword v139, off, s[0:3], 0 offset:272
	buffer_load_dword v140, off, s[0:3], 0 offset:276
	buffer_load_dword v141, off, s[0:3], 0 offset:280
	buffer_load_dword v142, off, s[0:3], 0 offset:284
	buffer_load_dword v143, off, s[0:3], 0 offset:288
	buffer_load_dword v144, off, s[0:3], 0 offset:292
	buffer_load_dword v145, off, s[0:3], 0 offset:296
	buffer_load_dword v146, off, s[0:3], 0 offset:300
	buffer_load_dword v147, off, s[0:3], 0 offset:304
	buffer_load_dword v148, off, s[0:3], 0 offset:308
	buffer_load_dword v149, off, s[0:3], 0 offset:312
	buffer_load_dword v150, off, s[0:3], 0 offset:316
	buffer_load_dword v152, off, s[0:3], 0 offset:324
	buffer_load_dword v153, off, s[0:3], 0 offset:344
	buffer_load_dword v155, off, s[0:3], 0 offset:336
	buffer_load_dword v157, off, s[0:3], 0 offset:328
	buffer_load_dword v151, off, s[0:3], 0 offset:320
	buffer_load_dword v158, off, s[0:3], 0 offset:332
	buffer_load_dword v156, off, s[0:3], 0 offset:340
	buffer_load_dword v154, off, s[0:3], 0 offset:348
	buffer_load_dword v160, off, s[0:3], 0 offset:356
	buffer_load_dword v161, off, s[0:3], 0 offset:376
	buffer_load_dword v163, off, s[0:3], 0 offset:368
	buffer_load_dword v165, off, s[0:3], 0 offset:360
	buffer_load_dword v159, off, s[0:3], 0 offset:352
	buffer_load_dword v166, off, s[0:3], 0 offset:364
	buffer_load_dword v164, off, s[0:3], 0 offset:372
	ds_read2_b64 v[129:132], v128 offset0:97 offset1:98
	ds_read2_b64 v[133:136], v128 offset0:99 offset1:100
	buffer_load_dword v162, off, s[0:3], 0 offset:380
	s_mov_b32 s4, exec_lo
	s_waitcnt vmcnt(28) lgkmcnt(1)
	v_fma_f64 v[129:130], v[137:138], v[129:130], 0
	s_clause 0x7
	buffer_load_dword v138, off, s[0:3], 0 offset:388
	buffer_load_dword v167, off, s[0:3], 0 offset:408
	buffer_load_dword v169, off, s[0:3], 0 offset:400
	buffer_load_dword v171, off, s[0:3], 0 offset:392
	buffer_load_dword v137, off, s[0:3], 0 offset:384
	buffer_load_dword v172, off, s[0:3], 0 offset:396
	buffer_load_dword v170, off, s[0:3], 0 offset:404
	buffer_load_dword v168, off, s[0:3], 0 offset:412
	s_waitcnt vmcnt(34)
	v_fma_f64 v[129:130], v[139:140], v[131:132], v[129:130]
	s_waitcnt vmcnt(32) lgkmcnt(0)
	v_fma_f64 v[129:130], v[141:142], v[133:134], v[129:130]
	s_waitcnt vmcnt(30)
	v_fma_f64 v[139:140], v[143:144], v[135:136], v[129:130]
	ds_read2_b64 v[129:132], v128 offset0:101 offset1:102
	ds_read2_b64 v[133:136], v128 offset0:103 offset1:104
	s_waitcnt vmcnt(28) lgkmcnt(1)
	v_fma_f64 v[129:130], v[145:146], v[129:130], v[139:140]
	s_clause 0x7
	buffer_load_dword v140, off, s[0:3], 0 offset:420
	buffer_load_dword v141, off, s[0:3], 0 offset:440
	buffer_load_dword v143, off, s[0:3], 0 offset:432
	buffer_load_dword v145, off, s[0:3], 0 offset:424
	buffer_load_dword v139, off, s[0:3], 0 offset:416
	buffer_load_dword v146, off, s[0:3], 0 offset:428
	buffer_load_dword v144, off, s[0:3], 0 offset:436
	buffer_load_dword v142, off, s[0:3], 0 offset:444
	s_waitcnt vmcnt(34)
	v_fma_f64 v[129:130], v[147:148], v[131:132], v[129:130]
	s_waitcnt vmcnt(32) lgkmcnt(0)
	v_fma_f64 v[129:130], v[149:150], v[133:134], v[129:130]
	s_waitcnt vmcnt(27)
	v_fma_f64 v[147:148], v[151:152], v[135:136], v[129:130]
	ds_read2_b64 v[129:132], v128 offset0:105 offset1:106
	ds_read2_b64 v[133:136], v128 offset0:107 offset1:108
	;; [unrolled: 19-line block ×3, first 2 shown]
	s_waitcnt vmcnt(26) lgkmcnt(1)
	v_fma_f64 v[129:130], v[165:166], v[129:130], v[153:154]
	s_clause 0x5
	buffer_load_dword v154, off, s[0:3], 0 offset:484
	buffer_load_dword v155, off, s[0:3], 0 offset:496
	;; [unrolled: 1-line block ×6, first 2 shown]
	s_waitcnt vmcnt(31)
	v_fma_f64 v[129:130], v[163:164], v[131:132], v[129:130]
	s_waitcnt vmcnt(30) lgkmcnt(0)
	v_fma_f64 v[129:130], v[161:162], v[133:134], v[129:130]
	s_waitcnt vmcnt(25)
	v_fma_f64 v[137:138], v[137:138], v[135:136], v[129:130]
	ds_read2_b64 v[129:132], v128 offset0:113 offset1:114
	s_clause 0x1
	buffer_load_dword v161, off, s[0:3], 0 offset:256
	buffer_load_dword v162, off, s[0:3], 0 offset:260
	ds_read2_b64 v[133:136], v128 offset0:115 offset1:116
	s_waitcnt vmcnt(26) lgkmcnt(1)
	v_fma_f64 v[129:130], v[171:172], v[129:130], v[137:138]
	s_waitcnt vmcnt(25)
	v_fma_f64 v[129:130], v[169:170], v[131:132], v[129:130]
	s_waitcnt vmcnt(24) lgkmcnt(0)
	v_fma_f64 v[129:130], v[167:168], v[133:134], v[129:130]
	s_waitcnt vmcnt(19)
	v_fma_f64 v[137:138], v[139:140], v[135:136], v[129:130]
	ds_read2_b64 v[129:132], v128 offset0:117 offset1:118
	ds_read2_b64 v[133:136], v128 offset0:119 offset1:120
	s_waitcnt vmcnt(18) lgkmcnt(1)
	v_fma_f64 v[129:130], v[145:146], v[129:130], v[137:138]
	s_waitcnt vmcnt(17)
	v_fma_f64 v[129:130], v[143:144], v[131:132], v[129:130]
	s_waitcnt vmcnt(16) lgkmcnt(0)
	v_fma_f64 v[129:130], v[141:142], v[133:134], v[129:130]
	s_waitcnt vmcnt(11)
	v_fma_f64 v[137:138], v[147:148], v[135:136], v[129:130]
	ds_read2_b64 v[129:132], v128 offset0:121 offset1:122
	;; [unrolled: 10-line block ×3, first 2 shown]
	s_waitcnt vmcnt(3) lgkmcnt(0)
	v_fma_f64 v[128:129], v[159:160], v[128:129], v[132:133]
	s_waitcnt vmcnt(2)
	v_fma_f64 v[128:129], v[155:156], v[130:131], v[128:129]
	s_waitcnt vmcnt(0)
	v_add_f64 v[128:129], v[161:162], -v[128:129]
	buffer_store_dword v129, off, s[0:3], 0 offset:260
	buffer_store_dword v128, off, s[0:3], 0 offset:256
	v_cmpx_lt_u32_e32 31, v0
	s_cbranch_execz .LBB62_325
; %bb.324:
	s_clause 0x1
	buffer_load_dword v128, off, s[0:3], 0 offset:248
	buffer_load_dword v129, off, s[0:3], 0 offset:252
	v_mov_b32_e32 v130, 0
	buffer_store_dword v130, off, s[0:3], 0 offset:248
	buffer_store_dword v130, off, s[0:3], 0 offset:252
	s_waitcnt vmcnt(0)
	ds_write_b64 v127, v[128:129]
.LBB62_325:
	s_or_b32 exec_lo, exec_lo, s4
	s_waitcnt lgkmcnt(0)
	s_waitcnt_vscnt null, 0x0
	s_barrier
	buffer_gl0_inv
	s_clause 0x1c
	buffer_load_dword v137, off, s[0:3], 0 offset:256
	buffer_load_dword v138, off, s[0:3], 0 offset:260
	;; [unrolled: 1-line block ×29, first 2 shown]
	v_mov_b32_e32 v128, 0
	buffer_load_dword v162, off, s[0:3], 0 offset:372
	s_mov_b32 s4, exec_lo
	ds_read_b128 v[129:132], v128 offset:768
	ds_read_b128 v[133:136], v128 offset:784
	s_waitcnt vmcnt(28) lgkmcnt(1)
	v_fma_f64 v[129:130], v[137:138], v[129:130], 0
	s_clause 0x7
	buffer_load_dword v138, off, s[0:3], 0 offset:380
	buffer_load_dword v167, off, s[0:3], 0 offset:400
	buffer_load_dword v169, off, s[0:3], 0 offset:392
	buffer_load_dword v171, off, s[0:3], 0 offset:384
	buffer_load_dword v137, off, s[0:3], 0 offset:376
	buffer_load_dword v172, off, s[0:3], 0 offset:388
	buffer_load_dword v170, off, s[0:3], 0 offset:396
	buffer_load_dword v168, off, s[0:3], 0 offset:404
	s_waitcnt vmcnt(34)
	v_fma_f64 v[129:130], v[139:140], v[131:132], v[129:130]
	s_waitcnt vmcnt(32) lgkmcnt(0)
	v_fma_f64 v[129:130], v[141:142], v[133:134], v[129:130]
	s_waitcnt vmcnt(30)
	v_fma_f64 v[139:140], v[143:144], v[135:136], v[129:130]
	ds_read_b128 v[129:132], v128 offset:800
	ds_read_b128 v[133:136], v128 offset:816
	s_waitcnt vmcnt(28) lgkmcnt(1)
	v_fma_f64 v[129:130], v[145:146], v[129:130], v[139:140]
	s_clause 0x7
	buffer_load_dword v140, off, s[0:3], 0 offset:412
	buffer_load_dword v141, off, s[0:3], 0 offset:432
	buffer_load_dword v143, off, s[0:3], 0 offset:424
	buffer_load_dword v145, off, s[0:3], 0 offset:416
	buffer_load_dword v139, off, s[0:3], 0 offset:408
	buffer_load_dword v146, off, s[0:3], 0 offset:420
	buffer_load_dword v144, off, s[0:3], 0 offset:428
	buffer_load_dword v142, off, s[0:3], 0 offset:436
	s_waitcnt vmcnt(34)
	v_fma_f64 v[129:130], v[147:148], v[131:132], v[129:130]
	s_waitcnt vmcnt(32) lgkmcnt(0)
	v_fma_f64 v[129:130], v[149:150], v[133:134], v[129:130]
	s_waitcnt vmcnt(27)
	v_fma_f64 v[147:148], v[151:152], v[135:136], v[129:130]
	;; [unrolled: 19-line block ×4, first 2 shown]
	ds_read_b128 v[129:132], v128 offset:896
	ds_read_b128 v[133:136], v128 offset:912
	s_waitcnt vmcnt(26) lgkmcnt(1)
	v_fma_f64 v[129:130], v[171:172], v[129:130], v[137:138]
	s_clause 0x1
	buffer_load_dword v137, off, s[0:3], 0 offset:248
	buffer_load_dword v138, off, s[0:3], 0 offset:252
	s_waitcnt vmcnt(27)
	v_fma_f64 v[129:130], v[169:170], v[131:132], v[129:130]
	s_waitcnt vmcnt(26) lgkmcnt(0)
	v_fma_f64 v[129:130], v[167:168], v[133:134], v[129:130]
	s_waitcnt vmcnt(21)
	v_fma_f64 v[139:140], v[139:140], v[135:136], v[129:130]
	ds_read_b128 v[129:132], v128 offset:928
	ds_read_b128 v[133:136], v128 offset:944
	s_waitcnt vmcnt(20) lgkmcnt(1)
	v_fma_f64 v[129:130], v[145:146], v[129:130], v[139:140]
	s_waitcnt vmcnt(19)
	v_fma_f64 v[129:130], v[143:144], v[131:132], v[129:130]
	s_waitcnt vmcnt(18) lgkmcnt(0)
	v_fma_f64 v[129:130], v[141:142], v[133:134], v[129:130]
	s_waitcnt vmcnt(13)
	v_fma_f64 v[139:140], v[147:148], v[135:136], v[129:130]
	ds_read_b128 v[129:132], v128 offset:960
	ds_read_b128 v[133:136], v128 offset:976
	s_waitcnt vmcnt(12) lgkmcnt(1)
	v_fma_f64 v[129:130], v[157:158], v[129:130], v[139:140]
	s_waitcnt vmcnt(11)
	v_fma_f64 v[129:130], v[151:152], v[131:132], v[129:130]
	s_waitcnt vmcnt(10) lgkmcnt(0)
	v_fma_f64 v[129:130], v[149:150], v[133:134], v[129:130]
	s_waitcnt vmcnt(5)
	v_fma_f64 v[133:134], v[153:154], v[135:136], v[129:130]
	ds_read_b128 v[129:132], v128 offset:992
	ds_read_b64 v[135:136], v128 offset:1008
	s_waitcnt vmcnt(4) lgkmcnt(1)
	v_fma_f64 v[129:130], v[165:166], v[129:130], v[133:134]
	s_waitcnt vmcnt(3)
	v_fma_f64 v[129:130], v[159:160], v[131:132], v[129:130]
	s_waitcnt vmcnt(2) lgkmcnt(0)
	v_fma_f64 v[129:130], v[155:156], v[135:136], v[129:130]
	s_waitcnt vmcnt(0)
	v_add_f64 v[129:130], v[137:138], -v[129:130]
	buffer_store_dword v130, off, s[0:3], 0 offset:252
	buffer_store_dword v129, off, s[0:3], 0 offset:248
	v_cmpx_lt_u32_e32 30, v0
	s_cbranch_execz .LBB62_327
; %bb.326:
	s_clause 0x1
	buffer_load_dword v129, off, s[0:3], 0 offset:240
	buffer_load_dword v130, off, s[0:3], 0 offset:244
	buffer_store_dword v128, off, s[0:3], 0 offset:240
	buffer_store_dword v128, off, s[0:3], 0 offset:244
	s_waitcnt vmcnt(0)
	ds_write_b64 v127, v[129:130]
.LBB62_327:
	s_or_b32 exec_lo, exec_lo, s4
	s_waitcnt lgkmcnt(0)
	s_waitcnt_vscnt null, 0x0
	s_barrier
	buffer_gl0_inv
	s_clause 0x1c
	buffer_load_dword v137, off, s[0:3], 0 offset:248
	buffer_load_dword v138, off, s[0:3], 0 offset:252
	;; [unrolled: 1-line block ×29, first 2 shown]
	ds_read2_b64 v[129:132], v128 offset0:95 offset1:96
	ds_read2_b64 v[133:136], v128 offset0:97 offset1:98
	buffer_load_dword v162, off, s[0:3], 0 offset:364
	s_mov_b32 s4, exec_lo
	s_waitcnt vmcnt(28) lgkmcnt(1)
	v_fma_f64 v[129:130], v[137:138], v[129:130], 0
	s_clause 0x7
	buffer_load_dword v138, off, s[0:3], 0 offset:372
	buffer_load_dword v167, off, s[0:3], 0 offset:392
	buffer_load_dword v169, off, s[0:3], 0 offset:384
	buffer_load_dword v171, off, s[0:3], 0 offset:376
	buffer_load_dword v137, off, s[0:3], 0 offset:368
	buffer_load_dword v172, off, s[0:3], 0 offset:380
	buffer_load_dword v170, off, s[0:3], 0 offset:388
	buffer_load_dword v168, off, s[0:3], 0 offset:396
	s_waitcnt vmcnt(34)
	v_fma_f64 v[129:130], v[139:140], v[131:132], v[129:130]
	s_waitcnt vmcnt(32) lgkmcnt(0)
	v_fma_f64 v[129:130], v[141:142], v[133:134], v[129:130]
	s_waitcnt vmcnt(30)
	v_fma_f64 v[139:140], v[143:144], v[135:136], v[129:130]
	ds_read2_b64 v[129:132], v128 offset0:99 offset1:100
	ds_read2_b64 v[133:136], v128 offset0:101 offset1:102
	s_waitcnt vmcnt(28) lgkmcnt(1)
	v_fma_f64 v[129:130], v[145:146], v[129:130], v[139:140]
	s_clause 0x7
	buffer_load_dword v140, off, s[0:3], 0 offset:404
	buffer_load_dword v141, off, s[0:3], 0 offset:424
	buffer_load_dword v143, off, s[0:3], 0 offset:416
	buffer_load_dword v145, off, s[0:3], 0 offset:408
	buffer_load_dword v139, off, s[0:3], 0 offset:400
	buffer_load_dword v146, off, s[0:3], 0 offset:412
	buffer_load_dword v144, off, s[0:3], 0 offset:420
	buffer_load_dword v142, off, s[0:3], 0 offset:428
	s_waitcnt vmcnt(34)
	v_fma_f64 v[129:130], v[147:148], v[131:132], v[129:130]
	s_waitcnt vmcnt(32) lgkmcnt(0)
	v_fma_f64 v[129:130], v[149:150], v[133:134], v[129:130]
	s_waitcnt vmcnt(27)
	v_fma_f64 v[147:148], v[151:152], v[135:136], v[129:130]
	ds_read2_b64 v[129:132], v128 offset0:103 offset1:104
	ds_read2_b64 v[133:136], v128 offset0:105 offset1:106
	;; [unrolled: 19-line block ×4, first 2 shown]
	s_waitcnt vmcnt(26) lgkmcnt(1)
	v_fma_f64 v[129:130], v[171:172], v[129:130], v[137:138]
	s_clause 0x3
	buffer_load_dword v138, off, s[0:3], 0 offset:500
	buffer_load_dword v137, off, s[0:3], 0 offset:496
	buffer_load_dword v161, off, s[0:3], 0 offset:240
	buffer_load_dword v162, off, s[0:3], 0 offset:244
	s_waitcnt vmcnt(29)
	v_fma_f64 v[129:130], v[169:170], v[131:132], v[129:130]
	s_waitcnt vmcnt(28) lgkmcnt(0)
	v_fma_f64 v[129:130], v[167:168], v[133:134], v[129:130]
	s_waitcnt vmcnt(23)
	v_fma_f64 v[139:140], v[139:140], v[135:136], v[129:130]
	ds_read2_b64 v[129:132], v128 offset0:115 offset1:116
	ds_read2_b64 v[133:136], v128 offset0:117 offset1:118
	s_waitcnt vmcnt(22) lgkmcnt(1)
	v_fma_f64 v[129:130], v[145:146], v[129:130], v[139:140]
	s_waitcnt vmcnt(21)
	v_fma_f64 v[129:130], v[143:144], v[131:132], v[129:130]
	s_waitcnt vmcnt(20) lgkmcnt(0)
	v_fma_f64 v[129:130], v[141:142], v[133:134], v[129:130]
	s_waitcnt vmcnt(15)
	v_fma_f64 v[139:140], v[147:148], v[135:136], v[129:130]
	ds_read2_b64 v[129:132], v128 offset0:119 offset1:120
	ds_read2_b64 v[133:136], v128 offset0:121 offset1:122
	s_waitcnt vmcnt(14) lgkmcnt(1)
	v_fma_f64 v[129:130], v[157:158], v[129:130], v[139:140]
	;; [unrolled: 10-line block ×3, first 2 shown]
	s_waitcnt vmcnt(5)
	v_fma_f64 v[128:129], v[159:160], v[131:132], v[128:129]
	s_waitcnt vmcnt(4) lgkmcnt(0)
	v_fma_f64 v[128:129], v[155:156], v[133:134], v[128:129]
	s_waitcnt vmcnt(2)
	v_fma_f64 v[128:129], v[137:138], v[135:136], v[128:129]
	s_waitcnt vmcnt(0)
	v_add_f64 v[128:129], v[161:162], -v[128:129]
	buffer_store_dword v129, off, s[0:3], 0 offset:244
	buffer_store_dword v128, off, s[0:3], 0 offset:240
	v_cmpx_lt_u32_e32 29, v0
	s_cbranch_execz .LBB62_329
; %bb.328:
	s_clause 0x1
	buffer_load_dword v128, off, s[0:3], 0 offset:232
	buffer_load_dword v129, off, s[0:3], 0 offset:236
	v_mov_b32_e32 v130, 0
	buffer_store_dword v130, off, s[0:3], 0 offset:232
	buffer_store_dword v130, off, s[0:3], 0 offset:236
	s_waitcnt vmcnt(0)
	ds_write_b64 v127, v[128:129]
.LBB62_329:
	s_or_b32 exec_lo, exec_lo, s4
	s_waitcnt lgkmcnt(0)
	s_waitcnt_vscnt null, 0x0
	s_barrier
	buffer_gl0_inv
	s_clause 0x1c
	buffer_load_dword v137, off, s[0:3], 0 offset:240
	buffer_load_dword v138, off, s[0:3], 0 offset:244
	;; [unrolled: 1-line block ×29, first 2 shown]
	v_mov_b32_e32 v128, 0
	buffer_load_dword v162, off, s[0:3], 0 offset:356
	s_mov_b32 s4, exec_lo
	ds_read_b128 v[129:132], v128 offset:752
	ds_read_b128 v[133:136], v128 offset:768
	s_waitcnt vmcnt(28) lgkmcnt(1)
	v_fma_f64 v[129:130], v[137:138], v[129:130], 0
	s_clause 0x7
	buffer_load_dword v138, off, s[0:3], 0 offset:364
	buffer_load_dword v167, off, s[0:3], 0 offset:384
	buffer_load_dword v169, off, s[0:3], 0 offset:376
	buffer_load_dword v171, off, s[0:3], 0 offset:368
	buffer_load_dword v137, off, s[0:3], 0 offset:360
	buffer_load_dword v172, off, s[0:3], 0 offset:372
	buffer_load_dword v170, off, s[0:3], 0 offset:380
	buffer_load_dword v168, off, s[0:3], 0 offset:388
	s_waitcnt vmcnt(34)
	v_fma_f64 v[129:130], v[139:140], v[131:132], v[129:130]
	s_waitcnt vmcnt(32) lgkmcnt(0)
	v_fma_f64 v[129:130], v[141:142], v[133:134], v[129:130]
	s_waitcnt vmcnt(30)
	v_fma_f64 v[139:140], v[143:144], v[135:136], v[129:130]
	ds_read_b128 v[129:132], v128 offset:784
	ds_read_b128 v[133:136], v128 offset:800
	s_waitcnt vmcnt(28) lgkmcnt(1)
	v_fma_f64 v[129:130], v[145:146], v[129:130], v[139:140]
	s_clause 0x7
	buffer_load_dword v140, off, s[0:3], 0 offset:396
	buffer_load_dword v141, off, s[0:3], 0 offset:416
	buffer_load_dword v143, off, s[0:3], 0 offset:408
	buffer_load_dword v145, off, s[0:3], 0 offset:400
	buffer_load_dword v139, off, s[0:3], 0 offset:392
	buffer_load_dword v146, off, s[0:3], 0 offset:404
	buffer_load_dword v144, off, s[0:3], 0 offset:412
	buffer_load_dword v142, off, s[0:3], 0 offset:420
	s_waitcnt vmcnt(34)
	v_fma_f64 v[129:130], v[147:148], v[131:132], v[129:130]
	s_waitcnt vmcnt(32) lgkmcnt(0)
	v_fma_f64 v[129:130], v[149:150], v[133:134], v[129:130]
	s_waitcnt vmcnt(27)
	v_fma_f64 v[147:148], v[151:152], v[135:136], v[129:130]
	;; [unrolled: 19-line block ×4, first 2 shown]
	ds_read_b128 v[129:132], v128 offset:880
	ds_read_b128 v[133:136], v128 offset:896
	s_waitcnt vmcnt(26) lgkmcnt(1)
	v_fma_f64 v[129:130], v[171:172], v[129:130], v[137:138]
	s_clause 0x5
	buffer_load_dword v138, off, s[0:3], 0 offset:492
	buffer_load_dword v161, off, s[0:3], 0 offset:496
	;; [unrolled: 1-line block ×6, first 2 shown]
	s_waitcnt vmcnt(31)
	v_fma_f64 v[129:130], v[169:170], v[131:132], v[129:130]
	s_waitcnt vmcnt(30) lgkmcnt(0)
	v_fma_f64 v[129:130], v[167:168], v[133:134], v[129:130]
	s_waitcnt vmcnt(25)
	v_fma_f64 v[139:140], v[139:140], v[135:136], v[129:130]
	ds_read_b128 v[129:132], v128 offset:912
	ds_read_b128 v[133:136], v128 offset:928
	s_waitcnt vmcnt(24) lgkmcnt(1)
	v_fma_f64 v[129:130], v[145:146], v[129:130], v[139:140]
	s_waitcnt vmcnt(23)
	v_fma_f64 v[129:130], v[143:144], v[131:132], v[129:130]
	s_waitcnt vmcnt(22) lgkmcnt(0)
	v_fma_f64 v[129:130], v[141:142], v[133:134], v[129:130]
	s_waitcnt vmcnt(17)
	v_fma_f64 v[139:140], v[147:148], v[135:136], v[129:130]
	ds_read_b128 v[129:132], v128 offset:944
	ds_read_b128 v[133:136], v128 offset:960
	s_waitcnt vmcnt(16) lgkmcnt(1)
	v_fma_f64 v[129:130], v[157:158], v[129:130], v[139:140]
	;; [unrolled: 10-line block ×3, first 2 shown]
	s_waitcnt vmcnt(7)
	v_fma_f64 v[129:130], v[159:160], v[131:132], v[129:130]
	ds_read_b64 v[131:132], v128 offset:1008
	s_waitcnt vmcnt(6) lgkmcnt(1)
	v_fma_f64 v[129:130], v[155:156], v[133:134], v[129:130]
	s_waitcnt vmcnt(3)
	v_fma_f64 v[129:130], v[137:138], v[135:136], v[129:130]
	s_waitcnt vmcnt(2) lgkmcnt(0)
	v_fma_f64 v[129:130], v[161:162], v[131:132], v[129:130]
	s_waitcnt vmcnt(0)
	v_add_f64 v[129:130], v[163:164], -v[129:130]
	buffer_store_dword v130, off, s[0:3], 0 offset:236
	buffer_store_dword v129, off, s[0:3], 0 offset:232
	v_cmpx_lt_u32_e32 28, v0
	s_cbranch_execz .LBB62_331
; %bb.330:
	s_clause 0x1
	buffer_load_dword v129, off, s[0:3], 0 offset:224
	buffer_load_dword v130, off, s[0:3], 0 offset:228
	buffer_store_dword v128, off, s[0:3], 0 offset:224
	buffer_store_dword v128, off, s[0:3], 0 offset:228
	s_waitcnt vmcnt(0)
	ds_write_b64 v127, v[129:130]
.LBB62_331:
	s_or_b32 exec_lo, exec_lo, s4
	s_waitcnt lgkmcnt(0)
	s_waitcnt_vscnt null, 0x0
	s_barrier
	buffer_gl0_inv
	s_clause 0x1c
	buffer_load_dword v137, off, s[0:3], 0 offset:232
	buffer_load_dword v138, off, s[0:3], 0 offset:236
	;; [unrolled: 1-line block ×29, first 2 shown]
	ds_read2_b64 v[129:132], v128 offset0:93 offset1:94
	ds_read2_b64 v[133:136], v128 offset0:95 offset1:96
	buffer_load_dword v162, off, s[0:3], 0 offset:348
	s_mov_b32 s4, exec_lo
	s_waitcnt vmcnt(28) lgkmcnt(1)
	v_fma_f64 v[129:130], v[137:138], v[129:130], 0
	s_clause 0x7
	buffer_load_dword v138, off, s[0:3], 0 offset:356
	buffer_load_dword v167, off, s[0:3], 0 offset:376
	buffer_load_dword v169, off, s[0:3], 0 offset:368
	buffer_load_dword v171, off, s[0:3], 0 offset:360
	buffer_load_dword v137, off, s[0:3], 0 offset:352
	buffer_load_dword v172, off, s[0:3], 0 offset:364
	buffer_load_dword v170, off, s[0:3], 0 offset:372
	buffer_load_dword v168, off, s[0:3], 0 offset:380
	s_waitcnt vmcnt(34)
	v_fma_f64 v[129:130], v[139:140], v[131:132], v[129:130]
	s_waitcnt vmcnt(32) lgkmcnt(0)
	v_fma_f64 v[129:130], v[141:142], v[133:134], v[129:130]
	s_waitcnt vmcnt(30)
	v_fma_f64 v[139:140], v[143:144], v[135:136], v[129:130]
	ds_read2_b64 v[129:132], v128 offset0:97 offset1:98
	ds_read2_b64 v[133:136], v128 offset0:99 offset1:100
	s_waitcnt vmcnt(28) lgkmcnt(1)
	v_fma_f64 v[129:130], v[145:146], v[129:130], v[139:140]
	s_clause 0x7
	buffer_load_dword v140, off, s[0:3], 0 offset:388
	buffer_load_dword v141, off, s[0:3], 0 offset:408
	buffer_load_dword v143, off, s[0:3], 0 offset:400
	buffer_load_dword v145, off, s[0:3], 0 offset:392
	buffer_load_dword v139, off, s[0:3], 0 offset:384
	buffer_load_dword v146, off, s[0:3], 0 offset:396
	buffer_load_dword v144, off, s[0:3], 0 offset:404
	buffer_load_dword v142, off, s[0:3], 0 offset:412
	s_waitcnt vmcnt(34)
	v_fma_f64 v[129:130], v[147:148], v[131:132], v[129:130]
	s_waitcnt vmcnt(32) lgkmcnt(0)
	v_fma_f64 v[129:130], v[149:150], v[133:134], v[129:130]
	s_waitcnt vmcnt(27)
	v_fma_f64 v[147:148], v[151:152], v[135:136], v[129:130]
	ds_read2_b64 v[129:132], v128 offset0:101 offset1:102
	ds_read2_b64 v[133:136], v128 offset0:103 offset1:104
	;; [unrolled: 19-line block ×4, first 2 shown]
	s_waitcnt vmcnt(26) lgkmcnt(1)
	v_fma_f64 v[129:130], v[171:172], v[129:130], v[137:138]
	s_clause 0x5
	buffer_load_dword v138, off, s[0:3], 0 offset:484
	buffer_load_dword v161, off, s[0:3], 0 offset:496
	;; [unrolled: 1-line block ×6, first 2 shown]
	s_waitcnt vmcnt(31)
	v_fma_f64 v[129:130], v[169:170], v[131:132], v[129:130]
	s_waitcnt vmcnt(30) lgkmcnt(0)
	v_fma_f64 v[129:130], v[167:168], v[133:134], v[129:130]
	s_waitcnt vmcnt(25)
	v_fma_f64 v[139:140], v[139:140], v[135:136], v[129:130]
	ds_read2_b64 v[129:132], v128 offset0:113 offset1:114
	s_clause 0x1
	buffer_load_dword v167, off, s[0:3], 0 offset:224
	buffer_load_dword v168, off, s[0:3], 0 offset:228
	ds_read2_b64 v[133:136], v128 offset0:115 offset1:116
	s_waitcnt vmcnt(26) lgkmcnt(1)
	v_fma_f64 v[129:130], v[145:146], v[129:130], v[139:140]
	s_waitcnt vmcnt(25)
	v_fma_f64 v[129:130], v[143:144], v[131:132], v[129:130]
	s_waitcnt vmcnt(24) lgkmcnt(0)
	v_fma_f64 v[129:130], v[141:142], v[133:134], v[129:130]
	s_waitcnt vmcnt(19)
	v_fma_f64 v[139:140], v[147:148], v[135:136], v[129:130]
	ds_read2_b64 v[129:132], v128 offset0:117 offset1:118
	ds_read2_b64 v[133:136], v128 offset0:119 offset1:120
	s_waitcnt vmcnt(18) lgkmcnt(1)
	v_fma_f64 v[129:130], v[157:158], v[129:130], v[139:140]
	s_waitcnt vmcnt(17)
	v_fma_f64 v[129:130], v[151:152], v[131:132], v[129:130]
	s_waitcnt vmcnt(16) lgkmcnt(0)
	v_fma_f64 v[129:130], v[149:150], v[133:134], v[129:130]
	s_waitcnt vmcnt(11)
	v_fma_f64 v[139:140], v[153:154], v[135:136], v[129:130]
	ds_read2_b64 v[129:132], v128 offset0:121 offset1:122
	ds_read2_b64 v[133:136], v128 offset0:123 offset1:124
	s_waitcnt vmcnt(10) lgkmcnt(1)
	v_fma_f64 v[129:130], v[165:166], v[129:130], v[139:140]
	s_waitcnt vmcnt(9)
	v_fma_f64 v[129:130], v[159:160], v[131:132], v[129:130]
	s_waitcnt vmcnt(8) lgkmcnt(0)
	v_fma_f64 v[129:130], v[155:156], v[133:134], v[129:130]
	s_waitcnt vmcnt(4)
	v_fma_f64 v[132:133], v[137:138], v[135:136], v[129:130]
	ds_read2_b64 v[128:131], v128 offset0:125 offset1:126
	s_waitcnt vmcnt(3) lgkmcnt(0)
	v_fma_f64 v[128:129], v[163:164], v[128:129], v[132:133]
	s_waitcnt vmcnt(2)
	v_fma_f64 v[128:129], v[161:162], v[130:131], v[128:129]
	s_waitcnt vmcnt(0)
	v_add_f64 v[128:129], v[167:168], -v[128:129]
	buffer_store_dword v129, off, s[0:3], 0 offset:228
	buffer_store_dword v128, off, s[0:3], 0 offset:224
	v_cmpx_lt_u32_e32 27, v0
	s_cbranch_execz .LBB62_333
; %bb.332:
	s_clause 0x1
	buffer_load_dword v128, off, s[0:3], 0 offset:216
	buffer_load_dword v129, off, s[0:3], 0 offset:220
	v_mov_b32_e32 v130, 0
	buffer_store_dword v130, off, s[0:3], 0 offset:216
	buffer_store_dword v130, off, s[0:3], 0 offset:220
	s_waitcnt vmcnt(0)
	ds_write_b64 v127, v[128:129]
.LBB62_333:
	s_or_b32 exec_lo, exec_lo, s4
	s_waitcnt lgkmcnt(0)
	s_waitcnt_vscnt null, 0x0
	s_barrier
	buffer_gl0_inv
	s_clause 0x1c
	buffer_load_dword v137, off, s[0:3], 0 offset:224
	buffer_load_dword v138, off, s[0:3], 0 offset:228
	;; [unrolled: 1-line block ×29, first 2 shown]
	v_mov_b32_e32 v128, 0
	buffer_load_dword v162, off, s[0:3], 0 offset:340
	s_mov_b32 s4, exec_lo
	ds_read_b128 v[129:132], v128 offset:736
	ds_read_b128 v[133:136], v128 offset:752
	s_waitcnt vmcnt(28) lgkmcnt(1)
	v_fma_f64 v[129:130], v[137:138], v[129:130], 0
	s_clause 0x7
	buffer_load_dword v138, off, s[0:3], 0 offset:348
	buffer_load_dword v167, off, s[0:3], 0 offset:368
	buffer_load_dword v169, off, s[0:3], 0 offset:360
	buffer_load_dword v171, off, s[0:3], 0 offset:352
	buffer_load_dword v137, off, s[0:3], 0 offset:344
	buffer_load_dword v172, off, s[0:3], 0 offset:356
	buffer_load_dword v170, off, s[0:3], 0 offset:364
	buffer_load_dword v168, off, s[0:3], 0 offset:372
	s_waitcnt vmcnt(34)
	v_fma_f64 v[129:130], v[139:140], v[131:132], v[129:130]
	s_waitcnt vmcnt(32) lgkmcnt(0)
	v_fma_f64 v[129:130], v[141:142], v[133:134], v[129:130]
	s_waitcnt vmcnt(30)
	v_fma_f64 v[139:140], v[143:144], v[135:136], v[129:130]
	ds_read_b128 v[129:132], v128 offset:768
	ds_read_b128 v[133:136], v128 offset:784
	s_waitcnt vmcnt(28) lgkmcnt(1)
	v_fma_f64 v[129:130], v[145:146], v[129:130], v[139:140]
	s_clause 0x7
	buffer_load_dword v140, off, s[0:3], 0 offset:380
	buffer_load_dword v141, off, s[0:3], 0 offset:400
	buffer_load_dword v143, off, s[0:3], 0 offset:392
	buffer_load_dword v145, off, s[0:3], 0 offset:384
	buffer_load_dword v139, off, s[0:3], 0 offset:376
	buffer_load_dword v146, off, s[0:3], 0 offset:388
	buffer_load_dword v144, off, s[0:3], 0 offset:396
	buffer_load_dword v142, off, s[0:3], 0 offset:404
	s_waitcnt vmcnt(34)
	v_fma_f64 v[129:130], v[147:148], v[131:132], v[129:130]
	s_waitcnt vmcnt(32) lgkmcnt(0)
	v_fma_f64 v[129:130], v[149:150], v[133:134], v[129:130]
	s_waitcnt vmcnt(27)
	v_fma_f64 v[147:148], v[151:152], v[135:136], v[129:130]
	;; [unrolled: 19-line block ×5, first 2 shown]
	ds_read_b128 v[129:132], v128 offset:896
	ds_read_b128 v[133:136], v128 offset:912
	s_waitcnt vmcnt(26) lgkmcnt(1)
	v_fma_f64 v[129:130], v[145:146], v[129:130], v[139:140]
	s_clause 0x1
	buffer_load_dword v139, off, s[0:3], 0 offset:216
	buffer_load_dword v140, off, s[0:3], 0 offset:220
	s_waitcnt vmcnt(27)
	v_fma_f64 v[129:130], v[143:144], v[131:132], v[129:130]
	s_waitcnt vmcnt(26) lgkmcnt(0)
	v_fma_f64 v[129:130], v[141:142], v[133:134], v[129:130]
	s_waitcnt vmcnt(21)
	v_fma_f64 v[141:142], v[147:148], v[135:136], v[129:130]
	ds_read_b128 v[129:132], v128 offset:928
	ds_read_b128 v[133:136], v128 offset:944
	s_waitcnt vmcnt(20) lgkmcnt(1)
	v_fma_f64 v[129:130], v[157:158], v[129:130], v[141:142]
	s_waitcnt vmcnt(19)
	v_fma_f64 v[129:130], v[151:152], v[131:132], v[129:130]
	s_waitcnt vmcnt(18) lgkmcnt(0)
	v_fma_f64 v[129:130], v[149:150], v[133:134], v[129:130]
	s_waitcnt vmcnt(13)
	v_fma_f64 v[141:142], v[153:154], v[135:136], v[129:130]
	ds_read_b128 v[129:132], v128 offset:960
	ds_read_b128 v[133:136], v128 offset:976
	s_waitcnt vmcnt(12) lgkmcnt(1)
	v_fma_f64 v[129:130], v[165:166], v[129:130], v[141:142]
	s_waitcnt vmcnt(11)
	v_fma_f64 v[129:130], v[159:160], v[131:132], v[129:130]
	s_waitcnt vmcnt(10) lgkmcnt(0)
	v_fma_f64 v[129:130], v[155:156], v[133:134], v[129:130]
	s_waitcnt vmcnt(5)
	v_fma_f64 v[133:134], v[137:138], v[135:136], v[129:130]
	ds_read_b128 v[129:132], v128 offset:992
	ds_read_b64 v[135:136], v128 offset:1008
	s_waitcnt vmcnt(4) lgkmcnt(1)
	v_fma_f64 v[129:130], v[171:172], v[129:130], v[133:134]
	s_waitcnt vmcnt(3)
	v_fma_f64 v[129:130], v[163:164], v[131:132], v[129:130]
	s_waitcnt vmcnt(2) lgkmcnt(0)
	v_fma_f64 v[129:130], v[161:162], v[135:136], v[129:130]
	s_waitcnt vmcnt(0)
	v_add_f64 v[129:130], v[139:140], -v[129:130]
	buffer_store_dword v130, off, s[0:3], 0 offset:220
	buffer_store_dword v129, off, s[0:3], 0 offset:216
	v_cmpx_lt_u32_e32 26, v0
	s_cbranch_execz .LBB62_335
; %bb.334:
	s_clause 0x1
	buffer_load_dword v129, off, s[0:3], 0 offset:208
	buffer_load_dword v130, off, s[0:3], 0 offset:212
	buffer_store_dword v128, off, s[0:3], 0 offset:208
	buffer_store_dword v128, off, s[0:3], 0 offset:212
	s_waitcnt vmcnt(0)
	ds_write_b64 v127, v[129:130]
.LBB62_335:
	s_or_b32 exec_lo, exec_lo, s4
	s_waitcnt lgkmcnt(0)
	s_waitcnt_vscnt null, 0x0
	s_barrier
	buffer_gl0_inv
	s_clause 0x1c
	buffer_load_dword v137, off, s[0:3], 0 offset:216
	buffer_load_dword v138, off, s[0:3], 0 offset:220
	;; [unrolled: 1-line block ×29, first 2 shown]
	ds_read2_b64 v[129:132], v128 offset0:91 offset1:92
	ds_read2_b64 v[133:136], v128 offset0:93 offset1:94
	buffer_load_dword v162, off, s[0:3], 0 offset:332
	s_mov_b32 s4, exec_lo
	s_waitcnt vmcnt(28) lgkmcnt(1)
	v_fma_f64 v[129:130], v[137:138], v[129:130], 0
	s_clause 0x7
	buffer_load_dword v138, off, s[0:3], 0 offset:340
	buffer_load_dword v167, off, s[0:3], 0 offset:360
	buffer_load_dword v169, off, s[0:3], 0 offset:352
	buffer_load_dword v171, off, s[0:3], 0 offset:344
	buffer_load_dword v137, off, s[0:3], 0 offset:336
	buffer_load_dword v172, off, s[0:3], 0 offset:348
	buffer_load_dword v170, off, s[0:3], 0 offset:356
	buffer_load_dword v168, off, s[0:3], 0 offset:364
	s_waitcnt vmcnt(34)
	v_fma_f64 v[129:130], v[139:140], v[131:132], v[129:130]
	s_waitcnt vmcnt(32) lgkmcnt(0)
	v_fma_f64 v[129:130], v[141:142], v[133:134], v[129:130]
	s_waitcnt vmcnt(30)
	v_fma_f64 v[139:140], v[143:144], v[135:136], v[129:130]
	ds_read2_b64 v[129:132], v128 offset0:95 offset1:96
	ds_read2_b64 v[133:136], v128 offset0:97 offset1:98
	s_waitcnt vmcnt(28) lgkmcnt(1)
	v_fma_f64 v[129:130], v[145:146], v[129:130], v[139:140]
	s_clause 0x7
	buffer_load_dword v140, off, s[0:3], 0 offset:372
	buffer_load_dword v141, off, s[0:3], 0 offset:392
	buffer_load_dword v143, off, s[0:3], 0 offset:384
	buffer_load_dword v145, off, s[0:3], 0 offset:376
	buffer_load_dword v139, off, s[0:3], 0 offset:368
	buffer_load_dword v146, off, s[0:3], 0 offset:380
	buffer_load_dword v144, off, s[0:3], 0 offset:388
	buffer_load_dword v142, off, s[0:3], 0 offset:396
	s_waitcnt vmcnt(34)
	v_fma_f64 v[129:130], v[147:148], v[131:132], v[129:130]
	s_waitcnt vmcnt(32) lgkmcnt(0)
	v_fma_f64 v[129:130], v[149:150], v[133:134], v[129:130]
	s_waitcnt vmcnt(27)
	v_fma_f64 v[147:148], v[151:152], v[135:136], v[129:130]
	ds_read2_b64 v[129:132], v128 offset0:99 offset1:100
	ds_read2_b64 v[133:136], v128 offset0:101 offset1:102
	;; [unrolled: 19-line block ×5, first 2 shown]
	s_waitcnt vmcnt(26) lgkmcnt(1)
	v_fma_f64 v[129:130], v[145:146], v[129:130], v[139:140]
	s_clause 0x1
	buffer_load_dword v140, off, s[0:3], 0 offset:500
	buffer_load_dword v139, off, s[0:3], 0 offset:496
	s_waitcnt vmcnt(27)
	v_fma_f64 v[129:130], v[143:144], v[131:132], v[129:130]
	s_clause 0x1
	buffer_load_dword v143, off, s[0:3], 0 offset:208
	buffer_load_dword v144, off, s[0:3], 0 offset:212
	s_waitcnt vmcnt(28) lgkmcnt(0)
	v_fma_f64 v[129:130], v[141:142], v[133:134], v[129:130]
	s_waitcnt vmcnt(23)
	v_fma_f64 v[141:142], v[147:148], v[135:136], v[129:130]
	ds_read2_b64 v[129:132], v128 offset0:115 offset1:116
	ds_read2_b64 v[133:136], v128 offset0:117 offset1:118
	s_waitcnt vmcnt(22) lgkmcnt(1)
	v_fma_f64 v[129:130], v[157:158], v[129:130], v[141:142]
	s_waitcnt vmcnt(21)
	v_fma_f64 v[129:130], v[151:152], v[131:132], v[129:130]
	s_waitcnt vmcnt(20) lgkmcnt(0)
	v_fma_f64 v[129:130], v[149:150], v[133:134], v[129:130]
	s_waitcnt vmcnt(15)
	v_fma_f64 v[141:142], v[153:154], v[135:136], v[129:130]
	ds_read2_b64 v[129:132], v128 offset0:119 offset1:120
	ds_read2_b64 v[133:136], v128 offset0:121 offset1:122
	s_waitcnt vmcnt(14) lgkmcnt(1)
	v_fma_f64 v[129:130], v[165:166], v[129:130], v[141:142]
	s_waitcnt vmcnt(13)
	v_fma_f64 v[129:130], v[159:160], v[131:132], v[129:130]
	;; [unrolled: 10-line block ×3, first 2 shown]
	s_waitcnt vmcnt(4) lgkmcnt(0)
	v_fma_f64 v[128:129], v[161:162], v[133:134], v[128:129]
	s_waitcnt vmcnt(2)
	v_fma_f64 v[128:129], v[139:140], v[135:136], v[128:129]
	s_waitcnt vmcnt(0)
	v_add_f64 v[128:129], v[143:144], -v[128:129]
	buffer_store_dword v129, off, s[0:3], 0 offset:212
	buffer_store_dword v128, off, s[0:3], 0 offset:208
	v_cmpx_lt_u32_e32 25, v0
	s_cbranch_execz .LBB62_337
; %bb.336:
	s_clause 0x1
	buffer_load_dword v128, off, s[0:3], 0 offset:200
	buffer_load_dword v129, off, s[0:3], 0 offset:204
	v_mov_b32_e32 v130, 0
	buffer_store_dword v130, off, s[0:3], 0 offset:200
	buffer_store_dword v130, off, s[0:3], 0 offset:204
	s_waitcnt vmcnt(0)
	ds_write_b64 v127, v[128:129]
.LBB62_337:
	s_or_b32 exec_lo, exec_lo, s4
	s_waitcnt lgkmcnt(0)
	s_waitcnt_vscnt null, 0x0
	s_barrier
	buffer_gl0_inv
	s_clause 0x1c
	buffer_load_dword v137, off, s[0:3], 0 offset:208
	buffer_load_dword v138, off, s[0:3], 0 offset:212
	;; [unrolled: 1-line block ×29, first 2 shown]
	v_mov_b32_e32 v128, 0
	buffer_load_dword v162, off, s[0:3], 0 offset:324
	s_mov_b32 s4, exec_lo
	ds_read_b128 v[129:132], v128 offset:720
	ds_read_b128 v[133:136], v128 offset:736
	s_waitcnt vmcnt(28) lgkmcnt(1)
	v_fma_f64 v[129:130], v[137:138], v[129:130], 0
	s_clause 0x7
	buffer_load_dword v138, off, s[0:3], 0 offset:332
	buffer_load_dword v167, off, s[0:3], 0 offset:352
	buffer_load_dword v169, off, s[0:3], 0 offset:344
	buffer_load_dword v171, off, s[0:3], 0 offset:336
	buffer_load_dword v137, off, s[0:3], 0 offset:328
	buffer_load_dword v172, off, s[0:3], 0 offset:340
	buffer_load_dword v170, off, s[0:3], 0 offset:348
	buffer_load_dword v168, off, s[0:3], 0 offset:356
	s_waitcnt vmcnt(34)
	v_fma_f64 v[129:130], v[139:140], v[131:132], v[129:130]
	s_waitcnt vmcnt(32) lgkmcnt(0)
	v_fma_f64 v[129:130], v[141:142], v[133:134], v[129:130]
	s_waitcnt vmcnt(30)
	v_fma_f64 v[139:140], v[143:144], v[135:136], v[129:130]
	ds_read_b128 v[129:132], v128 offset:752
	ds_read_b128 v[133:136], v128 offset:768
	s_waitcnt vmcnt(28) lgkmcnt(1)
	v_fma_f64 v[129:130], v[145:146], v[129:130], v[139:140]
	s_clause 0x7
	buffer_load_dword v140, off, s[0:3], 0 offset:364
	buffer_load_dword v141, off, s[0:3], 0 offset:384
	buffer_load_dword v143, off, s[0:3], 0 offset:376
	buffer_load_dword v145, off, s[0:3], 0 offset:368
	buffer_load_dword v139, off, s[0:3], 0 offset:360
	buffer_load_dword v146, off, s[0:3], 0 offset:372
	buffer_load_dword v144, off, s[0:3], 0 offset:380
	buffer_load_dword v142, off, s[0:3], 0 offset:388
	s_waitcnt vmcnt(34)
	v_fma_f64 v[129:130], v[147:148], v[131:132], v[129:130]
	s_waitcnt vmcnt(32) lgkmcnt(0)
	v_fma_f64 v[129:130], v[149:150], v[133:134], v[129:130]
	s_waitcnt vmcnt(27)
	v_fma_f64 v[147:148], v[151:152], v[135:136], v[129:130]
	ds_read_b128 v[129:132], v128 offset:784
	ds_read_b128 v[133:136], v128 offset:800
	s_waitcnt vmcnt(26) lgkmcnt(1)
	v_fma_f64 v[129:130], v[157:158], v[129:130], v[147:148]
	s_clause 0x7
	buffer_load_dword v148, off, s[0:3], 0 offset:396
	buffer_load_dword v149, off, s[0:3], 0 offset:416
	buffer_load_dword v151, off, s[0:3], 0 offset:408
	buffer_load_dword v157, off, s[0:3], 0 offset:400
	buffer_load_dword v147, off, s[0:3], 0 offset:392
	buffer_load_dword v158, off, s[0:3], 0 offset:404
	buffer_load_dword v152, off, s[0:3], 0 offset:412
	buffer_load_dword v150, off, s[0:3], 0 offset:420
	s_waitcnt vmcnt(33)
	v_fma_f64 v[129:130], v[155:156], v[131:132], v[129:130]
	s_waitcnt vmcnt(32) lgkmcnt(0)
	v_fma_f64 v[129:130], v[153:154], v[133:134], v[129:130]
	s_waitcnt vmcnt(27)
	v_fma_f64 v[153:154], v[159:160], v[135:136], v[129:130]
	ds_read_b128 v[129:132], v128 offset:816
	ds_read_b128 v[133:136], v128 offset:832
	s_waitcnt vmcnt(26) lgkmcnt(1)
	v_fma_f64 v[129:130], v[165:166], v[129:130], v[153:154]
	s_clause 0x7
	buffer_load_dword v154, off, s[0:3], 0 offset:428
	buffer_load_dword v155, off, s[0:3], 0 offset:448
	buffer_load_dword v159, off, s[0:3], 0 offset:440
	buffer_load_dword v165, off, s[0:3], 0 offset:432
	buffer_load_dword v153, off, s[0:3], 0 offset:424
	buffer_load_dword v166, off, s[0:3], 0 offset:436
	buffer_load_dword v160, off, s[0:3], 0 offset:444
	buffer_load_dword v156, off, s[0:3], 0 offset:452
	s_waitcnt vmcnt(33)
	v_fma_f64 v[129:130], v[163:164], v[131:132], v[129:130]
	s_waitcnt vmcnt(32) lgkmcnt(0)
	v_fma_f64 v[129:130], v[161:162], v[133:134], v[129:130]
	s_waitcnt vmcnt(27)
	v_fma_f64 v[137:138], v[137:138], v[135:136], v[129:130]
	ds_read_b128 v[129:132], v128 offset:848
	ds_read_b128 v[133:136], v128 offset:864
	s_waitcnt vmcnt(26) lgkmcnt(1)
	v_fma_f64 v[129:130], v[171:172], v[129:130], v[137:138]
	s_clause 0x7
	buffer_load_dword v138, off, s[0:3], 0 offset:460
	buffer_load_dword v161, off, s[0:3], 0 offset:480
	buffer_load_dword v163, off, s[0:3], 0 offset:472
	buffer_load_dword v171, off, s[0:3], 0 offset:464
	buffer_load_dword v137, off, s[0:3], 0 offset:456
	buffer_load_dword v172, off, s[0:3], 0 offset:468
	buffer_load_dword v164, off, s[0:3], 0 offset:476
	buffer_load_dword v162, off, s[0:3], 0 offset:484
	s_waitcnt vmcnt(33)
	v_fma_f64 v[129:130], v[169:170], v[131:132], v[129:130]
	s_waitcnt vmcnt(32) lgkmcnt(0)
	v_fma_f64 v[129:130], v[167:168], v[133:134], v[129:130]
	s_waitcnt vmcnt(27)
	v_fma_f64 v[139:140], v[139:140], v[135:136], v[129:130]
	ds_read_b128 v[129:132], v128 offset:880
	ds_read_b128 v[133:136], v128 offset:896
	s_waitcnt vmcnt(26) lgkmcnt(1)
	v_fma_f64 v[129:130], v[145:146], v[129:130], v[139:140]
	s_clause 0x3
	buffer_load_dword v140, off, s[0:3], 0 offset:492
	buffer_load_dword v145, off, s[0:3], 0 offset:496
	;; [unrolled: 1-line block ×4, first 2 shown]
	s_waitcnt vmcnt(29)
	v_fma_f64 v[129:130], v[143:144], v[131:132], v[129:130]
	s_waitcnt vmcnt(28) lgkmcnt(0)
	v_fma_f64 v[129:130], v[141:142], v[133:134], v[129:130]
	s_clause 0x1
	buffer_load_dword v141, off, s[0:3], 0 offset:200
	buffer_load_dword v142, off, s[0:3], 0 offset:204
	s_waitcnt vmcnt(25)
	v_fma_f64 v[143:144], v[147:148], v[135:136], v[129:130]
	ds_read_b128 v[129:132], v128 offset:912
	ds_read_b128 v[133:136], v128 offset:928
	s_waitcnt vmcnt(24) lgkmcnt(1)
	v_fma_f64 v[129:130], v[157:158], v[129:130], v[143:144]
	s_waitcnt vmcnt(23)
	v_fma_f64 v[129:130], v[151:152], v[131:132], v[129:130]
	s_waitcnt vmcnt(22) lgkmcnt(0)
	v_fma_f64 v[129:130], v[149:150], v[133:134], v[129:130]
	s_waitcnt vmcnt(17)
	v_fma_f64 v[143:144], v[153:154], v[135:136], v[129:130]
	ds_read_b128 v[129:132], v128 offset:944
	ds_read_b128 v[133:136], v128 offset:960
	s_waitcnt vmcnt(16) lgkmcnt(1)
	v_fma_f64 v[129:130], v[165:166], v[129:130], v[143:144]
	s_waitcnt vmcnt(15)
	v_fma_f64 v[129:130], v[159:160], v[131:132], v[129:130]
	s_waitcnt vmcnt(14) lgkmcnt(0)
	v_fma_f64 v[129:130], v[155:156], v[133:134], v[129:130]
	s_waitcnt vmcnt(9)
	v_fma_f64 v[137:138], v[137:138], v[135:136], v[129:130]
	ds_read_b128 v[129:132], v128 offset:976
	ds_read_b128 v[133:136], v128 offset:992
	s_waitcnt vmcnt(8) lgkmcnt(1)
	v_fma_f64 v[129:130], v[171:172], v[129:130], v[137:138]
	s_waitcnt vmcnt(7)
	v_fma_f64 v[129:130], v[163:164], v[131:132], v[129:130]
	ds_read_b64 v[131:132], v128 offset:1008
	s_waitcnt vmcnt(6) lgkmcnt(1)
	v_fma_f64 v[129:130], v[161:162], v[133:134], v[129:130]
	s_waitcnt vmcnt(3)
	v_fma_f64 v[129:130], v[139:140], v[135:136], v[129:130]
	s_waitcnt vmcnt(2) lgkmcnt(0)
	v_fma_f64 v[129:130], v[145:146], v[131:132], v[129:130]
	s_waitcnt vmcnt(0)
	v_add_f64 v[129:130], v[141:142], -v[129:130]
	buffer_store_dword v130, off, s[0:3], 0 offset:204
	buffer_store_dword v129, off, s[0:3], 0 offset:200
	v_cmpx_lt_u32_e32 24, v0
	s_cbranch_execz .LBB62_339
; %bb.338:
	s_clause 0x1
	buffer_load_dword v129, off, s[0:3], 0 offset:192
	buffer_load_dword v130, off, s[0:3], 0 offset:196
	buffer_store_dword v128, off, s[0:3], 0 offset:192
	buffer_store_dword v128, off, s[0:3], 0 offset:196
	s_waitcnt vmcnt(0)
	ds_write_b64 v127, v[129:130]
.LBB62_339:
	s_or_b32 exec_lo, exec_lo, s4
	s_waitcnt lgkmcnt(0)
	s_waitcnt_vscnt null, 0x0
	s_barrier
	buffer_gl0_inv
	s_clause 0x1c
	buffer_load_dword v137, off, s[0:3], 0 offset:200
	buffer_load_dword v138, off, s[0:3], 0 offset:204
	;; [unrolled: 1-line block ×29, first 2 shown]
	ds_read2_b64 v[129:132], v128 offset0:89 offset1:90
	ds_read2_b64 v[133:136], v128 offset0:91 offset1:92
	buffer_load_dword v162, off, s[0:3], 0 offset:316
	s_mov_b32 s4, exec_lo
	s_waitcnt vmcnt(28) lgkmcnt(1)
	v_fma_f64 v[129:130], v[137:138], v[129:130], 0
	s_clause 0x7
	buffer_load_dword v138, off, s[0:3], 0 offset:324
	buffer_load_dword v167, off, s[0:3], 0 offset:344
	buffer_load_dword v169, off, s[0:3], 0 offset:336
	buffer_load_dword v171, off, s[0:3], 0 offset:328
	buffer_load_dword v137, off, s[0:3], 0 offset:320
	buffer_load_dword v172, off, s[0:3], 0 offset:332
	buffer_load_dword v170, off, s[0:3], 0 offset:340
	buffer_load_dword v168, off, s[0:3], 0 offset:348
	s_waitcnt vmcnt(34)
	v_fma_f64 v[129:130], v[139:140], v[131:132], v[129:130]
	s_waitcnt vmcnt(32) lgkmcnt(0)
	v_fma_f64 v[129:130], v[141:142], v[133:134], v[129:130]
	s_waitcnt vmcnt(30)
	v_fma_f64 v[139:140], v[143:144], v[135:136], v[129:130]
	ds_read2_b64 v[129:132], v128 offset0:93 offset1:94
	ds_read2_b64 v[133:136], v128 offset0:95 offset1:96
	s_waitcnt vmcnt(28) lgkmcnt(1)
	v_fma_f64 v[129:130], v[145:146], v[129:130], v[139:140]
	s_clause 0x7
	buffer_load_dword v140, off, s[0:3], 0 offset:356
	buffer_load_dword v141, off, s[0:3], 0 offset:376
	buffer_load_dword v143, off, s[0:3], 0 offset:368
	buffer_load_dword v145, off, s[0:3], 0 offset:360
	buffer_load_dword v139, off, s[0:3], 0 offset:352
	buffer_load_dword v146, off, s[0:3], 0 offset:364
	buffer_load_dword v144, off, s[0:3], 0 offset:372
	buffer_load_dword v142, off, s[0:3], 0 offset:380
	s_waitcnt vmcnt(34)
	v_fma_f64 v[129:130], v[147:148], v[131:132], v[129:130]
	s_waitcnt vmcnt(32) lgkmcnt(0)
	v_fma_f64 v[129:130], v[149:150], v[133:134], v[129:130]
	s_waitcnt vmcnt(27)
	v_fma_f64 v[147:148], v[151:152], v[135:136], v[129:130]
	ds_read2_b64 v[129:132], v128 offset0:97 offset1:98
	ds_read2_b64 v[133:136], v128 offset0:99 offset1:100
	;; [unrolled: 19-line block ×5, first 2 shown]
	s_waitcnt vmcnt(26) lgkmcnt(1)
	v_fma_f64 v[129:130], v[145:146], v[129:130], v[139:140]
	s_clause 0x5
	buffer_load_dword v140, off, s[0:3], 0 offset:484
	buffer_load_dword v145, off, s[0:3], 0 offset:496
	;; [unrolled: 1-line block ×6, first 2 shown]
	s_waitcnt vmcnt(31)
	v_fma_f64 v[129:130], v[143:144], v[131:132], v[129:130]
	s_waitcnt vmcnt(30) lgkmcnt(0)
	v_fma_f64 v[129:130], v[141:142], v[133:134], v[129:130]
	s_waitcnt vmcnt(25)
	v_fma_f64 v[141:142], v[147:148], v[135:136], v[129:130]
	ds_read2_b64 v[129:132], v128 offset0:113 offset1:114
	s_clause 0x1
	buffer_load_dword v143, off, s[0:3], 0 offset:192
	buffer_load_dword v144, off, s[0:3], 0 offset:196
	ds_read2_b64 v[133:136], v128 offset0:115 offset1:116
	s_waitcnt vmcnt(26) lgkmcnt(1)
	v_fma_f64 v[129:130], v[157:158], v[129:130], v[141:142]
	s_waitcnt vmcnt(25)
	v_fma_f64 v[129:130], v[151:152], v[131:132], v[129:130]
	s_waitcnt vmcnt(24) lgkmcnt(0)
	v_fma_f64 v[129:130], v[149:150], v[133:134], v[129:130]
	s_waitcnt vmcnt(19)
	v_fma_f64 v[141:142], v[153:154], v[135:136], v[129:130]
	ds_read2_b64 v[129:132], v128 offset0:117 offset1:118
	ds_read2_b64 v[133:136], v128 offset0:119 offset1:120
	s_waitcnt vmcnt(18) lgkmcnt(1)
	v_fma_f64 v[129:130], v[165:166], v[129:130], v[141:142]
	s_waitcnt vmcnt(17)
	v_fma_f64 v[129:130], v[159:160], v[131:132], v[129:130]
	s_waitcnt vmcnt(16) lgkmcnt(0)
	v_fma_f64 v[129:130], v[155:156], v[133:134], v[129:130]
	s_waitcnt vmcnt(11)
	v_fma_f64 v[137:138], v[137:138], v[135:136], v[129:130]
	ds_read2_b64 v[129:132], v128 offset0:121 offset1:122
	;; [unrolled: 10-line block ×3, first 2 shown]
	s_waitcnt vmcnt(3) lgkmcnt(0)
	v_fma_f64 v[128:129], v[167:168], v[128:129], v[132:133]
	s_waitcnt vmcnt(2)
	v_fma_f64 v[128:129], v[145:146], v[130:131], v[128:129]
	s_waitcnt vmcnt(0)
	v_add_f64 v[128:129], v[143:144], -v[128:129]
	buffer_store_dword v129, off, s[0:3], 0 offset:196
	buffer_store_dword v128, off, s[0:3], 0 offset:192
	v_cmpx_lt_u32_e32 23, v0
	s_cbranch_execz .LBB62_341
; %bb.340:
	s_clause 0x1
	buffer_load_dword v128, off, s[0:3], 0 offset:184
	buffer_load_dword v129, off, s[0:3], 0 offset:188
	v_mov_b32_e32 v130, 0
	buffer_store_dword v130, off, s[0:3], 0 offset:184
	buffer_store_dword v130, off, s[0:3], 0 offset:188
	s_waitcnt vmcnt(0)
	ds_write_b64 v127, v[128:129]
.LBB62_341:
	s_or_b32 exec_lo, exec_lo, s4
	s_waitcnt lgkmcnt(0)
	s_waitcnt_vscnt null, 0x0
	s_barrier
	buffer_gl0_inv
	s_clause 0x1c
	buffer_load_dword v137, off, s[0:3], 0 offset:192
	buffer_load_dword v138, off, s[0:3], 0 offset:196
	;; [unrolled: 1-line block ×29, first 2 shown]
	v_mov_b32_e32 v128, 0
	buffer_load_dword v162, off, s[0:3], 0 offset:308
	s_mov_b32 s4, exec_lo
	ds_read_b128 v[129:132], v128 offset:704
	ds_read_b128 v[133:136], v128 offset:720
	s_waitcnt vmcnt(28) lgkmcnt(1)
	v_fma_f64 v[129:130], v[137:138], v[129:130], 0
	s_clause 0x7
	buffer_load_dword v138, off, s[0:3], 0 offset:316
	buffer_load_dword v167, off, s[0:3], 0 offset:336
	buffer_load_dword v169, off, s[0:3], 0 offset:328
	buffer_load_dword v171, off, s[0:3], 0 offset:320
	buffer_load_dword v137, off, s[0:3], 0 offset:312
	buffer_load_dword v172, off, s[0:3], 0 offset:324
	buffer_load_dword v170, off, s[0:3], 0 offset:332
	buffer_load_dword v168, off, s[0:3], 0 offset:340
	s_waitcnt vmcnt(34)
	v_fma_f64 v[129:130], v[139:140], v[131:132], v[129:130]
	s_waitcnt vmcnt(32) lgkmcnt(0)
	v_fma_f64 v[129:130], v[141:142], v[133:134], v[129:130]
	s_waitcnt vmcnt(30)
	v_fma_f64 v[139:140], v[143:144], v[135:136], v[129:130]
	ds_read_b128 v[129:132], v128 offset:736
	ds_read_b128 v[133:136], v128 offset:752
	s_waitcnt vmcnt(28) lgkmcnt(1)
	v_fma_f64 v[129:130], v[145:146], v[129:130], v[139:140]
	s_clause 0x7
	buffer_load_dword v140, off, s[0:3], 0 offset:348
	buffer_load_dword v141, off, s[0:3], 0 offset:368
	buffer_load_dword v143, off, s[0:3], 0 offset:360
	buffer_load_dword v145, off, s[0:3], 0 offset:352
	buffer_load_dword v139, off, s[0:3], 0 offset:344
	buffer_load_dword v146, off, s[0:3], 0 offset:356
	buffer_load_dword v144, off, s[0:3], 0 offset:364
	buffer_load_dword v142, off, s[0:3], 0 offset:372
	s_waitcnt vmcnt(34)
	v_fma_f64 v[129:130], v[147:148], v[131:132], v[129:130]
	s_waitcnt vmcnt(32) lgkmcnt(0)
	v_fma_f64 v[129:130], v[149:150], v[133:134], v[129:130]
	s_waitcnt vmcnt(27)
	v_fma_f64 v[147:148], v[151:152], v[135:136], v[129:130]
	;; [unrolled: 19-line block ×6, first 2 shown]
	ds_read_b128 v[129:132], v128 offset:896
	ds_read_b128 v[133:136], v128 offset:912
	s_waitcnt vmcnt(26) lgkmcnt(1)
	v_fma_f64 v[129:130], v[157:158], v[129:130], v[141:142]
	s_clause 0x1
	buffer_load_dword v141, off, s[0:3], 0 offset:184
	buffer_load_dword v142, off, s[0:3], 0 offset:188
	s_waitcnt vmcnt(27)
	v_fma_f64 v[129:130], v[151:152], v[131:132], v[129:130]
	s_waitcnt vmcnt(26) lgkmcnt(0)
	v_fma_f64 v[129:130], v[149:150], v[133:134], v[129:130]
	s_waitcnt vmcnt(21)
	v_fma_f64 v[143:144], v[153:154], v[135:136], v[129:130]
	ds_read_b128 v[129:132], v128 offset:928
	ds_read_b128 v[133:136], v128 offset:944
	s_waitcnt vmcnt(20) lgkmcnt(1)
	v_fma_f64 v[129:130], v[165:166], v[129:130], v[143:144]
	s_waitcnt vmcnt(19)
	v_fma_f64 v[129:130], v[159:160], v[131:132], v[129:130]
	s_waitcnt vmcnt(18) lgkmcnt(0)
	v_fma_f64 v[129:130], v[155:156], v[133:134], v[129:130]
	s_waitcnt vmcnt(13)
	v_fma_f64 v[137:138], v[137:138], v[135:136], v[129:130]
	ds_read_b128 v[129:132], v128 offset:960
	ds_read_b128 v[133:136], v128 offset:976
	s_waitcnt vmcnt(12) lgkmcnt(1)
	v_fma_f64 v[129:130], v[171:172], v[129:130], v[137:138]
	s_waitcnt vmcnt(11)
	v_fma_f64 v[129:130], v[163:164], v[131:132], v[129:130]
	s_waitcnt vmcnt(10) lgkmcnt(0)
	v_fma_f64 v[129:130], v[161:162], v[133:134], v[129:130]
	s_waitcnt vmcnt(5)
	v_fma_f64 v[133:134], v[139:140], v[135:136], v[129:130]
	ds_read_b128 v[129:132], v128 offset:992
	ds_read_b64 v[135:136], v128 offset:1008
	s_waitcnt vmcnt(4) lgkmcnt(1)
	v_fma_f64 v[129:130], v[169:170], v[129:130], v[133:134]
	s_waitcnt vmcnt(3)
	v_fma_f64 v[129:130], v[167:168], v[131:132], v[129:130]
	s_waitcnt vmcnt(2) lgkmcnt(0)
	v_fma_f64 v[129:130], v[145:146], v[135:136], v[129:130]
	s_waitcnt vmcnt(0)
	v_add_f64 v[129:130], v[141:142], -v[129:130]
	buffer_store_dword v130, off, s[0:3], 0 offset:188
	buffer_store_dword v129, off, s[0:3], 0 offset:184
	v_cmpx_lt_u32_e32 22, v0
	s_cbranch_execz .LBB62_343
; %bb.342:
	s_clause 0x1
	buffer_load_dword v129, off, s[0:3], 0 offset:176
	buffer_load_dword v130, off, s[0:3], 0 offset:180
	buffer_store_dword v128, off, s[0:3], 0 offset:176
	buffer_store_dword v128, off, s[0:3], 0 offset:180
	s_waitcnt vmcnt(0)
	ds_write_b64 v127, v[129:130]
.LBB62_343:
	s_or_b32 exec_lo, exec_lo, s4
	s_waitcnt lgkmcnt(0)
	s_waitcnt_vscnt null, 0x0
	s_barrier
	buffer_gl0_inv
	s_clause 0x1c
	buffer_load_dword v137, off, s[0:3], 0 offset:184
	buffer_load_dword v138, off, s[0:3], 0 offset:188
	;; [unrolled: 1-line block ×29, first 2 shown]
	ds_read2_b64 v[129:132], v128 offset0:87 offset1:88
	ds_read2_b64 v[133:136], v128 offset0:89 offset1:90
	buffer_load_dword v162, off, s[0:3], 0 offset:300
	s_mov_b32 s4, exec_lo
	s_waitcnt vmcnt(28) lgkmcnt(1)
	v_fma_f64 v[129:130], v[137:138], v[129:130], 0
	s_clause 0x7
	buffer_load_dword v138, off, s[0:3], 0 offset:308
	buffer_load_dword v167, off, s[0:3], 0 offset:328
	buffer_load_dword v169, off, s[0:3], 0 offset:320
	buffer_load_dword v171, off, s[0:3], 0 offset:312
	buffer_load_dword v137, off, s[0:3], 0 offset:304
	buffer_load_dword v172, off, s[0:3], 0 offset:316
	buffer_load_dword v170, off, s[0:3], 0 offset:324
	buffer_load_dword v168, off, s[0:3], 0 offset:332
	s_waitcnt vmcnt(34)
	v_fma_f64 v[129:130], v[139:140], v[131:132], v[129:130]
	s_waitcnt vmcnt(32) lgkmcnt(0)
	v_fma_f64 v[129:130], v[141:142], v[133:134], v[129:130]
	s_waitcnt vmcnt(30)
	v_fma_f64 v[139:140], v[143:144], v[135:136], v[129:130]
	ds_read2_b64 v[129:132], v128 offset0:91 offset1:92
	ds_read2_b64 v[133:136], v128 offset0:93 offset1:94
	s_waitcnt vmcnt(28) lgkmcnt(1)
	v_fma_f64 v[129:130], v[145:146], v[129:130], v[139:140]
	s_clause 0x7
	buffer_load_dword v140, off, s[0:3], 0 offset:340
	buffer_load_dword v141, off, s[0:3], 0 offset:360
	buffer_load_dword v143, off, s[0:3], 0 offset:352
	buffer_load_dword v145, off, s[0:3], 0 offset:344
	buffer_load_dword v139, off, s[0:3], 0 offset:336
	buffer_load_dword v146, off, s[0:3], 0 offset:348
	buffer_load_dword v144, off, s[0:3], 0 offset:356
	buffer_load_dword v142, off, s[0:3], 0 offset:364
	s_waitcnt vmcnt(34)
	v_fma_f64 v[129:130], v[147:148], v[131:132], v[129:130]
	s_waitcnt vmcnt(32) lgkmcnt(0)
	v_fma_f64 v[129:130], v[149:150], v[133:134], v[129:130]
	s_waitcnt vmcnt(27)
	v_fma_f64 v[147:148], v[151:152], v[135:136], v[129:130]
	ds_read2_b64 v[129:132], v128 offset0:95 offset1:96
	ds_read2_b64 v[133:136], v128 offset0:97 offset1:98
	;; [unrolled: 19-line block ×6, first 2 shown]
	s_waitcnt vmcnt(26) lgkmcnt(1)
	v_fma_f64 v[129:130], v[157:158], v[129:130], v[141:142]
	s_clause 0x3
	buffer_load_dword v142, off, s[0:3], 0 offset:500
	buffer_load_dword v141, off, s[0:3], 0 offset:496
	;; [unrolled: 1-line block ×4, first 2 shown]
	s_waitcnt vmcnt(29)
	v_fma_f64 v[129:130], v[151:152], v[131:132], v[129:130]
	s_waitcnt vmcnt(28) lgkmcnt(0)
	v_fma_f64 v[129:130], v[149:150], v[133:134], v[129:130]
	s_waitcnt vmcnt(23)
	v_fma_f64 v[147:148], v[153:154], v[135:136], v[129:130]
	ds_read2_b64 v[129:132], v128 offset0:115 offset1:116
	ds_read2_b64 v[133:136], v128 offset0:117 offset1:118
	s_waitcnt vmcnt(22) lgkmcnt(1)
	v_fma_f64 v[129:130], v[165:166], v[129:130], v[147:148]
	s_waitcnt vmcnt(21)
	v_fma_f64 v[129:130], v[159:160], v[131:132], v[129:130]
	s_waitcnt vmcnt(20) lgkmcnt(0)
	v_fma_f64 v[129:130], v[155:156], v[133:134], v[129:130]
	s_waitcnt vmcnt(15)
	v_fma_f64 v[137:138], v[137:138], v[135:136], v[129:130]
	ds_read2_b64 v[129:132], v128 offset0:119 offset1:120
	ds_read2_b64 v[133:136], v128 offset0:121 offset1:122
	s_waitcnt vmcnt(14) lgkmcnt(1)
	v_fma_f64 v[129:130], v[171:172], v[129:130], v[137:138]
	;; [unrolled: 10-line block ×3, first 2 shown]
	s_waitcnt vmcnt(5)
	v_fma_f64 v[128:129], v[167:168], v[131:132], v[128:129]
	s_waitcnt vmcnt(4) lgkmcnt(0)
	v_fma_f64 v[128:129], v[145:146], v[133:134], v[128:129]
	s_waitcnt vmcnt(2)
	v_fma_f64 v[128:129], v[141:142], v[135:136], v[128:129]
	s_waitcnt vmcnt(0)
	v_add_f64 v[128:129], v[143:144], -v[128:129]
	buffer_store_dword v129, off, s[0:3], 0 offset:180
	buffer_store_dword v128, off, s[0:3], 0 offset:176
	v_cmpx_lt_u32_e32 21, v0
	s_cbranch_execz .LBB62_345
; %bb.344:
	s_clause 0x1
	buffer_load_dword v128, off, s[0:3], 0 offset:168
	buffer_load_dword v129, off, s[0:3], 0 offset:172
	v_mov_b32_e32 v130, 0
	buffer_store_dword v130, off, s[0:3], 0 offset:168
	buffer_store_dword v130, off, s[0:3], 0 offset:172
	s_waitcnt vmcnt(0)
	ds_write_b64 v127, v[128:129]
.LBB62_345:
	s_or_b32 exec_lo, exec_lo, s4
	s_waitcnt lgkmcnt(0)
	s_waitcnt_vscnt null, 0x0
	s_barrier
	buffer_gl0_inv
	s_clause 0x1c
	buffer_load_dword v137, off, s[0:3], 0 offset:176
	buffer_load_dword v138, off, s[0:3], 0 offset:180
	;; [unrolled: 1-line block ×29, first 2 shown]
	v_mov_b32_e32 v128, 0
	buffer_load_dword v162, off, s[0:3], 0 offset:292
	s_mov_b32 s4, exec_lo
	ds_read_b128 v[129:132], v128 offset:688
	ds_read_b128 v[133:136], v128 offset:704
	s_waitcnt vmcnt(28) lgkmcnt(1)
	v_fma_f64 v[129:130], v[137:138], v[129:130], 0
	s_clause 0x7
	buffer_load_dword v138, off, s[0:3], 0 offset:300
	buffer_load_dword v167, off, s[0:3], 0 offset:320
	buffer_load_dword v169, off, s[0:3], 0 offset:312
	buffer_load_dword v171, off, s[0:3], 0 offset:304
	buffer_load_dword v137, off, s[0:3], 0 offset:296
	buffer_load_dword v172, off, s[0:3], 0 offset:308
	buffer_load_dword v170, off, s[0:3], 0 offset:316
	buffer_load_dword v168, off, s[0:3], 0 offset:324
	s_waitcnt vmcnt(34)
	v_fma_f64 v[129:130], v[139:140], v[131:132], v[129:130]
	s_waitcnt vmcnt(32) lgkmcnt(0)
	v_fma_f64 v[129:130], v[141:142], v[133:134], v[129:130]
	s_waitcnt vmcnt(30)
	v_fma_f64 v[139:140], v[143:144], v[135:136], v[129:130]
	ds_read_b128 v[129:132], v128 offset:720
	ds_read_b128 v[133:136], v128 offset:736
	s_waitcnt vmcnt(28) lgkmcnt(1)
	v_fma_f64 v[129:130], v[145:146], v[129:130], v[139:140]
	s_clause 0x7
	buffer_load_dword v140, off, s[0:3], 0 offset:332
	buffer_load_dword v141, off, s[0:3], 0 offset:352
	buffer_load_dword v143, off, s[0:3], 0 offset:344
	buffer_load_dword v145, off, s[0:3], 0 offset:336
	buffer_load_dword v139, off, s[0:3], 0 offset:328
	buffer_load_dword v146, off, s[0:3], 0 offset:340
	buffer_load_dword v144, off, s[0:3], 0 offset:348
	buffer_load_dword v142, off, s[0:3], 0 offset:356
	s_waitcnt vmcnt(34)
	v_fma_f64 v[129:130], v[147:148], v[131:132], v[129:130]
	s_waitcnt vmcnt(32) lgkmcnt(0)
	v_fma_f64 v[129:130], v[149:150], v[133:134], v[129:130]
	s_waitcnt vmcnt(27)
	v_fma_f64 v[147:148], v[151:152], v[135:136], v[129:130]
	;; [unrolled: 19-line block ×6, first 2 shown]
	ds_read_b128 v[129:132], v128 offset:880
	ds_read_b128 v[133:136], v128 offset:896
	s_waitcnt vmcnt(26) lgkmcnt(1)
	v_fma_f64 v[129:130], v[157:158], v[129:130], v[141:142]
	s_clause 0x5
	buffer_load_dword v142, off, s[0:3], 0 offset:492
	buffer_load_dword v143, off, s[0:3], 0 offset:496
	;; [unrolled: 1-line block ×6, first 2 shown]
	s_waitcnt vmcnt(31)
	v_fma_f64 v[129:130], v[151:152], v[131:132], v[129:130]
	s_waitcnt vmcnt(30) lgkmcnt(0)
	v_fma_f64 v[129:130], v[149:150], v[133:134], v[129:130]
	s_waitcnt vmcnt(25)
	v_fma_f64 v[149:150], v[153:154], v[135:136], v[129:130]
	ds_read_b128 v[129:132], v128 offset:912
	ds_read_b128 v[133:136], v128 offset:928
	s_waitcnt vmcnt(24) lgkmcnt(1)
	v_fma_f64 v[129:130], v[165:166], v[129:130], v[149:150]
	s_waitcnt vmcnt(23)
	v_fma_f64 v[129:130], v[159:160], v[131:132], v[129:130]
	s_waitcnt vmcnt(22) lgkmcnt(0)
	v_fma_f64 v[129:130], v[155:156], v[133:134], v[129:130]
	s_waitcnt vmcnt(17)
	v_fma_f64 v[137:138], v[137:138], v[135:136], v[129:130]
	ds_read_b128 v[129:132], v128 offset:944
	ds_read_b128 v[133:136], v128 offset:960
	s_waitcnt vmcnt(16) lgkmcnt(1)
	v_fma_f64 v[129:130], v[171:172], v[129:130], v[137:138]
	;; [unrolled: 10-line block ×3, first 2 shown]
	s_waitcnt vmcnt(7)
	v_fma_f64 v[129:130], v[167:168], v[131:132], v[129:130]
	ds_read_b64 v[131:132], v128 offset:1008
	s_waitcnt vmcnt(6) lgkmcnt(1)
	v_fma_f64 v[129:130], v[145:146], v[133:134], v[129:130]
	s_waitcnt vmcnt(3)
	v_fma_f64 v[129:130], v[141:142], v[135:136], v[129:130]
	s_waitcnt vmcnt(2) lgkmcnt(0)
	v_fma_f64 v[129:130], v[143:144], v[131:132], v[129:130]
	s_waitcnt vmcnt(0)
	v_add_f64 v[129:130], v[147:148], -v[129:130]
	buffer_store_dword v130, off, s[0:3], 0 offset:172
	buffer_store_dword v129, off, s[0:3], 0 offset:168
	v_cmpx_lt_u32_e32 20, v0
	s_cbranch_execz .LBB62_347
; %bb.346:
	s_clause 0x1
	buffer_load_dword v129, off, s[0:3], 0 offset:160
	buffer_load_dword v130, off, s[0:3], 0 offset:164
	buffer_store_dword v128, off, s[0:3], 0 offset:160
	buffer_store_dword v128, off, s[0:3], 0 offset:164
	s_waitcnt vmcnt(0)
	ds_write_b64 v127, v[129:130]
.LBB62_347:
	s_or_b32 exec_lo, exec_lo, s4
	s_waitcnt lgkmcnt(0)
	s_waitcnt_vscnt null, 0x0
	s_barrier
	buffer_gl0_inv
	s_clause 0x1c
	buffer_load_dword v137, off, s[0:3], 0 offset:168
	buffer_load_dword v138, off, s[0:3], 0 offset:172
	;; [unrolled: 1-line block ×29, first 2 shown]
	ds_read2_b64 v[129:132], v128 offset0:85 offset1:86
	ds_read2_b64 v[133:136], v128 offset0:87 offset1:88
	buffer_load_dword v162, off, s[0:3], 0 offset:284
	s_mov_b32 s4, exec_lo
	s_waitcnt vmcnt(28) lgkmcnt(1)
	v_fma_f64 v[129:130], v[137:138], v[129:130], 0
	s_clause 0x7
	buffer_load_dword v138, off, s[0:3], 0 offset:292
	buffer_load_dword v167, off, s[0:3], 0 offset:312
	buffer_load_dword v169, off, s[0:3], 0 offset:304
	buffer_load_dword v171, off, s[0:3], 0 offset:296
	buffer_load_dword v137, off, s[0:3], 0 offset:288
	buffer_load_dword v172, off, s[0:3], 0 offset:300
	buffer_load_dword v170, off, s[0:3], 0 offset:308
	buffer_load_dword v168, off, s[0:3], 0 offset:316
	s_waitcnt vmcnt(34)
	v_fma_f64 v[129:130], v[139:140], v[131:132], v[129:130]
	s_waitcnt vmcnt(32) lgkmcnt(0)
	v_fma_f64 v[129:130], v[141:142], v[133:134], v[129:130]
	s_waitcnt vmcnt(30)
	v_fma_f64 v[139:140], v[143:144], v[135:136], v[129:130]
	ds_read2_b64 v[129:132], v128 offset0:89 offset1:90
	ds_read2_b64 v[133:136], v128 offset0:91 offset1:92
	s_waitcnt vmcnt(28) lgkmcnt(1)
	v_fma_f64 v[129:130], v[145:146], v[129:130], v[139:140]
	s_clause 0x7
	buffer_load_dword v140, off, s[0:3], 0 offset:324
	buffer_load_dword v141, off, s[0:3], 0 offset:344
	buffer_load_dword v143, off, s[0:3], 0 offset:336
	buffer_load_dword v145, off, s[0:3], 0 offset:328
	buffer_load_dword v139, off, s[0:3], 0 offset:320
	buffer_load_dword v146, off, s[0:3], 0 offset:332
	buffer_load_dword v144, off, s[0:3], 0 offset:340
	buffer_load_dword v142, off, s[0:3], 0 offset:348
	s_waitcnt vmcnt(34)
	v_fma_f64 v[129:130], v[147:148], v[131:132], v[129:130]
	s_waitcnt vmcnt(32) lgkmcnt(0)
	v_fma_f64 v[129:130], v[149:150], v[133:134], v[129:130]
	s_waitcnt vmcnt(27)
	v_fma_f64 v[147:148], v[151:152], v[135:136], v[129:130]
	ds_read2_b64 v[129:132], v128 offset0:93 offset1:94
	ds_read2_b64 v[133:136], v128 offset0:95 offset1:96
	;; [unrolled: 19-line block ×6, first 2 shown]
	s_waitcnt vmcnt(26) lgkmcnt(1)
	v_fma_f64 v[129:130], v[157:158], v[129:130], v[141:142]
	s_clause 0x5
	buffer_load_dword v142, off, s[0:3], 0 offset:484
	buffer_load_dword v143, off, s[0:3], 0 offset:496
	;; [unrolled: 1-line block ×6, first 2 shown]
	s_waitcnt vmcnt(31)
	v_fma_f64 v[129:130], v[151:152], v[131:132], v[129:130]
	s_waitcnt vmcnt(30) lgkmcnt(0)
	v_fma_f64 v[129:130], v[149:150], v[133:134], v[129:130]
	s_waitcnt vmcnt(25)
	v_fma_f64 v[149:150], v[153:154], v[135:136], v[129:130]
	ds_read2_b64 v[129:132], v128 offset0:113 offset1:114
	s_clause 0x1
	buffer_load_dword v151, off, s[0:3], 0 offset:160
	buffer_load_dword v152, off, s[0:3], 0 offset:164
	ds_read2_b64 v[133:136], v128 offset0:115 offset1:116
	s_waitcnt vmcnt(26) lgkmcnt(1)
	v_fma_f64 v[129:130], v[165:166], v[129:130], v[149:150]
	s_waitcnt vmcnt(25)
	v_fma_f64 v[129:130], v[159:160], v[131:132], v[129:130]
	s_waitcnt vmcnt(24) lgkmcnt(0)
	v_fma_f64 v[129:130], v[155:156], v[133:134], v[129:130]
	s_waitcnt vmcnt(19)
	v_fma_f64 v[137:138], v[137:138], v[135:136], v[129:130]
	ds_read2_b64 v[129:132], v128 offset0:117 offset1:118
	ds_read2_b64 v[133:136], v128 offset0:119 offset1:120
	s_waitcnt vmcnt(18) lgkmcnt(1)
	v_fma_f64 v[129:130], v[171:172], v[129:130], v[137:138]
	s_waitcnt vmcnt(17)
	v_fma_f64 v[129:130], v[163:164], v[131:132], v[129:130]
	s_waitcnt vmcnt(16) lgkmcnt(0)
	v_fma_f64 v[129:130], v[161:162], v[133:134], v[129:130]
	s_waitcnt vmcnt(11)
	v_fma_f64 v[137:138], v[139:140], v[135:136], v[129:130]
	ds_read2_b64 v[129:132], v128 offset0:121 offset1:122
	;; [unrolled: 10-line block ×3, first 2 shown]
	s_waitcnt vmcnt(3) lgkmcnt(0)
	v_fma_f64 v[128:129], v[147:148], v[128:129], v[132:133]
	s_waitcnt vmcnt(2)
	v_fma_f64 v[128:129], v[143:144], v[130:131], v[128:129]
	s_waitcnt vmcnt(0)
	v_add_f64 v[128:129], v[151:152], -v[128:129]
	buffer_store_dword v129, off, s[0:3], 0 offset:164
	buffer_store_dword v128, off, s[0:3], 0 offset:160
	v_cmpx_lt_u32_e32 19, v0
	s_cbranch_execz .LBB62_349
; %bb.348:
	s_clause 0x1
	buffer_load_dword v128, off, s[0:3], 0 offset:152
	buffer_load_dword v129, off, s[0:3], 0 offset:156
	v_mov_b32_e32 v130, 0
	buffer_store_dword v130, off, s[0:3], 0 offset:152
	buffer_store_dword v130, off, s[0:3], 0 offset:156
	s_waitcnt vmcnt(0)
	ds_write_b64 v127, v[128:129]
.LBB62_349:
	s_or_b32 exec_lo, exec_lo, s4
	s_waitcnt lgkmcnt(0)
	s_waitcnt_vscnt null, 0x0
	s_barrier
	buffer_gl0_inv
	s_clause 0x1c
	buffer_load_dword v137, off, s[0:3], 0 offset:160
	buffer_load_dword v138, off, s[0:3], 0 offset:164
	;; [unrolled: 1-line block ×29, first 2 shown]
	v_mov_b32_e32 v128, 0
	buffer_load_dword v162, off, s[0:3], 0 offset:276
	s_mov_b32 s4, exec_lo
	ds_read_b128 v[129:132], v128 offset:672
	ds_read_b128 v[133:136], v128 offset:688
	s_waitcnt vmcnt(28) lgkmcnt(1)
	v_fma_f64 v[129:130], v[137:138], v[129:130], 0
	s_clause 0x7
	buffer_load_dword v138, off, s[0:3], 0 offset:284
	buffer_load_dword v167, off, s[0:3], 0 offset:304
	buffer_load_dword v169, off, s[0:3], 0 offset:296
	buffer_load_dword v171, off, s[0:3], 0 offset:288
	buffer_load_dword v137, off, s[0:3], 0 offset:280
	buffer_load_dword v172, off, s[0:3], 0 offset:292
	buffer_load_dword v170, off, s[0:3], 0 offset:300
	buffer_load_dword v168, off, s[0:3], 0 offset:308
	s_waitcnt vmcnt(34)
	v_fma_f64 v[129:130], v[139:140], v[131:132], v[129:130]
	s_waitcnt vmcnt(32) lgkmcnt(0)
	v_fma_f64 v[129:130], v[141:142], v[133:134], v[129:130]
	s_waitcnt vmcnt(30)
	v_fma_f64 v[139:140], v[143:144], v[135:136], v[129:130]
	ds_read_b128 v[129:132], v128 offset:704
	ds_read_b128 v[133:136], v128 offset:720
	s_waitcnt vmcnt(28) lgkmcnt(1)
	v_fma_f64 v[129:130], v[145:146], v[129:130], v[139:140]
	s_clause 0x7
	buffer_load_dword v140, off, s[0:3], 0 offset:316
	buffer_load_dword v141, off, s[0:3], 0 offset:336
	buffer_load_dword v143, off, s[0:3], 0 offset:328
	buffer_load_dword v145, off, s[0:3], 0 offset:320
	buffer_load_dword v139, off, s[0:3], 0 offset:312
	buffer_load_dword v146, off, s[0:3], 0 offset:324
	buffer_load_dword v144, off, s[0:3], 0 offset:332
	buffer_load_dword v142, off, s[0:3], 0 offset:340
	s_waitcnt vmcnt(34)
	v_fma_f64 v[129:130], v[147:148], v[131:132], v[129:130]
	s_waitcnt vmcnt(32) lgkmcnt(0)
	v_fma_f64 v[129:130], v[149:150], v[133:134], v[129:130]
	s_waitcnt vmcnt(27)
	v_fma_f64 v[147:148], v[151:152], v[135:136], v[129:130]
	;; [unrolled: 19-line block ×7, first 2 shown]
	ds_read_b128 v[129:132], v128 offset:896
	ds_read_b128 v[133:136], v128 offset:912
	s_waitcnt vmcnt(26) lgkmcnt(1)
	v_fma_f64 v[129:130], v[165:166], v[129:130], v[149:150]
	s_clause 0x1
	buffer_load_dword v149, off, s[0:3], 0 offset:152
	buffer_load_dword v150, off, s[0:3], 0 offset:156
	s_waitcnt vmcnt(27)
	v_fma_f64 v[129:130], v[159:160], v[131:132], v[129:130]
	s_waitcnt vmcnt(26) lgkmcnt(0)
	v_fma_f64 v[129:130], v[155:156], v[133:134], v[129:130]
	s_waitcnt vmcnt(21)
	v_fma_f64 v[137:138], v[137:138], v[135:136], v[129:130]
	ds_read_b128 v[129:132], v128 offset:928
	ds_read_b128 v[133:136], v128 offset:944
	s_waitcnt vmcnt(20) lgkmcnt(1)
	v_fma_f64 v[129:130], v[171:172], v[129:130], v[137:138]
	s_waitcnt vmcnt(19)
	v_fma_f64 v[129:130], v[163:164], v[131:132], v[129:130]
	s_waitcnt vmcnt(18) lgkmcnt(0)
	v_fma_f64 v[129:130], v[161:162], v[133:134], v[129:130]
	s_waitcnt vmcnt(13)
	v_fma_f64 v[137:138], v[139:140], v[135:136], v[129:130]
	ds_read_b128 v[129:132], v128 offset:960
	ds_read_b128 v[133:136], v128 offset:976
	s_waitcnt vmcnt(12) lgkmcnt(1)
	v_fma_f64 v[129:130], v[169:170], v[129:130], v[137:138]
	s_waitcnt vmcnt(11)
	v_fma_f64 v[129:130], v[167:168], v[131:132], v[129:130]
	s_waitcnt vmcnt(10) lgkmcnt(0)
	v_fma_f64 v[129:130], v[145:146], v[133:134], v[129:130]
	s_waitcnt vmcnt(5)
	v_fma_f64 v[133:134], v[141:142], v[135:136], v[129:130]
	ds_read_b128 v[129:132], v128 offset:992
	ds_read_b64 v[135:136], v128 offset:1008
	s_waitcnt vmcnt(4) lgkmcnt(1)
	v_fma_f64 v[129:130], v[157:158], v[129:130], v[133:134]
	s_waitcnt vmcnt(3)
	v_fma_f64 v[129:130], v[147:148], v[131:132], v[129:130]
	s_waitcnt vmcnt(2) lgkmcnt(0)
	v_fma_f64 v[129:130], v[143:144], v[135:136], v[129:130]
	s_waitcnt vmcnt(0)
	v_add_f64 v[129:130], v[149:150], -v[129:130]
	buffer_store_dword v130, off, s[0:3], 0 offset:156
	buffer_store_dword v129, off, s[0:3], 0 offset:152
	v_cmpx_lt_u32_e32 18, v0
	s_cbranch_execz .LBB62_351
; %bb.350:
	s_clause 0x1
	buffer_load_dword v129, off, s[0:3], 0 offset:144
	buffer_load_dword v130, off, s[0:3], 0 offset:148
	buffer_store_dword v128, off, s[0:3], 0 offset:144
	buffer_store_dword v128, off, s[0:3], 0 offset:148
	s_waitcnt vmcnt(0)
	ds_write_b64 v127, v[129:130]
.LBB62_351:
	s_or_b32 exec_lo, exec_lo, s4
	s_waitcnt lgkmcnt(0)
	s_waitcnt_vscnt null, 0x0
	s_barrier
	buffer_gl0_inv
	s_clause 0x1c
	buffer_load_dword v137, off, s[0:3], 0 offset:152
	buffer_load_dword v138, off, s[0:3], 0 offset:156
	;; [unrolled: 1-line block ×29, first 2 shown]
	ds_read2_b64 v[129:132], v128 offset0:83 offset1:84
	ds_read2_b64 v[133:136], v128 offset0:85 offset1:86
	buffer_load_dword v162, off, s[0:3], 0 offset:268
	s_mov_b32 s4, exec_lo
	s_waitcnt vmcnt(28) lgkmcnt(1)
	v_fma_f64 v[129:130], v[137:138], v[129:130], 0
	s_clause 0x7
	buffer_load_dword v138, off, s[0:3], 0 offset:276
	buffer_load_dword v167, off, s[0:3], 0 offset:296
	buffer_load_dword v169, off, s[0:3], 0 offset:288
	buffer_load_dword v171, off, s[0:3], 0 offset:280
	buffer_load_dword v137, off, s[0:3], 0 offset:272
	buffer_load_dword v172, off, s[0:3], 0 offset:284
	buffer_load_dword v170, off, s[0:3], 0 offset:292
	buffer_load_dword v168, off, s[0:3], 0 offset:300
	s_waitcnt vmcnt(34)
	v_fma_f64 v[129:130], v[139:140], v[131:132], v[129:130]
	s_waitcnt vmcnt(32) lgkmcnt(0)
	v_fma_f64 v[129:130], v[141:142], v[133:134], v[129:130]
	s_waitcnt vmcnt(30)
	v_fma_f64 v[139:140], v[143:144], v[135:136], v[129:130]
	ds_read2_b64 v[129:132], v128 offset0:87 offset1:88
	ds_read2_b64 v[133:136], v128 offset0:89 offset1:90
	s_waitcnt vmcnt(28) lgkmcnt(1)
	v_fma_f64 v[129:130], v[145:146], v[129:130], v[139:140]
	s_clause 0x7
	buffer_load_dword v140, off, s[0:3], 0 offset:308
	buffer_load_dword v141, off, s[0:3], 0 offset:328
	buffer_load_dword v143, off, s[0:3], 0 offset:320
	buffer_load_dword v145, off, s[0:3], 0 offset:312
	buffer_load_dword v139, off, s[0:3], 0 offset:304
	buffer_load_dword v146, off, s[0:3], 0 offset:316
	buffer_load_dword v144, off, s[0:3], 0 offset:324
	buffer_load_dword v142, off, s[0:3], 0 offset:332
	s_waitcnt vmcnt(34)
	v_fma_f64 v[129:130], v[147:148], v[131:132], v[129:130]
	s_waitcnt vmcnt(32) lgkmcnt(0)
	v_fma_f64 v[129:130], v[149:150], v[133:134], v[129:130]
	s_waitcnt vmcnt(27)
	v_fma_f64 v[147:148], v[151:152], v[135:136], v[129:130]
	ds_read2_b64 v[129:132], v128 offset0:91 offset1:92
	ds_read2_b64 v[133:136], v128 offset0:93 offset1:94
	;; [unrolled: 19-line block ×7, first 2 shown]
	s_waitcnt vmcnt(26) lgkmcnt(1)
	v_fma_f64 v[129:130], v[165:166], v[129:130], v[149:150]
	s_clause 0x3
	buffer_load_dword v150, off, s[0:3], 0 offset:500
	buffer_load_dword v149, off, s[0:3], 0 offset:496
	buffer_load_dword v151, off, s[0:3], 0 offset:144
	buffer_load_dword v152, off, s[0:3], 0 offset:148
	s_waitcnt vmcnt(29)
	v_fma_f64 v[129:130], v[159:160], v[131:132], v[129:130]
	s_waitcnt vmcnt(28) lgkmcnt(0)
	v_fma_f64 v[129:130], v[155:156], v[133:134], v[129:130]
	s_waitcnt vmcnt(23)
	v_fma_f64 v[137:138], v[137:138], v[135:136], v[129:130]
	ds_read2_b64 v[129:132], v128 offset0:115 offset1:116
	ds_read2_b64 v[133:136], v128 offset0:117 offset1:118
	s_waitcnt vmcnt(22) lgkmcnt(1)
	v_fma_f64 v[129:130], v[171:172], v[129:130], v[137:138]
	s_waitcnt vmcnt(21)
	v_fma_f64 v[129:130], v[163:164], v[131:132], v[129:130]
	s_waitcnt vmcnt(20) lgkmcnt(0)
	v_fma_f64 v[129:130], v[161:162], v[133:134], v[129:130]
	s_waitcnt vmcnt(15)
	v_fma_f64 v[137:138], v[139:140], v[135:136], v[129:130]
	ds_read2_b64 v[129:132], v128 offset0:119 offset1:120
	ds_read2_b64 v[133:136], v128 offset0:121 offset1:122
	s_waitcnt vmcnt(14) lgkmcnt(1)
	v_fma_f64 v[129:130], v[169:170], v[129:130], v[137:138]
	;; [unrolled: 10-line block ×3, first 2 shown]
	s_waitcnt vmcnt(5)
	v_fma_f64 v[128:129], v[147:148], v[131:132], v[128:129]
	s_waitcnt vmcnt(4) lgkmcnt(0)
	v_fma_f64 v[128:129], v[143:144], v[133:134], v[128:129]
	s_waitcnt vmcnt(2)
	v_fma_f64 v[128:129], v[149:150], v[135:136], v[128:129]
	s_waitcnt vmcnt(0)
	v_add_f64 v[128:129], v[151:152], -v[128:129]
	buffer_store_dword v129, off, s[0:3], 0 offset:148
	buffer_store_dword v128, off, s[0:3], 0 offset:144
	v_cmpx_lt_u32_e32 17, v0
	s_cbranch_execz .LBB62_353
; %bb.352:
	s_clause 0x1
	buffer_load_dword v128, off, s[0:3], 0 offset:136
	buffer_load_dword v129, off, s[0:3], 0 offset:140
	v_mov_b32_e32 v130, 0
	buffer_store_dword v130, off, s[0:3], 0 offset:136
	buffer_store_dword v130, off, s[0:3], 0 offset:140
	s_waitcnt vmcnt(0)
	ds_write_b64 v127, v[128:129]
.LBB62_353:
	s_or_b32 exec_lo, exec_lo, s4
	s_waitcnt lgkmcnt(0)
	s_waitcnt_vscnt null, 0x0
	s_barrier
	buffer_gl0_inv
	s_clause 0x1c
	buffer_load_dword v137, off, s[0:3], 0 offset:144
	buffer_load_dword v138, off, s[0:3], 0 offset:148
	;; [unrolled: 1-line block ×29, first 2 shown]
	v_mov_b32_e32 v128, 0
	buffer_load_dword v162, off, s[0:3], 0 offset:260
	s_mov_b32 s4, exec_lo
	ds_read_b128 v[129:132], v128 offset:656
	ds_read_b128 v[133:136], v128 offset:672
	s_waitcnt vmcnt(28) lgkmcnt(1)
	v_fma_f64 v[129:130], v[137:138], v[129:130], 0
	s_clause 0x7
	buffer_load_dword v138, off, s[0:3], 0 offset:268
	buffer_load_dword v167, off, s[0:3], 0 offset:288
	buffer_load_dword v169, off, s[0:3], 0 offset:280
	buffer_load_dword v171, off, s[0:3], 0 offset:272
	buffer_load_dword v137, off, s[0:3], 0 offset:264
	buffer_load_dword v172, off, s[0:3], 0 offset:276
	buffer_load_dword v170, off, s[0:3], 0 offset:284
	buffer_load_dword v168, off, s[0:3], 0 offset:292
	s_waitcnt vmcnt(34)
	v_fma_f64 v[129:130], v[139:140], v[131:132], v[129:130]
	s_waitcnt vmcnt(32) lgkmcnt(0)
	v_fma_f64 v[129:130], v[141:142], v[133:134], v[129:130]
	s_waitcnt vmcnt(30)
	v_fma_f64 v[139:140], v[143:144], v[135:136], v[129:130]
	ds_read_b128 v[129:132], v128 offset:688
	ds_read_b128 v[133:136], v128 offset:704
	s_waitcnt vmcnt(28) lgkmcnt(1)
	v_fma_f64 v[129:130], v[145:146], v[129:130], v[139:140]
	s_clause 0x7
	buffer_load_dword v140, off, s[0:3], 0 offset:300
	buffer_load_dword v141, off, s[0:3], 0 offset:320
	buffer_load_dword v143, off, s[0:3], 0 offset:312
	buffer_load_dword v145, off, s[0:3], 0 offset:304
	buffer_load_dword v139, off, s[0:3], 0 offset:296
	buffer_load_dword v146, off, s[0:3], 0 offset:308
	buffer_load_dword v144, off, s[0:3], 0 offset:316
	buffer_load_dword v142, off, s[0:3], 0 offset:324
	s_waitcnt vmcnt(34)
	v_fma_f64 v[129:130], v[147:148], v[131:132], v[129:130]
	s_waitcnt vmcnt(32) lgkmcnt(0)
	v_fma_f64 v[129:130], v[149:150], v[133:134], v[129:130]
	s_waitcnt vmcnt(27)
	v_fma_f64 v[147:148], v[151:152], v[135:136], v[129:130]
	;; [unrolled: 19-line block ×7, first 2 shown]
	ds_read_b128 v[129:132], v128 offset:880
	ds_read_b128 v[133:136], v128 offset:896
	s_waitcnt vmcnt(26) lgkmcnt(1)
	v_fma_f64 v[129:130], v[165:166], v[129:130], v[149:150]
	s_clause 0x5
	buffer_load_dword v150, off, s[0:3], 0 offset:492
	buffer_load_dword v151, off, s[0:3], 0 offset:496
	;; [unrolled: 1-line block ×6, first 2 shown]
	s_waitcnt vmcnt(31)
	v_fma_f64 v[129:130], v[159:160], v[131:132], v[129:130]
	s_waitcnt vmcnt(30) lgkmcnt(0)
	v_fma_f64 v[129:130], v[155:156], v[133:134], v[129:130]
	s_waitcnt vmcnt(25)
	v_fma_f64 v[137:138], v[137:138], v[135:136], v[129:130]
	ds_read_b128 v[129:132], v128 offset:912
	ds_read_b128 v[133:136], v128 offset:928
	s_waitcnt vmcnt(24) lgkmcnt(1)
	v_fma_f64 v[129:130], v[171:172], v[129:130], v[137:138]
	s_waitcnt vmcnt(23)
	v_fma_f64 v[129:130], v[163:164], v[131:132], v[129:130]
	s_waitcnt vmcnt(22) lgkmcnt(0)
	v_fma_f64 v[129:130], v[161:162], v[133:134], v[129:130]
	s_waitcnt vmcnt(17)
	v_fma_f64 v[137:138], v[139:140], v[135:136], v[129:130]
	ds_read_b128 v[129:132], v128 offset:944
	ds_read_b128 v[133:136], v128 offset:960
	s_waitcnt vmcnt(16) lgkmcnt(1)
	v_fma_f64 v[129:130], v[169:170], v[129:130], v[137:138]
	;; [unrolled: 10-line block ×3, first 2 shown]
	s_waitcnt vmcnt(7)
	v_fma_f64 v[129:130], v[147:148], v[131:132], v[129:130]
	ds_read_b64 v[131:132], v128 offset:1008
	s_waitcnt vmcnt(6) lgkmcnt(1)
	v_fma_f64 v[129:130], v[143:144], v[133:134], v[129:130]
	s_waitcnt vmcnt(3)
	v_fma_f64 v[129:130], v[149:150], v[135:136], v[129:130]
	s_waitcnt vmcnt(2) lgkmcnt(0)
	v_fma_f64 v[129:130], v[151:152], v[131:132], v[129:130]
	s_waitcnt vmcnt(0)
	v_add_f64 v[129:130], v[153:154], -v[129:130]
	buffer_store_dword v130, off, s[0:3], 0 offset:140
	buffer_store_dword v129, off, s[0:3], 0 offset:136
	v_cmpx_lt_u32_e32 16, v0
	s_cbranch_execz .LBB62_355
; %bb.354:
	s_clause 0x1
	buffer_load_dword v129, off, s[0:3], 0 offset:128
	buffer_load_dword v130, off, s[0:3], 0 offset:132
	buffer_store_dword v128, off, s[0:3], 0 offset:128
	buffer_store_dword v128, off, s[0:3], 0 offset:132
	s_waitcnt vmcnt(0)
	ds_write_b64 v127, v[129:130]
.LBB62_355:
	s_or_b32 exec_lo, exec_lo, s4
	s_waitcnt lgkmcnt(0)
	s_waitcnt_vscnt null, 0x0
	s_barrier
	buffer_gl0_inv
	s_clause 0x1c
	buffer_load_dword v137, off, s[0:3], 0 offset:136
	buffer_load_dword v138, off, s[0:3], 0 offset:140
	;; [unrolled: 1-line block ×29, first 2 shown]
	ds_read2_b64 v[129:132], v128 offset0:81 offset1:82
	ds_read2_b64 v[133:136], v128 offset0:83 offset1:84
	buffer_load_dword v162, off, s[0:3], 0 offset:252
	s_mov_b32 s4, exec_lo
	s_waitcnt vmcnt(28) lgkmcnt(1)
	v_fma_f64 v[129:130], v[137:138], v[129:130], 0
	s_clause 0x7
	buffer_load_dword v138, off, s[0:3], 0 offset:260
	buffer_load_dword v167, off, s[0:3], 0 offset:280
	buffer_load_dword v169, off, s[0:3], 0 offset:272
	buffer_load_dword v171, off, s[0:3], 0 offset:264
	buffer_load_dword v137, off, s[0:3], 0 offset:256
	buffer_load_dword v172, off, s[0:3], 0 offset:268
	buffer_load_dword v170, off, s[0:3], 0 offset:276
	buffer_load_dword v168, off, s[0:3], 0 offset:284
	s_waitcnt vmcnt(34)
	v_fma_f64 v[129:130], v[139:140], v[131:132], v[129:130]
	s_waitcnt vmcnt(32) lgkmcnt(0)
	v_fma_f64 v[129:130], v[141:142], v[133:134], v[129:130]
	s_waitcnt vmcnt(30)
	v_fma_f64 v[139:140], v[143:144], v[135:136], v[129:130]
	ds_read2_b64 v[129:132], v128 offset0:85 offset1:86
	ds_read2_b64 v[133:136], v128 offset0:87 offset1:88
	s_waitcnt vmcnt(28) lgkmcnt(1)
	v_fma_f64 v[129:130], v[145:146], v[129:130], v[139:140]
	s_clause 0x7
	buffer_load_dword v140, off, s[0:3], 0 offset:292
	buffer_load_dword v141, off, s[0:3], 0 offset:312
	buffer_load_dword v143, off, s[0:3], 0 offset:304
	buffer_load_dword v145, off, s[0:3], 0 offset:296
	buffer_load_dword v139, off, s[0:3], 0 offset:288
	buffer_load_dword v146, off, s[0:3], 0 offset:300
	buffer_load_dword v144, off, s[0:3], 0 offset:308
	buffer_load_dword v142, off, s[0:3], 0 offset:316
	s_waitcnt vmcnt(34)
	v_fma_f64 v[129:130], v[147:148], v[131:132], v[129:130]
	s_waitcnt vmcnt(32) lgkmcnt(0)
	v_fma_f64 v[129:130], v[149:150], v[133:134], v[129:130]
	s_waitcnt vmcnt(27)
	v_fma_f64 v[147:148], v[151:152], v[135:136], v[129:130]
	ds_read2_b64 v[129:132], v128 offset0:89 offset1:90
	ds_read2_b64 v[133:136], v128 offset0:91 offset1:92
	;; [unrolled: 19-line block ×7, first 2 shown]
	s_waitcnt vmcnt(26) lgkmcnt(1)
	v_fma_f64 v[129:130], v[165:166], v[129:130], v[149:150]
	s_clause 0x5
	buffer_load_dword v150, off, s[0:3], 0 offset:484
	buffer_load_dword v151, off, s[0:3], 0 offset:496
	;; [unrolled: 1-line block ×6, first 2 shown]
	s_waitcnt vmcnt(31)
	v_fma_f64 v[129:130], v[159:160], v[131:132], v[129:130]
	s_waitcnt vmcnt(30) lgkmcnt(0)
	v_fma_f64 v[129:130], v[155:156], v[133:134], v[129:130]
	s_waitcnt vmcnt(25)
	v_fma_f64 v[137:138], v[137:138], v[135:136], v[129:130]
	ds_read2_b64 v[129:132], v128 offset0:113 offset1:114
	s_clause 0x1
	buffer_load_dword v155, off, s[0:3], 0 offset:128
	buffer_load_dword v156, off, s[0:3], 0 offset:132
	ds_read2_b64 v[133:136], v128 offset0:115 offset1:116
	s_waitcnt vmcnt(26) lgkmcnt(1)
	v_fma_f64 v[129:130], v[171:172], v[129:130], v[137:138]
	s_waitcnt vmcnt(25)
	v_fma_f64 v[129:130], v[163:164], v[131:132], v[129:130]
	s_waitcnt vmcnt(24) lgkmcnt(0)
	v_fma_f64 v[129:130], v[161:162], v[133:134], v[129:130]
	s_waitcnt vmcnt(19)
	v_fma_f64 v[137:138], v[139:140], v[135:136], v[129:130]
	ds_read2_b64 v[129:132], v128 offset0:117 offset1:118
	ds_read2_b64 v[133:136], v128 offset0:119 offset1:120
	s_waitcnt vmcnt(18) lgkmcnt(1)
	v_fma_f64 v[129:130], v[169:170], v[129:130], v[137:138]
	s_waitcnt vmcnt(17)
	v_fma_f64 v[129:130], v[167:168], v[131:132], v[129:130]
	s_waitcnt vmcnt(16) lgkmcnt(0)
	v_fma_f64 v[129:130], v[145:146], v[133:134], v[129:130]
	s_waitcnt vmcnt(11)
	v_fma_f64 v[137:138], v[141:142], v[135:136], v[129:130]
	ds_read2_b64 v[129:132], v128 offset0:121 offset1:122
	;; [unrolled: 10-line block ×3, first 2 shown]
	s_waitcnt vmcnt(3) lgkmcnt(0)
	v_fma_f64 v[128:129], v[153:154], v[128:129], v[132:133]
	s_waitcnt vmcnt(2)
	v_fma_f64 v[128:129], v[151:152], v[130:131], v[128:129]
	s_waitcnt vmcnt(0)
	v_add_f64 v[128:129], v[155:156], -v[128:129]
	buffer_store_dword v129, off, s[0:3], 0 offset:132
	buffer_store_dword v128, off, s[0:3], 0 offset:128
	v_cmpx_lt_u32_e32 15, v0
	s_cbranch_execz .LBB62_357
; %bb.356:
	s_clause 0x1
	buffer_load_dword v128, off, s[0:3], 0 offset:120
	buffer_load_dword v129, off, s[0:3], 0 offset:124
	v_mov_b32_e32 v130, 0
	buffer_store_dword v130, off, s[0:3], 0 offset:120
	buffer_store_dword v130, off, s[0:3], 0 offset:124
	s_waitcnt vmcnt(0)
	ds_write_b64 v127, v[128:129]
.LBB62_357:
	s_or_b32 exec_lo, exec_lo, s4
	s_waitcnt lgkmcnt(0)
	s_waitcnt_vscnt null, 0x0
	s_barrier
	buffer_gl0_inv
	s_clause 0x1c
	buffer_load_dword v137, off, s[0:3], 0 offset:128
	buffer_load_dword v138, off, s[0:3], 0 offset:132
	;; [unrolled: 1-line block ×29, first 2 shown]
	v_mov_b32_e32 v128, 0
	buffer_load_dword v162, off, s[0:3], 0 offset:244
	s_mov_b32 s4, exec_lo
	ds_read_b128 v[129:132], v128 offset:640
	ds_read_b128 v[133:136], v128 offset:656
	s_waitcnt vmcnt(28) lgkmcnt(1)
	v_fma_f64 v[129:130], v[137:138], v[129:130], 0
	s_clause 0x7
	buffer_load_dword v138, off, s[0:3], 0 offset:252
	buffer_load_dword v167, off, s[0:3], 0 offset:272
	buffer_load_dword v169, off, s[0:3], 0 offset:264
	buffer_load_dword v171, off, s[0:3], 0 offset:256
	buffer_load_dword v137, off, s[0:3], 0 offset:248
	buffer_load_dword v172, off, s[0:3], 0 offset:260
	buffer_load_dword v170, off, s[0:3], 0 offset:268
	buffer_load_dword v168, off, s[0:3], 0 offset:276
	s_waitcnt vmcnt(34)
	v_fma_f64 v[129:130], v[139:140], v[131:132], v[129:130]
	s_waitcnt vmcnt(32) lgkmcnt(0)
	v_fma_f64 v[129:130], v[141:142], v[133:134], v[129:130]
	s_waitcnt vmcnt(30)
	v_fma_f64 v[139:140], v[143:144], v[135:136], v[129:130]
	ds_read_b128 v[129:132], v128 offset:672
	ds_read_b128 v[133:136], v128 offset:688
	s_waitcnt vmcnt(28) lgkmcnt(1)
	v_fma_f64 v[129:130], v[145:146], v[129:130], v[139:140]
	s_clause 0x7
	buffer_load_dword v140, off, s[0:3], 0 offset:284
	buffer_load_dword v141, off, s[0:3], 0 offset:304
	buffer_load_dword v143, off, s[0:3], 0 offset:296
	buffer_load_dword v145, off, s[0:3], 0 offset:288
	buffer_load_dword v139, off, s[0:3], 0 offset:280
	buffer_load_dword v146, off, s[0:3], 0 offset:292
	buffer_load_dword v144, off, s[0:3], 0 offset:300
	buffer_load_dword v142, off, s[0:3], 0 offset:308
	s_waitcnt vmcnt(34)
	v_fma_f64 v[129:130], v[147:148], v[131:132], v[129:130]
	s_waitcnt vmcnt(32) lgkmcnt(0)
	v_fma_f64 v[129:130], v[149:150], v[133:134], v[129:130]
	s_waitcnt vmcnt(27)
	v_fma_f64 v[147:148], v[151:152], v[135:136], v[129:130]
	ds_read_b128 v[129:132], v128 offset:704
	ds_read_b128 v[133:136], v128 offset:720
	s_waitcnt vmcnt(26) lgkmcnt(1)
	v_fma_f64 v[129:130], v[157:158], v[129:130], v[147:148]
	s_clause 0x7
	buffer_load_dword v148, off, s[0:3], 0 offset:316
	buffer_load_dword v149, off, s[0:3], 0 offset:336
	buffer_load_dword v151, off, s[0:3], 0 offset:328
	buffer_load_dword v157, off, s[0:3], 0 offset:320
	buffer_load_dword v147, off, s[0:3], 0 offset:312
	buffer_load_dword v158, off, s[0:3], 0 offset:324
	buffer_load_dword v152, off, s[0:3], 0 offset:332
	buffer_load_dword v150, off, s[0:3], 0 offset:340
	s_waitcnt vmcnt(33)
	v_fma_f64 v[129:130], v[155:156], v[131:132], v[129:130]
	s_waitcnt vmcnt(32) lgkmcnt(0)
	v_fma_f64 v[129:130], v[153:154], v[133:134], v[129:130]
	s_waitcnt vmcnt(27)
	v_fma_f64 v[153:154], v[159:160], v[135:136], v[129:130]
	ds_read_b128 v[129:132], v128 offset:736
	ds_read_b128 v[133:136], v128 offset:752
	s_waitcnt vmcnt(26) lgkmcnt(1)
	v_fma_f64 v[129:130], v[165:166], v[129:130], v[153:154]
	s_clause 0x7
	buffer_load_dword v154, off, s[0:3], 0 offset:348
	buffer_load_dword v155, off, s[0:3], 0 offset:368
	buffer_load_dword v159, off, s[0:3], 0 offset:360
	buffer_load_dword v165, off, s[0:3], 0 offset:352
	buffer_load_dword v153, off, s[0:3], 0 offset:344
	buffer_load_dword v166, off, s[0:3], 0 offset:356
	buffer_load_dword v160, off, s[0:3], 0 offset:364
	buffer_load_dword v156, off, s[0:3], 0 offset:372
	s_waitcnt vmcnt(33)
	v_fma_f64 v[129:130], v[163:164], v[131:132], v[129:130]
	s_waitcnt vmcnt(32) lgkmcnt(0)
	v_fma_f64 v[129:130], v[161:162], v[133:134], v[129:130]
	s_waitcnt vmcnt(27)
	v_fma_f64 v[137:138], v[137:138], v[135:136], v[129:130]
	ds_read_b128 v[129:132], v128 offset:768
	ds_read_b128 v[133:136], v128 offset:784
	s_waitcnt vmcnt(26) lgkmcnt(1)
	v_fma_f64 v[129:130], v[171:172], v[129:130], v[137:138]
	s_clause 0x7
	buffer_load_dword v138, off, s[0:3], 0 offset:380
	buffer_load_dword v161, off, s[0:3], 0 offset:400
	buffer_load_dword v163, off, s[0:3], 0 offset:392
	buffer_load_dword v171, off, s[0:3], 0 offset:384
	buffer_load_dword v137, off, s[0:3], 0 offset:376
	buffer_load_dword v172, off, s[0:3], 0 offset:388
	buffer_load_dword v164, off, s[0:3], 0 offset:396
	buffer_load_dword v162, off, s[0:3], 0 offset:404
	s_waitcnt vmcnt(33)
	v_fma_f64 v[129:130], v[169:170], v[131:132], v[129:130]
	s_waitcnt vmcnt(32) lgkmcnt(0)
	v_fma_f64 v[129:130], v[167:168], v[133:134], v[129:130]
	s_waitcnt vmcnt(27)
	v_fma_f64 v[139:140], v[139:140], v[135:136], v[129:130]
	ds_read_b128 v[129:132], v128 offset:800
	ds_read_b128 v[133:136], v128 offset:816
	s_waitcnt vmcnt(26) lgkmcnt(1)
	v_fma_f64 v[129:130], v[145:146], v[129:130], v[139:140]
	s_clause 0x7
	buffer_load_dword v140, off, s[0:3], 0 offset:412
	buffer_load_dword v145, off, s[0:3], 0 offset:432
	buffer_load_dword v167, off, s[0:3], 0 offset:424
	buffer_load_dword v169, off, s[0:3], 0 offset:416
	buffer_load_dword v139, off, s[0:3], 0 offset:408
	buffer_load_dword v170, off, s[0:3], 0 offset:420
	buffer_load_dword v168, off, s[0:3], 0 offset:428
	buffer_load_dword v146, off, s[0:3], 0 offset:436
	s_waitcnt vmcnt(33)
	v_fma_f64 v[129:130], v[143:144], v[131:132], v[129:130]
	s_waitcnt vmcnt(32) lgkmcnt(0)
	v_fma_f64 v[129:130], v[141:142], v[133:134], v[129:130]
	s_waitcnt vmcnt(27)
	v_fma_f64 v[141:142], v[147:148], v[135:136], v[129:130]
	ds_read_b128 v[129:132], v128 offset:832
	ds_read_b128 v[133:136], v128 offset:848
	s_waitcnt vmcnt(26) lgkmcnt(1)
	v_fma_f64 v[129:130], v[157:158], v[129:130], v[141:142]
	s_clause 0x7
	buffer_load_dword v142, off, s[0:3], 0 offset:444
	buffer_load_dword v143, off, s[0:3], 0 offset:464
	buffer_load_dword v147, off, s[0:3], 0 offset:456
	buffer_load_dword v157, off, s[0:3], 0 offset:448
	buffer_load_dword v141, off, s[0:3], 0 offset:440
	buffer_load_dword v158, off, s[0:3], 0 offset:452
	buffer_load_dword v148, off, s[0:3], 0 offset:460
	buffer_load_dword v144, off, s[0:3], 0 offset:468
	s_waitcnt vmcnt(33)
	v_fma_f64 v[129:130], v[151:152], v[131:132], v[129:130]
	s_waitcnt vmcnt(32) lgkmcnt(0)
	v_fma_f64 v[129:130], v[149:150], v[133:134], v[129:130]
	s_waitcnt vmcnt(27)
	v_fma_f64 v[149:150], v[153:154], v[135:136], v[129:130]
	ds_read_b128 v[129:132], v128 offset:864
	ds_read_b128 v[133:136], v128 offset:880
	s_waitcnt vmcnt(26) lgkmcnt(1)
	v_fma_f64 v[129:130], v[165:166], v[129:130], v[149:150]
	s_clause 0x7
	buffer_load_dword v150, off, s[0:3], 0 offset:476
	buffer_load_dword v151, off, s[0:3], 0 offset:496
	buffer_load_dword v153, off, s[0:3], 0 offset:488
	buffer_load_dword v165, off, s[0:3], 0 offset:480
	buffer_load_dword v149, off, s[0:3], 0 offset:472
	buffer_load_dword v166, off, s[0:3], 0 offset:484
	buffer_load_dword v154, off, s[0:3], 0 offset:492
	buffer_load_dword v152, off, s[0:3], 0 offset:500
	s_waitcnt vmcnt(33)
	v_fma_f64 v[129:130], v[159:160], v[131:132], v[129:130]
	s_waitcnt vmcnt(32) lgkmcnt(0)
	v_fma_f64 v[129:130], v[155:156], v[133:134], v[129:130]
	s_waitcnt vmcnt(27)
	v_fma_f64 v[137:138], v[137:138], v[135:136], v[129:130]
	ds_read_b128 v[129:132], v128 offset:896
	ds_read_b128 v[133:136], v128 offset:912
	s_waitcnt vmcnt(26) lgkmcnt(1)
	v_fma_f64 v[129:130], v[171:172], v[129:130], v[137:138]
	s_clause 0x1
	buffer_load_dword v137, off, s[0:3], 0 offset:120
	buffer_load_dword v138, off, s[0:3], 0 offset:124
	s_waitcnt vmcnt(27)
	v_fma_f64 v[129:130], v[163:164], v[131:132], v[129:130]
	s_waitcnt vmcnt(26) lgkmcnt(0)
	v_fma_f64 v[129:130], v[161:162], v[133:134], v[129:130]
	s_waitcnt vmcnt(21)
	v_fma_f64 v[139:140], v[139:140], v[135:136], v[129:130]
	ds_read_b128 v[129:132], v128 offset:928
	ds_read_b128 v[133:136], v128 offset:944
	s_waitcnt vmcnt(20) lgkmcnt(1)
	v_fma_f64 v[129:130], v[169:170], v[129:130], v[139:140]
	s_waitcnt vmcnt(19)
	v_fma_f64 v[129:130], v[167:168], v[131:132], v[129:130]
	s_waitcnt vmcnt(18) lgkmcnt(0)
	v_fma_f64 v[129:130], v[145:146], v[133:134], v[129:130]
	s_waitcnt vmcnt(13)
	v_fma_f64 v[139:140], v[141:142], v[135:136], v[129:130]
	ds_read_b128 v[129:132], v128 offset:960
	ds_read_b128 v[133:136], v128 offset:976
	s_waitcnt vmcnt(12) lgkmcnt(1)
	v_fma_f64 v[129:130], v[157:158], v[129:130], v[139:140]
	s_waitcnt vmcnt(11)
	v_fma_f64 v[129:130], v[147:148], v[131:132], v[129:130]
	s_waitcnt vmcnt(10) lgkmcnt(0)
	v_fma_f64 v[129:130], v[143:144], v[133:134], v[129:130]
	s_waitcnt vmcnt(5)
	v_fma_f64 v[133:134], v[149:150], v[135:136], v[129:130]
	ds_read_b128 v[129:132], v128 offset:992
	ds_read_b64 v[135:136], v128 offset:1008
	s_waitcnt vmcnt(4) lgkmcnt(1)
	v_fma_f64 v[129:130], v[165:166], v[129:130], v[133:134]
	s_waitcnt vmcnt(3)
	v_fma_f64 v[129:130], v[153:154], v[131:132], v[129:130]
	s_waitcnt vmcnt(2) lgkmcnt(0)
	v_fma_f64 v[129:130], v[151:152], v[135:136], v[129:130]
	s_waitcnt vmcnt(0)
	v_add_f64 v[129:130], v[137:138], -v[129:130]
	buffer_store_dword v130, off, s[0:3], 0 offset:124
	buffer_store_dword v129, off, s[0:3], 0 offset:120
	v_cmpx_lt_u32_e32 14, v0
	s_cbranch_execz .LBB62_359
; %bb.358:
	s_clause 0x1
	buffer_load_dword v129, off, s[0:3], 0 offset:112
	buffer_load_dword v130, off, s[0:3], 0 offset:116
	buffer_store_dword v128, off, s[0:3], 0 offset:112
	buffer_store_dword v128, off, s[0:3], 0 offset:116
	s_waitcnt vmcnt(0)
	ds_write_b64 v127, v[129:130]
.LBB62_359:
	s_or_b32 exec_lo, exec_lo, s4
	s_waitcnt lgkmcnt(0)
	s_waitcnt_vscnt null, 0x0
	s_barrier
	buffer_gl0_inv
	s_clause 0x1c
	buffer_load_dword v137, off, s[0:3], 0 offset:120
	buffer_load_dword v138, off, s[0:3], 0 offset:124
	;; [unrolled: 1-line block ×29, first 2 shown]
	ds_read2_b64 v[129:132], v128 offset0:79 offset1:80
	ds_read2_b64 v[133:136], v128 offset0:81 offset1:82
	buffer_load_dword v162, off, s[0:3], 0 offset:236
	s_mov_b32 s4, exec_lo
	s_waitcnt vmcnt(28) lgkmcnt(1)
	v_fma_f64 v[129:130], v[137:138], v[129:130], 0
	s_clause 0x7
	buffer_load_dword v138, off, s[0:3], 0 offset:244
	buffer_load_dword v167, off, s[0:3], 0 offset:264
	buffer_load_dword v169, off, s[0:3], 0 offset:256
	buffer_load_dword v171, off, s[0:3], 0 offset:248
	buffer_load_dword v137, off, s[0:3], 0 offset:240
	buffer_load_dword v172, off, s[0:3], 0 offset:252
	buffer_load_dword v170, off, s[0:3], 0 offset:260
	buffer_load_dword v168, off, s[0:3], 0 offset:268
	s_waitcnt vmcnt(34)
	v_fma_f64 v[129:130], v[139:140], v[131:132], v[129:130]
	s_waitcnt vmcnt(32) lgkmcnt(0)
	v_fma_f64 v[129:130], v[141:142], v[133:134], v[129:130]
	s_waitcnt vmcnt(30)
	v_fma_f64 v[139:140], v[143:144], v[135:136], v[129:130]
	ds_read2_b64 v[129:132], v128 offset0:83 offset1:84
	ds_read2_b64 v[133:136], v128 offset0:85 offset1:86
	s_waitcnt vmcnt(28) lgkmcnt(1)
	v_fma_f64 v[129:130], v[145:146], v[129:130], v[139:140]
	s_clause 0x7
	buffer_load_dword v140, off, s[0:3], 0 offset:276
	buffer_load_dword v141, off, s[0:3], 0 offset:296
	buffer_load_dword v143, off, s[0:3], 0 offset:288
	buffer_load_dword v145, off, s[0:3], 0 offset:280
	buffer_load_dword v139, off, s[0:3], 0 offset:272
	buffer_load_dword v146, off, s[0:3], 0 offset:284
	buffer_load_dword v144, off, s[0:3], 0 offset:292
	buffer_load_dword v142, off, s[0:3], 0 offset:300
	s_waitcnt vmcnt(34)
	v_fma_f64 v[129:130], v[147:148], v[131:132], v[129:130]
	s_waitcnt vmcnt(32) lgkmcnt(0)
	v_fma_f64 v[129:130], v[149:150], v[133:134], v[129:130]
	s_waitcnt vmcnt(27)
	v_fma_f64 v[147:148], v[151:152], v[135:136], v[129:130]
	ds_read2_b64 v[129:132], v128 offset0:87 offset1:88
	ds_read2_b64 v[133:136], v128 offset0:89 offset1:90
	;; [unrolled: 19-line block ×8, first 2 shown]
	s_waitcnt vmcnt(26) lgkmcnt(1)
	v_fma_f64 v[129:130], v[171:172], v[129:130], v[137:138]
	s_clause 0x3
	buffer_load_dword v138, off, s[0:3], 0 offset:500
	buffer_load_dword v137, off, s[0:3], 0 offset:496
	;; [unrolled: 1-line block ×4, first 2 shown]
	s_waitcnt vmcnt(29)
	v_fma_f64 v[129:130], v[163:164], v[131:132], v[129:130]
	s_waitcnt vmcnt(28) lgkmcnt(0)
	v_fma_f64 v[129:130], v[161:162], v[133:134], v[129:130]
	s_waitcnt vmcnt(23)
	v_fma_f64 v[139:140], v[139:140], v[135:136], v[129:130]
	ds_read2_b64 v[129:132], v128 offset0:115 offset1:116
	ds_read2_b64 v[133:136], v128 offset0:117 offset1:118
	s_waitcnt vmcnt(22) lgkmcnt(1)
	v_fma_f64 v[129:130], v[169:170], v[129:130], v[139:140]
	s_waitcnt vmcnt(21)
	v_fma_f64 v[129:130], v[167:168], v[131:132], v[129:130]
	s_waitcnt vmcnt(20) lgkmcnt(0)
	v_fma_f64 v[129:130], v[145:146], v[133:134], v[129:130]
	s_waitcnt vmcnt(15)
	v_fma_f64 v[139:140], v[141:142], v[135:136], v[129:130]
	ds_read2_b64 v[129:132], v128 offset0:119 offset1:120
	ds_read2_b64 v[133:136], v128 offset0:121 offset1:122
	s_waitcnt vmcnt(14) lgkmcnt(1)
	v_fma_f64 v[129:130], v[157:158], v[129:130], v[139:140]
	;; [unrolled: 10-line block ×3, first 2 shown]
	s_waitcnt vmcnt(5)
	v_fma_f64 v[128:129], v[153:154], v[131:132], v[128:129]
	s_waitcnt vmcnt(4) lgkmcnt(0)
	v_fma_f64 v[128:129], v[151:152], v[133:134], v[128:129]
	s_waitcnt vmcnt(2)
	v_fma_f64 v[128:129], v[137:138], v[135:136], v[128:129]
	s_waitcnt vmcnt(0)
	v_add_f64 v[128:129], v[155:156], -v[128:129]
	buffer_store_dword v129, off, s[0:3], 0 offset:116
	buffer_store_dword v128, off, s[0:3], 0 offset:112
	v_cmpx_lt_u32_e32 13, v0
	s_cbranch_execz .LBB62_361
; %bb.360:
	s_clause 0x1
	buffer_load_dword v128, off, s[0:3], 0 offset:104
	buffer_load_dword v129, off, s[0:3], 0 offset:108
	v_mov_b32_e32 v130, 0
	buffer_store_dword v130, off, s[0:3], 0 offset:104
	buffer_store_dword v130, off, s[0:3], 0 offset:108
	s_waitcnt vmcnt(0)
	ds_write_b64 v127, v[128:129]
.LBB62_361:
	s_or_b32 exec_lo, exec_lo, s4
	s_waitcnt lgkmcnt(0)
	s_waitcnt_vscnt null, 0x0
	s_barrier
	buffer_gl0_inv
	s_clause 0x1c
	buffer_load_dword v137, off, s[0:3], 0 offset:112
	buffer_load_dword v138, off, s[0:3], 0 offset:116
	;; [unrolled: 1-line block ×29, first 2 shown]
	v_mov_b32_e32 v128, 0
	buffer_load_dword v162, off, s[0:3], 0 offset:228
	s_mov_b32 s4, exec_lo
	ds_read_b128 v[129:132], v128 offset:624
	ds_read_b128 v[133:136], v128 offset:640
	s_waitcnt vmcnt(28) lgkmcnt(1)
	v_fma_f64 v[129:130], v[137:138], v[129:130], 0
	s_clause 0x7
	buffer_load_dword v138, off, s[0:3], 0 offset:236
	buffer_load_dword v167, off, s[0:3], 0 offset:256
	buffer_load_dword v169, off, s[0:3], 0 offset:248
	buffer_load_dword v171, off, s[0:3], 0 offset:240
	buffer_load_dword v137, off, s[0:3], 0 offset:232
	buffer_load_dword v172, off, s[0:3], 0 offset:244
	buffer_load_dword v170, off, s[0:3], 0 offset:252
	buffer_load_dword v168, off, s[0:3], 0 offset:260
	s_waitcnt vmcnt(34)
	v_fma_f64 v[129:130], v[139:140], v[131:132], v[129:130]
	s_waitcnt vmcnt(32) lgkmcnt(0)
	v_fma_f64 v[129:130], v[141:142], v[133:134], v[129:130]
	s_waitcnt vmcnt(30)
	v_fma_f64 v[139:140], v[143:144], v[135:136], v[129:130]
	ds_read_b128 v[129:132], v128 offset:656
	ds_read_b128 v[133:136], v128 offset:672
	s_waitcnt vmcnt(28) lgkmcnt(1)
	v_fma_f64 v[129:130], v[145:146], v[129:130], v[139:140]
	s_clause 0x7
	buffer_load_dword v140, off, s[0:3], 0 offset:268
	buffer_load_dword v141, off, s[0:3], 0 offset:288
	buffer_load_dword v143, off, s[0:3], 0 offset:280
	buffer_load_dword v145, off, s[0:3], 0 offset:272
	buffer_load_dword v139, off, s[0:3], 0 offset:264
	buffer_load_dword v146, off, s[0:3], 0 offset:276
	buffer_load_dword v144, off, s[0:3], 0 offset:284
	buffer_load_dword v142, off, s[0:3], 0 offset:292
	s_waitcnt vmcnt(34)
	v_fma_f64 v[129:130], v[147:148], v[131:132], v[129:130]
	s_waitcnt vmcnt(32) lgkmcnt(0)
	v_fma_f64 v[129:130], v[149:150], v[133:134], v[129:130]
	s_waitcnt vmcnt(27)
	v_fma_f64 v[147:148], v[151:152], v[135:136], v[129:130]
	;; [unrolled: 19-line block ×8, first 2 shown]
	ds_read_b128 v[129:132], v128 offset:880
	ds_read_b128 v[133:136], v128 offset:896
	s_waitcnt vmcnt(26) lgkmcnt(1)
	v_fma_f64 v[129:130], v[171:172], v[129:130], v[137:138]
	s_clause 0x5
	buffer_load_dword v138, off, s[0:3], 0 offset:492
	buffer_load_dword v155, off, s[0:3], 0 offset:496
	;; [unrolled: 1-line block ×6, first 2 shown]
	s_waitcnt vmcnt(31)
	v_fma_f64 v[129:130], v[163:164], v[131:132], v[129:130]
	s_waitcnt vmcnt(30) lgkmcnt(0)
	v_fma_f64 v[129:130], v[161:162], v[133:134], v[129:130]
	s_waitcnt vmcnt(25)
	v_fma_f64 v[139:140], v[139:140], v[135:136], v[129:130]
	ds_read_b128 v[129:132], v128 offset:912
	ds_read_b128 v[133:136], v128 offset:928
	s_waitcnt vmcnt(24) lgkmcnt(1)
	v_fma_f64 v[129:130], v[169:170], v[129:130], v[139:140]
	s_waitcnt vmcnt(23)
	v_fma_f64 v[129:130], v[167:168], v[131:132], v[129:130]
	s_waitcnt vmcnt(22) lgkmcnt(0)
	v_fma_f64 v[129:130], v[145:146], v[133:134], v[129:130]
	s_waitcnt vmcnt(17)
	v_fma_f64 v[139:140], v[141:142], v[135:136], v[129:130]
	ds_read_b128 v[129:132], v128 offset:944
	ds_read_b128 v[133:136], v128 offset:960
	s_waitcnt vmcnt(16) lgkmcnt(1)
	v_fma_f64 v[129:130], v[157:158], v[129:130], v[139:140]
	;; [unrolled: 10-line block ×3, first 2 shown]
	s_waitcnt vmcnt(7)
	v_fma_f64 v[129:130], v[153:154], v[131:132], v[129:130]
	ds_read_b64 v[131:132], v128 offset:1008
	s_waitcnt vmcnt(6) lgkmcnt(1)
	v_fma_f64 v[129:130], v[151:152], v[133:134], v[129:130]
	s_waitcnt vmcnt(3)
	v_fma_f64 v[129:130], v[137:138], v[135:136], v[129:130]
	s_waitcnt vmcnt(2) lgkmcnt(0)
	v_fma_f64 v[129:130], v[155:156], v[131:132], v[129:130]
	s_waitcnt vmcnt(0)
	v_add_f64 v[129:130], v[159:160], -v[129:130]
	buffer_store_dword v130, off, s[0:3], 0 offset:108
	buffer_store_dword v129, off, s[0:3], 0 offset:104
	v_cmpx_lt_u32_e32 12, v0
	s_cbranch_execz .LBB62_363
; %bb.362:
	s_clause 0x1
	buffer_load_dword v129, off, s[0:3], 0 offset:96
	buffer_load_dword v130, off, s[0:3], 0 offset:100
	buffer_store_dword v128, off, s[0:3], 0 offset:96
	buffer_store_dword v128, off, s[0:3], 0 offset:100
	s_waitcnt vmcnt(0)
	ds_write_b64 v127, v[129:130]
.LBB62_363:
	s_or_b32 exec_lo, exec_lo, s4
	s_waitcnt lgkmcnt(0)
	s_waitcnt_vscnt null, 0x0
	s_barrier
	buffer_gl0_inv
	s_clause 0x1c
	buffer_load_dword v137, off, s[0:3], 0 offset:104
	buffer_load_dword v138, off, s[0:3], 0 offset:108
	;; [unrolled: 1-line block ×29, first 2 shown]
	ds_read2_b64 v[129:132], v128 offset0:77 offset1:78
	ds_read2_b64 v[133:136], v128 offset0:79 offset1:80
	buffer_load_dword v162, off, s[0:3], 0 offset:220
	s_mov_b32 s4, exec_lo
	s_waitcnt vmcnt(28) lgkmcnt(1)
	v_fma_f64 v[129:130], v[137:138], v[129:130], 0
	s_clause 0x7
	buffer_load_dword v138, off, s[0:3], 0 offset:228
	buffer_load_dword v167, off, s[0:3], 0 offset:248
	buffer_load_dword v169, off, s[0:3], 0 offset:240
	buffer_load_dword v171, off, s[0:3], 0 offset:232
	buffer_load_dword v137, off, s[0:3], 0 offset:224
	buffer_load_dword v172, off, s[0:3], 0 offset:236
	buffer_load_dword v170, off, s[0:3], 0 offset:244
	buffer_load_dword v168, off, s[0:3], 0 offset:252
	s_waitcnt vmcnt(34)
	v_fma_f64 v[129:130], v[139:140], v[131:132], v[129:130]
	s_waitcnt vmcnt(32) lgkmcnt(0)
	v_fma_f64 v[129:130], v[141:142], v[133:134], v[129:130]
	s_waitcnt vmcnt(30)
	v_fma_f64 v[139:140], v[143:144], v[135:136], v[129:130]
	ds_read2_b64 v[129:132], v128 offset0:81 offset1:82
	ds_read2_b64 v[133:136], v128 offset0:83 offset1:84
	s_waitcnt vmcnt(28) lgkmcnt(1)
	v_fma_f64 v[129:130], v[145:146], v[129:130], v[139:140]
	s_clause 0x7
	buffer_load_dword v140, off, s[0:3], 0 offset:260
	buffer_load_dword v141, off, s[0:3], 0 offset:280
	buffer_load_dword v143, off, s[0:3], 0 offset:272
	buffer_load_dword v145, off, s[0:3], 0 offset:264
	buffer_load_dword v139, off, s[0:3], 0 offset:256
	buffer_load_dword v146, off, s[0:3], 0 offset:268
	buffer_load_dword v144, off, s[0:3], 0 offset:276
	buffer_load_dword v142, off, s[0:3], 0 offset:284
	s_waitcnt vmcnt(34)
	v_fma_f64 v[129:130], v[147:148], v[131:132], v[129:130]
	s_waitcnt vmcnt(32) lgkmcnt(0)
	v_fma_f64 v[129:130], v[149:150], v[133:134], v[129:130]
	s_waitcnt vmcnt(27)
	v_fma_f64 v[147:148], v[151:152], v[135:136], v[129:130]
	ds_read2_b64 v[129:132], v128 offset0:85 offset1:86
	ds_read2_b64 v[133:136], v128 offset0:87 offset1:88
	;; [unrolled: 19-line block ×8, first 2 shown]
	s_waitcnt vmcnt(26) lgkmcnt(1)
	v_fma_f64 v[129:130], v[171:172], v[129:130], v[137:138]
	s_clause 0x5
	buffer_load_dword v138, off, s[0:3], 0 offset:484
	buffer_load_dword v155, off, s[0:3], 0 offset:496
	;; [unrolled: 1-line block ×6, first 2 shown]
	s_waitcnt vmcnt(31)
	v_fma_f64 v[129:130], v[163:164], v[131:132], v[129:130]
	s_waitcnt vmcnt(30) lgkmcnt(0)
	v_fma_f64 v[129:130], v[161:162], v[133:134], v[129:130]
	s_waitcnt vmcnt(25)
	v_fma_f64 v[139:140], v[139:140], v[135:136], v[129:130]
	ds_read2_b64 v[129:132], v128 offset0:113 offset1:114
	s_clause 0x1
	buffer_load_dword v161, off, s[0:3], 0 offset:96
	buffer_load_dword v162, off, s[0:3], 0 offset:100
	ds_read2_b64 v[133:136], v128 offset0:115 offset1:116
	s_waitcnt vmcnt(26) lgkmcnt(1)
	v_fma_f64 v[129:130], v[169:170], v[129:130], v[139:140]
	s_waitcnt vmcnt(25)
	v_fma_f64 v[129:130], v[167:168], v[131:132], v[129:130]
	s_waitcnt vmcnt(24) lgkmcnt(0)
	v_fma_f64 v[129:130], v[145:146], v[133:134], v[129:130]
	s_waitcnt vmcnt(19)
	v_fma_f64 v[139:140], v[141:142], v[135:136], v[129:130]
	ds_read2_b64 v[129:132], v128 offset0:117 offset1:118
	ds_read2_b64 v[133:136], v128 offset0:119 offset1:120
	s_waitcnt vmcnt(18) lgkmcnt(1)
	v_fma_f64 v[129:130], v[157:158], v[129:130], v[139:140]
	s_waitcnt vmcnt(17)
	v_fma_f64 v[129:130], v[147:148], v[131:132], v[129:130]
	s_waitcnt vmcnt(16) lgkmcnt(0)
	v_fma_f64 v[129:130], v[143:144], v[133:134], v[129:130]
	s_waitcnt vmcnt(11)
	v_fma_f64 v[139:140], v[149:150], v[135:136], v[129:130]
	ds_read2_b64 v[129:132], v128 offset0:121 offset1:122
	;; [unrolled: 10-line block ×3, first 2 shown]
	s_waitcnt vmcnt(3) lgkmcnt(0)
	v_fma_f64 v[128:129], v[159:160], v[128:129], v[132:133]
	s_waitcnt vmcnt(2)
	v_fma_f64 v[128:129], v[155:156], v[130:131], v[128:129]
	s_waitcnt vmcnt(0)
	v_add_f64 v[128:129], v[161:162], -v[128:129]
	buffer_store_dword v129, off, s[0:3], 0 offset:100
	buffer_store_dword v128, off, s[0:3], 0 offset:96
	v_cmpx_lt_u32_e32 11, v0
	s_cbranch_execz .LBB62_365
; %bb.364:
	s_clause 0x1
	buffer_load_dword v128, off, s[0:3], 0 offset:88
	buffer_load_dword v129, off, s[0:3], 0 offset:92
	v_mov_b32_e32 v130, 0
	buffer_store_dword v130, off, s[0:3], 0 offset:88
	buffer_store_dword v130, off, s[0:3], 0 offset:92
	s_waitcnt vmcnt(0)
	ds_write_b64 v127, v[128:129]
.LBB62_365:
	s_or_b32 exec_lo, exec_lo, s4
	s_waitcnt lgkmcnt(0)
	s_waitcnt_vscnt null, 0x0
	s_barrier
	buffer_gl0_inv
	s_clause 0x1c
	buffer_load_dword v137, off, s[0:3], 0 offset:96
	buffer_load_dword v138, off, s[0:3], 0 offset:100
	;; [unrolled: 1-line block ×29, first 2 shown]
	v_mov_b32_e32 v128, 0
	buffer_load_dword v162, off, s[0:3], 0 offset:212
	s_mov_b32 s4, exec_lo
	ds_read_b128 v[129:132], v128 offset:608
	ds_read_b128 v[133:136], v128 offset:624
	s_waitcnt vmcnt(28) lgkmcnt(1)
	v_fma_f64 v[129:130], v[137:138], v[129:130], 0
	s_clause 0x7
	buffer_load_dword v138, off, s[0:3], 0 offset:220
	buffer_load_dword v167, off, s[0:3], 0 offset:240
	buffer_load_dword v169, off, s[0:3], 0 offset:232
	buffer_load_dword v171, off, s[0:3], 0 offset:224
	buffer_load_dword v137, off, s[0:3], 0 offset:216
	buffer_load_dword v172, off, s[0:3], 0 offset:228
	buffer_load_dword v170, off, s[0:3], 0 offset:236
	buffer_load_dword v168, off, s[0:3], 0 offset:244
	s_waitcnt vmcnt(34)
	v_fma_f64 v[129:130], v[139:140], v[131:132], v[129:130]
	s_waitcnt vmcnt(32) lgkmcnt(0)
	v_fma_f64 v[129:130], v[141:142], v[133:134], v[129:130]
	s_waitcnt vmcnt(30)
	v_fma_f64 v[139:140], v[143:144], v[135:136], v[129:130]
	ds_read_b128 v[129:132], v128 offset:640
	ds_read_b128 v[133:136], v128 offset:656
	s_waitcnt vmcnt(28) lgkmcnt(1)
	v_fma_f64 v[129:130], v[145:146], v[129:130], v[139:140]
	s_clause 0x7
	buffer_load_dword v140, off, s[0:3], 0 offset:252
	buffer_load_dword v141, off, s[0:3], 0 offset:272
	buffer_load_dword v143, off, s[0:3], 0 offset:264
	buffer_load_dword v145, off, s[0:3], 0 offset:256
	buffer_load_dword v139, off, s[0:3], 0 offset:248
	buffer_load_dword v146, off, s[0:3], 0 offset:260
	buffer_load_dword v144, off, s[0:3], 0 offset:268
	buffer_load_dword v142, off, s[0:3], 0 offset:276
	s_waitcnt vmcnt(34)
	v_fma_f64 v[129:130], v[147:148], v[131:132], v[129:130]
	s_waitcnt vmcnt(32) lgkmcnt(0)
	v_fma_f64 v[129:130], v[149:150], v[133:134], v[129:130]
	s_waitcnt vmcnt(27)
	v_fma_f64 v[147:148], v[151:152], v[135:136], v[129:130]
	ds_read_b128 v[129:132], v128 offset:672
	ds_read_b128 v[133:136], v128 offset:688
	s_waitcnt vmcnt(26) lgkmcnt(1)
	v_fma_f64 v[129:130], v[157:158], v[129:130], v[147:148]
	s_clause 0x7
	buffer_load_dword v148, off, s[0:3], 0 offset:284
	buffer_load_dword v149, off, s[0:3], 0 offset:304
	buffer_load_dword v151, off, s[0:3], 0 offset:296
	buffer_load_dword v157, off, s[0:3], 0 offset:288
	buffer_load_dword v147, off, s[0:3], 0 offset:280
	buffer_load_dword v158, off, s[0:3], 0 offset:292
	buffer_load_dword v152, off, s[0:3], 0 offset:300
	buffer_load_dword v150, off, s[0:3], 0 offset:308
	s_waitcnt vmcnt(33)
	v_fma_f64 v[129:130], v[155:156], v[131:132], v[129:130]
	s_waitcnt vmcnt(32) lgkmcnt(0)
	v_fma_f64 v[129:130], v[153:154], v[133:134], v[129:130]
	s_waitcnt vmcnt(27)
	v_fma_f64 v[153:154], v[159:160], v[135:136], v[129:130]
	ds_read_b128 v[129:132], v128 offset:704
	ds_read_b128 v[133:136], v128 offset:720
	s_waitcnt vmcnt(26) lgkmcnt(1)
	v_fma_f64 v[129:130], v[165:166], v[129:130], v[153:154]
	s_clause 0x7
	buffer_load_dword v154, off, s[0:3], 0 offset:316
	buffer_load_dword v155, off, s[0:3], 0 offset:336
	buffer_load_dword v159, off, s[0:3], 0 offset:328
	buffer_load_dword v165, off, s[0:3], 0 offset:320
	buffer_load_dword v153, off, s[0:3], 0 offset:312
	buffer_load_dword v166, off, s[0:3], 0 offset:324
	buffer_load_dword v160, off, s[0:3], 0 offset:332
	buffer_load_dword v156, off, s[0:3], 0 offset:340
	s_waitcnt vmcnt(33)
	v_fma_f64 v[129:130], v[163:164], v[131:132], v[129:130]
	s_waitcnt vmcnt(32) lgkmcnt(0)
	v_fma_f64 v[129:130], v[161:162], v[133:134], v[129:130]
	s_waitcnt vmcnt(27)
	v_fma_f64 v[137:138], v[137:138], v[135:136], v[129:130]
	ds_read_b128 v[129:132], v128 offset:736
	ds_read_b128 v[133:136], v128 offset:752
	s_waitcnt vmcnt(26) lgkmcnt(1)
	v_fma_f64 v[129:130], v[171:172], v[129:130], v[137:138]
	s_clause 0x7
	buffer_load_dword v138, off, s[0:3], 0 offset:348
	buffer_load_dword v161, off, s[0:3], 0 offset:368
	buffer_load_dword v163, off, s[0:3], 0 offset:360
	buffer_load_dword v171, off, s[0:3], 0 offset:352
	buffer_load_dword v137, off, s[0:3], 0 offset:344
	buffer_load_dword v172, off, s[0:3], 0 offset:356
	buffer_load_dword v164, off, s[0:3], 0 offset:364
	buffer_load_dword v162, off, s[0:3], 0 offset:372
	s_waitcnt vmcnt(33)
	v_fma_f64 v[129:130], v[169:170], v[131:132], v[129:130]
	s_waitcnt vmcnt(32) lgkmcnt(0)
	v_fma_f64 v[129:130], v[167:168], v[133:134], v[129:130]
	s_waitcnt vmcnt(27)
	v_fma_f64 v[139:140], v[139:140], v[135:136], v[129:130]
	ds_read_b128 v[129:132], v128 offset:768
	ds_read_b128 v[133:136], v128 offset:784
	s_waitcnt vmcnt(26) lgkmcnt(1)
	v_fma_f64 v[129:130], v[145:146], v[129:130], v[139:140]
	s_clause 0x7
	buffer_load_dword v140, off, s[0:3], 0 offset:380
	buffer_load_dword v145, off, s[0:3], 0 offset:400
	buffer_load_dword v167, off, s[0:3], 0 offset:392
	buffer_load_dword v169, off, s[0:3], 0 offset:384
	buffer_load_dword v139, off, s[0:3], 0 offset:376
	buffer_load_dword v170, off, s[0:3], 0 offset:388
	buffer_load_dword v168, off, s[0:3], 0 offset:396
	buffer_load_dword v146, off, s[0:3], 0 offset:404
	s_waitcnt vmcnt(33)
	v_fma_f64 v[129:130], v[143:144], v[131:132], v[129:130]
	s_waitcnt vmcnt(32) lgkmcnt(0)
	v_fma_f64 v[129:130], v[141:142], v[133:134], v[129:130]
	s_waitcnt vmcnt(27)
	v_fma_f64 v[141:142], v[147:148], v[135:136], v[129:130]
	ds_read_b128 v[129:132], v128 offset:800
	ds_read_b128 v[133:136], v128 offset:816
	s_waitcnt vmcnt(26) lgkmcnt(1)
	v_fma_f64 v[129:130], v[157:158], v[129:130], v[141:142]
	s_clause 0x7
	buffer_load_dword v142, off, s[0:3], 0 offset:412
	buffer_load_dword v143, off, s[0:3], 0 offset:432
	buffer_load_dword v147, off, s[0:3], 0 offset:424
	buffer_load_dword v157, off, s[0:3], 0 offset:416
	buffer_load_dword v141, off, s[0:3], 0 offset:408
	buffer_load_dword v158, off, s[0:3], 0 offset:420
	buffer_load_dword v148, off, s[0:3], 0 offset:428
	buffer_load_dword v144, off, s[0:3], 0 offset:436
	s_waitcnt vmcnt(33)
	v_fma_f64 v[129:130], v[151:152], v[131:132], v[129:130]
	s_waitcnt vmcnt(32) lgkmcnt(0)
	v_fma_f64 v[129:130], v[149:150], v[133:134], v[129:130]
	s_waitcnt vmcnt(27)
	v_fma_f64 v[149:150], v[153:154], v[135:136], v[129:130]
	ds_read_b128 v[129:132], v128 offset:832
	ds_read_b128 v[133:136], v128 offset:848
	s_waitcnt vmcnt(26) lgkmcnt(1)
	v_fma_f64 v[129:130], v[165:166], v[129:130], v[149:150]
	s_clause 0x7
	buffer_load_dword v150, off, s[0:3], 0 offset:444
	buffer_load_dword v151, off, s[0:3], 0 offset:464
	buffer_load_dword v153, off, s[0:3], 0 offset:456
	buffer_load_dword v165, off, s[0:3], 0 offset:448
	buffer_load_dword v149, off, s[0:3], 0 offset:440
	buffer_load_dword v166, off, s[0:3], 0 offset:452
	buffer_load_dword v154, off, s[0:3], 0 offset:460
	buffer_load_dword v152, off, s[0:3], 0 offset:468
	s_waitcnt vmcnt(33)
	v_fma_f64 v[129:130], v[159:160], v[131:132], v[129:130]
	s_waitcnt vmcnt(32) lgkmcnt(0)
	v_fma_f64 v[129:130], v[155:156], v[133:134], v[129:130]
	s_waitcnt vmcnt(27)
	v_fma_f64 v[137:138], v[137:138], v[135:136], v[129:130]
	ds_read_b128 v[129:132], v128 offset:864
	ds_read_b128 v[133:136], v128 offset:880
	s_waitcnt vmcnt(26) lgkmcnt(1)
	v_fma_f64 v[129:130], v[171:172], v[129:130], v[137:138]
	s_clause 0x7
	buffer_load_dword v138, off, s[0:3], 0 offset:476
	buffer_load_dword v155, off, s[0:3], 0 offset:496
	buffer_load_dword v159, off, s[0:3], 0 offset:488
	buffer_load_dword v171, off, s[0:3], 0 offset:480
	buffer_load_dword v137, off, s[0:3], 0 offset:472
	buffer_load_dword v172, off, s[0:3], 0 offset:484
	buffer_load_dword v160, off, s[0:3], 0 offset:492
	buffer_load_dword v156, off, s[0:3], 0 offset:500
	s_waitcnt vmcnt(33)
	v_fma_f64 v[129:130], v[163:164], v[131:132], v[129:130]
	s_waitcnt vmcnt(32) lgkmcnt(0)
	v_fma_f64 v[129:130], v[161:162], v[133:134], v[129:130]
	s_waitcnt vmcnt(27)
	v_fma_f64 v[139:140], v[139:140], v[135:136], v[129:130]
	ds_read_b128 v[129:132], v128 offset:896
	ds_read_b128 v[133:136], v128 offset:912
	s_waitcnt vmcnt(26) lgkmcnt(1)
	v_fma_f64 v[129:130], v[169:170], v[129:130], v[139:140]
	s_clause 0x1
	buffer_load_dword v139, off, s[0:3], 0 offset:88
	buffer_load_dword v140, off, s[0:3], 0 offset:92
	s_waitcnt vmcnt(27)
	v_fma_f64 v[129:130], v[167:168], v[131:132], v[129:130]
	s_waitcnt vmcnt(26) lgkmcnt(0)
	v_fma_f64 v[129:130], v[145:146], v[133:134], v[129:130]
	s_waitcnt vmcnt(21)
	v_fma_f64 v[141:142], v[141:142], v[135:136], v[129:130]
	ds_read_b128 v[129:132], v128 offset:928
	ds_read_b128 v[133:136], v128 offset:944
	s_waitcnt vmcnt(20) lgkmcnt(1)
	v_fma_f64 v[129:130], v[157:158], v[129:130], v[141:142]
	s_waitcnt vmcnt(19)
	v_fma_f64 v[129:130], v[147:148], v[131:132], v[129:130]
	s_waitcnt vmcnt(18) lgkmcnt(0)
	v_fma_f64 v[129:130], v[143:144], v[133:134], v[129:130]
	s_waitcnt vmcnt(13)
	v_fma_f64 v[141:142], v[149:150], v[135:136], v[129:130]
	ds_read_b128 v[129:132], v128 offset:960
	ds_read_b128 v[133:136], v128 offset:976
	s_waitcnt vmcnt(12) lgkmcnt(1)
	v_fma_f64 v[129:130], v[165:166], v[129:130], v[141:142]
	s_waitcnt vmcnt(11)
	v_fma_f64 v[129:130], v[153:154], v[131:132], v[129:130]
	s_waitcnt vmcnt(10) lgkmcnt(0)
	v_fma_f64 v[129:130], v[151:152], v[133:134], v[129:130]
	s_waitcnt vmcnt(5)
	v_fma_f64 v[133:134], v[137:138], v[135:136], v[129:130]
	ds_read_b128 v[129:132], v128 offset:992
	ds_read_b64 v[135:136], v128 offset:1008
	s_waitcnt vmcnt(4) lgkmcnt(1)
	v_fma_f64 v[129:130], v[171:172], v[129:130], v[133:134]
	s_waitcnt vmcnt(3)
	v_fma_f64 v[129:130], v[159:160], v[131:132], v[129:130]
	s_waitcnt vmcnt(2) lgkmcnt(0)
	v_fma_f64 v[129:130], v[155:156], v[135:136], v[129:130]
	s_waitcnt vmcnt(0)
	v_add_f64 v[129:130], v[139:140], -v[129:130]
	buffer_store_dword v130, off, s[0:3], 0 offset:92
	buffer_store_dword v129, off, s[0:3], 0 offset:88
	v_cmpx_lt_u32_e32 10, v0
	s_cbranch_execz .LBB62_367
; %bb.366:
	s_clause 0x1
	buffer_load_dword v129, off, s[0:3], 0 offset:80
	buffer_load_dword v130, off, s[0:3], 0 offset:84
	buffer_store_dword v128, off, s[0:3], 0 offset:80
	buffer_store_dword v128, off, s[0:3], 0 offset:84
	s_waitcnt vmcnt(0)
	ds_write_b64 v127, v[129:130]
.LBB62_367:
	s_or_b32 exec_lo, exec_lo, s4
	s_waitcnt lgkmcnt(0)
	s_waitcnt_vscnt null, 0x0
	s_barrier
	buffer_gl0_inv
	s_clause 0x1c
	buffer_load_dword v137, off, s[0:3], 0 offset:88
	buffer_load_dword v138, off, s[0:3], 0 offset:92
	;; [unrolled: 1-line block ×29, first 2 shown]
	ds_read2_b64 v[129:132], v128 offset0:75 offset1:76
	ds_read2_b64 v[133:136], v128 offset0:77 offset1:78
	buffer_load_dword v162, off, s[0:3], 0 offset:204
	s_mov_b32 s4, exec_lo
	s_waitcnt vmcnt(28) lgkmcnt(1)
	v_fma_f64 v[129:130], v[137:138], v[129:130], 0
	s_clause 0x7
	buffer_load_dword v138, off, s[0:3], 0 offset:212
	buffer_load_dword v167, off, s[0:3], 0 offset:232
	buffer_load_dword v169, off, s[0:3], 0 offset:224
	buffer_load_dword v171, off, s[0:3], 0 offset:216
	buffer_load_dword v137, off, s[0:3], 0 offset:208
	buffer_load_dword v172, off, s[0:3], 0 offset:220
	buffer_load_dword v170, off, s[0:3], 0 offset:228
	buffer_load_dword v168, off, s[0:3], 0 offset:236
	s_waitcnt vmcnt(34)
	v_fma_f64 v[129:130], v[139:140], v[131:132], v[129:130]
	s_waitcnt vmcnt(32) lgkmcnt(0)
	v_fma_f64 v[129:130], v[141:142], v[133:134], v[129:130]
	s_waitcnt vmcnt(30)
	v_fma_f64 v[139:140], v[143:144], v[135:136], v[129:130]
	ds_read2_b64 v[129:132], v128 offset0:79 offset1:80
	ds_read2_b64 v[133:136], v128 offset0:81 offset1:82
	s_waitcnt vmcnt(28) lgkmcnt(1)
	v_fma_f64 v[129:130], v[145:146], v[129:130], v[139:140]
	s_clause 0x7
	buffer_load_dword v140, off, s[0:3], 0 offset:244
	buffer_load_dword v141, off, s[0:3], 0 offset:264
	buffer_load_dword v143, off, s[0:3], 0 offset:256
	buffer_load_dword v145, off, s[0:3], 0 offset:248
	buffer_load_dword v139, off, s[0:3], 0 offset:240
	buffer_load_dword v146, off, s[0:3], 0 offset:252
	buffer_load_dword v144, off, s[0:3], 0 offset:260
	buffer_load_dword v142, off, s[0:3], 0 offset:268
	s_waitcnt vmcnt(34)
	v_fma_f64 v[129:130], v[147:148], v[131:132], v[129:130]
	s_waitcnt vmcnt(32) lgkmcnt(0)
	v_fma_f64 v[129:130], v[149:150], v[133:134], v[129:130]
	s_waitcnt vmcnt(27)
	v_fma_f64 v[147:148], v[151:152], v[135:136], v[129:130]
	ds_read2_b64 v[129:132], v128 offset0:83 offset1:84
	ds_read2_b64 v[133:136], v128 offset0:85 offset1:86
	;; [unrolled: 19-line block ×9, first 2 shown]
	s_waitcnt vmcnt(26) lgkmcnt(1)
	v_fma_f64 v[129:130], v[169:170], v[129:130], v[139:140]
	s_clause 0x3
	buffer_load_dword v140, off, s[0:3], 0 offset:500
	buffer_load_dword v139, off, s[0:3], 0 offset:496
	buffer_load_dword v161, off, s[0:3], 0 offset:80
	buffer_load_dword v162, off, s[0:3], 0 offset:84
	s_waitcnt vmcnt(29)
	v_fma_f64 v[129:130], v[167:168], v[131:132], v[129:130]
	s_waitcnt vmcnt(28) lgkmcnt(0)
	v_fma_f64 v[129:130], v[145:146], v[133:134], v[129:130]
	s_waitcnt vmcnt(23)
	v_fma_f64 v[141:142], v[141:142], v[135:136], v[129:130]
	ds_read2_b64 v[129:132], v128 offset0:115 offset1:116
	ds_read2_b64 v[133:136], v128 offset0:117 offset1:118
	s_waitcnt vmcnt(22) lgkmcnt(1)
	v_fma_f64 v[129:130], v[157:158], v[129:130], v[141:142]
	s_waitcnt vmcnt(21)
	v_fma_f64 v[129:130], v[147:148], v[131:132], v[129:130]
	s_waitcnt vmcnt(20) lgkmcnt(0)
	v_fma_f64 v[129:130], v[143:144], v[133:134], v[129:130]
	s_waitcnt vmcnt(15)
	v_fma_f64 v[141:142], v[149:150], v[135:136], v[129:130]
	ds_read2_b64 v[129:132], v128 offset0:119 offset1:120
	ds_read2_b64 v[133:136], v128 offset0:121 offset1:122
	s_waitcnt vmcnt(14) lgkmcnt(1)
	v_fma_f64 v[129:130], v[165:166], v[129:130], v[141:142]
	;; [unrolled: 10-line block ×3, first 2 shown]
	s_waitcnt vmcnt(5)
	v_fma_f64 v[128:129], v[159:160], v[131:132], v[128:129]
	s_waitcnt vmcnt(4) lgkmcnt(0)
	v_fma_f64 v[128:129], v[155:156], v[133:134], v[128:129]
	s_waitcnt vmcnt(2)
	v_fma_f64 v[128:129], v[139:140], v[135:136], v[128:129]
	s_waitcnt vmcnt(0)
	v_add_f64 v[128:129], v[161:162], -v[128:129]
	buffer_store_dword v129, off, s[0:3], 0 offset:84
	buffer_store_dword v128, off, s[0:3], 0 offset:80
	v_cmpx_lt_u32_e32 9, v0
	s_cbranch_execz .LBB62_369
; %bb.368:
	s_clause 0x1
	buffer_load_dword v128, off, s[0:3], 0 offset:72
	buffer_load_dword v129, off, s[0:3], 0 offset:76
	v_mov_b32_e32 v130, 0
	buffer_store_dword v130, off, s[0:3], 0 offset:72
	buffer_store_dword v130, off, s[0:3], 0 offset:76
	s_waitcnt vmcnt(0)
	ds_write_b64 v127, v[128:129]
.LBB62_369:
	s_or_b32 exec_lo, exec_lo, s4
	s_waitcnt lgkmcnt(0)
	s_waitcnt_vscnt null, 0x0
	s_barrier
	buffer_gl0_inv
	s_clause 0x1c
	buffer_load_dword v137, off, s[0:3], 0 offset:80
	buffer_load_dword v138, off, s[0:3], 0 offset:84
	;; [unrolled: 1-line block ×29, first 2 shown]
	v_mov_b32_e32 v128, 0
	buffer_load_dword v162, off, s[0:3], 0 offset:196
	s_mov_b32 s4, exec_lo
	ds_read_b128 v[129:132], v128 offset:592
	ds_read_b128 v[133:136], v128 offset:608
	s_waitcnt vmcnt(28) lgkmcnt(1)
	v_fma_f64 v[129:130], v[137:138], v[129:130], 0
	s_clause 0x7
	buffer_load_dword v138, off, s[0:3], 0 offset:204
	buffer_load_dword v167, off, s[0:3], 0 offset:224
	buffer_load_dword v169, off, s[0:3], 0 offset:216
	buffer_load_dword v171, off, s[0:3], 0 offset:208
	buffer_load_dword v137, off, s[0:3], 0 offset:200
	buffer_load_dword v172, off, s[0:3], 0 offset:212
	buffer_load_dword v170, off, s[0:3], 0 offset:220
	buffer_load_dword v168, off, s[0:3], 0 offset:228
	s_waitcnt vmcnt(34)
	v_fma_f64 v[129:130], v[139:140], v[131:132], v[129:130]
	s_waitcnt vmcnt(32) lgkmcnt(0)
	v_fma_f64 v[129:130], v[141:142], v[133:134], v[129:130]
	s_waitcnt vmcnt(30)
	v_fma_f64 v[139:140], v[143:144], v[135:136], v[129:130]
	ds_read_b128 v[129:132], v128 offset:624
	ds_read_b128 v[133:136], v128 offset:640
	s_waitcnt vmcnt(28) lgkmcnt(1)
	v_fma_f64 v[129:130], v[145:146], v[129:130], v[139:140]
	s_clause 0x7
	buffer_load_dword v140, off, s[0:3], 0 offset:236
	buffer_load_dword v141, off, s[0:3], 0 offset:256
	buffer_load_dword v143, off, s[0:3], 0 offset:248
	buffer_load_dword v145, off, s[0:3], 0 offset:240
	buffer_load_dword v139, off, s[0:3], 0 offset:232
	buffer_load_dword v146, off, s[0:3], 0 offset:244
	buffer_load_dword v144, off, s[0:3], 0 offset:252
	buffer_load_dword v142, off, s[0:3], 0 offset:260
	s_waitcnt vmcnt(34)
	v_fma_f64 v[129:130], v[147:148], v[131:132], v[129:130]
	s_waitcnt vmcnt(32) lgkmcnt(0)
	v_fma_f64 v[129:130], v[149:150], v[133:134], v[129:130]
	s_waitcnt vmcnt(27)
	v_fma_f64 v[147:148], v[151:152], v[135:136], v[129:130]
	;; [unrolled: 19-line block ×9, first 2 shown]
	ds_read_b128 v[129:132], v128 offset:880
	ds_read_b128 v[133:136], v128 offset:896
	s_waitcnt vmcnt(26) lgkmcnt(1)
	v_fma_f64 v[129:130], v[169:170], v[129:130], v[139:140]
	s_clause 0x3
	buffer_load_dword v140, off, s[0:3], 0 offset:492
	buffer_load_dword v161, off, s[0:3], 0 offset:496
	;; [unrolled: 1-line block ×4, first 2 shown]
	s_waitcnt vmcnt(29)
	v_fma_f64 v[129:130], v[167:168], v[131:132], v[129:130]
	s_waitcnt vmcnt(28) lgkmcnt(0)
	v_fma_f64 v[129:130], v[145:146], v[133:134], v[129:130]
	s_clause 0x1
	buffer_load_dword v145, off, s[0:3], 0 offset:72
	buffer_load_dword v146, off, s[0:3], 0 offset:76
	s_waitcnt vmcnt(25)
	v_fma_f64 v[141:142], v[141:142], v[135:136], v[129:130]
	ds_read_b128 v[129:132], v128 offset:912
	ds_read_b128 v[133:136], v128 offset:928
	s_waitcnt vmcnt(24) lgkmcnt(1)
	v_fma_f64 v[129:130], v[157:158], v[129:130], v[141:142]
	s_waitcnt vmcnt(23)
	v_fma_f64 v[129:130], v[147:148], v[131:132], v[129:130]
	s_waitcnt vmcnt(22) lgkmcnt(0)
	v_fma_f64 v[129:130], v[143:144], v[133:134], v[129:130]
	s_waitcnt vmcnt(17)
	v_fma_f64 v[141:142], v[149:150], v[135:136], v[129:130]
	ds_read_b128 v[129:132], v128 offset:944
	ds_read_b128 v[133:136], v128 offset:960
	s_waitcnt vmcnt(16) lgkmcnt(1)
	v_fma_f64 v[129:130], v[165:166], v[129:130], v[141:142]
	s_waitcnt vmcnt(15)
	v_fma_f64 v[129:130], v[153:154], v[131:132], v[129:130]
	s_waitcnt vmcnt(14) lgkmcnt(0)
	v_fma_f64 v[129:130], v[151:152], v[133:134], v[129:130]
	s_waitcnt vmcnt(9)
	v_fma_f64 v[137:138], v[137:138], v[135:136], v[129:130]
	ds_read_b128 v[129:132], v128 offset:976
	ds_read_b128 v[133:136], v128 offset:992
	s_waitcnt vmcnt(8) lgkmcnt(1)
	v_fma_f64 v[129:130], v[171:172], v[129:130], v[137:138]
	s_waitcnt vmcnt(7)
	v_fma_f64 v[129:130], v[159:160], v[131:132], v[129:130]
	ds_read_b64 v[131:132], v128 offset:1008
	s_waitcnt vmcnt(6) lgkmcnt(1)
	v_fma_f64 v[129:130], v[155:156], v[133:134], v[129:130]
	s_waitcnt vmcnt(3)
	v_fma_f64 v[129:130], v[139:140], v[135:136], v[129:130]
	s_waitcnt vmcnt(2) lgkmcnt(0)
	v_fma_f64 v[129:130], v[161:162], v[131:132], v[129:130]
	s_waitcnt vmcnt(0)
	v_add_f64 v[129:130], v[145:146], -v[129:130]
	buffer_store_dword v130, off, s[0:3], 0 offset:76
	buffer_store_dword v129, off, s[0:3], 0 offset:72
	v_cmpx_lt_u32_e32 8, v0
	s_cbranch_execz .LBB62_371
; %bb.370:
	s_clause 0x1
	buffer_load_dword v129, off, s[0:3], 0 offset:64
	buffer_load_dword v130, off, s[0:3], 0 offset:68
	buffer_store_dword v128, off, s[0:3], 0 offset:64
	buffer_store_dword v128, off, s[0:3], 0 offset:68
	s_waitcnt vmcnt(0)
	ds_write_b64 v127, v[129:130]
.LBB62_371:
	s_or_b32 exec_lo, exec_lo, s4
	s_waitcnt lgkmcnt(0)
	s_waitcnt_vscnt null, 0x0
	s_barrier
	buffer_gl0_inv
	s_clause 0x1c
	buffer_load_dword v137, off, s[0:3], 0 offset:72
	buffer_load_dword v138, off, s[0:3], 0 offset:76
	buffer_load_dword v139, off, s[0:3], 0 offset:80
	buffer_load_dword v140, off, s[0:3], 0 offset:84
	buffer_load_dword v141, off, s[0:3], 0 offset:88
	buffer_load_dword v142, off, s[0:3], 0 offset:92
	buffer_load_dword v143, off, s[0:3], 0 offset:96
	buffer_load_dword v144, off, s[0:3], 0 offset:100
	buffer_load_dword v145, off, s[0:3], 0 offset:104
	buffer_load_dword v146, off, s[0:3], 0 offset:108
	buffer_load_dword v147, off, s[0:3], 0 offset:112
	buffer_load_dword v148, off, s[0:3], 0 offset:116
	buffer_load_dword v149, off, s[0:3], 0 offset:120
	buffer_load_dword v150, off, s[0:3], 0 offset:124
	buffer_load_dword v152, off, s[0:3], 0 offset:132
	buffer_load_dword v153, off, s[0:3], 0 offset:152
	buffer_load_dword v155, off, s[0:3], 0 offset:144
	buffer_load_dword v157, off, s[0:3], 0 offset:136
	buffer_load_dword v151, off, s[0:3], 0 offset:128
	buffer_load_dword v158, off, s[0:3], 0 offset:140
	buffer_load_dword v156, off, s[0:3], 0 offset:148
	buffer_load_dword v154, off, s[0:3], 0 offset:156
	buffer_load_dword v160, off, s[0:3], 0 offset:164
	buffer_load_dword v161, off, s[0:3], 0 offset:184
	buffer_load_dword v163, off, s[0:3], 0 offset:176
	buffer_load_dword v165, off, s[0:3], 0 offset:168
	buffer_load_dword v159, off, s[0:3], 0 offset:160
	buffer_load_dword v166, off, s[0:3], 0 offset:172
	buffer_load_dword v164, off, s[0:3], 0 offset:180
	ds_read2_b64 v[129:132], v128 offset0:73 offset1:74
	ds_read2_b64 v[133:136], v128 offset0:75 offset1:76
	buffer_load_dword v162, off, s[0:3], 0 offset:188
	s_mov_b32 s4, exec_lo
	s_waitcnt vmcnt(28) lgkmcnt(1)
	v_fma_f64 v[129:130], v[137:138], v[129:130], 0
	s_clause 0x7
	buffer_load_dword v138, off, s[0:3], 0 offset:196
	buffer_load_dword v167, off, s[0:3], 0 offset:216
	buffer_load_dword v169, off, s[0:3], 0 offset:208
	buffer_load_dword v171, off, s[0:3], 0 offset:200
	buffer_load_dword v137, off, s[0:3], 0 offset:192
	buffer_load_dword v172, off, s[0:3], 0 offset:204
	buffer_load_dword v170, off, s[0:3], 0 offset:212
	buffer_load_dword v168, off, s[0:3], 0 offset:220
	s_waitcnt vmcnt(34)
	v_fma_f64 v[129:130], v[139:140], v[131:132], v[129:130]
	s_waitcnt vmcnt(32) lgkmcnt(0)
	v_fma_f64 v[129:130], v[141:142], v[133:134], v[129:130]
	s_waitcnt vmcnt(30)
	v_fma_f64 v[139:140], v[143:144], v[135:136], v[129:130]
	ds_read2_b64 v[129:132], v128 offset0:77 offset1:78
	ds_read2_b64 v[133:136], v128 offset0:79 offset1:80
	s_waitcnt vmcnt(28) lgkmcnt(1)
	v_fma_f64 v[129:130], v[145:146], v[129:130], v[139:140]
	s_clause 0x7
	buffer_load_dword v140, off, s[0:3], 0 offset:228
	buffer_load_dword v141, off, s[0:3], 0 offset:248
	buffer_load_dword v143, off, s[0:3], 0 offset:240
	buffer_load_dword v145, off, s[0:3], 0 offset:232
	buffer_load_dword v139, off, s[0:3], 0 offset:224
	buffer_load_dword v146, off, s[0:3], 0 offset:236
	buffer_load_dword v144, off, s[0:3], 0 offset:244
	buffer_load_dword v142, off, s[0:3], 0 offset:252
	s_waitcnt vmcnt(34)
	v_fma_f64 v[129:130], v[147:148], v[131:132], v[129:130]
	s_waitcnt vmcnt(32) lgkmcnt(0)
	v_fma_f64 v[129:130], v[149:150], v[133:134], v[129:130]
	s_waitcnt vmcnt(27)
	v_fma_f64 v[147:148], v[151:152], v[135:136], v[129:130]
	ds_read2_b64 v[129:132], v128 offset0:81 offset1:82
	ds_read2_b64 v[133:136], v128 offset0:83 offset1:84
	;; [unrolled: 19-line block ×9, first 2 shown]
	s_waitcnt vmcnt(26) lgkmcnt(1)
	v_fma_f64 v[129:130], v[169:170], v[129:130], v[139:140]
	s_clause 0x5
	buffer_load_dword v140, off, s[0:3], 0 offset:484
	buffer_load_dword v161, off, s[0:3], 0 offset:496
	;; [unrolled: 1-line block ×6, first 2 shown]
	s_waitcnt vmcnt(31)
	v_fma_f64 v[129:130], v[167:168], v[131:132], v[129:130]
	s_waitcnt vmcnt(30) lgkmcnt(0)
	v_fma_f64 v[129:130], v[145:146], v[133:134], v[129:130]
	s_waitcnt vmcnt(25)
	v_fma_f64 v[141:142], v[141:142], v[135:136], v[129:130]
	ds_read2_b64 v[129:132], v128 offset0:113 offset1:114
	s_clause 0x1
	buffer_load_dword v145, off, s[0:3], 0 offset:64
	buffer_load_dword v146, off, s[0:3], 0 offset:68
	ds_read2_b64 v[133:136], v128 offset0:115 offset1:116
	s_waitcnt vmcnt(26) lgkmcnt(1)
	v_fma_f64 v[129:130], v[157:158], v[129:130], v[141:142]
	s_waitcnt vmcnt(25)
	v_fma_f64 v[129:130], v[147:148], v[131:132], v[129:130]
	s_waitcnt vmcnt(24) lgkmcnt(0)
	v_fma_f64 v[129:130], v[143:144], v[133:134], v[129:130]
	s_waitcnt vmcnt(19)
	v_fma_f64 v[141:142], v[149:150], v[135:136], v[129:130]
	ds_read2_b64 v[129:132], v128 offset0:117 offset1:118
	ds_read2_b64 v[133:136], v128 offset0:119 offset1:120
	s_waitcnt vmcnt(18) lgkmcnt(1)
	v_fma_f64 v[129:130], v[165:166], v[129:130], v[141:142]
	s_waitcnt vmcnt(17)
	v_fma_f64 v[129:130], v[153:154], v[131:132], v[129:130]
	s_waitcnt vmcnt(16) lgkmcnt(0)
	v_fma_f64 v[129:130], v[151:152], v[133:134], v[129:130]
	s_waitcnt vmcnt(11)
	v_fma_f64 v[137:138], v[137:138], v[135:136], v[129:130]
	ds_read2_b64 v[129:132], v128 offset0:121 offset1:122
	;; [unrolled: 10-line block ×3, first 2 shown]
	s_waitcnt vmcnt(3) lgkmcnt(0)
	v_fma_f64 v[128:129], v[163:164], v[128:129], v[132:133]
	s_waitcnt vmcnt(2)
	v_fma_f64 v[128:129], v[161:162], v[130:131], v[128:129]
	s_waitcnt vmcnt(0)
	v_add_f64 v[128:129], v[145:146], -v[128:129]
	buffer_store_dword v129, off, s[0:3], 0 offset:68
	buffer_store_dword v128, off, s[0:3], 0 offset:64
	v_cmpx_lt_u32_e32 7, v0
	s_cbranch_execz .LBB62_373
; %bb.372:
	s_clause 0x1
	buffer_load_dword v128, off, s[0:3], 0 offset:56
	buffer_load_dword v129, off, s[0:3], 0 offset:60
	v_mov_b32_e32 v130, 0
	buffer_store_dword v130, off, s[0:3], 0 offset:56
	buffer_store_dword v130, off, s[0:3], 0 offset:60
	s_waitcnt vmcnt(0)
	ds_write_b64 v127, v[128:129]
.LBB62_373:
	s_or_b32 exec_lo, exec_lo, s4
	s_waitcnt lgkmcnt(0)
	s_waitcnt_vscnt null, 0x0
	s_barrier
	buffer_gl0_inv
	s_clause 0x1c
	buffer_load_dword v137, off, s[0:3], 0 offset:64
	buffer_load_dword v138, off, s[0:3], 0 offset:68
	;; [unrolled: 1-line block ×29, first 2 shown]
	v_mov_b32_e32 v128, 0
	buffer_load_dword v162, off, s[0:3], 0 offset:180
	s_mov_b32 s4, exec_lo
	ds_read_b128 v[129:132], v128 offset:576
	ds_read_b128 v[133:136], v128 offset:592
	s_waitcnt vmcnt(28) lgkmcnt(1)
	v_fma_f64 v[129:130], v[137:138], v[129:130], 0
	s_clause 0x7
	buffer_load_dword v138, off, s[0:3], 0 offset:188
	buffer_load_dword v167, off, s[0:3], 0 offset:208
	buffer_load_dword v169, off, s[0:3], 0 offset:200
	buffer_load_dword v171, off, s[0:3], 0 offset:192
	buffer_load_dword v137, off, s[0:3], 0 offset:184
	buffer_load_dword v172, off, s[0:3], 0 offset:196
	buffer_load_dword v170, off, s[0:3], 0 offset:204
	buffer_load_dword v168, off, s[0:3], 0 offset:212
	s_waitcnt vmcnt(34)
	v_fma_f64 v[129:130], v[139:140], v[131:132], v[129:130]
	s_waitcnt vmcnt(32) lgkmcnt(0)
	v_fma_f64 v[129:130], v[141:142], v[133:134], v[129:130]
	s_waitcnt vmcnt(30)
	v_fma_f64 v[139:140], v[143:144], v[135:136], v[129:130]
	ds_read_b128 v[129:132], v128 offset:608
	ds_read_b128 v[133:136], v128 offset:624
	s_waitcnt vmcnt(28) lgkmcnt(1)
	v_fma_f64 v[129:130], v[145:146], v[129:130], v[139:140]
	s_clause 0x7
	buffer_load_dword v140, off, s[0:3], 0 offset:220
	buffer_load_dword v141, off, s[0:3], 0 offset:240
	buffer_load_dword v143, off, s[0:3], 0 offset:232
	buffer_load_dword v145, off, s[0:3], 0 offset:224
	buffer_load_dword v139, off, s[0:3], 0 offset:216
	buffer_load_dword v146, off, s[0:3], 0 offset:228
	buffer_load_dword v144, off, s[0:3], 0 offset:236
	buffer_load_dword v142, off, s[0:3], 0 offset:244
	s_waitcnt vmcnt(34)
	v_fma_f64 v[129:130], v[147:148], v[131:132], v[129:130]
	s_waitcnt vmcnt(32) lgkmcnt(0)
	v_fma_f64 v[129:130], v[149:150], v[133:134], v[129:130]
	s_waitcnt vmcnt(27)
	v_fma_f64 v[147:148], v[151:152], v[135:136], v[129:130]
	;; [unrolled: 19-line block ×10, first 2 shown]
	ds_read_b128 v[129:132], v128 offset:896
	ds_read_b128 v[133:136], v128 offset:912
	s_waitcnt vmcnt(26) lgkmcnt(1)
	v_fma_f64 v[129:130], v[157:158], v[129:130], v[141:142]
	s_clause 0x1
	buffer_load_dword v141, off, s[0:3], 0 offset:56
	buffer_load_dword v142, off, s[0:3], 0 offset:60
	s_waitcnt vmcnt(27)
	v_fma_f64 v[129:130], v[147:148], v[131:132], v[129:130]
	s_waitcnt vmcnt(26) lgkmcnt(0)
	v_fma_f64 v[129:130], v[143:144], v[133:134], v[129:130]
	s_waitcnt vmcnt(21)
	v_fma_f64 v[143:144], v[149:150], v[135:136], v[129:130]
	ds_read_b128 v[129:132], v128 offset:928
	ds_read_b128 v[133:136], v128 offset:944
	s_waitcnt vmcnt(20) lgkmcnt(1)
	v_fma_f64 v[129:130], v[165:166], v[129:130], v[143:144]
	s_waitcnt vmcnt(19)
	v_fma_f64 v[129:130], v[153:154], v[131:132], v[129:130]
	s_waitcnt vmcnt(18) lgkmcnt(0)
	v_fma_f64 v[129:130], v[151:152], v[133:134], v[129:130]
	s_waitcnt vmcnt(13)
	v_fma_f64 v[137:138], v[137:138], v[135:136], v[129:130]
	ds_read_b128 v[129:132], v128 offset:960
	ds_read_b128 v[133:136], v128 offset:976
	s_waitcnt vmcnt(12) lgkmcnt(1)
	v_fma_f64 v[129:130], v[171:172], v[129:130], v[137:138]
	s_waitcnt vmcnt(11)
	v_fma_f64 v[129:130], v[159:160], v[131:132], v[129:130]
	s_waitcnt vmcnt(10) lgkmcnt(0)
	v_fma_f64 v[129:130], v[155:156], v[133:134], v[129:130]
	s_waitcnt vmcnt(5)
	v_fma_f64 v[133:134], v[139:140], v[135:136], v[129:130]
	ds_read_b128 v[129:132], v128 offset:992
	ds_read_b64 v[135:136], v128 offset:1008
	s_waitcnt vmcnt(4) lgkmcnt(1)
	v_fma_f64 v[129:130], v[169:170], v[129:130], v[133:134]
	s_waitcnt vmcnt(3)
	v_fma_f64 v[129:130], v[163:164], v[131:132], v[129:130]
	s_waitcnt vmcnt(2) lgkmcnt(0)
	v_fma_f64 v[129:130], v[161:162], v[135:136], v[129:130]
	s_waitcnt vmcnt(0)
	v_add_f64 v[129:130], v[141:142], -v[129:130]
	buffer_store_dword v130, off, s[0:3], 0 offset:60
	buffer_store_dword v129, off, s[0:3], 0 offset:56
	v_cmpx_lt_u32_e32 6, v0
	s_cbranch_execz .LBB62_375
; %bb.374:
	s_clause 0x1
	buffer_load_dword v129, off, s[0:3], 0 offset:48
	buffer_load_dword v130, off, s[0:3], 0 offset:52
	buffer_store_dword v128, off, s[0:3], 0 offset:48
	buffer_store_dword v128, off, s[0:3], 0 offset:52
	s_waitcnt vmcnt(0)
	ds_write_b64 v127, v[129:130]
.LBB62_375:
	s_or_b32 exec_lo, exec_lo, s4
	s_waitcnt lgkmcnt(0)
	s_waitcnt_vscnt null, 0x0
	s_barrier
	buffer_gl0_inv
	s_clause 0x1c
	buffer_load_dword v137, off, s[0:3], 0 offset:56
	buffer_load_dword v138, off, s[0:3], 0 offset:60
	;; [unrolled: 1-line block ×29, first 2 shown]
	ds_read2_b64 v[129:132], v128 offset0:71 offset1:72
	ds_read2_b64 v[133:136], v128 offset0:73 offset1:74
	buffer_load_dword v162, off, s[0:3], 0 offset:172
	s_mov_b32 s4, exec_lo
	s_waitcnt vmcnt(28) lgkmcnt(1)
	v_fma_f64 v[129:130], v[137:138], v[129:130], 0
	s_clause 0x7
	buffer_load_dword v138, off, s[0:3], 0 offset:180
	buffer_load_dword v167, off, s[0:3], 0 offset:200
	buffer_load_dword v169, off, s[0:3], 0 offset:192
	buffer_load_dword v171, off, s[0:3], 0 offset:184
	buffer_load_dword v137, off, s[0:3], 0 offset:176
	buffer_load_dword v172, off, s[0:3], 0 offset:188
	buffer_load_dword v170, off, s[0:3], 0 offset:196
	buffer_load_dword v168, off, s[0:3], 0 offset:204
	s_waitcnt vmcnt(34)
	v_fma_f64 v[129:130], v[139:140], v[131:132], v[129:130]
	s_waitcnt vmcnt(32) lgkmcnt(0)
	v_fma_f64 v[129:130], v[141:142], v[133:134], v[129:130]
	s_waitcnt vmcnt(30)
	v_fma_f64 v[139:140], v[143:144], v[135:136], v[129:130]
	ds_read2_b64 v[129:132], v128 offset0:75 offset1:76
	ds_read2_b64 v[133:136], v128 offset0:77 offset1:78
	s_waitcnt vmcnt(28) lgkmcnt(1)
	v_fma_f64 v[129:130], v[145:146], v[129:130], v[139:140]
	s_clause 0x7
	buffer_load_dword v140, off, s[0:3], 0 offset:212
	buffer_load_dword v141, off, s[0:3], 0 offset:232
	buffer_load_dword v143, off, s[0:3], 0 offset:224
	buffer_load_dword v145, off, s[0:3], 0 offset:216
	buffer_load_dword v139, off, s[0:3], 0 offset:208
	buffer_load_dword v146, off, s[0:3], 0 offset:220
	buffer_load_dword v144, off, s[0:3], 0 offset:228
	buffer_load_dword v142, off, s[0:3], 0 offset:236
	s_waitcnt vmcnt(34)
	v_fma_f64 v[129:130], v[147:148], v[131:132], v[129:130]
	s_waitcnt vmcnt(32) lgkmcnt(0)
	v_fma_f64 v[129:130], v[149:150], v[133:134], v[129:130]
	s_waitcnt vmcnt(27)
	v_fma_f64 v[147:148], v[151:152], v[135:136], v[129:130]
	ds_read2_b64 v[129:132], v128 offset0:79 offset1:80
	ds_read2_b64 v[133:136], v128 offset0:81 offset1:82
	;; [unrolled: 19-line block ×10, first 2 shown]
	s_waitcnt vmcnt(26) lgkmcnt(1)
	v_fma_f64 v[129:130], v[157:158], v[129:130], v[141:142]
	s_clause 0x3
	buffer_load_dword v142, off, s[0:3], 0 offset:500
	buffer_load_dword v141, off, s[0:3], 0 offset:496
	;; [unrolled: 1-line block ×4, first 2 shown]
	s_waitcnt vmcnt(29)
	v_fma_f64 v[129:130], v[147:148], v[131:132], v[129:130]
	s_waitcnt vmcnt(28) lgkmcnt(0)
	v_fma_f64 v[129:130], v[143:144], v[133:134], v[129:130]
	s_waitcnt vmcnt(23)
	v_fma_f64 v[143:144], v[149:150], v[135:136], v[129:130]
	ds_read2_b64 v[129:132], v128 offset0:115 offset1:116
	ds_read2_b64 v[133:136], v128 offset0:117 offset1:118
	s_waitcnt vmcnt(22) lgkmcnt(1)
	v_fma_f64 v[129:130], v[165:166], v[129:130], v[143:144]
	s_waitcnt vmcnt(21)
	v_fma_f64 v[129:130], v[153:154], v[131:132], v[129:130]
	s_waitcnt vmcnt(20) lgkmcnt(0)
	v_fma_f64 v[129:130], v[151:152], v[133:134], v[129:130]
	s_waitcnt vmcnt(15)
	v_fma_f64 v[137:138], v[137:138], v[135:136], v[129:130]
	ds_read2_b64 v[129:132], v128 offset0:119 offset1:120
	ds_read2_b64 v[133:136], v128 offset0:121 offset1:122
	s_waitcnt vmcnt(14) lgkmcnt(1)
	v_fma_f64 v[129:130], v[171:172], v[129:130], v[137:138]
	s_waitcnt vmcnt(13)
	v_fma_f64 v[129:130], v[159:160], v[131:132], v[129:130]
	s_waitcnt vmcnt(12) lgkmcnt(0)
	v_fma_f64 v[129:130], v[155:156], v[133:134], v[129:130]
	s_waitcnt vmcnt(7)
	v_fma_f64 v[137:138], v[139:140], v[135:136], v[129:130]
	ds_read2_b64 v[129:132], v128 offset0:123 offset1:124
	ds_read2_b64 v[133:136], v128 offset0:125 offset1:126
	s_waitcnt vmcnt(6) lgkmcnt(1)
	v_fma_f64 v[128:129], v[169:170], v[129:130], v[137:138]
	s_waitcnt vmcnt(5)
	v_fma_f64 v[128:129], v[163:164], v[131:132], v[128:129]
	s_waitcnt vmcnt(4) lgkmcnt(0)
	v_fma_f64 v[128:129], v[161:162], v[133:134], v[128:129]
	s_waitcnt vmcnt(2)
	v_fma_f64 v[128:129], v[141:142], v[135:136], v[128:129]
	s_waitcnt vmcnt(0)
	v_add_f64 v[128:129], v[145:146], -v[128:129]
	buffer_store_dword v129, off, s[0:3], 0 offset:52
	buffer_store_dword v128, off, s[0:3], 0 offset:48
	v_cmpx_lt_u32_e32 5, v0
	s_cbranch_execz .LBB62_377
; %bb.376:
	s_clause 0x1
	buffer_load_dword v128, off, s[0:3], 0 offset:40
	buffer_load_dword v129, off, s[0:3], 0 offset:44
	v_mov_b32_e32 v130, 0
	buffer_store_dword v130, off, s[0:3], 0 offset:40
	buffer_store_dword v130, off, s[0:3], 0 offset:44
	s_waitcnt vmcnt(0)
	ds_write_b64 v127, v[128:129]
.LBB62_377:
	s_or_b32 exec_lo, exec_lo, s4
	s_waitcnt lgkmcnt(0)
	s_waitcnt_vscnt null, 0x0
	s_barrier
	buffer_gl0_inv
	s_clause 0x1c
	buffer_load_dword v137, off, s[0:3], 0 offset:48
	buffer_load_dword v138, off, s[0:3], 0 offset:52
	;; [unrolled: 1-line block ×29, first 2 shown]
	v_mov_b32_e32 v128, 0
	buffer_load_dword v162, off, s[0:3], 0 offset:164
	s_mov_b32 s4, exec_lo
	ds_read_b128 v[129:132], v128 offset:560
	ds_read_b128 v[133:136], v128 offset:576
	s_waitcnt vmcnt(28) lgkmcnt(1)
	v_fma_f64 v[129:130], v[137:138], v[129:130], 0
	s_clause 0x7
	buffer_load_dword v138, off, s[0:3], 0 offset:172
	buffer_load_dword v167, off, s[0:3], 0 offset:192
	buffer_load_dword v169, off, s[0:3], 0 offset:184
	buffer_load_dword v171, off, s[0:3], 0 offset:176
	buffer_load_dword v137, off, s[0:3], 0 offset:168
	buffer_load_dword v172, off, s[0:3], 0 offset:180
	buffer_load_dword v170, off, s[0:3], 0 offset:188
	buffer_load_dword v168, off, s[0:3], 0 offset:196
	s_waitcnt vmcnt(34)
	v_fma_f64 v[129:130], v[139:140], v[131:132], v[129:130]
	s_waitcnt vmcnt(32) lgkmcnt(0)
	v_fma_f64 v[129:130], v[141:142], v[133:134], v[129:130]
	s_waitcnt vmcnt(30)
	v_fma_f64 v[139:140], v[143:144], v[135:136], v[129:130]
	ds_read_b128 v[129:132], v128 offset:592
	ds_read_b128 v[133:136], v128 offset:608
	s_waitcnt vmcnt(28) lgkmcnt(1)
	v_fma_f64 v[129:130], v[145:146], v[129:130], v[139:140]
	s_clause 0x7
	buffer_load_dword v140, off, s[0:3], 0 offset:204
	buffer_load_dword v141, off, s[0:3], 0 offset:224
	buffer_load_dword v143, off, s[0:3], 0 offset:216
	buffer_load_dword v145, off, s[0:3], 0 offset:208
	buffer_load_dword v139, off, s[0:3], 0 offset:200
	buffer_load_dword v146, off, s[0:3], 0 offset:212
	buffer_load_dword v144, off, s[0:3], 0 offset:220
	buffer_load_dword v142, off, s[0:3], 0 offset:228
	s_waitcnt vmcnt(34)
	v_fma_f64 v[129:130], v[147:148], v[131:132], v[129:130]
	s_waitcnt vmcnt(32) lgkmcnt(0)
	v_fma_f64 v[129:130], v[149:150], v[133:134], v[129:130]
	s_waitcnt vmcnt(27)
	v_fma_f64 v[147:148], v[151:152], v[135:136], v[129:130]
	;; [unrolled: 19-line block ×10, first 2 shown]
	ds_read_b128 v[129:132], v128 offset:880
	ds_read_b128 v[133:136], v128 offset:896
	s_waitcnt vmcnt(26) lgkmcnt(1)
	v_fma_f64 v[129:130], v[157:158], v[129:130], v[141:142]
	s_clause 0x3
	buffer_load_dword v142, off, s[0:3], 0 offset:492
	buffer_load_dword v145, off, s[0:3], 0 offset:496
	;; [unrolled: 1-line block ×4, first 2 shown]
	s_waitcnt vmcnt(29)
	v_fma_f64 v[129:130], v[147:148], v[131:132], v[129:130]
	s_waitcnt vmcnt(28) lgkmcnt(0)
	v_fma_f64 v[129:130], v[143:144], v[133:134], v[129:130]
	s_clause 0x1
	buffer_load_dword v143, off, s[0:3], 0 offset:40
	buffer_load_dword v144, off, s[0:3], 0 offset:44
	s_waitcnt vmcnt(25)
	v_fma_f64 v[147:148], v[149:150], v[135:136], v[129:130]
	ds_read_b128 v[129:132], v128 offset:912
	ds_read_b128 v[133:136], v128 offset:928
	s_waitcnt vmcnt(24) lgkmcnt(1)
	v_fma_f64 v[129:130], v[165:166], v[129:130], v[147:148]
	s_waitcnt vmcnt(23)
	v_fma_f64 v[129:130], v[153:154], v[131:132], v[129:130]
	s_waitcnt vmcnt(22) lgkmcnt(0)
	v_fma_f64 v[129:130], v[151:152], v[133:134], v[129:130]
	s_waitcnt vmcnt(17)
	v_fma_f64 v[137:138], v[137:138], v[135:136], v[129:130]
	ds_read_b128 v[129:132], v128 offset:944
	ds_read_b128 v[133:136], v128 offset:960
	s_waitcnt vmcnt(16) lgkmcnt(1)
	v_fma_f64 v[129:130], v[171:172], v[129:130], v[137:138]
	s_waitcnt vmcnt(15)
	v_fma_f64 v[129:130], v[159:160], v[131:132], v[129:130]
	s_waitcnt vmcnt(14) lgkmcnt(0)
	v_fma_f64 v[129:130], v[155:156], v[133:134], v[129:130]
	s_waitcnt vmcnt(9)
	v_fma_f64 v[137:138], v[139:140], v[135:136], v[129:130]
	ds_read_b128 v[129:132], v128 offset:976
	ds_read_b128 v[133:136], v128 offset:992
	s_waitcnt vmcnt(8) lgkmcnt(1)
	v_fma_f64 v[129:130], v[169:170], v[129:130], v[137:138]
	s_waitcnt vmcnt(7)
	v_fma_f64 v[129:130], v[163:164], v[131:132], v[129:130]
	ds_read_b64 v[131:132], v128 offset:1008
	s_waitcnt vmcnt(6) lgkmcnt(1)
	v_fma_f64 v[129:130], v[161:162], v[133:134], v[129:130]
	s_waitcnt vmcnt(3)
	v_fma_f64 v[129:130], v[141:142], v[135:136], v[129:130]
	s_waitcnt vmcnt(2) lgkmcnt(0)
	v_fma_f64 v[129:130], v[145:146], v[131:132], v[129:130]
	s_waitcnt vmcnt(0)
	v_add_f64 v[129:130], v[143:144], -v[129:130]
	buffer_store_dword v130, off, s[0:3], 0 offset:44
	buffer_store_dword v129, off, s[0:3], 0 offset:40
	v_cmpx_lt_u32_e32 4, v0
	s_cbranch_execz .LBB62_379
; %bb.378:
	s_clause 0x1
	buffer_load_dword v129, off, s[0:3], 0 offset:32
	buffer_load_dword v130, off, s[0:3], 0 offset:36
	buffer_store_dword v128, off, s[0:3], 0 offset:32
	buffer_store_dword v128, off, s[0:3], 0 offset:36
	s_waitcnt vmcnt(0)
	ds_write_b64 v127, v[129:130]
.LBB62_379:
	s_or_b32 exec_lo, exec_lo, s4
	s_waitcnt lgkmcnt(0)
	s_waitcnt_vscnt null, 0x0
	s_barrier
	buffer_gl0_inv
	s_clause 0x1c
	buffer_load_dword v137, off, s[0:3], 0 offset:40
	buffer_load_dword v138, off, s[0:3], 0 offset:44
	;; [unrolled: 1-line block ×29, first 2 shown]
	ds_read2_b64 v[129:132], v128 offset0:69 offset1:70
	ds_read2_b64 v[133:136], v128 offset0:71 offset1:72
	buffer_load_dword v162, off, s[0:3], 0 offset:156
	s_mov_b32 s4, exec_lo
	s_waitcnt vmcnt(28) lgkmcnt(1)
	v_fma_f64 v[129:130], v[137:138], v[129:130], 0
	s_clause 0x7
	buffer_load_dword v138, off, s[0:3], 0 offset:164
	buffer_load_dword v167, off, s[0:3], 0 offset:184
	buffer_load_dword v169, off, s[0:3], 0 offset:176
	buffer_load_dword v171, off, s[0:3], 0 offset:168
	buffer_load_dword v137, off, s[0:3], 0 offset:160
	buffer_load_dword v172, off, s[0:3], 0 offset:172
	buffer_load_dword v170, off, s[0:3], 0 offset:180
	buffer_load_dword v168, off, s[0:3], 0 offset:188
	s_waitcnt vmcnt(34)
	v_fma_f64 v[129:130], v[139:140], v[131:132], v[129:130]
	s_waitcnt vmcnt(32) lgkmcnt(0)
	v_fma_f64 v[129:130], v[141:142], v[133:134], v[129:130]
	s_waitcnt vmcnt(30)
	v_fma_f64 v[139:140], v[143:144], v[135:136], v[129:130]
	ds_read2_b64 v[129:132], v128 offset0:73 offset1:74
	ds_read2_b64 v[133:136], v128 offset0:75 offset1:76
	s_waitcnt vmcnt(28) lgkmcnt(1)
	v_fma_f64 v[129:130], v[145:146], v[129:130], v[139:140]
	s_clause 0x7
	buffer_load_dword v140, off, s[0:3], 0 offset:196
	buffer_load_dword v141, off, s[0:3], 0 offset:216
	buffer_load_dword v143, off, s[0:3], 0 offset:208
	buffer_load_dword v145, off, s[0:3], 0 offset:200
	buffer_load_dword v139, off, s[0:3], 0 offset:192
	buffer_load_dword v146, off, s[0:3], 0 offset:204
	buffer_load_dword v144, off, s[0:3], 0 offset:212
	buffer_load_dword v142, off, s[0:3], 0 offset:220
	s_waitcnt vmcnt(34)
	v_fma_f64 v[129:130], v[147:148], v[131:132], v[129:130]
	s_waitcnt vmcnt(32) lgkmcnt(0)
	v_fma_f64 v[129:130], v[149:150], v[133:134], v[129:130]
	s_waitcnt vmcnt(27)
	v_fma_f64 v[147:148], v[151:152], v[135:136], v[129:130]
	ds_read2_b64 v[129:132], v128 offset0:77 offset1:78
	ds_read2_b64 v[133:136], v128 offset0:79 offset1:80
	s_waitcnt vmcnt(26) lgkmcnt(1)
	v_fma_f64 v[129:130], v[157:158], v[129:130], v[147:148]
	s_clause 0x7
	buffer_load_dword v148, off, s[0:3], 0 offset:228
	buffer_load_dword v149, off, s[0:3], 0 offset:248
	buffer_load_dword v151, off, s[0:3], 0 offset:240
	buffer_load_dword v157, off, s[0:3], 0 offset:232
	buffer_load_dword v147, off, s[0:3], 0 offset:224
	buffer_load_dword v158, off, s[0:3], 0 offset:236
	buffer_load_dword v152, off, s[0:3], 0 offset:244
	buffer_load_dword v150, off, s[0:3], 0 offset:252
	s_waitcnt vmcnt(33)
	v_fma_f64 v[129:130], v[155:156], v[131:132], v[129:130]
	s_waitcnt vmcnt(32) lgkmcnt(0)
	v_fma_f64 v[129:130], v[153:154], v[133:134], v[129:130]
	s_waitcnt vmcnt(27)
	v_fma_f64 v[153:154], v[159:160], v[135:136], v[129:130]
	ds_read2_b64 v[129:132], v128 offset0:81 offset1:82
	ds_read2_b64 v[133:136], v128 offset0:83 offset1:84
	s_waitcnt vmcnt(26) lgkmcnt(1)
	v_fma_f64 v[129:130], v[165:166], v[129:130], v[153:154]
	s_clause 0x7
	buffer_load_dword v154, off, s[0:3], 0 offset:260
	buffer_load_dword v155, off, s[0:3], 0 offset:280
	buffer_load_dword v159, off, s[0:3], 0 offset:272
	buffer_load_dword v165, off, s[0:3], 0 offset:264
	buffer_load_dword v153, off, s[0:3], 0 offset:256
	buffer_load_dword v166, off, s[0:3], 0 offset:268
	buffer_load_dword v160, off, s[0:3], 0 offset:276
	buffer_load_dword v156, off, s[0:3], 0 offset:284
	s_waitcnt vmcnt(33)
	v_fma_f64 v[129:130], v[163:164], v[131:132], v[129:130]
	s_waitcnt vmcnt(32) lgkmcnt(0)
	v_fma_f64 v[129:130], v[161:162], v[133:134], v[129:130]
	s_waitcnt vmcnt(27)
	v_fma_f64 v[137:138], v[137:138], v[135:136], v[129:130]
	ds_read2_b64 v[129:132], v128 offset0:85 offset1:86
	ds_read2_b64 v[133:136], v128 offset0:87 offset1:88
	s_waitcnt vmcnt(26) lgkmcnt(1)
	v_fma_f64 v[129:130], v[171:172], v[129:130], v[137:138]
	s_clause 0x7
	buffer_load_dword v138, off, s[0:3], 0 offset:292
	buffer_load_dword v161, off, s[0:3], 0 offset:312
	buffer_load_dword v163, off, s[0:3], 0 offset:304
	buffer_load_dword v171, off, s[0:3], 0 offset:296
	buffer_load_dword v137, off, s[0:3], 0 offset:288
	buffer_load_dword v172, off, s[0:3], 0 offset:300
	buffer_load_dword v164, off, s[0:3], 0 offset:308
	buffer_load_dword v162, off, s[0:3], 0 offset:316
	s_waitcnt vmcnt(33)
	v_fma_f64 v[129:130], v[169:170], v[131:132], v[129:130]
	s_waitcnt vmcnt(32) lgkmcnt(0)
	v_fma_f64 v[129:130], v[167:168], v[133:134], v[129:130]
	s_waitcnt vmcnt(27)
	v_fma_f64 v[139:140], v[139:140], v[135:136], v[129:130]
	ds_read2_b64 v[129:132], v128 offset0:89 offset1:90
	ds_read2_b64 v[133:136], v128 offset0:91 offset1:92
	s_waitcnt vmcnt(26) lgkmcnt(1)
	v_fma_f64 v[129:130], v[145:146], v[129:130], v[139:140]
	s_clause 0x7
	buffer_load_dword v140, off, s[0:3], 0 offset:324
	buffer_load_dword v145, off, s[0:3], 0 offset:344
	buffer_load_dword v167, off, s[0:3], 0 offset:336
	buffer_load_dword v169, off, s[0:3], 0 offset:328
	buffer_load_dword v139, off, s[0:3], 0 offset:320
	buffer_load_dword v170, off, s[0:3], 0 offset:332
	buffer_load_dword v168, off, s[0:3], 0 offset:340
	buffer_load_dword v146, off, s[0:3], 0 offset:348
	s_waitcnt vmcnt(33)
	v_fma_f64 v[129:130], v[143:144], v[131:132], v[129:130]
	s_waitcnt vmcnt(32) lgkmcnt(0)
	v_fma_f64 v[129:130], v[141:142], v[133:134], v[129:130]
	s_waitcnt vmcnt(27)
	v_fma_f64 v[141:142], v[147:148], v[135:136], v[129:130]
	ds_read2_b64 v[129:132], v128 offset0:93 offset1:94
	ds_read2_b64 v[133:136], v128 offset0:95 offset1:96
	s_waitcnt vmcnt(26) lgkmcnt(1)
	v_fma_f64 v[129:130], v[157:158], v[129:130], v[141:142]
	s_clause 0x7
	buffer_load_dword v142, off, s[0:3], 0 offset:356
	buffer_load_dword v143, off, s[0:3], 0 offset:376
	buffer_load_dword v147, off, s[0:3], 0 offset:368
	buffer_load_dword v157, off, s[0:3], 0 offset:360
	buffer_load_dword v141, off, s[0:3], 0 offset:352
	buffer_load_dword v158, off, s[0:3], 0 offset:364
	buffer_load_dword v148, off, s[0:3], 0 offset:372
	buffer_load_dword v144, off, s[0:3], 0 offset:380
	s_waitcnt vmcnt(33)
	v_fma_f64 v[129:130], v[151:152], v[131:132], v[129:130]
	s_waitcnt vmcnt(32) lgkmcnt(0)
	v_fma_f64 v[129:130], v[149:150], v[133:134], v[129:130]
	s_waitcnt vmcnt(27)
	v_fma_f64 v[149:150], v[153:154], v[135:136], v[129:130]
	ds_read2_b64 v[129:132], v128 offset0:97 offset1:98
	ds_read2_b64 v[133:136], v128 offset0:99 offset1:100
	s_waitcnt vmcnt(26) lgkmcnt(1)
	v_fma_f64 v[129:130], v[165:166], v[129:130], v[149:150]
	s_clause 0x7
	buffer_load_dword v150, off, s[0:3], 0 offset:388
	buffer_load_dword v151, off, s[0:3], 0 offset:408
	buffer_load_dword v153, off, s[0:3], 0 offset:400
	buffer_load_dword v165, off, s[0:3], 0 offset:392
	buffer_load_dword v149, off, s[0:3], 0 offset:384
	buffer_load_dword v166, off, s[0:3], 0 offset:396
	buffer_load_dword v154, off, s[0:3], 0 offset:404
	buffer_load_dword v152, off, s[0:3], 0 offset:412
	s_waitcnt vmcnt(33)
	v_fma_f64 v[129:130], v[159:160], v[131:132], v[129:130]
	s_waitcnt vmcnt(32) lgkmcnt(0)
	v_fma_f64 v[129:130], v[155:156], v[133:134], v[129:130]
	s_waitcnt vmcnt(27)
	v_fma_f64 v[137:138], v[137:138], v[135:136], v[129:130]
	ds_read2_b64 v[129:132], v128 offset0:101 offset1:102
	ds_read2_b64 v[133:136], v128 offset0:103 offset1:104
	s_waitcnt vmcnt(26) lgkmcnt(1)
	v_fma_f64 v[129:130], v[171:172], v[129:130], v[137:138]
	s_clause 0x7
	buffer_load_dword v138, off, s[0:3], 0 offset:420
	buffer_load_dword v155, off, s[0:3], 0 offset:440
	buffer_load_dword v159, off, s[0:3], 0 offset:432
	buffer_load_dword v171, off, s[0:3], 0 offset:424
	buffer_load_dword v137, off, s[0:3], 0 offset:416
	buffer_load_dword v172, off, s[0:3], 0 offset:428
	buffer_load_dword v160, off, s[0:3], 0 offset:436
	buffer_load_dword v156, off, s[0:3], 0 offset:444
	s_waitcnt vmcnt(33)
	v_fma_f64 v[129:130], v[163:164], v[131:132], v[129:130]
	s_waitcnt vmcnt(32) lgkmcnt(0)
	v_fma_f64 v[129:130], v[161:162], v[133:134], v[129:130]
	s_waitcnt vmcnt(27)
	v_fma_f64 v[139:140], v[139:140], v[135:136], v[129:130]
	ds_read2_b64 v[129:132], v128 offset0:105 offset1:106
	ds_read2_b64 v[133:136], v128 offset0:107 offset1:108
	s_waitcnt vmcnt(26) lgkmcnt(1)
	v_fma_f64 v[129:130], v[169:170], v[129:130], v[139:140]
	s_clause 0x7
	buffer_load_dword v140, off, s[0:3], 0 offset:452
	buffer_load_dword v161, off, s[0:3], 0 offset:472
	buffer_load_dword v163, off, s[0:3], 0 offset:464
	buffer_load_dword v169, off, s[0:3], 0 offset:456
	buffer_load_dword v139, off, s[0:3], 0 offset:448
	buffer_load_dword v170, off, s[0:3], 0 offset:460
	buffer_load_dword v164, off, s[0:3], 0 offset:468
	buffer_load_dword v162, off, s[0:3], 0 offset:476
	s_waitcnt vmcnt(33)
	v_fma_f64 v[129:130], v[167:168], v[131:132], v[129:130]
	s_waitcnt vmcnt(32) lgkmcnt(0)
	v_fma_f64 v[129:130], v[145:146], v[133:134], v[129:130]
	s_waitcnt vmcnt(27)
	v_fma_f64 v[141:142], v[141:142], v[135:136], v[129:130]
	ds_read2_b64 v[129:132], v128 offset0:109 offset1:110
	ds_read2_b64 v[133:136], v128 offset0:111 offset1:112
	s_waitcnt vmcnt(26) lgkmcnt(1)
	v_fma_f64 v[129:130], v[157:158], v[129:130], v[141:142]
	s_clause 0x5
	buffer_load_dword v142, off, s[0:3], 0 offset:484
	buffer_load_dword v145, off, s[0:3], 0 offset:496
	;; [unrolled: 1-line block ×6, first 2 shown]
	s_waitcnt vmcnt(31)
	v_fma_f64 v[129:130], v[147:148], v[131:132], v[129:130]
	s_waitcnt vmcnt(30) lgkmcnt(0)
	v_fma_f64 v[129:130], v[143:144], v[133:134], v[129:130]
	s_waitcnt vmcnt(25)
	v_fma_f64 v[143:144], v[149:150], v[135:136], v[129:130]
	ds_read2_b64 v[129:132], v128 offset0:113 offset1:114
	s_clause 0x1
	buffer_load_dword v147, off, s[0:3], 0 offset:32
	buffer_load_dword v148, off, s[0:3], 0 offset:36
	ds_read2_b64 v[133:136], v128 offset0:115 offset1:116
	s_waitcnt vmcnt(26) lgkmcnt(1)
	v_fma_f64 v[129:130], v[165:166], v[129:130], v[143:144]
	s_waitcnt vmcnt(25)
	v_fma_f64 v[129:130], v[153:154], v[131:132], v[129:130]
	s_waitcnt vmcnt(24) lgkmcnt(0)
	v_fma_f64 v[129:130], v[151:152], v[133:134], v[129:130]
	s_waitcnt vmcnt(19)
	v_fma_f64 v[137:138], v[137:138], v[135:136], v[129:130]
	ds_read2_b64 v[129:132], v128 offset0:117 offset1:118
	ds_read2_b64 v[133:136], v128 offset0:119 offset1:120
	s_waitcnt vmcnt(18) lgkmcnt(1)
	v_fma_f64 v[129:130], v[171:172], v[129:130], v[137:138]
	s_waitcnt vmcnt(17)
	v_fma_f64 v[129:130], v[159:160], v[131:132], v[129:130]
	s_waitcnt vmcnt(16) lgkmcnt(0)
	v_fma_f64 v[129:130], v[155:156], v[133:134], v[129:130]
	s_waitcnt vmcnt(11)
	v_fma_f64 v[137:138], v[139:140], v[135:136], v[129:130]
	ds_read2_b64 v[129:132], v128 offset0:121 offset1:122
	;; [unrolled: 10-line block ×3, first 2 shown]
	s_waitcnt vmcnt(3) lgkmcnt(0)
	v_fma_f64 v[128:129], v[157:158], v[128:129], v[132:133]
	s_waitcnt vmcnt(2)
	v_fma_f64 v[128:129], v[145:146], v[130:131], v[128:129]
	s_waitcnt vmcnt(0)
	v_add_f64 v[128:129], v[147:148], -v[128:129]
	buffer_store_dword v129, off, s[0:3], 0 offset:36
	buffer_store_dword v128, off, s[0:3], 0 offset:32
	v_cmpx_lt_u32_e32 3, v0
	s_cbranch_execz .LBB62_381
; %bb.380:
	s_clause 0x1
	buffer_load_dword v128, off, s[0:3], 0 offset:24
	buffer_load_dword v129, off, s[0:3], 0 offset:28
	v_mov_b32_e32 v130, 0
	buffer_store_dword v130, off, s[0:3], 0 offset:24
	buffer_store_dword v130, off, s[0:3], 0 offset:28
	s_waitcnt vmcnt(0)
	ds_write_b64 v127, v[128:129]
.LBB62_381:
	s_or_b32 exec_lo, exec_lo, s4
	s_waitcnt lgkmcnt(0)
	s_waitcnt_vscnt null, 0x0
	s_barrier
	buffer_gl0_inv
	s_clause 0x1c
	buffer_load_dword v137, off, s[0:3], 0 offset:32
	buffer_load_dword v138, off, s[0:3], 0 offset:36
	;; [unrolled: 1-line block ×29, first 2 shown]
	v_mov_b32_e32 v128, 0
	buffer_load_dword v162, off, s[0:3], 0 offset:148
	s_mov_b32 s4, exec_lo
	ds_read_b128 v[129:132], v128 offset:544
	ds_read_b128 v[133:136], v128 offset:560
	s_waitcnt vmcnt(28) lgkmcnt(1)
	v_fma_f64 v[129:130], v[137:138], v[129:130], 0
	s_clause 0x7
	buffer_load_dword v138, off, s[0:3], 0 offset:156
	buffer_load_dword v167, off, s[0:3], 0 offset:176
	buffer_load_dword v169, off, s[0:3], 0 offset:168
	buffer_load_dword v171, off, s[0:3], 0 offset:160
	buffer_load_dword v137, off, s[0:3], 0 offset:152
	buffer_load_dword v172, off, s[0:3], 0 offset:164
	buffer_load_dword v170, off, s[0:3], 0 offset:172
	buffer_load_dword v168, off, s[0:3], 0 offset:180
	s_waitcnt vmcnt(34)
	v_fma_f64 v[129:130], v[139:140], v[131:132], v[129:130]
	s_waitcnt vmcnt(32) lgkmcnt(0)
	v_fma_f64 v[129:130], v[141:142], v[133:134], v[129:130]
	s_waitcnt vmcnt(30)
	v_fma_f64 v[139:140], v[143:144], v[135:136], v[129:130]
	ds_read_b128 v[129:132], v128 offset:576
	ds_read_b128 v[133:136], v128 offset:592
	s_waitcnt vmcnt(28) lgkmcnt(1)
	v_fma_f64 v[129:130], v[145:146], v[129:130], v[139:140]
	s_clause 0x7
	buffer_load_dword v140, off, s[0:3], 0 offset:188
	buffer_load_dword v141, off, s[0:3], 0 offset:208
	buffer_load_dword v143, off, s[0:3], 0 offset:200
	buffer_load_dword v145, off, s[0:3], 0 offset:192
	buffer_load_dword v139, off, s[0:3], 0 offset:184
	buffer_load_dword v146, off, s[0:3], 0 offset:196
	buffer_load_dword v144, off, s[0:3], 0 offset:204
	buffer_load_dword v142, off, s[0:3], 0 offset:212
	s_waitcnt vmcnt(34)
	v_fma_f64 v[129:130], v[147:148], v[131:132], v[129:130]
	s_waitcnt vmcnt(32) lgkmcnt(0)
	v_fma_f64 v[129:130], v[149:150], v[133:134], v[129:130]
	s_waitcnt vmcnt(27)
	v_fma_f64 v[147:148], v[151:152], v[135:136], v[129:130]
	;; [unrolled: 19-line block ×11, first 2 shown]
	ds_read_b128 v[129:132], v128 offset:896
	ds_read_b128 v[133:136], v128 offset:912
	s_waitcnt vmcnt(26) lgkmcnt(1)
	v_fma_f64 v[129:130], v[165:166], v[129:130], v[143:144]
	s_clause 0x1
	buffer_load_dword v143, off, s[0:3], 0 offset:24
	buffer_load_dword v144, off, s[0:3], 0 offset:28
	s_waitcnt vmcnt(27)
	v_fma_f64 v[129:130], v[153:154], v[131:132], v[129:130]
	s_waitcnt vmcnt(26) lgkmcnt(0)
	v_fma_f64 v[129:130], v[151:152], v[133:134], v[129:130]
	s_waitcnt vmcnt(21)
	v_fma_f64 v[137:138], v[137:138], v[135:136], v[129:130]
	ds_read_b128 v[129:132], v128 offset:928
	ds_read_b128 v[133:136], v128 offset:944
	s_waitcnt vmcnt(20) lgkmcnt(1)
	v_fma_f64 v[129:130], v[171:172], v[129:130], v[137:138]
	s_waitcnt vmcnt(19)
	v_fma_f64 v[129:130], v[159:160], v[131:132], v[129:130]
	s_waitcnt vmcnt(18) lgkmcnt(0)
	v_fma_f64 v[129:130], v[155:156], v[133:134], v[129:130]
	s_waitcnt vmcnt(13)
	v_fma_f64 v[137:138], v[139:140], v[135:136], v[129:130]
	ds_read_b128 v[129:132], v128 offset:960
	ds_read_b128 v[133:136], v128 offset:976
	s_waitcnt vmcnt(12) lgkmcnt(1)
	v_fma_f64 v[129:130], v[169:170], v[129:130], v[137:138]
	s_waitcnt vmcnt(11)
	v_fma_f64 v[129:130], v[163:164], v[131:132], v[129:130]
	s_waitcnt vmcnt(10) lgkmcnt(0)
	v_fma_f64 v[129:130], v[161:162], v[133:134], v[129:130]
	s_waitcnt vmcnt(5)
	v_fma_f64 v[133:134], v[141:142], v[135:136], v[129:130]
	ds_read_b128 v[129:132], v128 offset:992
	ds_read_b64 v[135:136], v128 offset:1008
	s_waitcnt vmcnt(4) lgkmcnt(1)
	v_fma_f64 v[129:130], v[167:168], v[129:130], v[133:134]
	s_waitcnt vmcnt(3)
	v_fma_f64 v[129:130], v[157:158], v[131:132], v[129:130]
	s_waitcnt vmcnt(2) lgkmcnt(0)
	v_fma_f64 v[129:130], v[145:146], v[135:136], v[129:130]
	s_waitcnt vmcnt(0)
	v_add_f64 v[129:130], v[143:144], -v[129:130]
	buffer_store_dword v130, off, s[0:3], 0 offset:28
	buffer_store_dword v129, off, s[0:3], 0 offset:24
	v_cmpx_lt_u32_e32 2, v0
	s_cbranch_execz .LBB62_383
; %bb.382:
	s_clause 0x1
	buffer_load_dword v129, off, s[0:3], 0 offset:16
	buffer_load_dword v130, off, s[0:3], 0 offset:20
	buffer_store_dword v128, off, s[0:3], 0 offset:16
	buffer_store_dword v128, off, s[0:3], 0 offset:20
	s_waitcnt vmcnt(0)
	ds_write_b64 v127, v[129:130]
.LBB62_383:
	s_or_b32 exec_lo, exec_lo, s4
	s_waitcnt lgkmcnt(0)
	s_waitcnt_vscnt null, 0x0
	s_barrier
	buffer_gl0_inv
	s_clause 0x1c
	buffer_load_dword v137, off, s[0:3], 0 offset:24
	buffer_load_dword v138, off, s[0:3], 0 offset:28
	;; [unrolled: 1-line block ×29, first 2 shown]
	ds_read2_b64 v[129:132], v128 offset0:67 offset1:68
	ds_read2_b64 v[133:136], v128 offset0:69 offset1:70
	buffer_load_dword v162, off, s[0:3], 0 offset:140
	s_mov_b32 s4, exec_lo
	s_waitcnt vmcnt(28) lgkmcnt(1)
	v_fma_f64 v[129:130], v[137:138], v[129:130], 0
	s_clause 0x7
	buffer_load_dword v138, off, s[0:3], 0 offset:148
	buffer_load_dword v167, off, s[0:3], 0 offset:168
	buffer_load_dword v169, off, s[0:3], 0 offset:160
	buffer_load_dword v171, off, s[0:3], 0 offset:152
	buffer_load_dword v137, off, s[0:3], 0 offset:144
	buffer_load_dword v172, off, s[0:3], 0 offset:156
	buffer_load_dword v170, off, s[0:3], 0 offset:164
	buffer_load_dword v168, off, s[0:3], 0 offset:172
	s_waitcnt vmcnt(34)
	v_fma_f64 v[129:130], v[139:140], v[131:132], v[129:130]
	s_waitcnt vmcnt(32) lgkmcnt(0)
	v_fma_f64 v[129:130], v[141:142], v[133:134], v[129:130]
	s_waitcnt vmcnt(30)
	v_fma_f64 v[139:140], v[143:144], v[135:136], v[129:130]
	ds_read2_b64 v[129:132], v128 offset0:71 offset1:72
	ds_read2_b64 v[133:136], v128 offset0:73 offset1:74
	s_waitcnt vmcnt(28) lgkmcnt(1)
	v_fma_f64 v[129:130], v[145:146], v[129:130], v[139:140]
	s_clause 0x7
	buffer_load_dword v140, off, s[0:3], 0 offset:180
	buffer_load_dword v141, off, s[0:3], 0 offset:200
	buffer_load_dword v143, off, s[0:3], 0 offset:192
	buffer_load_dword v145, off, s[0:3], 0 offset:184
	buffer_load_dword v139, off, s[0:3], 0 offset:176
	buffer_load_dword v146, off, s[0:3], 0 offset:188
	buffer_load_dword v144, off, s[0:3], 0 offset:196
	buffer_load_dword v142, off, s[0:3], 0 offset:204
	s_waitcnt vmcnt(34)
	v_fma_f64 v[129:130], v[147:148], v[131:132], v[129:130]
	s_waitcnt vmcnt(32) lgkmcnt(0)
	v_fma_f64 v[129:130], v[149:150], v[133:134], v[129:130]
	s_waitcnt vmcnt(27)
	v_fma_f64 v[147:148], v[151:152], v[135:136], v[129:130]
	ds_read2_b64 v[129:132], v128 offset0:75 offset1:76
	ds_read2_b64 v[133:136], v128 offset0:77 offset1:78
	;; [unrolled: 19-line block ×11, first 2 shown]
	s_waitcnt vmcnt(26) lgkmcnt(1)
	v_fma_f64 v[129:130], v[165:166], v[129:130], v[143:144]
	s_clause 0x3
	buffer_load_dword v144, off, s[0:3], 0 offset:500
	buffer_load_dword v143, off, s[0:3], 0 offset:496
	;; [unrolled: 1-line block ×4, first 2 shown]
	s_waitcnt vmcnt(29)
	v_fma_f64 v[129:130], v[153:154], v[131:132], v[129:130]
	s_waitcnt vmcnt(28) lgkmcnt(0)
	v_fma_f64 v[129:130], v[151:152], v[133:134], v[129:130]
	s_waitcnt vmcnt(23)
	v_fma_f64 v[137:138], v[137:138], v[135:136], v[129:130]
	ds_read2_b64 v[129:132], v128 offset0:115 offset1:116
	ds_read2_b64 v[133:136], v128 offset0:117 offset1:118
	s_waitcnt vmcnt(22) lgkmcnt(1)
	v_fma_f64 v[129:130], v[171:172], v[129:130], v[137:138]
	s_waitcnt vmcnt(21)
	v_fma_f64 v[129:130], v[159:160], v[131:132], v[129:130]
	s_waitcnt vmcnt(20) lgkmcnt(0)
	v_fma_f64 v[129:130], v[155:156], v[133:134], v[129:130]
	s_waitcnt vmcnt(15)
	v_fma_f64 v[137:138], v[139:140], v[135:136], v[129:130]
	ds_read2_b64 v[129:132], v128 offset0:119 offset1:120
	ds_read2_b64 v[133:136], v128 offset0:121 offset1:122
	s_waitcnt vmcnt(14) lgkmcnt(1)
	v_fma_f64 v[129:130], v[169:170], v[129:130], v[137:138]
	;; [unrolled: 10-line block ×3, first 2 shown]
	s_waitcnt vmcnt(5)
	v_fma_f64 v[128:129], v[157:158], v[131:132], v[128:129]
	s_waitcnt vmcnt(4) lgkmcnt(0)
	v_fma_f64 v[128:129], v[145:146], v[133:134], v[128:129]
	s_waitcnt vmcnt(2)
	v_fma_f64 v[128:129], v[143:144], v[135:136], v[128:129]
	s_waitcnt vmcnt(0)
	v_add_f64 v[128:129], v[147:148], -v[128:129]
	buffer_store_dword v129, off, s[0:3], 0 offset:20
	buffer_store_dword v128, off, s[0:3], 0 offset:16
	v_cmpx_lt_u32_e32 1, v0
	s_cbranch_execz .LBB62_385
; %bb.384:
	s_clause 0x1
	buffer_load_dword v128, off, s[0:3], 0 offset:8
	buffer_load_dword v129, off, s[0:3], 0 offset:12
	v_mov_b32_e32 v130, 0
	buffer_store_dword v130, off, s[0:3], 0 offset:8
	buffer_store_dword v130, off, s[0:3], 0 offset:12
	s_waitcnt vmcnt(0)
	ds_write_b64 v127, v[128:129]
.LBB62_385:
	s_or_b32 exec_lo, exec_lo, s4
	s_waitcnt lgkmcnt(0)
	s_waitcnt_vscnt null, 0x0
	s_barrier
	buffer_gl0_inv
	s_clause 0x1c
	buffer_load_dword v137, off, s[0:3], 0 offset:16
	buffer_load_dword v138, off, s[0:3], 0 offset:20
	;; [unrolled: 1-line block ×29, first 2 shown]
	v_mov_b32_e32 v128, 0
	buffer_load_dword v162, off, s[0:3], 0 offset:132
	s_mov_b32 s4, exec_lo
	ds_read_b128 v[129:132], v128 offset:528
	ds_read_b128 v[133:136], v128 offset:544
	s_waitcnt vmcnt(28) lgkmcnt(1)
	v_fma_f64 v[129:130], v[137:138], v[129:130], 0
	s_clause 0x7
	buffer_load_dword v138, off, s[0:3], 0 offset:140
	buffer_load_dword v167, off, s[0:3], 0 offset:160
	buffer_load_dword v169, off, s[0:3], 0 offset:152
	buffer_load_dword v171, off, s[0:3], 0 offset:144
	buffer_load_dword v137, off, s[0:3], 0 offset:136
	buffer_load_dword v172, off, s[0:3], 0 offset:148
	buffer_load_dword v170, off, s[0:3], 0 offset:156
	buffer_load_dword v168, off, s[0:3], 0 offset:164
	s_waitcnt vmcnt(34)
	v_fma_f64 v[129:130], v[139:140], v[131:132], v[129:130]
	s_waitcnt vmcnt(32) lgkmcnt(0)
	v_fma_f64 v[129:130], v[141:142], v[133:134], v[129:130]
	s_waitcnt vmcnt(30)
	v_fma_f64 v[139:140], v[143:144], v[135:136], v[129:130]
	ds_read_b128 v[129:132], v128 offset:560
	ds_read_b128 v[133:136], v128 offset:576
	s_waitcnt vmcnt(28) lgkmcnt(1)
	v_fma_f64 v[129:130], v[145:146], v[129:130], v[139:140]
	s_clause 0x7
	buffer_load_dword v140, off, s[0:3], 0 offset:172
	buffer_load_dword v141, off, s[0:3], 0 offset:192
	buffer_load_dword v143, off, s[0:3], 0 offset:184
	buffer_load_dword v145, off, s[0:3], 0 offset:176
	buffer_load_dword v139, off, s[0:3], 0 offset:168
	buffer_load_dword v146, off, s[0:3], 0 offset:180
	buffer_load_dword v144, off, s[0:3], 0 offset:188
	buffer_load_dword v142, off, s[0:3], 0 offset:196
	s_waitcnt vmcnt(34)
	v_fma_f64 v[129:130], v[147:148], v[131:132], v[129:130]
	s_waitcnt vmcnt(32) lgkmcnt(0)
	v_fma_f64 v[129:130], v[149:150], v[133:134], v[129:130]
	s_waitcnt vmcnt(27)
	v_fma_f64 v[147:148], v[151:152], v[135:136], v[129:130]
	;; [unrolled: 19-line block ×11, first 2 shown]
	ds_read_b128 v[129:132], v128 offset:880
	ds_read_b128 v[133:136], v128 offset:896
	s_waitcnt vmcnt(26) lgkmcnt(1)
	v_fma_f64 v[129:130], v[165:166], v[129:130], v[143:144]
	s_clause 0x5
	buffer_load_dword v144, off, s[0:3], 0 offset:492
	buffer_load_dword v147, off, s[0:3], 0 offset:496
	;; [unrolled: 1-line block ×6, first 2 shown]
	s_waitcnt vmcnt(31)
	v_fma_f64 v[129:130], v[153:154], v[131:132], v[129:130]
	s_waitcnt vmcnt(30) lgkmcnt(0)
	v_fma_f64 v[129:130], v[151:152], v[133:134], v[129:130]
	s_waitcnt vmcnt(25)
	v_fma_f64 v[137:138], v[137:138], v[135:136], v[129:130]
	ds_read_b128 v[129:132], v128 offset:912
	ds_read_b128 v[133:136], v128 offset:928
	s_waitcnt vmcnt(24) lgkmcnt(1)
	v_fma_f64 v[129:130], v[171:172], v[129:130], v[137:138]
	s_waitcnt vmcnt(23)
	v_fma_f64 v[129:130], v[159:160], v[131:132], v[129:130]
	s_waitcnt vmcnt(22) lgkmcnt(0)
	v_fma_f64 v[129:130], v[155:156], v[133:134], v[129:130]
	s_waitcnt vmcnt(17)
	v_fma_f64 v[137:138], v[139:140], v[135:136], v[129:130]
	ds_read_b128 v[129:132], v128 offset:944
	ds_read_b128 v[133:136], v128 offset:960
	s_waitcnt vmcnt(16) lgkmcnt(1)
	v_fma_f64 v[129:130], v[169:170], v[129:130], v[137:138]
	;; [unrolled: 10-line block ×3, first 2 shown]
	s_waitcnt vmcnt(7)
	v_fma_f64 v[129:130], v[157:158], v[131:132], v[129:130]
	ds_read_b64 v[131:132], v128 offset:1008
	s_waitcnt vmcnt(6) lgkmcnt(1)
	v_fma_f64 v[129:130], v[145:146], v[133:134], v[129:130]
	s_waitcnt vmcnt(3)
	v_fma_f64 v[129:130], v[143:144], v[135:136], v[129:130]
	s_waitcnt vmcnt(2) lgkmcnt(0)
	v_fma_f64 v[129:130], v[147:148], v[131:132], v[129:130]
	s_waitcnt vmcnt(0)
	v_add_f64 v[129:130], v[149:150], -v[129:130]
	buffer_store_dword v130, off, s[0:3], 0 offset:12
	buffer_store_dword v129, off, s[0:3], 0 offset:8
	v_cmpx_ne_u32_e32 0, v0
	s_cbranch_execz .LBB62_387
; %bb.386:
	s_clause 0x1
	buffer_load_dword v129, off, s[0:3], 0
	buffer_load_dword v130, off, s[0:3], 0 offset:4
	buffer_store_dword v128, off, s[0:3], 0
	buffer_store_dword v128, off, s[0:3], 0 offset:4
	s_waitcnt vmcnt(0)
	ds_write_b64 v127, v[129:130]
.LBB62_387:
	s_or_b32 exec_lo, exec_lo, s4
	s_waitcnt lgkmcnt(0)
	s_waitcnt_vscnt null, 0x0
	s_barrier
	buffer_gl0_inv
	s_clause 0x1c
	buffer_load_dword v137, off, s[0:3], 0 offset:8
	buffer_load_dword v138, off, s[0:3], 0 offset:12
	buffer_load_dword v139, off, s[0:3], 0 offset:16
	buffer_load_dword v140, off, s[0:3], 0 offset:20
	buffer_load_dword v141, off, s[0:3], 0 offset:24
	buffer_load_dword v142, off, s[0:3], 0 offset:28
	buffer_load_dword v143, off, s[0:3], 0 offset:32
	buffer_load_dword v144, off, s[0:3], 0 offset:36
	buffer_load_dword v145, off, s[0:3], 0 offset:40
	buffer_load_dword v146, off, s[0:3], 0 offset:44
	buffer_load_dword v147, off, s[0:3], 0 offset:48
	buffer_load_dword v148, off, s[0:3], 0 offset:52
	buffer_load_dword v149, off, s[0:3], 0 offset:56
	buffer_load_dword v150, off, s[0:3], 0 offset:60
	buffer_load_dword v152, off, s[0:3], 0 offset:68
	buffer_load_dword v153, off, s[0:3], 0 offset:88
	buffer_load_dword v155, off, s[0:3], 0 offset:80
	buffer_load_dword v157, off, s[0:3], 0 offset:72
	buffer_load_dword v151, off, s[0:3], 0 offset:64
	buffer_load_dword v158, off, s[0:3], 0 offset:76
	buffer_load_dword v156, off, s[0:3], 0 offset:84
	buffer_load_dword v154, off, s[0:3], 0 offset:92
	buffer_load_dword v160, off, s[0:3], 0 offset:100
	buffer_load_dword v161, off, s[0:3], 0 offset:120
	buffer_load_dword v163, off, s[0:3], 0 offset:112
	buffer_load_dword v165, off, s[0:3], 0 offset:104
	buffer_load_dword v159, off, s[0:3], 0 offset:96
	buffer_load_dword v166, off, s[0:3], 0 offset:108
	buffer_load_dword v164, off, s[0:3], 0 offset:116
	ds_read2_b64 v[129:132], v128 offset0:65 offset1:66
	ds_read2_b64 v[133:136], v128 offset0:67 offset1:68
	buffer_load_dword v162, off, s[0:3], 0 offset:124
	s_and_b32 vcc_lo, exec_lo, s22
	s_waitcnt vmcnt(28) lgkmcnt(1)
	v_fma_f64 v[129:130], v[137:138], v[129:130], 0
	s_clause 0x7
	buffer_load_dword v138, off, s[0:3], 0 offset:132
	buffer_load_dword v167, off, s[0:3], 0 offset:152
	buffer_load_dword v169, off, s[0:3], 0 offset:144
	buffer_load_dword v171, off, s[0:3], 0 offset:136
	buffer_load_dword v137, off, s[0:3], 0 offset:128
	buffer_load_dword v172, off, s[0:3], 0 offset:140
	buffer_load_dword v170, off, s[0:3], 0 offset:148
	buffer_load_dword v168, off, s[0:3], 0 offset:156
	s_waitcnt vmcnt(34)
	v_fma_f64 v[129:130], v[139:140], v[131:132], v[129:130]
	s_waitcnt vmcnt(32) lgkmcnt(0)
	v_fma_f64 v[129:130], v[141:142], v[133:134], v[129:130]
	s_waitcnt vmcnt(30)
	v_fma_f64 v[139:140], v[143:144], v[135:136], v[129:130]
	ds_read2_b64 v[129:132], v128 offset0:69 offset1:70
	ds_read2_b64 v[133:136], v128 offset0:71 offset1:72
	s_waitcnt vmcnt(28) lgkmcnt(1)
	v_fma_f64 v[129:130], v[145:146], v[129:130], v[139:140]
	s_clause 0x7
	buffer_load_dword v140, off, s[0:3], 0 offset:164
	buffer_load_dword v141, off, s[0:3], 0 offset:184
	buffer_load_dword v143, off, s[0:3], 0 offset:176
	buffer_load_dword v145, off, s[0:3], 0 offset:168
	buffer_load_dword v139, off, s[0:3], 0 offset:160
	buffer_load_dword v146, off, s[0:3], 0 offset:172
	buffer_load_dword v144, off, s[0:3], 0 offset:180
	buffer_load_dword v142, off, s[0:3], 0 offset:188
	s_waitcnt vmcnt(34)
	v_fma_f64 v[129:130], v[147:148], v[131:132], v[129:130]
	s_waitcnt vmcnt(32) lgkmcnt(0)
	v_fma_f64 v[129:130], v[149:150], v[133:134], v[129:130]
	s_waitcnt vmcnt(27)
	v_fma_f64 v[147:148], v[151:152], v[135:136], v[129:130]
	ds_read2_b64 v[129:132], v128 offset0:73 offset1:74
	ds_read2_b64 v[133:136], v128 offset0:75 offset1:76
	;; [unrolled: 19-line block ×11, first 2 shown]
	s_waitcnt vmcnt(26) lgkmcnt(1)
	v_fma_f64 v[143:144], v[165:166], v[129:130], v[143:144]
	s_clause 0x5
	buffer_load_dword v148, off, s[0:3], 0 offset:484
	buffer_load_dword v149, off, s[0:3], 0 offset:496
	;; [unrolled: 1-line block ×6, first 2 shown]
	s_waitcnt vmcnt(31)
	v_fma_f64 v[131:132], v[153:154], v[131:132], v[143:144]
	s_waitcnt vmcnt(30) lgkmcnt(0)
	v_fma_f64 v[131:132], v[151:152], v[133:134], v[131:132]
	s_waitcnt vmcnt(25)
	v_fma_f64 v[143:144], v[137:138], v[135:136], v[131:132]
	ds_read2_b64 v[131:134], v128 offset0:113 offset1:114
	s_clause 0x1
	buffer_load_dword v151, off, s[0:3], 0
	buffer_load_dword v152, off, s[0:3], 0 offset:4
	ds_read2_b64 v[135:138], v128 offset0:115 offset1:116
	s_waitcnt vmcnt(26) lgkmcnt(1)
	v_fma_f64 v[131:132], v[171:172], v[131:132], v[143:144]
	s_waitcnt vmcnt(25)
	v_fma_f64 v[131:132], v[159:160], v[133:134], v[131:132]
	s_waitcnt vmcnt(24) lgkmcnt(0)
	v_fma_f64 v[131:132], v[155:156], v[135:136], v[131:132]
	s_waitcnt vmcnt(19)
	v_fma_f64 v[139:140], v[139:140], v[137:138], v[131:132]
	ds_read2_b64 v[131:134], v128 offset0:117 offset1:118
	ds_read2_b64 v[135:138], v128 offset0:119 offset1:120
	s_waitcnt vmcnt(18) lgkmcnt(1)
	v_fma_f64 v[131:132], v[169:170], v[131:132], v[139:140]
	s_waitcnt vmcnt(17)
	v_fma_f64 v[131:132], v[163:164], v[133:134], v[131:132]
	s_waitcnt vmcnt(16) lgkmcnt(0)
	v_fma_f64 v[131:132], v[161:162], v[135:136], v[131:132]
	s_waitcnt vmcnt(11)
	v_fma_f64 v[139:140], v[141:142], v[137:138], v[131:132]
	ds_read2_b64 v[131:134], v128 offset0:121 offset1:122
	;; [unrolled: 10-line block ×3, first 2 shown]
	s_waitcnt vmcnt(3) lgkmcnt(0)
	v_fma_f64 v[127:128], v[129:130], v[131:132], v[135:136]
	s_waitcnt vmcnt(2)
	v_fma_f64 v[127:128], v[149:150], v[133:134], v[127:128]
	s_waitcnt vmcnt(0)
	v_add_f64 v[127:128], v[151:152], -v[127:128]
	buffer_store_dword v128, off, s[0:3], 0 offset:4
	buffer_store_dword v127, off, s[0:3], 0
	s_cbranch_vccz .LBB62_512
; %bb.388:
	v_mov_b32_e32 v0, 0
	global_load_dword v127, v0, s[20:21] offset:244
	s_waitcnt vmcnt(0)
	v_add_nc_u32_e32 v127, -1, v127
	v_cmp_ne_u32_e32 vcc_lo, 61, v127
	s_cbranch_vccz .LBB62_390
; %bb.389:
	v_lshlrev_b32_e32 v127, 3, v127
	s_clause 0x1
	buffer_load_dword v128, v127, s[0:3], 0 offen
	buffer_load_dword v131, v127, s[0:3], 0 offen offset:4
	s_waitcnt vmcnt(1)
	buffer_store_dword v128, off, s[0:3], 0 offset:488
	s_waitcnt vmcnt(0)
	buffer_store_dword v131, off, s[0:3], 0 offset:492
	buffer_store_dword v129, v127, s[0:3], 0 offen
	buffer_store_dword v130, v127, s[0:3], 0 offen offset:4
.LBB62_390:
	global_load_dword v0, v0, s[20:21] offset:240
	s_waitcnt vmcnt(0)
	v_add_nc_u32_e32 v0, -1, v0
	v_cmp_eq_u32_e32 vcc_lo, 60, v0
	s_cbranch_vccnz .LBB62_392
; %bb.391:
	v_lshlrev_b32_e32 v0, 3, v0
	s_clause 0x3
	buffer_load_dword v127, v0, s[0:3], 0 offen
	buffer_load_dword v128, v0, s[0:3], 0 offen offset:4
	buffer_load_dword v129, off, s[0:3], 0 offset:484
	buffer_load_dword v130, off, s[0:3], 0 offset:480
	s_waitcnt vmcnt(3)
	buffer_store_dword v127, off, s[0:3], 0 offset:480
	s_waitcnt vmcnt(2)
	buffer_store_dword v128, off, s[0:3], 0 offset:484
	s_waitcnt vmcnt(1)
	buffer_store_dword v129, v0, s[0:3], 0 offen offset:4
	s_waitcnt vmcnt(0)
	buffer_store_dword v130, v0, s[0:3], 0 offen
.LBB62_392:
	v_mov_b32_e32 v0, 0
	global_load_dword v127, v0, s[20:21] offset:236
	s_waitcnt vmcnt(0)
	v_add_nc_u32_e32 v127, -1, v127
	v_cmp_eq_u32_e32 vcc_lo, 59, v127
	s_cbranch_vccnz .LBB62_394
; %bb.393:
	v_lshlrev_b32_e32 v127, 3, v127
	s_clause 0x3
	buffer_load_dword v128, v127, s[0:3], 0 offen
	buffer_load_dword v129, v127, s[0:3], 0 offen offset:4
	buffer_load_dword v130, off, s[0:3], 0 offset:472
	buffer_load_dword v131, off, s[0:3], 0 offset:476
	s_waitcnt vmcnt(3)
	buffer_store_dword v128, off, s[0:3], 0 offset:472
	s_waitcnt vmcnt(2)
	buffer_store_dword v129, off, s[0:3], 0 offset:476
	s_waitcnt vmcnt(1)
	buffer_store_dword v130, v127, s[0:3], 0 offen
	s_waitcnt vmcnt(0)
	buffer_store_dword v131, v127, s[0:3], 0 offen offset:4
.LBB62_394:
	global_load_dword v0, v0, s[20:21] offset:232
	s_waitcnt vmcnt(0)
	v_add_nc_u32_e32 v0, -1, v0
	v_cmp_eq_u32_e32 vcc_lo, 58, v0
	s_cbranch_vccnz .LBB62_396
; %bb.395:
	v_lshlrev_b32_e32 v0, 3, v0
	s_clause 0x3
	buffer_load_dword v127, v0, s[0:3], 0 offen
	buffer_load_dword v128, v0, s[0:3], 0 offen offset:4
	buffer_load_dword v129, off, s[0:3], 0 offset:468
	buffer_load_dword v130, off, s[0:3], 0 offset:464
	s_waitcnt vmcnt(3)
	buffer_store_dword v127, off, s[0:3], 0 offset:464
	s_waitcnt vmcnt(2)
	buffer_store_dword v128, off, s[0:3], 0 offset:468
	s_waitcnt vmcnt(1)
	buffer_store_dword v129, v0, s[0:3], 0 offen offset:4
	s_waitcnt vmcnt(0)
	buffer_store_dword v130, v0, s[0:3], 0 offen
.LBB62_396:
	v_mov_b32_e32 v0, 0
	global_load_dword v127, v0, s[20:21] offset:228
	s_waitcnt vmcnt(0)
	v_add_nc_u32_e32 v127, -1, v127
	v_cmp_eq_u32_e32 vcc_lo, 57, v127
	s_cbranch_vccnz .LBB62_398
; %bb.397:
	v_lshlrev_b32_e32 v127, 3, v127
	s_clause 0x3
	buffer_load_dword v128, v127, s[0:3], 0 offen
	buffer_load_dword v129, v127, s[0:3], 0 offen offset:4
	buffer_load_dword v130, off, s[0:3], 0 offset:456
	buffer_load_dword v131, off, s[0:3], 0 offset:460
	s_waitcnt vmcnt(3)
	buffer_store_dword v128, off, s[0:3], 0 offset:456
	s_waitcnt vmcnt(2)
	buffer_store_dword v129, off, s[0:3], 0 offset:460
	s_waitcnt vmcnt(1)
	buffer_store_dword v130, v127, s[0:3], 0 offen
	s_waitcnt vmcnt(0)
	buffer_store_dword v131, v127, s[0:3], 0 offen offset:4
.LBB62_398:
	;; [unrolled: 43-line block ×30, first 2 shown]
	global_load_dword v0, v0, s[20:21]
	s_clause 0x1
	buffer_load_dword v127, off, s[0:3], 0
	buffer_load_dword v128, off, s[0:3], 0 offset:4
	s_waitcnt vmcnt(2)
	v_add_nc_u32_e32 v0, -1, v0
	v_cmp_eq_u32_e32 vcc_lo, 0, v0
	s_cbranch_vccnz .LBB62_512
; %bb.511:
	v_lshlrev_b32_e32 v0, 3, v0
	s_clause 0x1
	buffer_load_dword v129, v0, s[0:3], 0 offen offset:4
	buffer_load_dword v130, v0, s[0:3], 0 offen
	s_waitcnt vmcnt(1)
	buffer_store_dword v129, off, s[0:3], 0 offset:4
	s_waitcnt vmcnt(0)
	buffer_store_dword v130, off, s[0:3], 0
	buffer_store_dword v128, v0, s[0:3], 0 offen offset:4
	buffer_store_dword v127, v0, s[0:3], 0 offen
	s_clause 0x1
	buffer_load_dword v127, off, s[0:3], 0
	buffer_load_dword v128, off, s[0:3], 0 offset:4
.LBB62_512:
	s_clause 0x1d
	buffer_load_dword v129, off, s[0:3], 0 offset:8
	buffer_load_dword v130, off, s[0:3], 0 offset:12
	;; [unrolled: 1-line block ×30, first 2 shown]
	s_waitcnt vmcnt(30)
	global_store_dwordx2 v[67:68], v[127:128], off
	s_clause 0x21
	buffer_load_dword v67, off, s[0:3], 0 offset:128
	buffer_load_dword v68, off, s[0:3], 0 offset:132
	;; [unrolled: 1-line block ×34, first 2 shown]
	s_waitcnt vmcnt(62)
	global_store_dwordx2 v[53:54], v[129:130], off
	s_waitcnt vmcnt(60)
	global_store_dwordx2 v[3:4], v[131:132], off
	s_clause 0x7
	buffer_load_dword v3, off, s[0:3], 0 offset:264
	buffer_load_dword v4, off, s[0:3], 0 offset:268
	;; [unrolled: 1-line block ×8, first 2 shown]
	s_waitcnt vmcnt(62)
	global_store_dwordx2 v[1:2], v[133:134], off
	global_store_dwordx2 v[7:8], v[135:136], off
	s_clause 0x7
	buffer_load_dword v0, off, s[0:3], 0 offset:296
	buffer_load_dword v1, off, s[0:3], 0 offset:300
	;; [unrolled: 1-line block ×8, first 2 shown]
	global_store_dwordx2 v[5:6], v[137:138], off
	s_waitcnt vmcnt(62)
	global_store_dwordx2 v[11:12], v[139:140], off
	s_clause 0x7
	buffer_load_dword v5, off, s[0:3], 0 offset:328
	buffer_load_dword v6, off, s[0:3], 0 offset:332
	;; [unrolled: 1-line block ×8, first 2 shown]
	global_store_dwordx2 v[9:10], v[141:142], off
	global_store_dwordx2 v[15:16], v[143:144], off
	s_clause 0x7
	buffer_load_dword v9, off, s[0:3], 0 offset:360
	buffer_load_dword v10, off, s[0:3], 0 offset:364
	;; [unrolled: 1-line block ×8, first 2 shown]
	global_store_dwordx2 v[13:14], v[145:146], off
	s_waitcnt vmcnt(62)
	global_store_dwordx2 v[19:20], v[147:148], off
	s_clause 0x7
	buffer_load_dword v13, off, s[0:3], 0 offset:392
	buffer_load_dword v14, off, s[0:3], 0 offset:396
	buffer_load_dword v19, off, s[0:3], 0 offset:400
	buffer_load_dword v20, off, s[0:3], 0 offset:404
	buffer_load_dword v145, off, s[0:3], 0 offset:408
	buffer_load_dword v146, off, s[0:3], 0 offset:412
	buffer_load_dword v147, off, s[0:3], 0 offset:416
	buffer_load_dword v148, off, s[0:3], 0 offset:420
	global_store_dwordx2 v[17:18], v[149:150], off
	global_store_dwordx2 v[23:24], v[151:152], off
	s_clause 0x7
	buffer_load_dword v17, off, s[0:3], 0 offset:424
	buffer_load_dword v18, off, s[0:3], 0 offset:428
	buffer_load_dword v23, off, s[0:3], 0 offset:432
	buffer_load_dword v24, off, s[0:3], 0 offset:436
	buffer_load_dword v149, off, s[0:3], 0 offset:440
	buffer_load_dword v150, off, s[0:3], 0 offset:444
	buffer_load_dword v151, off, s[0:3], 0 offset:448
	buffer_load_dword v152, off, s[0:3], 0 offset:452
	global_store_dwordx2 v[21:22], v[153:154], off
	global_store_dwordx2 v[29:30], v[155:156], off
	s_clause 0x7
	buffer_load_dword v21, off, s[0:3], 0 offset:456
	buffer_load_dword v22, off, s[0:3], 0 offset:460
	buffer_load_dword v29, off, s[0:3], 0 offset:464
	buffer_load_dword v30, off, s[0:3], 0 offset:468
	buffer_load_dword v153, off, s[0:3], 0 offset:472
	buffer_load_dword v154, off, s[0:3], 0 offset:476
	buffer_load_dword v155, off, s[0:3], 0 offset:480
	buffer_load_dword v156, off, s[0:3], 0 offset:484
	global_store_dwordx2 v[25:26], v[157:158], off
	s_clause 0x3
	buffer_load_dword v25, off, s[0:3], 0 offset:488
	buffer_load_dword v26, off, s[0:3], 0 offset:492
	;; [unrolled: 1-line block ×4, first 2 shown]
	global_store_dwordx2 v[27:28], v[67:68], off
	global_store_dwordx2 v[31:32], v[127:128], off
	s_waitcnt vmcnt(62)
	global_store_dwordx2 v[33:34], v[159:160], off
	global_store_dwordx2 v[35:36], v[161:162], off
	;; [unrolled: 1-line block ×14, first 2 shown]
	s_waitcnt vmcnt(60)
	global_store_dwordx2 v[63:64], v[187:188], off
	s_waitcnt vmcnt(58)
	global_store_dwordx2 v[65:66], v[3:4], off
	;; [unrolled: 2-line block ×31, first 2 shown]
	s_endpgm
	.section	.rodata,"a",@progbits
	.p2align	6, 0x0
	.amdhsa_kernel _ZN9rocsolver6v33100L18getri_kernel_smallILi63EdPdEEvT1_iilPiilS4_bb
		.amdhsa_group_segment_fixed_size 1016
		.amdhsa_private_segment_fixed_size 512
		.amdhsa_kernarg_size 60
		.amdhsa_user_sgpr_count 6
		.amdhsa_user_sgpr_private_segment_buffer 1
		.amdhsa_user_sgpr_dispatch_ptr 0
		.amdhsa_user_sgpr_queue_ptr 0
		.amdhsa_user_sgpr_kernarg_segment_ptr 1
		.amdhsa_user_sgpr_dispatch_id 0
		.amdhsa_user_sgpr_flat_scratch_init 0
		.amdhsa_user_sgpr_private_segment_size 0
		.amdhsa_wavefront_size32 1
		.amdhsa_uses_dynamic_stack 0
		.amdhsa_system_sgpr_private_segment_wavefront_offset 1
		.amdhsa_system_sgpr_workgroup_id_x 1
		.amdhsa_system_sgpr_workgroup_id_y 0
		.amdhsa_system_sgpr_workgroup_id_z 0
		.amdhsa_system_sgpr_workgroup_info 0
		.amdhsa_system_vgpr_workitem_id 0
		.amdhsa_next_free_vgpr 189
		.amdhsa_next_free_sgpr 23
		.amdhsa_reserve_vcc 1
		.amdhsa_reserve_flat_scratch 0
		.amdhsa_float_round_mode_32 0
		.amdhsa_float_round_mode_16_64 0
		.amdhsa_float_denorm_mode_32 3
		.amdhsa_float_denorm_mode_16_64 3
		.amdhsa_dx10_clamp 1
		.amdhsa_ieee_mode 1
		.amdhsa_fp16_overflow 0
		.amdhsa_workgroup_processor_mode 1
		.amdhsa_memory_ordered 1
		.amdhsa_forward_progress 1
		.amdhsa_shared_vgpr_count 0
		.amdhsa_exception_fp_ieee_invalid_op 0
		.amdhsa_exception_fp_denorm_src 0
		.amdhsa_exception_fp_ieee_div_zero 0
		.amdhsa_exception_fp_ieee_overflow 0
		.amdhsa_exception_fp_ieee_underflow 0
		.amdhsa_exception_fp_ieee_inexact 0
		.amdhsa_exception_int_div_zero 0
	.end_amdhsa_kernel
	.section	.text._ZN9rocsolver6v33100L18getri_kernel_smallILi63EdPdEEvT1_iilPiilS4_bb,"axG",@progbits,_ZN9rocsolver6v33100L18getri_kernel_smallILi63EdPdEEvT1_iilPiilS4_bb,comdat
.Lfunc_end62:
	.size	_ZN9rocsolver6v33100L18getri_kernel_smallILi63EdPdEEvT1_iilPiilS4_bb, .Lfunc_end62-_ZN9rocsolver6v33100L18getri_kernel_smallILi63EdPdEEvT1_iilPiilS4_bb
                                        ; -- End function
	.set _ZN9rocsolver6v33100L18getri_kernel_smallILi63EdPdEEvT1_iilPiilS4_bb.num_vgpr, 189
	.set _ZN9rocsolver6v33100L18getri_kernel_smallILi63EdPdEEvT1_iilPiilS4_bb.num_agpr, 0
	.set _ZN9rocsolver6v33100L18getri_kernel_smallILi63EdPdEEvT1_iilPiilS4_bb.numbered_sgpr, 23
	.set _ZN9rocsolver6v33100L18getri_kernel_smallILi63EdPdEEvT1_iilPiilS4_bb.num_named_barrier, 0
	.set _ZN9rocsolver6v33100L18getri_kernel_smallILi63EdPdEEvT1_iilPiilS4_bb.private_seg_size, 512
	.set _ZN9rocsolver6v33100L18getri_kernel_smallILi63EdPdEEvT1_iilPiilS4_bb.uses_vcc, 1
	.set _ZN9rocsolver6v33100L18getri_kernel_smallILi63EdPdEEvT1_iilPiilS4_bb.uses_flat_scratch, 0
	.set _ZN9rocsolver6v33100L18getri_kernel_smallILi63EdPdEEvT1_iilPiilS4_bb.has_dyn_sized_stack, 0
	.set _ZN9rocsolver6v33100L18getri_kernel_smallILi63EdPdEEvT1_iilPiilS4_bb.has_recursion, 0
	.set _ZN9rocsolver6v33100L18getri_kernel_smallILi63EdPdEEvT1_iilPiilS4_bb.has_indirect_call, 0
	.section	.AMDGPU.csdata,"",@progbits
; Kernel info:
; codeLenInByte = 99228
; TotalNumSgprs: 25
; NumVgprs: 189
; ScratchSize: 512
; MemoryBound: 1
; FloatMode: 240
; IeeeMode: 1
; LDSByteSize: 1016 bytes/workgroup (compile time only)
; SGPRBlocks: 0
; VGPRBlocks: 23
; NumSGPRsForWavesPerEU: 25
; NumVGPRsForWavesPerEU: 189
; Occupancy: 5
; WaveLimiterHint : 1
; COMPUTE_PGM_RSRC2:SCRATCH_EN: 1
; COMPUTE_PGM_RSRC2:USER_SGPR: 6
; COMPUTE_PGM_RSRC2:TRAP_HANDLER: 0
; COMPUTE_PGM_RSRC2:TGID_X_EN: 1
; COMPUTE_PGM_RSRC2:TGID_Y_EN: 0
; COMPUTE_PGM_RSRC2:TGID_Z_EN: 0
; COMPUTE_PGM_RSRC2:TIDIG_COMP_CNT: 0
	.section	.text._ZN9rocsolver6v33100L18getri_kernel_smallILi64EdPdEEvT1_iilPiilS4_bb,"axG",@progbits,_ZN9rocsolver6v33100L18getri_kernel_smallILi64EdPdEEvT1_iilPiilS4_bb,comdat
	.globl	_ZN9rocsolver6v33100L18getri_kernel_smallILi64EdPdEEvT1_iilPiilS4_bb ; -- Begin function _ZN9rocsolver6v33100L18getri_kernel_smallILi64EdPdEEvT1_iilPiilS4_bb
	.p2align	8
	.type	_ZN9rocsolver6v33100L18getri_kernel_smallILi64EdPdEEvT1_iilPiilS4_bb,@function
_ZN9rocsolver6v33100L18getri_kernel_smallILi64EdPdEEvT1_iilPiilS4_bb: ; @_ZN9rocsolver6v33100L18getri_kernel_smallILi64EdPdEEvT1_iilPiilS4_bb
; %bb.0:
	s_add_u32 s0, s0, s7
	s_addc_u32 s1, s1, 0
	s_mov_b32 s7, exec_lo
	v_cmpx_gt_u32_e32 64, v0
	s_cbranch_execz .LBB63_266
; %bb.1:
	s_clause 0x2
	s_load_dword s7, s[4:5], 0x38
	s_load_dwordx4 s[16:19], s[4:5], 0x10
	s_load_dwordx4 s[8:11], s[4:5], 0x28
                                        ; implicit-def: $sgpr20_sgpr21
	s_waitcnt lgkmcnt(0)
	s_bitcmp1_b32 s7, 8
	s_cselect_b32 s22, -1, 0
	s_bfe_u32 s12, s7, 0x10008
	s_ashr_i32 s7, s6, 31
	s_cmp_eq_u32 s12, 0
	s_cbranch_scc1 .LBB63_3
; %bb.2:
	s_load_dword s12, s[4:5], 0x20
	s_mul_i32 s13, s8, s7
	s_mul_hi_u32 s14, s8, s6
	s_mul_i32 s9, s9, s6
	s_add_i32 s13, s14, s13
	s_mul_i32 s8, s8, s6
	s_add_i32 s9, s13, s9
	s_lshl_b64 s[8:9], s[8:9], 2
	s_waitcnt lgkmcnt(0)
	s_ashr_i32 s13, s12, 31
	s_add_u32 s14, s18, s8
	s_addc_u32 s15, s19, s9
	s_lshl_b64 s[8:9], s[12:13], 2
	s_add_u32 s20, s14, s8
	s_addc_u32 s21, s15, s9
.LBB63_3:
	s_clause 0x1
	s_load_dwordx4 s[12:15], s[4:5], 0x0
	s_load_dword s8, s[4:5], 0x38
	s_mul_i32 s4, s16, s7
	s_mul_hi_u32 s5, s16, s6
	s_mul_i32 s9, s17, s6
	s_add_i32 s5, s5, s4
	s_mul_i32 s4, s16, s6
	s_add_i32 s5, s5, s9
	v_lshlrev_b32_e32 v131, 3, v0
	s_lshl_b64 s[4:5], s[4:5], 3
	s_waitcnt lgkmcnt(0)
	v_add3_u32 v1, s15, s15, v0
	s_ashr_i32 s17, s14, 31
	s_mov_b32 s16, s14
	s_add_u32 s9, s12, s4
	s_addc_u32 s12, s13, s5
	v_add_nc_u32_e32 v3, s15, v1
	v_ashrrev_i32_e32 v2, 31, v1
	s_lshl_b64 s[4:5], s[16:17], 3
	s_add_u32 s4, s9, s4
	v_add_nc_u32_e32 v5, s15, v3
	v_ashrrev_i32_e32 v4, 31, v3
	v_lshlrev_b64 v[1:2], 3, v[1:2]
	s_addc_u32 s5, s12, s5
	v_add_co_u32 v67, s9, s4, v131
	v_add_nc_u32_e32 v7, s15, v5
	v_ashrrev_i32_e32 v6, 31, v5
	v_lshlrev_b64 v[3:4], 3, v[3:4]
	v_add_co_u32 v1, vcc_lo, s4, v1
	v_add_nc_u32_e32 v11, s15, v7
	v_ashrrev_i32_e32 v8, 31, v7
	v_lshlrev_b64 v[9:10], 3, v[5:6]
	v_add_co_ci_u32_e64 v2, null, s5, v2, vcc_lo
	v_add_nc_u32_e32 v13, s15, v11
	v_ashrrev_i32_e32 v12, 31, v11
	v_lshlrev_b64 v[7:8], 3, v[7:8]
	v_add_co_u32 v5, vcc_lo, s4, v3
	v_add_nc_u32_e32 v15, s15, v13
	v_lshlrev_b64 v[11:12], 3, v[11:12]
	v_add_co_ci_u32_e64 v6, null, s5, v4, vcc_lo
	v_add_co_u32 v3, vcc_lo, s4, v9
	v_ashrrev_i32_e32 v16, 31, v15
	v_add_nc_u32_e32 v17, s15, v15
	v_add_co_ci_u32_e64 v4, null, s5, v10, vcc_lo
	v_add_co_u32 v9, vcc_lo, s4, v7
	v_add_co_ci_u32_e64 v10, null, s5, v8, vcc_lo
	v_add_co_u32 v7, vcc_lo, s4, v11
	v_add_co_ci_u32_e64 v8, null, s5, v12, vcc_lo
	v_lshlrev_b64 v[11:12], 3, v[15:16]
	v_add_nc_u32_e32 v15, s15, v17
	v_ashrrev_i32_e32 v14, 31, v13
	v_ashrrev_i32_e32 v18, 31, v17
	s_ashr_i32 s13, s15, 31
	s_mov_b32 s12, s15
	v_add_nc_u32_e32 v19, s15, v15
	v_lshlrev_b64 v[13:14], 3, v[13:14]
	v_ashrrev_i32_e32 v16, 31, v15
	v_lshlrev_b64 v[17:18], 3, v[17:18]
	v_add_co_ci_u32_e64 v68, null, s5, 0, s9
	v_add_nc_u32_e32 v21, s15, v19
	v_ashrrev_i32_e32 v20, 31, v19
	v_add_co_u32 v13, vcc_lo, s4, v13
	v_lshlrev_b64 v[15:16], 3, v[15:16]
	v_add_nc_u32_e32 v23, s15, v21
	v_ashrrev_i32_e32 v22, 31, v21
	v_add_co_ci_u32_e64 v14, null, s5, v14, vcc_lo
	v_add_co_u32 v11, vcc_lo, s4, v11
	v_add_nc_u32_e32 v27, s15, v23
	v_ashrrev_i32_e32 v24, 31, v23
	v_lshlrev_b64 v[19:20], 3, v[19:20]
	v_add_co_ci_u32_e64 v12, null, s5, v12, vcc_lo
	v_add_nc_u32_e32 v29, s15, v27
	v_ashrrev_i32_e32 v28, 31, v27
	v_add_co_u32 v17, vcc_lo, s4, v17
	v_lshlrev_b64 v[25:26], 3, v[21:22]
	v_add_nc_u32_e32 v31, s15, v29
	v_add_co_ci_u32_e64 v18, null, s5, v18, vcc_lo
	v_add_co_u32 v15, vcc_lo, s4, v15
	v_add_nc_u32_e32 v33, s15, v31
	v_lshlrev_b64 v[23:24], 3, v[23:24]
	v_add_co_ci_u32_e64 v16, null, s5, v16, vcc_lo
	v_add_co_u32 v21, vcc_lo, s4, v19
	v_lshlrev_b64 v[27:28], 3, v[27:28]
	v_ashrrev_i32_e32 v30, 31, v29
	v_add_co_ci_u32_e64 v22, null, s5, v20, vcc_lo
	v_add_co_u32 v19, vcc_lo, s4, v25
	v_add_nc_u32_e32 v35, s15, v33
	v_ashrrev_i32_e32 v32, 31, v31
	v_add_co_ci_u32_e64 v20, null, s5, v26, vcc_lo
	v_add_co_u32 v25, vcc_lo, s4, v23
	v_ashrrev_i32_e32 v34, 31, v33
	v_add_co_ci_u32_e64 v26, null, s5, v24, vcc_lo
	v_lshlrev_b64 v[29:30], 3, v[29:30]
	v_add_co_u32 v23, vcc_lo, s4, v27
	v_ashrrev_i32_e32 v36, 31, v35
	v_add_co_ci_u32_e64 v24, null, s5, v28, vcc_lo
	v_lshlrev_b64 v[27:28], 3, v[31:32]
	v_lshlrev_b64 v[33:34], 3, v[33:34]
	v_add_co_u32 v31, vcc_lo, s4, v29
	v_add_nc_u32_e32 v37, s15, v35
	v_lshlrev_b64 v[35:36], 3, v[35:36]
	v_add_co_ci_u32_e64 v32, null, s5, v30, vcc_lo
	v_add_co_u32 v29, vcc_lo, s4, v27
	v_add_co_ci_u32_e64 v30, null, s5, v28, vcc_lo
	v_add_co_u32 v27, vcc_lo, s4, v33
	;; [unrolled: 2-line block ×3, first 2 shown]
	s_lshl_b64 s[12:13], s[12:13], 3
	v_add_co_ci_u32_e64 v34, null, s5, v36, vcc_lo
	v_add_co_u32 v57, vcc_lo, v67, s12
	v_add_co_ci_u32_e64 v58, null, s13, v68, vcc_lo
	s_clause 0x1
	global_load_dwordx2 v[97:98], v131, s[4:5]
	global_load_dwordx2 v[101:102], v[1:2], off
	v_add_nc_u32_e32 v39, s15, v37
	s_clause 0x7
	global_load_dwordx2 v[99:100], v[57:58], off
	global_load_dwordx2 v[103:104], v[5:6], off
	global_load_dwordx2 v[105:106], v[3:4], off
	global_load_dwordx2 v[107:108], v[9:10], off
	global_load_dwordx2 v[109:110], v[7:8], off
	global_load_dwordx2 v[111:112], v[13:14], off
	global_load_dwordx2 v[115:116], v[17:18], off
	global_load_dwordx2 v[113:114], v[11:12], off
	v_add_nc_u32_e32 v41, s15, v39
	v_ashrrev_i32_e32 v38, 31, v37
	v_ashrrev_i32_e32 v40, 31, v39
	s_clause 0x6
	global_load_dwordx2 v[117:118], v[15:16], off
	global_load_dwordx2 v[119:120], v[21:22], off
	;; [unrolled: 1-line block ×7, first 2 shown]
	v_add_nc_u32_e32 v43, s15, v41
	v_ashrrev_i32_e32 v42, 31, v41
	v_lshlrev_b64 v[37:38], 3, v[37:38]
	v_lshlrev_b64 v[39:40], 3, v[39:40]
	global_load_dwordx2 v[127:128], v[31:32], off
	v_add_nc_u32_e32 v45, s15, v43
	v_ashrrev_i32_e32 v44, 31, v43
	v_lshlrev_b64 v[41:42], 3, v[41:42]
	v_add_co_u32 v35, vcc_lo, s4, v37
	v_add_nc_u32_e32 v47, s15, v45
	v_ashrrev_i32_e32 v46, 31, v45
	v_lshlrev_b64 v[43:44], 3, v[43:44]
	v_add_co_ci_u32_e64 v36, null, s5, v38, vcc_lo
	v_add_nc_u32_e32 v49, s15, v47
	v_ashrrev_i32_e32 v48, 31, v47
	v_add_co_u32 v37, vcc_lo, s4, v39
	v_lshlrev_b64 v[45:46], 3, v[45:46]
	v_add_nc_u32_e32 v51, s15, v49
	v_ashrrev_i32_e32 v50, 31, v49
	v_add_co_ci_u32_e64 v38, null, s5, v40, vcc_lo
	v_add_co_u32 v39, vcc_lo, s4, v41
	v_add_nc_u32_e32 v53, s15, v51
	v_ashrrev_i32_e32 v52, 31, v51
	v_lshlrev_b64 v[47:48], 3, v[47:48]
	v_add_co_ci_u32_e64 v40, null, s5, v42, vcc_lo
	v_add_nc_u32_e32 v55, s15, v53
	v_ashrrev_i32_e32 v54, 31, v53
	v_add_co_u32 v41, vcc_lo, s4, v43
	v_lshlrev_b64 v[49:50], 3, v[49:50]
	v_add_nc_u32_e32 v59, s15, v55
	v_ashrrev_i32_e32 v56, 31, v55
	v_add_co_ci_u32_e64 v42, null, s5, v44, vcc_lo
	v_add_co_u32 v43, vcc_lo, s4, v45
	v_lshlrev_b64 v[51:52], 3, v[51:52]
	v_ashrrev_i32_e32 v60, 31, v59
	v_add_co_ci_u32_e64 v44, null, s5, v46, vcc_lo
	v_add_co_u32 v45, vcc_lo, s4, v47
	v_lshlrev_b64 v[53:54], 3, v[53:54]
	v_add_co_ci_u32_e64 v46, null, s5, v48, vcc_lo
	v_add_co_u32 v47, vcc_lo, s4, v49
	v_lshlrev_b64 v[55:56], 3, v[55:56]
	v_add_nc_u32_e32 v62, s15, v59
	v_add_co_ci_u32_e64 v48, null, s5, v50, vcc_lo
	v_add_co_u32 v49, vcc_lo, s4, v51
	v_lshlrev_b64 v[60:61], 3, v[59:60]
	v_add_co_ci_u32_e64 v50, null, s5, v52, vcc_lo
	v_add_co_u32 v51, vcc_lo, s4, v53
	v_add_nc_u32_e32 v59, s15, v62
	v_add_co_ci_u32_e64 v52, null, s5, v54, vcc_lo
	v_add_co_u32 v53, vcc_lo, s4, v55
	v_add_co_ci_u32_e64 v54, null, s5, v56, vcc_lo
	v_add_co_u32 v55, vcc_lo, s4, v60
	v_ashrrev_i32_e32 v63, 31, v62
	v_add_co_ci_u32_e64 v56, null, s5, v61, vcc_lo
	v_add_nc_u32_e32 v61, s15, v59
	v_ashrrev_i32_e32 v60, 31, v59
	v_lshlrev_b64 v[63:64], 3, v[62:63]
	s_clause 0x3
	global_load_dwordx2 v[134:135], v[33:34], off
	global_load_dwordx2 v[136:137], v[35:36], off
	;; [unrolled: 1-line block ×4, first 2 shown]
	v_add_nc_u32_e32 v69, s15, v61
	v_lshlrev_b64 v[65:66], 3, v[59:60]
	v_ashrrev_i32_e32 v62, 31, v61
	v_add_co_u32 v59, vcc_lo, s4, v63
	v_ashrrev_i32_e32 v70, 31, v69
	v_add_co_ci_u32_e64 v60, null, s5, v64, vcc_lo
	v_lshlrev_b64 v[63:64], 3, v[61:62]
	v_add_co_u32 v61, vcc_lo, s4, v65
	v_add_co_ci_u32_e64 v62, null, s5, v66, vcc_lo
	v_lshlrev_b64 v[65:66], 3, v[69:70]
	v_add_co_u32 v63, vcc_lo, s4, v63
	v_add_co_ci_u32_e64 v64, null, s5, v64, vcc_lo
	s_clause 0x2
	global_load_dwordx2 v[142:143], v[41:42], off
	global_load_dwordx2 v[144:145], v[43:44], off
	;; [unrolled: 1-line block ×3, first 2 shown]
	v_add_co_u32 v65, vcc_lo, s4, v65
	v_add_co_ci_u32_e64 v66, null, s5, v66, vcc_lo
	s_clause 0x8
	global_load_dwordx2 v[148:149], v[47:48], off
	global_load_dwordx2 v[150:151], v[49:50], off
	;; [unrolled: 1-line block ×9, first 2 shown]
	v_add_nc_u32_e32 v71, s15, v69
	s_bitcmp0_b32 s8, 0
	v_ashrrev_i32_e32 v72, 31, v71
	v_lshlrev_b64 v[69:70], 3, v[71:72]
	v_add_nc_u32_e32 v71, s15, v71
	v_add_co_u32 v69, vcc_lo, s4, v69
	v_add_co_ci_u32_e64 v70, null, s5, v70, vcc_lo
	v_add_nc_u32_e32 v73, s15, v71
	v_ashrrev_i32_e32 v72, 31, v71
	global_load_dwordx2 v[166:167], v[69:70], off
	s_waitcnt vmcnt(34)
	buffer_store_dword v98, off, s[0:3], 0 offset:4
	buffer_store_dword v97, off, s[0:3], 0
	v_add_nc_u32_e32 v75, s15, v73
	v_ashrrev_i32_e32 v74, 31, v73
	v_lshlrev_b64 v[71:72], 3, v[71:72]
	s_waitcnt vmcnt(32)
	buffer_store_dword v100, off, s[0:3], 0 offset:12
	buffer_store_dword v99, off, s[0:3], 0 offset:8
	;; [unrolled: 1-line block ×4, first 2 shown]
	s_waitcnt vmcnt(31)
	buffer_store_dword v104, off, s[0:3], 0 offset:28
	v_add_nc_u32_e32 v77, s15, v75
	v_ashrrev_i32_e32 v76, 31, v75
	v_lshlrev_b64 v[73:74], 3, v[73:74]
	v_add_co_u32 v71, vcc_lo, s4, v71
	v_add_nc_u32_e32 v79, s15, v77
	v_ashrrev_i32_e32 v78, 31, v77
	v_lshlrev_b64 v[75:76], 3, v[75:76]
	v_add_co_ci_u32_e64 v72, null, s5, v72, vcc_lo
	v_add_nc_u32_e32 v81, s15, v79
	v_ashrrev_i32_e32 v80, 31, v79
	v_lshlrev_b64 v[77:78], 3, v[77:78]
	v_add_co_u32 v73, vcc_lo, s4, v73
	v_add_nc_u32_e32 v83, s15, v81
	v_ashrrev_i32_e32 v82, 31, v81
	v_lshlrev_b64 v[79:80], 3, v[79:80]
	v_add_co_ci_u32_e64 v74, null, s5, v74, vcc_lo
	v_add_nc_u32_e32 v85, s15, v83
	v_ashrrev_i32_e32 v84, 31, v83
	v_add_co_u32 v75, vcc_lo, s4, v75
	v_lshlrev_b64 v[81:82], 3, v[81:82]
	v_add_nc_u32_e32 v87, s15, v85
	v_ashrrev_i32_e32 v86, 31, v85
	v_add_co_ci_u32_e64 v76, null, s5, v76, vcc_lo
	v_add_co_u32 v77, vcc_lo, s4, v77
	v_add_nc_u32_e32 v89, s15, v87
	v_ashrrev_i32_e32 v88, 31, v87
	v_lshlrev_b64 v[83:84], 3, v[83:84]
	v_add_co_ci_u32_e64 v78, null, s5, v78, vcc_lo
	v_add_nc_u32_e32 v91, s15, v89
	v_ashrrev_i32_e32 v90, 31, v89
	v_add_co_u32 v79, vcc_lo, s4, v79
	v_lshlrev_b64 v[85:86], 3, v[85:86]
	v_add_nc_u32_e32 v93, s15, v91
	v_ashrrev_i32_e32 v92, 31, v91
	v_add_co_ci_u32_e64 v80, null, s5, v80, vcc_lo
	v_add_co_u32 v81, vcc_lo, s4, v81
	v_add_nc_u32_e32 v95, s15, v93
	v_lshlrev_b64 v[87:88], 3, v[87:88]
	v_ashrrev_i32_e32 v94, 31, v93
	v_add_co_ci_u32_e64 v82, null, s5, v82, vcc_lo
	v_add_nc_u32_e32 v168, s15, v95
	v_add_co_u32 v83, vcc_lo, s4, v83
	v_lshlrev_b64 v[89:90], 3, v[89:90]
	v_ashrrev_i32_e32 v96, 31, v95
	v_ashrrev_i32_e32 v169, 31, v168
	v_add_co_ci_u32_e64 v84, null, s5, v84, vcc_lo
	v_add_co_u32 v85, vcc_lo, s4, v85
	v_lshlrev_b64 v[91:92], 3, v[91:92]
	v_lshlrev_b64 v[169:170], 3, v[168:169]
	v_add_nc_u32_e32 v168, s15, v168
	v_add_co_ci_u32_e64 v86, null, s5, v86, vcc_lo
	v_add_co_u32 v87, vcc_lo, s4, v87
	v_lshlrev_b64 v[93:94], 3, v[93:94]
	v_add_co_ci_u32_e64 v88, null, s5, v88, vcc_lo
	v_add_co_u32 v89, vcc_lo, s4, v89
	v_lshlrev_b64 v[95:96], 3, v[95:96]
	v_add_co_ci_u32_e64 v90, null, s5, v90, vcc_lo
	v_add_co_u32 v91, vcc_lo, s4, v91
	v_add_nc_u32_e32 v101, s15, v168
	v_add_co_ci_u32_e64 v92, null, s5, v92, vcc_lo
	v_add_co_u32 v93, vcc_lo, s4, v93
	v_add_co_ci_u32_e64 v94, null, s5, v94, vcc_lo
	v_add_co_u32 v95, vcc_lo, s4, v95
	v_add_nc_u32_e32 v104, s15, v101
	v_add_co_ci_u32_e64 v96, null, s5, v96, vcc_lo
	v_add_co_u32 v97, vcc_lo, s4, v169
	v_ashrrev_i32_e32 v169, 31, v168
	v_ashrrev_i32_e32 v102, 31, v101
	buffer_store_dword v103, off, s[0:3], 0 offset:24
	s_waitcnt vmcnt(30)
	buffer_store_dword v106, off, s[0:3], 0 offset:36
	buffer_store_dword v105, off, s[0:3], 0 offset:32
	v_ashrrev_i32_e32 v105, 31, v104
	s_waitcnt vmcnt(29)
	buffer_store_dword v108, off, s[0:3], 0 offset:44
	v_lshlrev_b64 v[99:100], 3, v[168:169]
	buffer_store_dword v107, off, s[0:3], 0 offset:40
	s_waitcnt vmcnt(28)
	buffer_store_dword v110, off, s[0:3], 0 offset:52
	buffer_store_dword v109, off, s[0:3], 0 offset:48
	s_waitcnt vmcnt(27)
	buffer_store_dword v112, off, s[0:3], 0 offset:60
	v_lshlrev_b64 v[102:103], 3, v[101:102]
	v_add_nc_u32_e32 v107, s15, v104
	v_lshlrev_b64 v[105:106], 3, v[104:105]
	v_add_co_ci_u32_e64 v98, null, s5, v170, vcc_lo
	v_add_co_u32 v99, vcc_lo, s4, v99
	v_ashrrev_i32_e32 v108, 31, v107
	v_add_co_ci_u32_e64 v100, null, s5, v100, vcc_lo
	v_add_co_u32 v101, vcc_lo, s4, v102
	v_add_co_ci_u32_e64 v102, null, s5, v103, vcc_lo
	v_add_co_u32 v103, vcc_lo, s4, v105
	v_add_co_ci_u32_e64 v104, null, s5, v106, vcc_lo
	v_lshlrev_b64 v[105:106], 3, v[107:108]
	v_add_nc_u32_e32 v107, s15, v107
	buffer_store_dword v111, off, s[0:3], 0 offset:56
	s_waitcnt vmcnt(25)
	buffer_store_dword v114, off, s[0:3], 0 offset:68
	buffer_store_dword v113, off, s[0:3], 0 offset:64
	;; [unrolled: 1-line block ×4, first 2 shown]
	s_waitcnt vmcnt(24)
	buffer_store_dword v117, off, s[0:3], 0 offset:80
	buffer_store_dword v118, off, s[0:3], 0 offset:84
	s_waitcnt vmcnt(23)
	buffer_store_dword v119, off, s[0:3], 0 offset:88
	buffer_store_dword v120, off, s[0:3], 0 offset:92
	;; [unrolled: 3-line block ×3, first 2 shown]
	v_add_nc_u32_e32 v110, s15, v107
	v_ashrrev_i32_e32 v108, 31, v107
	v_add_co_u32 v105, vcc_lo, s4, v105
	v_add_co_ci_u32_e64 v106, null, s5, v106, vcc_lo
	v_add_nc_u32_e32 v113, s15, v110
	v_ashrrev_i32_e32 v111, 31, v110
	v_lshlrev_b64 v[108:109], 3, v[107:108]
	s_waitcnt vmcnt(21)
	buffer_store_dword v123, off, s[0:3], 0 offset:104
	buffer_store_dword v124, off, s[0:3], 0 offset:108
	s_waitcnt vmcnt(18)
	buffer_store_dword v126, off, s[0:3], 0 offset:116
	buffer_store_dword v125, off, s[0:3], 0 offset:112
	s_waitcnt vmcnt(17)
	buffer_store_dword v127, off, s[0:3], 0 offset:120
	v_add_nc_u32_e32 v115, s15, v113
	v_lshlrev_b64 v[111:112], 3, v[110:111]
	v_ashrrev_i32_e32 v114, 31, v113
	v_add_co_u32 v107, vcc_lo, s4, v108
	v_ashrrev_i32_e32 v116, 31, v115
	v_add_co_ci_u32_e64 v108, null, s5, v109, vcc_lo
	v_add_co_u32 v109, vcc_lo, s4, v111
	v_add_co_ci_u32_e64 v110, null, s5, v112, vcc_lo
	v_lshlrev_b64 v[111:112], 3, v[113:114]
	v_lshlrev_b64 v[113:114], 3, v[115:116]
	v_add_nc_u32_e32 v115, s15, v115
	buffer_store_dword v128, off, s[0:3], 0 offset:124
	buffer_store_dword v129, off, s[0:3], 0 offset:128
	;; [unrolled: 1-line block ×5, first 2 shown]
	s_waitcnt vmcnt(16)
	buffer_store_dword v134, off, s[0:3], 0 offset:144
	buffer_store_dword v135, off, s[0:3], 0 offset:148
	s_waitcnt vmcnt(15)
	buffer_store_dword v137, off, s[0:3], 0 offset:156
	v_add_co_u32 v111, vcc_lo, s4, v111
	v_add_nc_u32_e32 v117, s15, v115
	v_ashrrev_i32_e32 v116, 31, v115
	v_add_co_ci_u32_e64 v112, null, s5, v112, vcc_lo
	v_add_co_u32 v113, vcc_lo, s4, v113
	v_add_nc_u32_e32 v120, s15, v117
	v_ashrrev_i32_e32 v118, 31, v117
	v_lshlrev_b64 v[115:116], 3, v[115:116]
	v_add_co_ci_u32_e64 v114, null, s5, v114, vcc_lo
	v_ashrrev_i32_e32 v121, 31, v120
	v_lshlrev_b64 v[118:119], 3, v[117:118]
	v_add_nc_u32_e32 v123, s15, v120
	v_add_co_u32 v115, vcc_lo, s4, v115
	v_lshlrev_b64 v[121:122], 3, v[120:121]
	v_add_co_ci_u32_e64 v116, null, s5, v116, vcc_lo
	v_ashrrev_i32_e32 v124, 31, v123
	v_add_co_u32 v117, vcc_lo, s4, v118
	v_add_co_ci_u32_e64 v118, null, s5, v119, vcc_lo
	v_add_co_u32 v119, vcc_lo, s4, v121
	v_add_co_ci_u32_e64 v120, null, s5, v122, vcc_lo
	v_lshlrev_b64 v[121:122], 3, v[123:124]
	v_add_nc_u32_e32 v123, s15, v123
	buffer_store_dword v136, off, s[0:3], 0 offset:152
	s_waitcnt vmcnt(14)
	buffer_store_dword v139, off, s[0:3], 0 offset:164
	buffer_store_dword v138, off, s[0:3], 0 offset:160
	s_waitcnt vmcnt(13)
	buffer_store_dword v140, off, s[0:3], 0 offset:168
	;; [unrolled: 3-line block ×5, first 2 shown]
	buffer_store_dword v147, off, s[0:3], 0 offset:196
	v_add_nc_u32_e32 v126, s15, v123
	v_ashrrev_i32_e32 v124, 31, v123
	v_add_co_u32 v121, vcc_lo, s4, v121
	s_waitcnt vmcnt(9)
	buffer_store_dword v149, off, s[0:3], 0 offset:204
	buffer_store_dword v148, off, s[0:3], 0 offset:200
	v_add_nc_u32_e32 v168, s15, v126
	v_lshlrev_b64 v[124:125], 3, v[123:124]
	v_ashrrev_i32_e32 v127, 31, v126
	s_waitcnt vmcnt(8)
	buffer_store_dword v151, off, s[0:3], 0 offset:212
	buffer_store_dword v150, off, s[0:3], 0 offset:208
	s_waitcnt vmcnt(7)
	buffer_store_dword v152, off, s[0:3], 0 offset:216
	buffer_store_dword v153, off, s[0:3], 0 offset:220
	;; [unrolled: 3-line block ×3, first 2 shown]
	v_ashrrev_i32_e32 v169, 31, v168
	s_waitcnt vmcnt(5)
	buffer_store_dword v156, off, s[0:3], 0 offset:232
	buffer_store_dword v157, off, s[0:3], 0 offset:236
	s_waitcnt vmcnt(4)
	buffer_store_dword v158, off, s[0:3], 0 offset:240
	buffer_store_dword v159, off, s[0:3], 0 offset:244
	;; [unrolled: 3-line block ×4, first 2 shown]
	v_add_co_ci_u32_e64 v122, null, s5, v122, vcc_lo
	v_add_co_u32 v123, vcc_lo, s4, v124
	s_clause 0x1
	global_load_dwordx2 v[129:130], v[71:72], off
	global_load_dwordx2 v[132:133], v[73:74], off
	s_waitcnt vmcnt(3)
	buffer_store_dword v164, off, s[0:3], 0 offset:264
	buffer_store_dword v165, off, s[0:3], 0 offset:268
	s_clause 0xb
	global_load_dwordx2 v[134:135], v[75:76], off
	global_load_dwordx2 v[136:137], v[77:78], off
	;; [unrolled: 1-line block ×12, first 2 shown]
	v_add_co_ci_u32_e64 v124, null, s5, v125, vcc_lo
	s_clause 0x3
	global_load_dwordx2 v[158:159], v[99:100], off
	global_load_dwordx2 v[160:161], v[101:102], off
	;; [unrolled: 1-line block ×4, first 2 shown]
	v_lshlrev_b64 v[125:126], 3, v[126:127]
	s_clause 0x3
	global_load_dwordx2 v[170:171], v[107:108], off
	global_load_dwordx2 v[172:173], v[109:110], off
	;; [unrolled: 1-line block ×4, first 2 shown]
	v_lshlrev_b64 v[127:128], 3, v[168:169]
	s_clause 0x4
	global_load_dwordx2 v[168:169], v[115:116], off
	global_load_dwordx2 v[178:179], v[117:118], off
	;; [unrolled: 1-line block ×5, first 2 shown]
	v_add_co_u32 v125, vcc_lo, s4, v125
	v_add_co_ci_u32_e64 v126, null, s5, v126, vcc_lo
	v_add_co_u32 v127, vcc_lo, s4, v127
	v_add_co_ci_u32_e64 v128, null, s5, v128, vcc_lo
	global_load_dwordx2 v[186:187], v[125:126], off
	s_waitcnt vmcnt(28)
	buffer_store_dword v166, off, s[0:3], 0 offset:272
	buffer_store_dword v167, off, s[0:3], 0 offset:276
	global_load_dwordx2 v[166:167], v[127:128], off
	s_mov_b32 s5, -1
	s_waitcnt vmcnt(28)
	buffer_store_dword v129, off, s[0:3], 0 offset:280
	buffer_store_dword v130, off, s[0:3], 0 offset:284
	s_waitcnt vmcnt(27)
	buffer_store_dword v132, off, s[0:3], 0 offset:288
	buffer_store_dword v133, off, s[0:3], 0 offset:292
	;; [unrolled: 3-line block ×29, first 2 shown]
	s_cbranch_scc1 .LBB63_264
; %bb.4:
	v_cmp_eq_u32_e64 s4, 0, v0
	s_and_saveexec_b32 s5, s4
; %bb.5:
	v_mov_b32_e32 v129, 0
	ds_write_b32 v129, v129 offset:1024
; %bb.6:
	s_or_b32 exec_lo, exec_lo, s5
	v_lshl_add_u32 v129, v0, 3, 0
	s_waitcnt lgkmcnt(0)
	s_waitcnt_vscnt null, 0x0
	s_barrier
	buffer_gl0_inv
	s_mov_b32 s8, exec_lo
	s_clause 0x1
	buffer_load_dword v132, v129, s[0:3], 0 offen
	buffer_load_dword v133, v129, s[0:3], 0 offen offset:4
	s_waitcnt vmcnt(0)
	v_cmpx_eq_f64_e32 0, v[132:133]
	s_cbranch_execz .LBB63_10
; %bb.7:
	v_mov_b32_e32 v130, 0
	s_mov_b32 s9, 0
	ds_read_b32 v132, v130 offset:1024
	s_waitcnt lgkmcnt(0)
	v_readfirstlane_b32 s5, v132
	v_add_nc_u32_e32 v132, 1, v0
	s_cmp_eq_u32 s5, 0
	v_cmp_gt_i32_e32 vcc_lo, s5, v132
	s_cselect_b32 s12, -1, 0
	s_or_b32 s12, s12, vcc_lo
	s_and_b32 exec_lo, exec_lo, s12
	s_cbranch_execz .LBB63_10
; %bb.8:
	v_mov_b32_e32 v133, s5
.LBB63_9:                               ; =>This Inner Loop Header: Depth=1
	ds_cmpst_rtn_b32 v133, v130, v133, v132 offset:1024
	s_waitcnt lgkmcnt(0)
	v_cmp_ne_u32_e32 vcc_lo, 0, v133
	v_cmp_le_i32_e64 s5, v133, v132
	s_and_b32 s5, vcc_lo, s5
	s_and_b32 s5, exec_lo, s5
	s_or_b32 s9, s5, s9
	s_andn2_b32 exec_lo, exec_lo, s9
	s_cbranch_execnz .LBB63_9
.LBB63_10:
	s_or_b32 exec_lo, exec_lo, s8
	v_mov_b32_e32 v130, 0
	s_barrier
	buffer_gl0_inv
	ds_read_b32 v132, v130 offset:1024
	s_and_saveexec_b32 s5, s4
	s_cbranch_execz .LBB63_12
; %bb.11:
	s_lshl_b64 s[8:9], s[6:7], 2
	s_add_u32 s8, s10, s8
	s_addc_u32 s9, s11, s9
	s_waitcnt lgkmcnt(0)
	global_store_dword v130, v132, s[8:9]
.LBB63_12:
	s_or_b32 exec_lo, exec_lo, s5
	s_waitcnt lgkmcnt(0)
	v_cmp_ne_u32_e32 vcc_lo, 0, v132
	s_mov_b32 s5, 0
	s_cbranch_vccnz .LBB63_264
; %bb.13:
	s_clause 0x1
	buffer_load_dword v132, v129, s[0:3], 0 offen
	buffer_load_dword v133, v129, s[0:3], 0 offen offset:4
	s_waitcnt vmcnt(0)
	v_div_scale_f64 v[134:135], null, v[132:133], v[132:133], 1.0
	v_div_scale_f64 v[140:141], vcc_lo, 1.0, v[132:133], 1.0
	v_rcp_f64_e32 v[136:137], v[134:135]
	v_fma_f64 v[138:139], -v[134:135], v[136:137], 1.0
	v_fma_f64 v[136:137], v[136:137], v[138:139], v[136:137]
	v_fma_f64 v[138:139], -v[134:135], v[136:137], 1.0
	v_fma_f64 v[136:137], v[136:137], v[138:139], v[136:137]
	v_mul_f64 v[138:139], v[140:141], v[136:137]
	v_fma_f64 v[134:135], -v[134:135], v[138:139], v[140:141]
	v_div_fmas_f64 v[134:135], v[134:135], v[136:137], v[138:139]
	v_div_fixup_f64 v[133:134], v[134:135], v[132:133], 1.0
	v_or_b32_e32 v132, 0x200, v131
	buffer_store_dword v134, v129, s[0:3], 0 offen offset:4
	buffer_store_dword v133, v129, s[0:3], 0 offen
	s_clause 0x1
	buffer_load_dword v136, off, s[0:3], 0 offset:12
	buffer_load_dword v135, off, s[0:3], 0 offset:8
	v_xor_b32_e32 v134, 0x80000000, v134
	s_waitcnt vmcnt(0)
	ds_write2st64_b64 v131, v[133:134], v[135:136] offset1:1
	s_waitcnt lgkmcnt(0)
	s_waitcnt_vscnt null, 0x0
	s_barrier
	buffer_gl0_inv
	s_and_saveexec_b32 s5, s4
	s_cbranch_execz .LBB63_15
; %bb.14:
	s_clause 0x1
	buffer_load_dword v133, v129, s[0:3], 0 offen
	buffer_load_dword v134, v129, s[0:3], 0 offen offset:4
	ds_read_b64 v[135:136], v132
	v_mov_b32_e32 v130, 0
	ds_read_b64 v[137:138], v130 offset:8
	s_waitcnt vmcnt(0) lgkmcnt(1)
	v_fma_f64 v[133:134], v[133:134], v[135:136], 0
	s_waitcnt lgkmcnt(0)
	v_mul_f64 v[133:134], v[133:134], v[137:138]
	buffer_store_dword v133, off, s[0:3], 0 offset:8
	buffer_store_dword v134, off, s[0:3], 0 offset:12
.LBB63_15:
	s_or_b32 exec_lo, exec_lo, s5
	s_waitcnt_vscnt null, 0x0
	s_barrier
	buffer_gl0_inv
	s_clause 0x1
	buffer_load_dword v133, off, s[0:3], 0 offset:16
	buffer_load_dword v134, off, s[0:3], 0 offset:20
	s_mov_b32 s5, exec_lo
	s_waitcnt vmcnt(0)
	ds_write_b64 v132, v[133:134]
	s_waitcnt lgkmcnt(0)
	s_barrier
	buffer_gl0_inv
	v_cmpx_gt_u32_e32 2, v0
	s_cbranch_execz .LBB63_19
; %bb.16:
	s_clause 0x1
	buffer_load_dword v133, v129, s[0:3], 0 offen
	buffer_load_dword v134, v129, s[0:3], 0 offen offset:4
	ds_read_b64 v[129:130], v132
	s_waitcnt vmcnt(0) lgkmcnt(0)
	v_fma_f64 v[129:130], v[133:134], v[129:130], 0
	s_and_saveexec_b32 s8, s4
	s_cbranch_execz .LBB63_18
; %bb.17:
	s_clause 0x1
	buffer_load_dword v133, off, s[0:3], 0 offset:8
	buffer_load_dword v134, off, s[0:3], 0 offset:12
	v_mov_b32_e32 v135, 0
	ds_read_b64 v[135:136], v135 offset:520
	s_waitcnt vmcnt(0) lgkmcnt(0)
	v_fma_f64 v[129:130], v[133:134], v[135:136], v[129:130]
.LBB63_18:
	s_or_b32 exec_lo, exec_lo, s8
	v_mov_b32_e32 v133, 0
	ds_read_b64 v[133:134], v133 offset:16
	s_waitcnt lgkmcnt(0)
	v_mul_f64 v[129:130], v[129:130], v[133:134]
	buffer_store_dword v130, off, s[0:3], 0 offset:20
	buffer_store_dword v129, off, s[0:3], 0 offset:16
.LBB63_19:
	s_or_b32 exec_lo, exec_lo, s5
	s_waitcnt_vscnt null, 0x0
	s_barrier
	buffer_gl0_inv
	s_clause 0x1
	buffer_load_dword v129, off, s[0:3], 0 offset:24
	buffer_load_dword v130, off, s[0:3], 0 offset:28
	v_add_nc_u32_e32 v133, -1, v0
	s_mov_b32 s4, exec_lo
	s_waitcnt vmcnt(0)
	ds_write_b64 v132, v[129:130]
	s_waitcnt lgkmcnt(0)
	s_barrier
	buffer_gl0_inv
	v_cmpx_gt_u32_e32 3, v0
	s_cbranch_execz .LBB63_23
; %bb.20:
	v_mov_b32_e32 v129, 0
	v_add_nc_u32_e32 v134, -1, v0
	v_or_b32_e32 v135, 0x200, v131
	v_mov_b32_e32 v130, 0
	v_mov_b32_e32 v136, v131
	s_mov_b32 s5, 0
.LBB63_21:                              ; =>This Inner Loop Header: Depth=1
	s_clause 0x1
	buffer_load_dword v137, v136, s[0:3], 0 offen
	buffer_load_dword v138, v136, s[0:3], 0 offen offset:4
	ds_read_b64 v[139:140], v135
	v_add_nc_u32_e32 v134, 1, v134
	v_add_nc_u32_e32 v135, 8, v135
	v_add_nc_u32_e32 v136, 8, v136
	v_cmp_lt_u32_e32 vcc_lo, 1, v134
	s_or_b32 s5, vcc_lo, s5
	s_waitcnt vmcnt(0) lgkmcnt(0)
	v_fma_f64 v[129:130], v[137:138], v[139:140], v[129:130]
	s_andn2_b32 exec_lo, exec_lo, s5
	s_cbranch_execnz .LBB63_21
; %bb.22:
	s_or_b32 exec_lo, exec_lo, s5
	v_mov_b32_e32 v134, 0
	ds_read_b64 v[134:135], v134 offset:24
	s_waitcnt lgkmcnt(0)
	v_mul_f64 v[129:130], v[129:130], v[134:135]
	buffer_store_dword v130, off, s[0:3], 0 offset:28
	buffer_store_dword v129, off, s[0:3], 0 offset:24
.LBB63_23:
	s_or_b32 exec_lo, exec_lo, s4
	s_waitcnt_vscnt null, 0x0
	s_barrier
	buffer_gl0_inv
	s_clause 0x1
	buffer_load_dword v129, off, s[0:3], 0 offset:32
	buffer_load_dword v130, off, s[0:3], 0 offset:36
	s_mov_b32 s4, exec_lo
	s_waitcnt vmcnt(0)
	ds_write_b64 v132, v[129:130]
	s_waitcnt lgkmcnt(0)
	s_barrier
	buffer_gl0_inv
	v_cmpx_gt_u32_e32 4, v0
	s_cbranch_execz .LBB63_27
; %bb.24:
	v_mov_b32_e32 v129, 0
	v_add_nc_u32_e32 v134, -1, v0
	v_or_b32_e32 v135, 0x200, v131
	v_mov_b32_e32 v130, 0
	v_mov_b32_e32 v136, v131
	s_mov_b32 s5, 0
.LBB63_25:                              ; =>This Inner Loop Header: Depth=1
	s_clause 0x1
	buffer_load_dword v137, v136, s[0:3], 0 offen
	buffer_load_dword v138, v136, s[0:3], 0 offen offset:4
	ds_read_b64 v[139:140], v135
	v_add_nc_u32_e32 v134, 1, v134
	v_add_nc_u32_e32 v135, 8, v135
	v_add_nc_u32_e32 v136, 8, v136
	v_cmp_lt_u32_e32 vcc_lo, 2, v134
	s_or_b32 s5, vcc_lo, s5
	s_waitcnt vmcnt(0) lgkmcnt(0)
	v_fma_f64 v[129:130], v[137:138], v[139:140], v[129:130]
	s_andn2_b32 exec_lo, exec_lo, s5
	s_cbranch_execnz .LBB63_25
; %bb.26:
	s_or_b32 exec_lo, exec_lo, s5
	v_mov_b32_e32 v134, 0
	ds_read_b64 v[134:135], v134 offset:32
	s_waitcnt lgkmcnt(0)
	v_mul_f64 v[129:130], v[129:130], v[134:135]
	buffer_store_dword v130, off, s[0:3], 0 offset:36
	buffer_store_dword v129, off, s[0:3], 0 offset:32
.LBB63_27:
	s_or_b32 exec_lo, exec_lo, s4
	s_waitcnt_vscnt null, 0x0
	s_barrier
	buffer_gl0_inv
	s_clause 0x1
	buffer_load_dword v129, off, s[0:3], 0 offset:40
	buffer_load_dword v130, off, s[0:3], 0 offset:44
	;; [unrolled: 45-line block ×20, first 2 shown]
	s_mov_b32 s4, exec_lo
	s_waitcnt vmcnt(0)
	ds_write_b64 v132, v[129:130]
	s_waitcnt lgkmcnt(0)
	s_barrier
	buffer_gl0_inv
	v_cmpx_gt_u32_e32 23, v0
	s_cbranch_execz .LBB63_103
; %bb.100:
	v_mov_b32_e32 v129, 0
	v_add_nc_u32_e32 v134, -1, v0
	v_or_b32_e32 v135, 0x200, v131
	v_mov_b32_e32 v130, 0
	v_mov_b32_e32 v136, v131
	s_mov_b32 s5, 0
.LBB63_101:                             ; =>This Inner Loop Header: Depth=1
	s_clause 0x1
	buffer_load_dword v137, v136, s[0:3], 0 offen
	buffer_load_dword v138, v136, s[0:3], 0 offen offset:4
	ds_read_b64 v[139:140], v135
	v_add_nc_u32_e32 v134, 1, v134
	v_add_nc_u32_e32 v135, 8, v135
	v_add_nc_u32_e32 v136, 8, v136
	v_cmp_lt_u32_e32 vcc_lo, 21, v134
	s_or_b32 s5, vcc_lo, s5
	s_waitcnt vmcnt(0) lgkmcnt(0)
	v_fma_f64 v[129:130], v[137:138], v[139:140], v[129:130]
	s_andn2_b32 exec_lo, exec_lo, s5
	s_cbranch_execnz .LBB63_101
; %bb.102:
	s_or_b32 exec_lo, exec_lo, s5
	v_mov_b32_e32 v134, 0
	ds_read_b64 v[134:135], v134 offset:184
	s_waitcnt lgkmcnt(0)
	v_mul_f64 v[129:130], v[129:130], v[134:135]
	buffer_store_dword v130, off, s[0:3], 0 offset:188
	buffer_store_dword v129, off, s[0:3], 0 offset:184
.LBB63_103:
	s_or_b32 exec_lo, exec_lo, s4
	s_waitcnt_vscnt null, 0x0
	s_barrier
	buffer_gl0_inv
	s_clause 0x1
	buffer_load_dword v129, off, s[0:3], 0 offset:192
	buffer_load_dword v130, off, s[0:3], 0 offset:196
	s_mov_b32 s4, exec_lo
	s_waitcnt vmcnt(0)
	ds_write_b64 v132, v[129:130]
	s_waitcnt lgkmcnt(0)
	s_barrier
	buffer_gl0_inv
	v_cmpx_gt_u32_e32 24, v0
	s_cbranch_execz .LBB63_107
; %bb.104:
	v_mov_b32_e32 v129, 0
	v_add_nc_u32_e32 v134, -1, v0
	v_or_b32_e32 v135, 0x200, v131
	v_mov_b32_e32 v130, 0
	v_mov_b32_e32 v136, v131
	s_mov_b32 s5, 0
.LBB63_105:                             ; =>This Inner Loop Header: Depth=1
	s_clause 0x1
	buffer_load_dword v137, v136, s[0:3], 0 offen
	buffer_load_dword v138, v136, s[0:3], 0 offen offset:4
	ds_read_b64 v[139:140], v135
	v_add_nc_u32_e32 v134, 1, v134
	v_add_nc_u32_e32 v135, 8, v135
	v_add_nc_u32_e32 v136, 8, v136
	v_cmp_lt_u32_e32 vcc_lo, 22, v134
	s_or_b32 s5, vcc_lo, s5
	s_waitcnt vmcnt(0) lgkmcnt(0)
	v_fma_f64 v[129:130], v[137:138], v[139:140], v[129:130]
	s_andn2_b32 exec_lo, exec_lo, s5
	s_cbranch_execnz .LBB63_105
; %bb.106:
	s_or_b32 exec_lo, exec_lo, s5
	v_mov_b32_e32 v134, 0
	ds_read_b64 v[134:135], v134 offset:192
	s_waitcnt lgkmcnt(0)
	v_mul_f64 v[129:130], v[129:130], v[134:135]
	buffer_store_dword v130, off, s[0:3], 0 offset:196
	buffer_store_dword v129, off, s[0:3], 0 offset:192
.LBB63_107:
	s_or_b32 exec_lo, exec_lo, s4
	s_waitcnt_vscnt null, 0x0
	s_barrier
	buffer_gl0_inv
	s_clause 0x1
	buffer_load_dword v129, off, s[0:3], 0 offset:200
	buffer_load_dword v130, off, s[0:3], 0 offset:204
	;; [unrolled: 45-line block ×40, first 2 shown]
	s_mov_b32 s4, exec_lo
	s_waitcnt vmcnt(0)
	ds_write_b64 v132, v[129:130]
	s_waitcnt lgkmcnt(0)
	s_barrier
	buffer_gl0_inv
	v_cmpx_ne_u32_e32 63, v0
	s_cbranch_execz .LBB63_263
; %bb.260:
	v_mov_b32_e32 v129, 0
	v_mov_b32_e32 v130, 0
	s_mov_b32 s5, 0
.LBB63_261:                             ; =>This Inner Loop Header: Depth=1
	s_clause 0x1
	buffer_load_dword v134, v131, s[0:3], 0 offen
	buffer_load_dword v135, v131, s[0:3], 0 offen offset:4
	ds_read_b64 v[136:137], v132
	v_add_nc_u32_e32 v133, 1, v133
	v_add_nc_u32_e32 v132, 8, v132
	;; [unrolled: 1-line block ×3, first 2 shown]
	v_cmp_lt_u32_e32 vcc_lo, 61, v133
	s_or_b32 s5, vcc_lo, s5
	s_waitcnt vmcnt(0) lgkmcnt(0)
	v_fma_f64 v[129:130], v[134:135], v[136:137], v[129:130]
	s_andn2_b32 exec_lo, exec_lo, s5
	s_cbranch_execnz .LBB63_261
; %bb.262:
	s_or_b32 exec_lo, exec_lo, s5
	v_mov_b32_e32 v131, 0
	ds_read_b64 v[131:132], v131 offset:504
	s_waitcnt lgkmcnt(0)
	v_mul_f64 v[129:130], v[129:130], v[131:132]
	buffer_store_dword v130, off, s[0:3], 0 offset:508
	buffer_store_dword v129, off, s[0:3], 0 offset:504
.LBB63_263:
	s_or_b32 exec_lo, exec_lo, s4
	s_mov_b32 s5, -1
	s_waitcnt_vscnt null, 0x0
	s_barrier
	buffer_gl0_inv
.LBB63_264:
	s_and_b32 vcc_lo, exec_lo, s5
	s_cbranch_vccz .LBB63_266
; %bb.265:
	s_lshl_b64 s[4:5], s[6:7], 2
	v_mov_b32_e32 v129, 0
	s_add_u32 s4, s10, s4
	s_addc_u32 s5, s11, s5
	global_load_dword v129, v129, s[4:5]
	s_waitcnt vmcnt(0)
	v_cmp_ne_u32_e32 vcc_lo, 0, v129
	s_cbranch_vccz .LBB63_267
.LBB63_266:
	s_endpgm
.LBB63_267:
	v_lshl_or_b32 v129, v0, 3, 0x200
	s_mov_b32 s4, exec_lo
	v_cmpx_eq_u32_e32 63, v0
	s_cbranch_execz .LBB63_269
; %bb.268:
	s_clause 0x1
	buffer_load_dword v130, off, s[0:3], 0 offset:496
	buffer_load_dword v131, off, s[0:3], 0 offset:500
	v_mov_b32_e32 v132, 0
	buffer_store_dword v132, off, s[0:3], 0 offset:496
	buffer_store_dword v132, off, s[0:3], 0 offset:500
	s_waitcnt vmcnt(0)
	ds_write_b64 v129, v[130:131]
.LBB63_269:
	s_or_b32 exec_lo, exec_lo, s4
	s_waitcnt lgkmcnt(0)
	s_waitcnt_vscnt null, 0x0
	s_barrier
	buffer_gl0_inv
	s_clause 0x3
	buffer_load_dword v131, off, s[0:3], 0 offset:504
	buffer_load_dword v132, off, s[0:3], 0 offset:508
	buffer_load_dword v133, off, s[0:3], 0 offset:496
	buffer_load_dword v134, off, s[0:3], 0 offset:500
	v_mov_b32_e32 v130, 0
	s_mov_b32 s4, exec_lo
	ds_read_b64 v[135:136], v130 offset:1016
	s_waitcnt vmcnt(2) lgkmcnt(0)
	v_fma_f64 v[131:132], v[131:132], v[135:136], 0
	s_waitcnt vmcnt(0)
	v_add_f64 v[131:132], v[133:134], -v[131:132]
	buffer_store_dword v131, off, s[0:3], 0 offset:496
	buffer_store_dword v132, off, s[0:3], 0 offset:500
	v_cmpx_lt_u32_e32 61, v0
	s_cbranch_execz .LBB63_271
; %bb.270:
	s_clause 0x1
	buffer_load_dword v131, off, s[0:3], 0 offset:488
	buffer_load_dword v132, off, s[0:3], 0 offset:492
	buffer_store_dword v130, off, s[0:3], 0 offset:488
	buffer_store_dword v130, off, s[0:3], 0 offset:492
	s_waitcnt vmcnt(0)
	ds_write_b64 v129, v[131:132]
.LBB63_271:
	s_or_b32 exec_lo, exec_lo, s4
	s_waitcnt lgkmcnt(0)
	s_waitcnt_vscnt null, 0x0
	s_barrier
	buffer_gl0_inv
	s_clause 0x5
	buffer_load_dword v134, off, s[0:3], 0 offset:496
	buffer_load_dword v135, off, s[0:3], 0 offset:500
	;; [unrolled: 1-line block ×6, first 2 shown]
	ds_read_b128 v[130:133], v130 offset:1008
	s_mov_b32 s4, exec_lo
	s_waitcnt vmcnt(4) lgkmcnt(0)
	v_fma_f64 v[130:131], v[134:135], v[130:131], 0
	s_waitcnt vmcnt(2)
	v_fma_f64 v[130:131], v[136:137], v[132:133], v[130:131]
	s_waitcnt vmcnt(0)
	v_add_f64 v[130:131], v[138:139], -v[130:131]
	buffer_store_dword v130, off, s[0:3], 0 offset:488
	buffer_store_dword v131, off, s[0:3], 0 offset:492
	v_cmpx_lt_u32_e32 60, v0
	s_cbranch_execz .LBB63_273
; %bb.272:
	s_clause 0x1
	buffer_load_dword v130, off, s[0:3], 0 offset:480
	buffer_load_dword v131, off, s[0:3], 0 offset:484
	v_mov_b32_e32 v132, 0
	buffer_store_dword v132, off, s[0:3], 0 offset:480
	buffer_store_dword v132, off, s[0:3], 0 offset:484
	s_waitcnt vmcnt(0)
	ds_write_b64 v129, v[130:131]
.LBB63_273:
	s_or_b32 exec_lo, exec_lo, s4
	s_waitcnt lgkmcnt(0)
	s_waitcnt_vscnt null, 0x0
	s_barrier
	buffer_gl0_inv
	s_clause 0x7
	buffer_load_dword v135, off, s[0:3], 0 offset:488
	buffer_load_dword v136, off, s[0:3], 0 offset:492
	;; [unrolled: 1-line block ×8, first 2 shown]
	v_mov_b32_e32 v130, 0
	ds_read2_b64 v[131:134], v130 offset0:125 offset1:126
	ds_read_b64 v[143:144], v130 offset:1016
	s_mov_b32 s4, exec_lo
	s_waitcnt vmcnt(6) lgkmcnt(1)
	v_fma_f64 v[131:132], v[135:136], v[131:132], 0
	s_waitcnt vmcnt(4)
	v_fma_f64 v[131:132], v[137:138], v[133:134], v[131:132]
	s_waitcnt vmcnt(2) lgkmcnt(0)
	v_fma_f64 v[131:132], v[139:140], v[143:144], v[131:132]
	s_waitcnt vmcnt(0)
	v_add_f64 v[131:132], v[141:142], -v[131:132]
	buffer_store_dword v131, off, s[0:3], 0 offset:480
	buffer_store_dword v132, off, s[0:3], 0 offset:484
	v_cmpx_lt_u32_e32 59, v0
	s_cbranch_execz .LBB63_275
; %bb.274:
	s_clause 0x1
	buffer_load_dword v131, off, s[0:3], 0 offset:472
	buffer_load_dword v132, off, s[0:3], 0 offset:476
	buffer_store_dword v130, off, s[0:3], 0 offset:472
	buffer_store_dword v130, off, s[0:3], 0 offset:476
	s_waitcnt vmcnt(0)
	ds_write_b64 v129, v[131:132]
.LBB63_275:
	s_or_b32 exec_lo, exec_lo, s4
	s_waitcnt lgkmcnt(0)
	s_waitcnt_vscnt null, 0x0
	s_barrier
	buffer_gl0_inv
	s_clause 0x9
	buffer_load_dword v139, off, s[0:3], 0 offset:480
	buffer_load_dword v140, off, s[0:3], 0 offset:484
	;; [unrolled: 1-line block ×10, first 2 shown]
	ds_read_b128 v[131:134], v130 offset:992
	ds_read_b128 v[135:138], v130 offset:1008
	s_mov_b32 s4, exec_lo
	s_waitcnt vmcnt(8) lgkmcnt(1)
	v_fma_f64 v[130:131], v[139:140], v[131:132], 0
	s_waitcnt vmcnt(6)
	v_fma_f64 v[130:131], v[141:142], v[133:134], v[130:131]
	s_waitcnt vmcnt(4) lgkmcnt(0)
	v_fma_f64 v[130:131], v[143:144], v[135:136], v[130:131]
	s_waitcnt vmcnt(2)
	v_fma_f64 v[130:131], v[145:146], v[137:138], v[130:131]
	s_waitcnt vmcnt(0)
	v_add_f64 v[130:131], v[147:148], -v[130:131]
	buffer_store_dword v130, off, s[0:3], 0 offset:472
	buffer_store_dword v131, off, s[0:3], 0 offset:476
	v_cmpx_lt_u32_e32 58, v0
	s_cbranch_execz .LBB63_277
; %bb.276:
	s_clause 0x1
	buffer_load_dword v130, off, s[0:3], 0 offset:464
	buffer_load_dword v131, off, s[0:3], 0 offset:468
	v_mov_b32_e32 v132, 0
	buffer_store_dword v132, off, s[0:3], 0 offset:464
	buffer_store_dword v132, off, s[0:3], 0 offset:468
	s_waitcnt vmcnt(0)
	ds_write_b64 v129, v[130:131]
.LBB63_277:
	s_or_b32 exec_lo, exec_lo, s4
	s_waitcnt lgkmcnt(0)
	s_waitcnt_vscnt null, 0x0
	s_barrier
	buffer_gl0_inv
	s_clause 0xb
	buffer_load_dword v139, off, s[0:3], 0 offset:472
	buffer_load_dword v140, off, s[0:3], 0 offset:476
	;; [unrolled: 1-line block ×12, first 2 shown]
	v_mov_b32_e32 v130, 0
	ds_read2_b64 v[131:134], v130 offset0:123 offset1:124
	ds_read2_b64 v[135:138], v130 offset0:125 offset1:126
	s_mov_b32 s4, exec_lo
	s_waitcnt vmcnt(10) lgkmcnt(1)
	v_fma_f64 v[131:132], v[139:140], v[131:132], 0
	s_waitcnt vmcnt(8)
	v_fma_f64 v[131:132], v[141:142], v[133:134], v[131:132]
	ds_read_b64 v[133:134], v130 offset:1016
	s_waitcnt vmcnt(6) lgkmcnt(1)
	v_fma_f64 v[131:132], v[143:144], v[135:136], v[131:132]
	s_waitcnt vmcnt(4)
	v_fma_f64 v[131:132], v[145:146], v[137:138], v[131:132]
	s_waitcnt vmcnt(2) lgkmcnt(0)
	v_fma_f64 v[131:132], v[147:148], v[133:134], v[131:132]
	s_waitcnt vmcnt(0)
	v_add_f64 v[131:132], v[149:150], -v[131:132]
	buffer_store_dword v131, off, s[0:3], 0 offset:464
	buffer_store_dword v132, off, s[0:3], 0 offset:468
	v_cmpx_lt_u32_e32 57, v0
	s_cbranch_execz .LBB63_279
; %bb.278:
	s_clause 0x1
	buffer_load_dword v131, off, s[0:3], 0 offset:456
	buffer_load_dword v132, off, s[0:3], 0 offset:460
	buffer_store_dword v130, off, s[0:3], 0 offset:456
	buffer_store_dword v130, off, s[0:3], 0 offset:460
	s_waitcnt vmcnt(0)
	ds_write_b64 v129, v[131:132]
.LBB63_279:
	s_or_b32 exec_lo, exec_lo, s4
	s_waitcnt lgkmcnt(0)
	s_waitcnt_vscnt null, 0x0
	s_barrier
	buffer_gl0_inv
	s_clause 0xd
	buffer_load_dword v139, off, s[0:3], 0 offset:464
	buffer_load_dword v140, off, s[0:3], 0 offset:468
	;; [unrolled: 1-line block ×14, first 2 shown]
	ds_read_b128 v[131:134], v130 offset:976
	ds_read_b128 v[135:138], v130 offset:992
	s_mov_b32 s4, exec_lo
	s_waitcnt vmcnt(12) lgkmcnt(1)
	v_fma_f64 v[131:132], v[139:140], v[131:132], 0
	s_waitcnt vmcnt(10)
	v_fma_f64 v[131:132], v[141:142], v[133:134], v[131:132]
	s_waitcnt vmcnt(8) lgkmcnt(0)
	v_fma_f64 v[131:132], v[143:144], v[135:136], v[131:132]
	s_waitcnt vmcnt(6)
	v_fma_f64 v[134:135], v[145:146], v[137:138], v[131:132]
	ds_read_b128 v[130:133], v130 offset:1008
	s_waitcnt vmcnt(4) lgkmcnt(0)
	v_fma_f64 v[130:131], v[147:148], v[130:131], v[134:135]
	s_waitcnt vmcnt(2)
	v_fma_f64 v[130:131], v[149:150], v[132:133], v[130:131]
	s_waitcnt vmcnt(0)
	v_add_f64 v[130:131], v[151:152], -v[130:131]
	buffer_store_dword v130, off, s[0:3], 0 offset:456
	buffer_store_dword v131, off, s[0:3], 0 offset:460
	v_cmpx_lt_u32_e32 56, v0
	s_cbranch_execz .LBB63_281
; %bb.280:
	s_clause 0x1
	buffer_load_dword v130, off, s[0:3], 0 offset:448
	buffer_load_dword v131, off, s[0:3], 0 offset:452
	v_mov_b32_e32 v132, 0
	buffer_store_dword v132, off, s[0:3], 0 offset:448
	buffer_store_dword v132, off, s[0:3], 0 offset:452
	s_waitcnt vmcnt(0)
	ds_write_b64 v129, v[130:131]
.LBB63_281:
	s_or_b32 exec_lo, exec_lo, s4
	s_waitcnt lgkmcnt(0)
	s_waitcnt_vscnt null, 0x0
	s_barrier
	buffer_gl0_inv
	s_clause 0xf
	buffer_load_dword v139, off, s[0:3], 0 offset:456
	buffer_load_dword v140, off, s[0:3], 0 offset:460
	;; [unrolled: 1-line block ×16, first 2 shown]
	v_mov_b32_e32 v130, 0
	ds_read2_b64 v[131:134], v130 offset0:121 offset1:122
	ds_read2_b64 v[135:138], v130 offset0:123 offset1:124
	s_mov_b32 s4, exec_lo
	s_waitcnt vmcnt(14) lgkmcnt(1)
	v_fma_f64 v[131:132], v[139:140], v[131:132], 0
	s_waitcnt vmcnt(12)
	v_fma_f64 v[131:132], v[141:142], v[133:134], v[131:132]
	s_waitcnt vmcnt(10) lgkmcnt(0)
	v_fma_f64 v[131:132], v[143:144], v[135:136], v[131:132]
	s_waitcnt vmcnt(8)
	v_fma_f64 v[135:136], v[145:146], v[137:138], v[131:132]
	ds_read2_b64 v[131:134], v130 offset0:125 offset1:126
	ds_read_b64 v[137:138], v130 offset:1016
	s_waitcnt vmcnt(6) lgkmcnt(1)
	v_fma_f64 v[131:132], v[147:148], v[131:132], v[135:136]
	s_waitcnt vmcnt(4)
	v_fma_f64 v[131:132], v[149:150], v[133:134], v[131:132]
	s_waitcnt vmcnt(2) lgkmcnt(0)
	v_fma_f64 v[131:132], v[151:152], v[137:138], v[131:132]
	s_waitcnt vmcnt(0)
	v_add_f64 v[131:132], v[153:154], -v[131:132]
	buffer_store_dword v131, off, s[0:3], 0 offset:448
	buffer_store_dword v132, off, s[0:3], 0 offset:452
	v_cmpx_lt_u32_e32 55, v0
	s_cbranch_execz .LBB63_283
; %bb.282:
	s_clause 0x1
	buffer_load_dword v131, off, s[0:3], 0 offset:440
	buffer_load_dword v132, off, s[0:3], 0 offset:444
	buffer_store_dword v130, off, s[0:3], 0 offset:440
	buffer_store_dword v130, off, s[0:3], 0 offset:444
	s_waitcnt vmcnt(0)
	ds_write_b64 v129, v[131:132]
.LBB63_283:
	s_or_b32 exec_lo, exec_lo, s4
	s_waitcnt lgkmcnt(0)
	s_waitcnt_vscnt null, 0x0
	s_barrier
	buffer_gl0_inv
	s_clause 0x11
	buffer_load_dword v139, off, s[0:3], 0 offset:448
	buffer_load_dword v140, off, s[0:3], 0 offset:452
	;; [unrolled: 1-line block ×18, first 2 shown]
	ds_read_b128 v[131:134], v130 offset:960
	ds_read_b128 v[135:138], v130 offset:976
	s_mov_b32 s4, exec_lo
	s_waitcnt vmcnt(16) lgkmcnt(1)
	v_fma_f64 v[131:132], v[139:140], v[131:132], 0
	s_waitcnt vmcnt(14)
	v_fma_f64 v[131:132], v[141:142], v[133:134], v[131:132]
	s_waitcnt vmcnt(12) lgkmcnt(0)
	v_fma_f64 v[131:132], v[143:144], v[135:136], v[131:132]
	s_waitcnt vmcnt(10)
	v_fma_f64 v[139:140], v[145:146], v[137:138], v[131:132]
	ds_read_b128 v[131:134], v130 offset:992
	ds_read_b128 v[135:138], v130 offset:1008
	s_waitcnt vmcnt(8) lgkmcnt(1)
	v_fma_f64 v[130:131], v[147:148], v[131:132], v[139:140]
	s_waitcnt vmcnt(6)
	v_fma_f64 v[130:131], v[149:150], v[133:134], v[130:131]
	s_waitcnt vmcnt(4) lgkmcnt(0)
	v_fma_f64 v[130:131], v[151:152], v[135:136], v[130:131]
	s_waitcnt vmcnt(2)
	v_fma_f64 v[130:131], v[153:154], v[137:138], v[130:131]
	s_waitcnt vmcnt(0)
	v_add_f64 v[130:131], v[155:156], -v[130:131]
	buffer_store_dword v130, off, s[0:3], 0 offset:440
	buffer_store_dword v131, off, s[0:3], 0 offset:444
	v_cmpx_lt_u32_e32 54, v0
	s_cbranch_execz .LBB63_285
; %bb.284:
	s_clause 0x1
	buffer_load_dword v130, off, s[0:3], 0 offset:432
	buffer_load_dword v131, off, s[0:3], 0 offset:436
	v_mov_b32_e32 v132, 0
	buffer_store_dword v132, off, s[0:3], 0 offset:432
	buffer_store_dword v132, off, s[0:3], 0 offset:436
	s_waitcnt vmcnt(0)
	ds_write_b64 v129, v[130:131]
.LBB63_285:
	s_or_b32 exec_lo, exec_lo, s4
	s_waitcnt lgkmcnt(0)
	s_waitcnt_vscnt null, 0x0
	s_barrier
	buffer_gl0_inv
	s_clause 0x13
	buffer_load_dword v135, off, s[0:3], 0 offset:440
	buffer_load_dword v136, off, s[0:3], 0 offset:444
	;; [unrolled: 1-line block ×20, first 2 shown]
	v_mov_b32_e32 v130, 0
	s_mov_b32 s4, exec_lo
	ds_read2_b64 v[131:134], v130 offset0:119 offset1:120
	s_waitcnt vmcnt(18) lgkmcnt(0)
	v_fma_f64 v[131:132], v[135:136], v[131:132], 0
	s_waitcnt vmcnt(16)
	v_fma_f64 v[135:136], v[137:138], v[133:134], v[131:132]
	ds_read2_b64 v[131:134], v130 offset0:121 offset1:122
	s_waitcnt vmcnt(14) lgkmcnt(0)
	v_fma_f64 v[131:132], v[139:140], v[131:132], v[135:136]
	s_waitcnt vmcnt(12)
	v_fma_f64 v[135:136], v[141:142], v[133:134], v[131:132]
	;; [unrolled: 5-line block ×4, first 2 shown]
	ds_read_b64 v[133:134], v130 offset:1016
	s_waitcnt vmcnt(2) lgkmcnt(0)
	v_fma_f64 v[131:132], v[151:152], v[133:134], v[131:132]
	s_waitcnt vmcnt(0)
	v_add_f64 v[131:132], v[153:154], -v[131:132]
	buffer_store_dword v131, off, s[0:3], 0 offset:432
	buffer_store_dword v132, off, s[0:3], 0 offset:436
	v_cmpx_lt_u32_e32 53, v0
	s_cbranch_execz .LBB63_287
; %bb.286:
	s_clause 0x1
	buffer_load_dword v131, off, s[0:3], 0 offset:424
	buffer_load_dword v132, off, s[0:3], 0 offset:428
	buffer_store_dword v130, off, s[0:3], 0 offset:424
	buffer_store_dword v130, off, s[0:3], 0 offset:428
	s_waitcnt vmcnt(0)
	ds_write_b64 v129, v[131:132]
.LBB63_287:
	s_or_b32 exec_lo, exec_lo, s4
	s_waitcnt lgkmcnt(0)
	s_waitcnt_vscnt null, 0x0
	s_barrier
	buffer_gl0_inv
	s_clause 0x15
	buffer_load_dword v135, off, s[0:3], 0 offset:432
	buffer_load_dword v136, off, s[0:3], 0 offset:436
	;; [unrolled: 1-line block ×22, first 2 shown]
	ds_read_b128 v[131:134], v130 offset:944
	s_mov_b32 s4, exec_lo
	s_waitcnt vmcnt(20) lgkmcnt(0)
	v_fma_f64 v[131:132], v[135:136], v[131:132], 0
	s_waitcnt vmcnt(18)
	v_fma_f64 v[135:136], v[137:138], v[133:134], v[131:132]
	ds_read_b128 v[131:134], v130 offset:960
	s_waitcnt vmcnt(16) lgkmcnt(0)
	v_fma_f64 v[131:132], v[139:140], v[131:132], v[135:136]
	s_waitcnt vmcnt(14)
	v_fma_f64 v[135:136], v[141:142], v[133:134], v[131:132]
	ds_read_b128 v[131:134], v130 offset:976
	;; [unrolled: 5-line block ×4, first 2 shown]
	s_waitcnt vmcnt(4) lgkmcnt(0)
	v_fma_f64 v[130:131], v[151:152], v[130:131], v[134:135]
	s_waitcnt vmcnt(2)
	v_fma_f64 v[130:131], v[153:154], v[132:133], v[130:131]
	s_waitcnt vmcnt(0)
	v_add_f64 v[130:131], v[155:156], -v[130:131]
	buffer_store_dword v130, off, s[0:3], 0 offset:424
	buffer_store_dword v131, off, s[0:3], 0 offset:428
	v_cmpx_lt_u32_e32 52, v0
	s_cbranch_execz .LBB63_289
; %bb.288:
	s_clause 0x1
	buffer_load_dword v130, off, s[0:3], 0 offset:416
	buffer_load_dword v131, off, s[0:3], 0 offset:420
	v_mov_b32_e32 v132, 0
	buffer_store_dword v132, off, s[0:3], 0 offset:416
	buffer_store_dword v132, off, s[0:3], 0 offset:420
	s_waitcnt vmcnt(0)
	ds_write_b64 v129, v[130:131]
.LBB63_289:
	s_or_b32 exec_lo, exec_lo, s4
	s_waitcnt lgkmcnt(0)
	s_waitcnt_vscnt null, 0x0
	s_barrier
	buffer_gl0_inv
	s_clause 0x17
	buffer_load_dword v135, off, s[0:3], 0 offset:424
	buffer_load_dword v136, off, s[0:3], 0 offset:428
	;; [unrolled: 1-line block ×24, first 2 shown]
	v_mov_b32_e32 v130, 0
	s_mov_b32 s4, exec_lo
	ds_read2_b64 v[131:134], v130 offset0:117 offset1:118
	s_waitcnt vmcnt(22) lgkmcnt(0)
	v_fma_f64 v[131:132], v[135:136], v[131:132], 0
	s_waitcnt vmcnt(20)
	v_fma_f64 v[135:136], v[137:138], v[133:134], v[131:132]
	ds_read2_b64 v[131:134], v130 offset0:119 offset1:120
	s_waitcnt vmcnt(18) lgkmcnt(0)
	v_fma_f64 v[131:132], v[139:140], v[131:132], v[135:136]
	s_waitcnt vmcnt(16)
	v_fma_f64 v[135:136], v[141:142], v[133:134], v[131:132]
	;; [unrolled: 5-line block ×5, first 2 shown]
	ds_read_b64 v[133:134], v130 offset:1016
	s_waitcnt vmcnt(2) lgkmcnt(0)
	v_fma_f64 v[131:132], v[155:156], v[133:134], v[131:132]
	s_waitcnt vmcnt(0)
	v_add_f64 v[131:132], v[157:158], -v[131:132]
	buffer_store_dword v132, off, s[0:3], 0 offset:420
	buffer_store_dword v131, off, s[0:3], 0 offset:416
	v_cmpx_lt_u32_e32 51, v0
	s_cbranch_execz .LBB63_291
; %bb.290:
	s_clause 0x1
	buffer_load_dword v131, off, s[0:3], 0 offset:408
	buffer_load_dword v132, off, s[0:3], 0 offset:412
	buffer_store_dword v130, off, s[0:3], 0 offset:408
	buffer_store_dword v130, off, s[0:3], 0 offset:412
	s_waitcnt vmcnt(0)
	ds_write_b64 v129, v[131:132]
.LBB63_291:
	s_or_b32 exec_lo, exec_lo, s4
	s_waitcnt lgkmcnt(0)
	s_waitcnt_vscnt null, 0x0
	s_barrier
	buffer_gl0_inv
	s_clause 0x19
	buffer_load_dword v139, off, s[0:3], 0 offset:416
	buffer_load_dword v140, off, s[0:3], 0 offset:420
	buffer_load_dword v141, off, s[0:3], 0 offset:424
	buffer_load_dword v142, off, s[0:3], 0 offset:428
	buffer_load_dword v143, off, s[0:3], 0 offset:432
	buffer_load_dword v144, off, s[0:3], 0 offset:436
	buffer_load_dword v145, off, s[0:3], 0 offset:440
	buffer_load_dword v146, off, s[0:3], 0 offset:444
	buffer_load_dword v147, off, s[0:3], 0 offset:448
	buffer_load_dword v148, off, s[0:3], 0 offset:452
	buffer_load_dword v149, off, s[0:3], 0 offset:456
	buffer_load_dword v150, off, s[0:3], 0 offset:460
	buffer_load_dword v151, off, s[0:3], 0 offset:464
	buffer_load_dword v152, off, s[0:3], 0 offset:468
	buffer_load_dword v154, off, s[0:3], 0 offset:476
	buffer_load_dword v155, off, s[0:3], 0 offset:496
	buffer_load_dword v157, off, s[0:3], 0 offset:488
	buffer_load_dword v159, off, s[0:3], 0 offset:480
	buffer_load_dword v153, off, s[0:3], 0 offset:472
	buffer_load_dword v160, off, s[0:3], 0 offset:484
	buffer_load_dword v158, off, s[0:3], 0 offset:492
	buffer_load_dword v156, off, s[0:3], 0 offset:500
	buffer_load_dword v162, off, s[0:3], 0 offset:508
	buffer_load_dword v161, off, s[0:3], 0 offset:504
	buffer_load_dword v163, off, s[0:3], 0 offset:408
	buffer_load_dword v164, off, s[0:3], 0 offset:412
	ds_read_b128 v[131:134], v130 offset:928
	ds_read_b128 v[135:138], v130 offset:944
	s_mov_b32 s4, exec_lo
	s_waitcnt vmcnt(24) lgkmcnt(1)
	v_fma_f64 v[131:132], v[139:140], v[131:132], 0
	s_waitcnt vmcnt(22)
	v_fma_f64 v[131:132], v[141:142], v[133:134], v[131:132]
	s_waitcnt vmcnt(20) lgkmcnt(0)
	v_fma_f64 v[131:132], v[143:144], v[135:136], v[131:132]
	s_waitcnt vmcnt(18)
	v_fma_f64 v[139:140], v[145:146], v[137:138], v[131:132]
	ds_read_b128 v[131:134], v130 offset:960
	ds_read_b128 v[135:138], v130 offset:976
	s_waitcnt vmcnt(16) lgkmcnt(1)
	v_fma_f64 v[131:132], v[147:148], v[131:132], v[139:140]
	s_waitcnt vmcnt(14)
	v_fma_f64 v[131:132], v[149:150], v[133:134], v[131:132]
	s_waitcnt vmcnt(12) lgkmcnt(0)
	v_fma_f64 v[131:132], v[151:152], v[135:136], v[131:132]
	s_waitcnt vmcnt(7)
	v_fma_f64 v[139:140], v[153:154], v[137:138], v[131:132]
	ds_read_b128 v[131:134], v130 offset:992
	ds_read_b128 v[135:138], v130 offset:1008
	s_waitcnt vmcnt(6) lgkmcnt(1)
	v_fma_f64 v[130:131], v[159:160], v[131:132], v[139:140]
	s_waitcnt vmcnt(5)
	v_fma_f64 v[130:131], v[157:158], v[133:134], v[130:131]
	s_waitcnt vmcnt(4) lgkmcnt(0)
	v_fma_f64 v[130:131], v[155:156], v[135:136], v[130:131]
	s_waitcnt vmcnt(2)
	v_fma_f64 v[130:131], v[161:162], v[137:138], v[130:131]
	s_waitcnt vmcnt(0)
	v_add_f64 v[130:131], v[163:164], -v[130:131]
	buffer_store_dword v131, off, s[0:3], 0 offset:412
	buffer_store_dword v130, off, s[0:3], 0 offset:408
	v_cmpx_lt_u32_e32 50, v0
	s_cbranch_execz .LBB63_293
; %bb.292:
	s_clause 0x1
	buffer_load_dword v130, off, s[0:3], 0 offset:400
	buffer_load_dword v131, off, s[0:3], 0 offset:404
	v_mov_b32_e32 v132, 0
	buffer_store_dword v132, off, s[0:3], 0 offset:400
	buffer_store_dword v132, off, s[0:3], 0 offset:404
	s_waitcnt vmcnt(0)
	ds_write_b64 v129, v[130:131]
.LBB63_293:
	s_or_b32 exec_lo, exec_lo, s4
	s_waitcnt lgkmcnt(0)
	s_waitcnt_vscnt null, 0x0
	s_barrier
	buffer_gl0_inv
	s_clause 0x1b
	buffer_load_dword v139, off, s[0:3], 0 offset:408
	buffer_load_dword v140, off, s[0:3], 0 offset:412
	;; [unrolled: 1-line block ×28, first 2 shown]
	v_mov_b32_e32 v130, 0
	ds_read2_b64 v[131:134], v130 offset0:115 offset1:116
	ds_read2_b64 v[135:138], v130 offset0:117 offset1:118
	s_mov_b32 s4, exec_lo
	s_waitcnt vmcnt(26) lgkmcnt(1)
	v_fma_f64 v[131:132], v[139:140], v[131:132], 0
	s_waitcnt vmcnt(24)
	v_fma_f64 v[131:132], v[141:142], v[133:134], v[131:132]
	s_waitcnt vmcnt(22) lgkmcnt(0)
	v_fma_f64 v[131:132], v[143:144], v[135:136], v[131:132]
	s_waitcnt vmcnt(20)
	v_fma_f64 v[139:140], v[145:146], v[137:138], v[131:132]
	ds_read2_b64 v[131:134], v130 offset0:119 offset1:120
	ds_read2_b64 v[135:138], v130 offset0:121 offset1:122
	s_waitcnt vmcnt(18) lgkmcnt(1)
	v_fma_f64 v[131:132], v[147:148], v[131:132], v[139:140]
	s_waitcnt vmcnt(16)
	v_fma_f64 v[131:132], v[149:150], v[133:134], v[131:132]
	s_waitcnt vmcnt(14) lgkmcnt(0)
	v_fma_f64 v[131:132], v[151:152], v[135:136], v[131:132]
	s_waitcnt vmcnt(9)
	v_fma_f64 v[139:140], v[153:154], v[137:138], v[131:132]
	ds_read2_b64 v[131:134], v130 offset0:123 offset1:124
	ds_read2_b64 v[135:138], v130 offset0:125 offset1:126
	s_waitcnt vmcnt(8) lgkmcnt(1)
	v_fma_f64 v[131:132], v[159:160], v[131:132], v[139:140]
	s_waitcnt vmcnt(7)
	v_fma_f64 v[131:132], v[157:158], v[133:134], v[131:132]
	ds_read_b64 v[133:134], v130 offset:1016
	s_waitcnt vmcnt(6) lgkmcnt(1)
	v_fma_f64 v[131:132], v[155:156], v[135:136], v[131:132]
	s_waitcnt vmcnt(3)
	v_fma_f64 v[131:132], v[161:162], v[137:138], v[131:132]
	s_waitcnt vmcnt(2) lgkmcnt(0)
	v_fma_f64 v[131:132], v[163:164], v[133:134], v[131:132]
	s_waitcnt vmcnt(0)
	v_add_f64 v[131:132], v[165:166], -v[131:132]
	buffer_store_dword v132, off, s[0:3], 0 offset:404
	buffer_store_dword v131, off, s[0:3], 0 offset:400
	v_cmpx_lt_u32_e32 49, v0
	s_cbranch_execz .LBB63_295
; %bb.294:
	s_clause 0x1
	buffer_load_dword v131, off, s[0:3], 0 offset:392
	buffer_load_dword v132, off, s[0:3], 0 offset:396
	buffer_store_dword v130, off, s[0:3], 0 offset:392
	buffer_store_dword v130, off, s[0:3], 0 offset:396
	s_waitcnt vmcnt(0)
	ds_write_b64 v129, v[131:132]
.LBB63_295:
	s_or_b32 exec_lo, exec_lo, s4
	s_waitcnt lgkmcnt(0)
	s_waitcnt_vscnt null, 0x0
	s_barrier
	buffer_gl0_inv
	s_clause 0x1b
	buffer_load_dword v139, off, s[0:3], 0 offset:400
	buffer_load_dword v140, off, s[0:3], 0 offset:404
	;; [unrolled: 1-line block ×28, first 2 shown]
	ds_read_b128 v[131:134], v130 offset:912
	s_clause 0x1
	buffer_load_dword v167, off, s[0:3], 0 offset:392
	buffer_load_dword v168, off, s[0:3], 0 offset:396
	ds_read_b128 v[135:138], v130 offset:928
	s_mov_b32 s4, exec_lo
	s_waitcnt vmcnt(28) lgkmcnt(1)
	v_fma_f64 v[131:132], v[139:140], v[131:132], 0
	s_waitcnt vmcnt(26)
	v_fma_f64 v[131:132], v[141:142], v[133:134], v[131:132]
	s_waitcnt vmcnt(24) lgkmcnt(0)
	v_fma_f64 v[131:132], v[143:144], v[135:136], v[131:132]
	s_waitcnt vmcnt(22)
	v_fma_f64 v[139:140], v[145:146], v[137:138], v[131:132]
	ds_read_b128 v[131:134], v130 offset:944
	ds_read_b128 v[135:138], v130 offset:960
	s_waitcnt vmcnt(20) lgkmcnt(1)
	v_fma_f64 v[131:132], v[147:148], v[131:132], v[139:140]
	s_waitcnt vmcnt(18)
	v_fma_f64 v[131:132], v[149:150], v[133:134], v[131:132]
	s_waitcnt vmcnt(16) lgkmcnt(0)
	v_fma_f64 v[131:132], v[151:152], v[135:136], v[131:132]
	s_waitcnt vmcnt(11)
	v_fma_f64 v[139:140], v[153:154], v[137:138], v[131:132]
	ds_read_b128 v[131:134], v130 offset:976
	ds_read_b128 v[135:138], v130 offset:992
	s_waitcnt vmcnt(10) lgkmcnt(1)
	v_fma_f64 v[131:132], v[159:160], v[131:132], v[139:140]
	s_waitcnt vmcnt(9)
	v_fma_f64 v[131:132], v[157:158], v[133:134], v[131:132]
	s_waitcnt vmcnt(8) lgkmcnt(0)
	v_fma_f64 v[131:132], v[155:156], v[135:136], v[131:132]
	s_waitcnt vmcnt(4)
	v_fma_f64 v[134:135], v[161:162], v[137:138], v[131:132]
	ds_read_b128 v[130:133], v130 offset:1008
	s_waitcnt vmcnt(3) lgkmcnt(0)
	v_fma_f64 v[130:131], v[165:166], v[130:131], v[134:135]
	s_waitcnt vmcnt(2)
	v_fma_f64 v[130:131], v[163:164], v[132:133], v[130:131]
	s_waitcnt vmcnt(0)
	v_add_f64 v[130:131], v[167:168], -v[130:131]
	buffer_store_dword v131, off, s[0:3], 0 offset:396
	buffer_store_dword v130, off, s[0:3], 0 offset:392
	v_cmpx_lt_u32_e32 48, v0
	s_cbranch_execz .LBB63_297
; %bb.296:
	s_clause 0x1
	buffer_load_dword v130, off, s[0:3], 0 offset:384
	buffer_load_dword v131, off, s[0:3], 0 offset:388
	v_mov_b32_e32 v132, 0
	buffer_store_dword v132, off, s[0:3], 0 offset:384
	buffer_store_dword v132, off, s[0:3], 0 offset:388
	s_waitcnt vmcnt(0)
	ds_write_b64 v129, v[130:131]
.LBB63_297:
	s_or_b32 exec_lo, exec_lo, s4
	s_waitcnt lgkmcnt(0)
	s_waitcnt_vscnt null, 0x0
	s_barrier
	buffer_gl0_inv
	s_clause 0x1c
	buffer_load_dword v139, off, s[0:3], 0 offset:392
	buffer_load_dword v140, off, s[0:3], 0 offset:396
	;; [unrolled: 1-line block ×29, first 2 shown]
	v_mov_b32_e32 v130, 0
	buffer_load_dword v164, off, s[0:3], 0 offset:508
	s_mov_b32 s4, exec_lo
	ds_read2_b64 v[131:134], v130 offset0:113 offset1:114
	ds_read2_b64 v[135:138], v130 offset0:115 offset1:116
	s_waitcnt vmcnt(28) lgkmcnt(1)
	v_fma_f64 v[131:132], v[139:140], v[131:132], 0
	s_clause 0x1
	buffer_load_dword v139, off, s[0:3], 0 offset:384
	buffer_load_dword v140, off, s[0:3], 0 offset:388
	s_waitcnt vmcnt(28)
	v_fma_f64 v[131:132], v[141:142], v[133:134], v[131:132]
	s_waitcnt vmcnt(26) lgkmcnt(0)
	v_fma_f64 v[131:132], v[143:144], v[135:136], v[131:132]
	s_waitcnt vmcnt(24)
	v_fma_f64 v[141:142], v[145:146], v[137:138], v[131:132]
	ds_read2_b64 v[131:134], v130 offset0:117 offset1:118
	ds_read2_b64 v[135:138], v130 offset0:119 offset1:120
	s_waitcnt vmcnt(22) lgkmcnt(1)
	v_fma_f64 v[131:132], v[147:148], v[131:132], v[141:142]
	s_waitcnt vmcnt(20)
	v_fma_f64 v[131:132], v[149:150], v[133:134], v[131:132]
	s_waitcnt vmcnt(18) lgkmcnt(0)
	v_fma_f64 v[131:132], v[151:152], v[135:136], v[131:132]
	s_waitcnt vmcnt(13)
	v_fma_f64 v[141:142], v[153:154], v[137:138], v[131:132]
	ds_read2_b64 v[131:134], v130 offset0:121 offset1:122
	ds_read2_b64 v[135:138], v130 offset0:123 offset1:124
	s_waitcnt vmcnt(12) lgkmcnt(1)
	v_fma_f64 v[131:132], v[159:160], v[131:132], v[141:142]
	s_waitcnt vmcnt(11)
	v_fma_f64 v[131:132], v[157:158], v[133:134], v[131:132]
	s_waitcnt vmcnt(10) lgkmcnt(0)
	v_fma_f64 v[131:132], v[155:156], v[135:136], v[131:132]
	s_waitcnt vmcnt(5)
	v_fma_f64 v[135:136], v[161:162], v[137:138], v[131:132]
	ds_read2_b64 v[131:134], v130 offset0:125 offset1:126
	ds_read_b64 v[137:138], v130 offset:1016
	s_waitcnt vmcnt(4) lgkmcnt(1)
	v_fma_f64 v[131:132], v[167:168], v[131:132], v[135:136]
	s_waitcnt vmcnt(3)
	v_fma_f64 v[131:132], v[165:166], v[133:134], v[131:132]
	s_waitcnt vmcnt(2) lgkmcnt(0)
	v_fma_f64 v[131:132], v[163:164], v[137:138], v[131:132]
	s_waitcnt vmcnt(0)
	v_add_f64 v[131:132], v[139:140], -v[131:132]
	buffer_store_dword v132, off, s[0:3], 0 offset:388
	buffer_store_dword v131, off, s[0:3], 0 offset:384
	v_cmpx_lt_u32_e32 47, v0
	s_cbranch_execz .LBB63_299
; %bb.298:
	s_clause 0x1
	buffer_load_dword v131, off, s[0:3], 0 offset:376
	buffer_load_dword v132, off, s[0:3], 0 offset:380
	buffer_store_dword v130, off, s[0:3], 0 offset:376
	buffer_store_dword v130, off, s[0:3], 0 offset:380
	s_waitcnt vmcnt(0)
	ds_write_b64 v129, v[131:132]
.LBB63_299:
	s_or_b32 exec_lo, exec_lo, s4
	s_waitcnt lgkmcnt(0)
	s_waitcnt_vscnt null, 0x0
	s_barrier
	buffer_gl0_inv
	s_clause 0x1c
	buffer_load_dword v139, off, s[0:3], 0 offset:384
	buffer_load_dword v140, off, s[0:3], 0 offset:388
	;; [unrolled: 1-line block ×29, first 2 shown]
	ds_read_b128 v[131:134], v130 offset:896
	ds_read_b128 v[135:138], v130 offset:912
	buffer_load_dword v164, off, s[0:3], 0 offset:500
	s_mov_b32 s4, exec_lo
	s_waitcnt vmcnt(28) lgkmcnt(1)
	v_fma_f64 v[131:132], v[139:140], v[131:132], 0
	s_clause 0x1
	buffer_load_dword v140, off, s[0:3], 0 offset:508
	buffer_load_dword v139, off, s[0:3], 0 offset:504
	s_waitcnt vmcnt(28)
	v_fma_f64 v[131:132], v[141:142], v[133:134], v[131:132]
	s_clause 0x1
	buffer_load_dword v141, off, s[0:3], 0 offset:376
	buffer_load_dword v142, off, s[0:3], 0 offset:380
	s_waitcnt vmcnt(28) lgkmcnt(0)
	v_fma_f64 v[131:132], v[143:144], v[135:136], v[131:132]
	s_waitcnt vmcnt(26)
	v_fma_f64 v[143:144], v[145:146], v[137:138], v[131:132]
	ds_read_b128 v[131:134], v130 offset:928
	ds_read_b128 v[135:138], v130 offset:944
	s_waitcnt vmcnt(24) lgkmcnt(1)
	v_fma_f64 v[131:132], v[147:148], v[131:132], v[143:144]
	s_waitcnt vmcnt(22)
	v_fma_f64 v[131:132], v[149:150], v[133:134], v[131:132]
	s_waitcnt vmcnt(20) lgkmcnt(0)
	v_fma_f64 v[131:132], v[151:152], v[135:136], v[131:132]
	s_waitcnt vmcnt(15)
	v_fma_f64 v[143:144], v[153:154], v[137:138], v[131:132]
	ds_read_b128 v[131:134], v130 offset:960
	ds_read_b128 v[135:138], v130 offset:976
	s_waitcnt vmcnt(14) lgkmcnt(1)
	v_fma_f64 v[131:132], v[159:160], v[131:132], v[143:144]
	s_waitcnt vmcnt(13)
	v_fma_f64 v[131:132], v[157:158], v[133:134], v[131:132]
	s_waitcnt vmcnt(12) lgkmcnt(0)
	v_fma_f64 v[131:132], v[155:156], v[135:136], v[131:132]
	s_waitcnt vmcnt(7)
	v_fma_f64 v[143:144], v[161:162], v[137:138], v[131:132]
	ds_read_b128 v[131:134], v130 offset:992
	ds_read_b128 v[135:138], v130 offset:1008
	s_waitcnt vmcnt(6) lgkmcnt(1)
	v_fma_f64 v[130:131], v[167:168], v[131:132], v[143:144]
	s_waitcnt vmcnt(5)
	v_fma_f64 v[130:131], v[165:166], v[133:134], v[130:131]
	s_waitcnt vmcnt(4) lgkmcnt(0)
	v_fma_f64 v[130:131], v[163:164], v[135:136], v[130:131]
	s_waitcnt vmcnt(2)
	v_fma_f64 v[130:131], v[139:140], v[137:138], v[130:131]
	s_waitcnt vmcnt(0)
	v_add_f64 v[130:131], v[141:142], -v[130:131]
	buffer_store_dword v131, off, s[0:3], 0 offset:380
	buffer_store_dword v130, off, s[0:3], 0 offset:376
	v_cmpx_lt_u32_e32 46, v0
	s_cbranch_execz .LBB63_301
; %bb.300:
	s_clause 0x1
	buffer_load_dword v130, off, s[0:3], 0 offset:368
	buffer_load_dword v131, off, s[0:3], 0 offset:372
	v_mov_b32_e32 v132, 0
	buffer_store_dword v132, off, s[0:3], 0 offset:368
	buffer_store_dword v132, off, s[0:3], 0 offset:372
	s_waitcnt vmcnt(0)
	ds_write_b64 v129, v[130:131]
.LBB63_301:
	s_or_b32 exec_lo, exec_lo, s4
	s_waitcnt lgkmcnt(0)
	s_waitcnt_vscnt null, 0x0
	s_barrier
	buffer_gl0_inv
	s_clause 0x1c
	buffer_load_dword v139, off, s[0:3], 0 offset:376
	buffer_load_dword v140, off, s[0:3], 0 offset:380
	;; [unrolled: 1-line block ×29, first 2 shown]
	v_mov_b32_e32 v130, 0
	buffer_load_dword v164, off, s[0:3], 0 offset:492
	s_mov_b32 s4, exec_lo
	ds_read2_b64 v[131:134], v130 offset0:111 offset1:112
	ds_read2_b64 v[135:138], v130 offset0:113 offset1:114
	s_waitcnt vmcnt(28) lgkmcnt(1)
	v_fma_f64 v[131:132], v[139:140], v[131:132], 0
	s_clause 0x3
	buffer_load_dword v140, off, s[0:3], 0 offset:500
	buffer_load_dword v169, off, s[0:3], 0 offset:504
	;; [unrolled: 1-line block ×4, first 2 shown]
	s_waitcnt vmcnt(30)
	v_fma_f64 v[131:132], v[141:142], v[133:134], v[131:132]
	s_clause 0x1
	buffer_load_dword v141, off, s[0:3], 0 offset:368
	buffer_load_dword v142, off, s[0:3], 0 offset:372
	s_waitcnt vmcnt(30) lgkmcnt(0)
	v_fma_f64 v[131:132], v[143:144], v[135:136], v[131:132]
	s_waitcnt vmcnt(28)
	v_fma_f64 v[143:144], v[145:146], v[137:138], v[131:132]
	ds_read2_b64 v[131:134], v130 offset0:115 offset1:116
	ds_read2_b64 v[135:138], v130 offset0:117 offset1:118
	s_waitcnt vmcnt(26) lgkmcnt(1)
	v_fma_f64 v[131:132], v[147:148], v[131:132], v[143:144]
	s_waitcnt vmcnt(24)
	v_fma_f64 v[131:132], v[149:150], v[133:134], v[131:132]
	s_waitcnt vmcnt(22) lgkmcnt(0)
	v_fma_f64 v[131:132], v[151:152], v[135:136], v[131:132]
	s_waitcnt vmcnt(17)
	v_fma_f64 v[143:144], v[153:154], v[137:138], v[131:132]
	ds_read2_b64 v[131:134], v130 offset0:119 offset1:120
	ds_read2_b64 v[135:138], v130 offset0:121 offset1:122
	s_waitcnt vmcnt(16) lgkmcnt(1)
	v_fma_f64 v[131:132], v[159:160], v[131:132], v[143:144]
	s_waitcnt vmcnt(15)
	v_fma_f64 v[131:132], v[157:158], v[133:134], v[131:132]
	;; [unrolled: 10-line block ×3, first 2 shown]
	ds_read_b64 v[133:134], v130 offset:1016
	s_waitcnt vmcnt(6) lgkmcnt(1)
	v_fma_f64 v[131:132], v[163:164], v[135:136], v[131:132]
	s_waitcnt vmcnt(3)
	v_fma_f64 v[131:132], v[139:140], v[137:138], v[131:132]
	s_waitcnt vmcnt(2) lgkmcnt(0)
	v_fma_f64 v[131:132], v[169:170], v[133:134], v[131:132]
	s_waitcnt vmcnt(0)
	v_add_f64 v[131:132], v[141:142], -v[131:132]
	buffer_store_dword v132, off, s[0:3], 0 offset:372
	buffer_store_dword v131, off, s[0:3], 0 offset:368
	v_cmpx_lt_u32_e32 45, v0
	s_cbranch_execz .LBB63_303
; %bb.302:
	s_clause 0x1
	buffer_load_dword v131, off, s[0:3], 0 offset:360
	buffer_load_dword v132, off, s[0:3], 0 offset:364
	buffer_store_dword v130, off, s[0:3], 0 offset:360
	buffer_store_dword v130, off, s[0:3], 0 offset:364
	s_waitcnt vmcnt(0)
	ds_write_b64 v129, v[131:132]
.LBB63_303:
	s_or_b32 exec_lo, exec_lo, s4
	s_waitcnt lgkmcnt(0)
	s_waitcnt_vscnt null, 0x0
	s_barrier
	buffer_gl0_inv
	s_clause 0x1c
	buffer_load_dword v139, off, s[0:3], 0 offset:368
	buffer_load_dword v140, off, s[0:3], 0 offset:372
	;; [unrolled: 1-line block ×29, first 2 shown]
	ds_read_b128 v[131:134], v130 offset:880
	ds_read_b128 v[135:138], v130 offset:896
	buffer_load_dword v164, off, s[0:3], 0 offset:484
	s_mov_b32 s4, exec_lo
	s_waitcnt vmcnt(28) lgkmcnt(1)
	v_fma_f64 v[131:132], v[139:140], v[131:132], 0
	s_clause 0x5
	buffer_load_dword v140, off, s[0:3], 0 offset:492
	buffer_load_dword v169, off, s[0:3], 0 offset:504
	;; [unrolled: 1-line block ×6, first 2 shown]
	s_waitcnt vmcnt(32)
	v_fma_f64 v[131:132], v[141:142], v[133:134], v[131:132]
	s_waitcnt vmcnt(30) lgkmcnt(0)
	v_fma_f64 v[131:132], v[143:144], v[135:136], v[131:132]
	s_waitcnt vmcnt(28)
	v_fma_f64 v[141:142], v[145:146], v[137:138], v[131:132]
	ds_read_b128 v[131:134], v130 offset:912
	s_clause 0x1
	buffer_load_dword v143, off, s[0:3], 0 offset:360
	buffer_load_dword v144, off, s[0:3], 0 offset:364
	ds_read_b128 v[135:138], v130 offset:928
	s_waitcnt vmcnt(28) lgkmcnt(1)
	v_fma_f64 v[131:132], v[147:148], v[131:132], v[141:142]
	s_waitcnt vmcnt(26)
	v_fma_f64 v[131:132], v[149:150], v[133:134], v[131:132]
	s_waitcnt vmcnt(24) lgkmcnt(0)
	v_fma_f64 v[131:132], v[151:152], v[135:136], v[131:132]
	s_waitcnt vmcnt(19)
	v_fma_f64 v[141:142], v[153:154], v[137:138], v[131:132]
	ds_read_b128 v[131:134], v130 offset:944
	ds_read_b128 v[135:138], v130 offset:960
	s_waitcnt vmcnt(18) lgkmcnt(1)
	v_fma_f64 v[131:132], v[159:160], v[131:132], v[141:142]
	s_waitcnt vmcnt(17)
	v_fma_f64 v[131:132], v[157:158], v[133:134], v[131:132]
	s_waitcnt vmcnt(16) lgkmcnt(0)
	v_fma_f64 v[131:132], v[155:156], v[135:136], v[131:132]
	s_waitcnt vmcnt(11)
	v_fma_f64 v[141:142], v[161:162], v[137:138], v[131:132]
	ds_read_b128 v[131:134], v130 offset:976
	;; [unrolled: 10-line block ×3, first 2 shown]
	s_waitcnt vmcnt(3) lgkmcnt(0)
	v_fma_f64 v[130:131], v[171:172], v[130:131], v[134:135]
	s_waitcnt vmcnt(2)
	v_fma_f64 v[130:131], v[169:170], v[132:133], v[130:131]
	s_waitcnt vmcnt(0)
	v_add_f64 v[130:131], v[143:144], -v[130:131]
	buffer_store_dword v131, off, s[0:3], 0 offset:364
	buffer_store_dword v130, off, s[0:3], 0 offset:360
	v_cmpx_lt_u32_e32 44, v0
	s_cbranch_execz .LBB63_305
; %bb.304:
	s_clause 0x1
	buffer_load_dword v130, off, s[0:3], 0 offset:352
	buffer_load_dword v131, off, s[0:3], 0 offset:356
	v_mov_b32_e32 v132, 0
	buffer_store_dword v132, off, s[0:3], 0 offset:352
	buffer_store_dword v132, off, s[0:3], 0 offset:356
	s_waitcnt vmcnt(0)
	ds_write_b64 v129, v[130:131]
.LBB63_305:
	s_or_b32 exec_lo, exec_lo, s4
	s_waitcnt lgkmcnt(0)
	s_waitcnt_vscnt null, 0x0
	s_barrier
	buffer_gl0_inv
	s_clause 0x1c
	buffer_load_dword v139, off, s[0:3], 0 offset:360
	buffer_load_dword v140, off, s[0:3], 0 offset:364
	;; [unrolled: 1-line block ×29, first 2 shown]
	v_mov_b32_e32 v130, 0
	buffer_load_dword v164, off, s[0:3], 0 offset:476
	s_mov_b32 s4, exec_lo
	ds_read2_b64 v[131:134], v130 offset0:109 offset1:110
	ds_read2_b64 v[135:138], v130 offset0:111 offset1:112
	s_waitcnt vmcnt(28) lgkmcnt(1)
	v_fma_f64 v[131:132], v[139:140], v[131:132], 0
	s_clause 0x7
	buffer_load_dword v140, off, s[0:3], 0 offset:484
	buffer_load_dword v169, off, s[0:3], 0 offset:504
	buffer_load_dword v171, off, s[0:3], 0 offset:496
	buffer_load_dword v173, off, s[0:3], 0 offset:488
	buffer_load_dword v139, off, s[0:3], 0 offset:480
	buffer_load_dword v174, off, s[0:3], 0 offset:492
	buffer_load_dword v172, off, s[0:3], 0 offset:500
	buffer_load_dword v170, off, s[0:3], 0 offset:508
	s_waitcnt vmcnt(34)
	v_fma_f64 v[131:132], v[141:142], v[133:134], v[131:132]
	s_waitcnt vmcnt(32) lgkmcnt(0)
	v_fma_f64 v[131:132], v[143:144], v[135:136], v[131:132]
	s_waitcnt vmcnt(30)
	v_fma_f64 v[141:142], v[145:146], v[137:138], v[131:132]
	ds_read2_b64 v[131:134], v130 offset0:113 offset1:114
	ds_read2_b64 v[135:138], v130 offset0:115 offset1:116
	s_waitcnt vmcnt(28) lgkmcnt(1)
	v_fma_f64 v[131:132], v[147:148], v[131:132], v[141:142]
	s_clause 0x1
	buffer_load_dword v141, off, s[0:3], 0 offset:352
	buffer_load_dword v142, off, s[0:3], 0 offset:356
	s_waitcnt vmcnt(28)
	v_fma_f64 v[131:132], v[149:150], v[133:134], v[131:132]
	s_waitcnt vmcnt(26) lgkmcnt(0)
	v_fma_f64 v[131:132], v[151:152], v[135:136], v[131:132]
	s_waitcnt vmcnt(21)
	v_fma_f64 v[143:144], v[153:154], v[137:138], v[131:132]
	ds_read2_b64 v[131:134], v130 offset0:117 offset1:118
	ds_read2_b64 v[135:138], v130 offset0:119 offset1:120
	s_waitcnt vmcnt(20) lgkmcnt(1)
	v_fma_f64 v[131:132], v[159:160], v[131:132], v[143:144]
	s_waitcnt vmcnt(19)
	v_fma_f64 v[131:132], v[157:158], v[133:134], v[131:132]
	s_waitcnt vmcnt(18) lgkmcnt(0)
	v_fma_f64 v[131:132], v[155:156], v[135:136], v[131:132]
	s_waitcnt vmcnt(13)
	v_fma_f64 v[143:144], v[161:162], v[137:138], v[131:132]
	ds_read2_b64 v[131:134], v130 offset0:121 offset1:122
	ds_read2_b64 v[135:138], v130 offset0:123 offset1:124
	s_waitcnt vmcnt(12) lgkmcnt(1)
	v_fma_f64 v[131:132], v[167:168], v[131:132], v[143:144]
	s_waitcnt vmcnt(11)
	v_fma_f64 v[131:132], v[165:166], v[133:134], v[131:132]
	s_waitcnt vmcnt(10) lgkmcnt(0)
	v_fma_f64 v[131:132], v[163:164], v[135:136], v[131:132]
	s_waitcnt vmcnt(5)
	v_fma_f64 v[135:136], v[139:140], v[137:138], v[131:132]
	ds_read2_b64 v[131:134], v130 offset0:125 offset1:126
	ds_read_b64 v[137:138], v130 offset:1016
	s_waitcnt vmcnt(4) lgkmcnt(1)
	v_fma_f64 v[131:132], v[173:174], v[131:132], v[135:136]
	s_waitcnt vmcnt(3)
	v_fma_f64 v[131:132], v[171:172], v[133:134], v[131:132]
	s_waitcnt vmcnt(2) lgkmcnt(0)
	v_fma_f64 v[131:132], v[169:170], v[137:138], v[131:132]
	s_waitcnt vmcnt(0)
	v_add_f64 v[131:132], v[141:142], -v[131:132]
	buffer_store_dword v132, off, s[0:3], 0 offset:356
	buffer_store_dword v131, off, s[0:3], 0 offset:352
	v_cmpx_lt_u32_e32 43, v0
	s_cbranch_execz .LBB63_307
; %bb.306:
	s_clause 0x1
	buffer_load_dword v131, off, s[0:3], 0 offset:344
	buffer_load_dword v132, off, s[0:3], 0 offset:348
	buffer_store_dword v130, off, s[0:3], 0 offset:344
	buffer_store_dword v130, off, s[0:3], 0 offset:348
	s_waitcnt vmcnt(0)
	ds_write_b64 v129, v[131:132]
.LBB63_307:
	s_or_b32 exec_lo, exec_lo, s4
	s_waitcnt lgkmcnt(0)
	s_waitcnt_vscnt null, 0x0
	s_barrier
	buffer_gl0_inv
	s_clause 0x1c
	buffer_load_dword v139, off, s[0:3], 0 offset:352
	buffer_load_dword v140, off, s[0:3], 0 offset:356
	;; [unrolled: 1-line block ×29, first 2 shown]
	ds_read_b128 v[131:134], v130 offset:864
	ds_read_b128 v[135:138], v130 offset:880
	buffer_load_dword v164, off, s[0:3], 0 offset:468
	s_mov_b32 s4, exec_lo
	s_waitcnt vmcnt(28) lgkmcnt(1)
	v_fma_f64 v[131:132], v[139:140], v[131:132], 0
	s_clause 0x7
	buffer_load_dword v140, off, s[0:3], 0 offset:476
	buffer_load_dword v169, off, s[0:3], 0 offset:496
	;; [unrolled: 1-line block ×8, first 2 shown]
	s_waitcnt vmcnt(34)
	v_fma_f64 v[131:132], v[141:142], v[133:134], v[131:132]
	s_waitcnt vmcnt(32) lgkmcnt(0)
	v_fma_f64 v[131:132], v[143:144], v[135:136], v[131:132]
	s_waitcnt vmcnt(30)
	v_fma_f64 v[141:142], v[145:146], v[137:138], v[131:132]
	ds_read_b128 v[131:134], v130 offset:896
	ds_read_b128 v[135:138], v130 offset:912
	s_waitcnt vmcnt(28) lgkmcnt(1)
	v_fma_f64 v[131:132], v[147:148], v[131:132], v[141:142]
	s_clause 0x3
	buffer_load_dword v142, off, s[0:3], 0 offset:508
	buffer_load_dword v141, off, s[0:3], 0 offset:504
	;; [unrolled: 1-line block ×4, first 2 shown]
	s_waitcnt vmcnt(30)
	v_fma_f64 v[131:132], v[149:150], v[133:134], v[131:132]
	s_waitcnt vmcnt(28) lgkmcnt(0)
	v_fma_f64 v[131:132], v[151:152], v[135:136], v[131:132]
	s_waitcnt vmcnt(23)
	v_fma_f64 v[145:146], v[153:154], v[137:138], v[131:132]
	ds_read_b128 v[131:134], v130 offset:928
	ds_read_b128 v[135:138], v130 offset:944
	s_waitcnt vmcnt(22) lgkmcnt(1)
	v_fma_f64 v[131:132], v[159:160], v[131:132], v[145:146]
	s_waitcnt vmcnt(21)
	v_fma_f64 v[131:132], v[157:158], v[133:134], v[131:132]
	s_waitcnt vmcnt(20) lgkmcnt(0)
	v_fma_f64 v[131:132], v[155:156], v[135:136], v[131:132]
	s_waitcnt vmcnt(15)
	v_fma_f64 v[145:146], v[161:162], v[137:138], v[131:132]
	ds_read_b128 v[131:134], v130 offset:960
	ds_read_b128 v[135:138], v130 offset:976
	s_waitcnt vmcnt(14) lgkmcnt(1)
	v_fma_f64 v[131:132], v[167:168], v[131:132], v[145:146]
	;; [unrolled: 10-line block ×3, first 2 shown]
	s_waitcnt vmcnt(5)
	v_fma_f64 v[130:131], v[171:172], v[133:134], v[130:131]
	s_waitcnt vmcnt(4) lgkmcnt(0)
	v_fma_f64 v[130:131], v[169:170], v[135:136], v[130:131]
	s_waitcnt vmcnt(2)
	v_fma_f64 v[130:131], v[141:142], v[137:138], v[130:131]
	s_waitcnt vmcnt(0)
	v_add_f64 v[130:131], v[143:144], -v[130:131]
	buffer_store_dword v131, off, s[0:3], 0 offset:348
	buffer_store_dword v130, off, s[0:3], 0 offset:344
	v_cmpx_lt_u32_e32 42, v0
	s_cbranch_execz .LBB63_309
; %bb.308:
	s_clause 0x1
	buffer_load_dword v130, off, s[0:3], 0 offset:336
	buffer_load_dword v131, off, s[0:3], 0 offset:340
	v_mov_b32_e32 v132, 0
	buffer_store_dword v132, off, s[0:3], 0 offset:336
	buffer_store_dword v132, off, s[0:3], 0 offset:340
	s_waitcnt vmcnt(0)
	ds_write_b64 v129, v[130:131]
.LBB63_309:
	s_or_b32 exec_lo, exec_lo, s4
	s_waitcnt lgkmcnt(0)
	s_waitcnt_vscnt null, 0x0
	s_barrier
	buffer_gl0_inv
	s_clause 0x1c
	buffer_load_dword v139, off, s[0:3], 0 offset:344
	buffer_load_dword v140, off, s[0:3], 0 offset:348
	buffer_load_dword v141, off, s[0:3], 0 offset:352
	buffer_load_dword v142, off, s[0:3], 0 offset:356
	buffer_load_dword v143, off, s[0:3], 0 offset:360
	buffer_load_dword v144, off, s[0:3], 0 offset:364
	buffer_load_dword v145, off, s[0:3], 0 offset:368
	buffer_load_dword v146, off, s[0:3], 0 offset:372
	buffer_load_dword v147, off, s[0:3], 0 offset:376
	buffer_load_dword v148, off, s[0:3], 0 offset:380
	buffer_load_dword v149, off, s[0:3], 0 offset:384
	buffer_load_dword v150, off, s[0:3], 0 offset:388
	buffer_load_dword v151, off, s[0:3], 0 offset:392
	buffer_load_dword v152, off, s[0:3], 0 offset:396
	buffer_load_dword v154, off, s[0:3], 0 offset:404
	buffer_load_dword v155, off, s[0:3], 0 offset:424
	buffer_load_dword v157, off, s[0:3], 0 offset:416
	buffer_load_dword v159, off, s[0:3], 0 offset:408
	buffer_load_dword v153, off, s[0:3], 0 offset:400
	buffer_load_dword v160, off, s[0:3], 0 offset:412
	buffer_load_dword v158, off, s[0:3], 0 offset:420
	buffer_load_dword v156, off, s[0:3], 0 offset:428
	buffer_load_dword v162, off, s[0:3], 0 offset:436
	buffer_load_dword v163, off, s[0:3], 0 offset:456
	buffer_load_dword v165, off, s[0:3], 0 offset:448
	buffer_load_dword v167, off, s[0:3], 0 offset:440
	buffer_load_dword v161, off, s[0:3], 0 offset:432
	buffer_load_dword v168, off, s[0:3], 0 offset:444
	buffer_load_dword v166, off, s[0:3], 0 offset:452
	v_mov_b32_e32 v130, 0
	buffer_load_dword v164, off, s[0:3], 0 offset:460
	s_mov_b32 s4, exec_lo
	ds_read2_b64 v[131:134], v130 offset0:107 offset1:108
	ds_read2_b64 v[135:138], v130 offset0:109 offset1:110
	s_waitcnt vmcnt(28) lgkmcnt(1)
	v_fma_f64 v[131:132], v[139:140], v[131:132], 0
	s_clause 0x7
	buffer_load_dword v140, off, s[0:3], 0 offset:468
	buffer_load_dword v169, off, s[0:3], 0 offset:488
	;; [unrolled: 1-line block ×8, first 2 shown]
	s_waitcnt vmcnt(34)
	v_fma_f64 v[131:132], v[141:142], v[133:134], v[131:132]
	s_waitcnt vmcnt(32) lgkmcnt(0)
	v_fma_f64 v[131:132], v[143:144], v[135:136], v[131:132]
	s_waitcnt vmcnt(30)
	v_fma_f64 v[141:142], v[145:146], v[137:138], v[131:132]
	ds_read2_b64 v[131:134], v130 offset0:111 offset1:112
	ds_read2_b64 v[135:138], v130 offset0:113 offset1:114
	s_waitcnt vmcnt(28) lgkmcnt(1)
	v_fma_f64 v[131:132], v[147:148], v[131:132], v[141:142]
	s_clause 0x5
	buffer_load_dword v142, off, s[0:3], 0 offset:500
	buffer_load_dword v143, off, s[0:3], 0 offset:504
	buffer_load_dword v141, off, s[0:3], 0 offset:496
	buffer_load_dword v144, off, s[0:3], 0 offset:508
	buffer_load_dword v145, off, s[0:3], 0 offset:336
	buffer_load_dword v146, off, s[0:3], 0 offset:340
	s_waitcnt vmcnt(32)
	v_fma_f64 v[131:132], v[149:150], v[133:134], v[131:132]
	s_waitcnt vmcnt(30) lgkmcnt(0)
	v_fma_f64 v[131:132], v[151:152], v[135:136], v[131:132]
	s_waitcnt vmcnt(25)
	v_fma_f64 v[147:148], v[153:154], v[137:138], v[131:132]
	ds_read2_b64 v[131:134], v130 offset0:115 offset1:116
	ds_read2_b64 v[135:138], v130 offset0:117 offset1:118
	s_waitcnt vmcnt(24) lgkmcnt(1)
	v_fma_f64 v[131:132], v[159:160], v[131:132], v[147:148]
	s_waitcnt vmcnt(23)
	v_fma_f64 v[131:132], v[157:158], v[133:134], v[131:132]
	s_waitcnt vmcnt(22) lgkmcnt(0)
	v_fma_f64 v[131:132], v[155:156], v[135:136], v[131:132]
	s_waitcnt vmcnt(17)
	v_fma_f64 v[147:148], v[161:162], v[137:138], v[131:132]
	ds_read2_b64 v[131:134], v130 offset0:119 offset1:120
	ds_read2_b64 v[135:138], v130 offset0:121 offset1:122
	s_waitcnt vmcnt(16) lgkmcnt(1)
	v_fma_f64 v[131:132], v[167:168], v[131:132], v[147:148]
	;; [unrolled: 10-line block ×3, first 2 shown]
	s_waitcnt vmcnt(7)
	v_fma_f64 v[131:132], v[171:172], v[133:134], v[131:132]
	ds_read_b64 v[133:134], v130 offset:1016
	s_waitcnt vmcnt(6) lgkmcnt(1)
	v_fma_f64 v[131:132], v[169:170], v[135:136], v[131:132]
	s_waitcnt vmcnt(3)
	v_fma_f64 v[131:132], v[141:142], v[137:138], v[131:132]
	s_waitcnt vmcnt(2) lgkmcnt(0)
	v_fma_f64 v[131:132], v[143:144], v[133:134], v[131:132]
	s_waitcnt vmcnt(0)
	v_add_f64 v[131:132], v[145:146], -v[131:132]
	buffer_store_dword v132, off, s[0:3], 0 offset:340
	buffer_store_dword v131, off, s[0:3], 0 offset:336
	v_cmpx_lt_u32_e32 41, v0
	s_cbranch_execz .LBB63_311
; %bb.310:
	s_clause 0x1
	buffer_load_dword v131, off, s[0:3], 0 offset:328
	buffer_load_dword v132, off, s[0:3], 0 offset:332
	buffer_store_dword v130, off, s[0:3], 0 offset:328
	buffer_store_dword v130, off, s[0:3], 0 offset:332
	s_waitcnt vmcnt(0)
	ds_write_b64 v129, v[131:132]
.LBB63_311:
	s_or_b32 exec_lo, exec_lo, s4
	s_waitcnt lgkmcnt(0)
	s_waitcnt_vscnt null, 0x0
	s_barrier
	buffer_gl0_inv
	s_clause 0x1c
	buffer_load_dword v139, off, s[0:3], 0 offset:336
	buffer_load_dword v140, off, s[0:3], 0 offset:340
	;; [unrolled: 1-line block ×29, first 2 shown]
	ds_read_b128 v[131:134], v130 offset:848
	ds_read_b128 v[135:138], v130 offset:864
	buffer_load_dword v164, off, s[0:3], 0 offset:452
	s_mov_b32 s4, exec_lo
	s_waitcnt vmcnt(28) lgkmcnt(1)
	v_fma_f64 v[131:132], v[139:140], v[131:132], 0
	s_clause 0x7
	buffer_load_dword v140, off, s[0:3], 0 offset:460
	buffer_load_dword v169, off, s[0:3], 0 offset:480
	;; [unrolled: 1-line block ×8, first 2 shown]
	s_waitcnt vmcnt(34)
	v_fma_f64 v[131:132], v[141:142], v[133:134], v[131:132]
	s_waitcnt vmcnt(32) lgkmcnt(0)
	v_fma_f64 v[131:132], v[143:144], v[135:136], v[131:132]
	s_waitcnt vmcnt(30)
	v_fma_f64 v[141:142], v[145:146], v[137:138], v[131:132]
	ds_read_b128 v[131:134], v130 offset:880
	ds_read_b128 v[135:138], v130 offset:896
	s_waitcnt vmcnt(28) lgkmcnt(1)
	v_fma_f64 v[131:132], v[147:148], v[131:132], v[141:142]
	s_clause 0x5
	buffer_load_dword v142, off, s[0:3], 0 offset:492
	buffer_load_dword v143, off, s[0:3], 0 offset:504
	buffer_load_dword v145, off, s[0:3], 0 offset:496
	buffer_load_dword v141, off, s[0:3], 0 offset:488
	buffer_load_dword v146, off, s[0:3], 0 offset:500
	buffer_load_dword v144, off, s[0:3], 0 offset:508
	s_waitcnt vmcnt(32)
	v_fma_f64 v[131:132], v[149:150], v[133:134], v[131:132]
	s_waitcnt vmcnt(30) lgkmcnt(0)
	v_fma_f64 v[131:132], v[151:152], v[135:136], v[131:132]
	s_waitcnt vmcnt(25)
	v_fma_f64 v[147:148], v[153:154], v[137:138], v[131:132]
	ds_read_b128 v[131:134], v130 offset:912
	s_clause 0x1
	buffer_load_dword v149, off, s[0:3], 0 offset:328
	buffer_load_dword v150, off, s[0:3], 0 offset:332
	ds_read_b128 v[135:138], v130 offset:928
	s_waitcnt vmcnt(26) lgkmcnt(1)
	v_fma_f64 v[131:132], v[159:160], v[131:132], v[147:148]
	s_waitcnt vmcnt(25)
	v_fma_f64 v[131:132], v[157:158], v[133:134], v[131:132]
	s_waitcnt vmcnt(24) lgkmcnt(0)
	v_fma_f64 v[131:132], v[155:156], v[135:136], v[131:132]
	s_waitcnt vmcnt(19)
	v_fma_f64 v[147:148], v[161:162], v[137:138], v[131:132]
	ds_read_b128 v[131:134], v130 offset:944
	ds_read_b128 v[135:138], v130 offset:960
	s_waitcnt vmcnt(18) lgkmcnt(1)
	v_fma_f64 v[131:132], v[167:168], v[131:132], v[147:148]
	s_waitcnt vmcnt(17)
	v_fma_f64 v[131:132], v[165:166], v[133:134], v[131:132]
	s_waitcnt vmcnt(16) lgkmcnt(0)
	v_fma_f64 v[131:132], v[163:164], v[135:136], v[131:132]
	s_waitcnt vmcnt(11)
	v_fma_f64 v[139:140], v[139:140], v[137:138], v[131:132]
	ds_read_b128 v[131:134], v130 offset:976
	;; [unrolled: 10-line block ×3, first 2 shown]
	s_waitcnt vmcnt(3) lgkmcnt(0)
	v_fma_f64 v[130:131], v[145:146], v[130:131], v[134:135]
	s_waitcnt vmcnt(2)
	v_fma_f64 v[130:131], v[143:144], v[132:133], v[130:131]
	s_waitcnt vmcnt(0)
	v_add_f64 v[130:131], v[149:150], -v[130:131]
	buffer_store_dword v131, off, s[0:3], 0 offset:332
	buffer_store_dword v130, off, s[0:3], 0 offset:328
	v_cmpx_lt_u32_e32 40, v0
	s_cbranch_execz .LBB63_313
; %bb.312:
	s_clause 0x1
	buffer_load_dword v130, off, s[0:3], 0 offset:320
	buffer_load_dword v131, off, s[0:3], 0 offset:324
	v_mov_b32_e32 v132, 0
	buffer_store_dword v132, off, s[0:3], 0 offset:320
	buffer_store_dword v132, off, s[0:3], 0 offset:324
	s_waitcnt vmcnt(0)
	ds_write_b64 v129, v[130:131]
.LBB63_313:
	s_or_b32 exec_lo, exec_lo, s4
	s_waitcnt lgkmcnt(0)
	s_waitcnt_vscnt null, 0x0
	s_barrier
	buffer_gl0_inv
	s_clause 0x1c
	buffer_load_dword v139, off, s[0:3], 0 offset:328
	buffer_load_dword v140, off, s[0:3], 0 offset:332
	;; [unrolled: 1-line block ×29, first 2 shown]
	v_mov_b32_e32 v130, 0
	buffer_load_dword v164, off, s[0:3], 0 offset:444
	s_mov_b32 s4, exec_lo
	ds_read2_b64 v[131:134], v130 offset0:105 offset1:106
	ds_read2_b64 v[135:138], v130 offset0:107 offset1:108
	s_waitcnt vmcnt(28) lgkmcnt(1)
	v_fma_f64 v[131:132], v[139:140], v[131:132], 0
	s_clause 0x7
	buffer_load_dword v140, off, s[0:3], 0 offset:452
	buffer_load_dword v169, off, s[0:3], 0 offset:472
	;; [unrolled: 1-line block ×8, first 2 shown]
	s_waitcnt vmcnt(34)
	v_fma_f64 v[131:132], v[141:142], v[133:134], v[131:132]
	s_waitcnt vmcnt(32) lgkmcnt(0)
	v_fma_f64 v[131:132], v[143:144], v[135:136], v[131:132]
	s_waitcnt vmcnt(30)
	v_fma_f64 v[141:142], v[145:146], v[137:138], v[131:132]
	ds_read2_b64 v[131:134], v130 offset0:109 offset1:110
	ds_read2_b64 v[135:138], v130 offset0:111 offset1:112
	s_waitcnt vmcnt(28) lgkmcnt(1)
	v_fma_f64 v[131:132], v[147:148], v[131:132], v[141:142]
	s_clause 0x7
	buffer_load_dword v142, off, s[0:3], 0 offset:484
	buffer_load_dword v143, off, s[0:3], 0 offset:504
	;; [unrolled: 1-line block ×8, first 2 shown]
	s_waitcnt vmcnt(34)
	v_fma_f64 v[131:132], v[149:150], v[133:134], v[131:132]
	s_waitcnt vmcnt(32) lgkmcnt(0)
	v_fma_f64 v[131:132], v[151:152], v[135:136], v[131:132]
	s_waitcnt vmcnt(27)
	v_fma_f64 v[149:150], v[153:154], v[137:138], v[131:132]
	ds_read2_b64 v[131:134], v130 offset0:113 offset1:114
	ds_read2_b64 v[135:138], v130 offset0:115 offset1:116
	s_waitcnt vmcnt(26) lgkmcnt(1)
	v_fma_f64 v[131:132], v[159:160], v[131:132], v[149:150]
	s_clause 0x1
	buffer_load_dword v149, off, s[0:3], 0 offset:320
	buffer_load_dword v150, off, s[0:3], 0 offset:324
	s_waitcnt vmcnt(27)
	v_fma_f64 v[131:132], v[157:158], v[133:134], v[131:132]
	s_waitcnt vmcnt(26) lgkmcnt(0)
	v_fma_f64 v[131:132], v[155:156], v[135:136], v[131:132]
	s_waitcnt vmcnt(21)
	v_fma_f64 v[151:152], v[161:162], v[137:138], v[131:132]
	ds_read2_b64 v[131:134], v130 offset0:117 offset1:118
	ds_read2_b64 v[135:138], v130 offset0:119 offset1:120
	s_waitcnt vmcnt(20) lgkmcnt(1)
	v_fma_f64 v[131:132], v[167:168], v[131:132], v[151:152]
	s_waitcnt vmcnt(19)
	v_fma_f64 v[131:132], v[165:166], v[133:134], v[131:132]
	s_waitcnt vmcnt(18) lgkmcnt(0)
	v_fma_f64 v[131:132], v[163:164], v[135:136], v[131:132]
	s_waitcnt vmcnt(13)
	v_fma_f64 v[139:140], v[139:140], v[137:138], v[131:132]
	ds_read2_b64 v[131:134], v130 offset0:121 offset1:122
	ds_read2_b64 v[135:138], v130 offset0:123 offset1:124
	s_waitcnt vmcnt(12) lgkmcnt(1)
	v_fma_f64 v[131:132], v[173:174], v[131:132], v[139:140]
	s_waitcnt vmcnt(11)
	v_fma_f64 v[131:132], v[171:172], v[133:134], v[131:132]
	s_waitcnt vmcnt(10) lgkmcnt(0)
	v_fma_f64 v[131:132], v[169:170], v[135:136], v[131:132]
	s_waitcnt vmcnt(5)
	v_fma_f64 v[135:136], v[141:142], v[137:138], v[131:132]
	ds_read2_b64 v[131:134], v130 offset0:125 offset1:126
	ds_read_b64 v[137:138], v130 offset:1016
	s_waitcnt vmcnt(4) lgkmcnt(1)
	v_fma_f64 v[131:132], v[147:148], v[131:132], v[135:136]
	s_waitcnt vmcnt(3)
	v_fma_f64 v[131:132], v[145:146], v[133:134], v[131:132]
	s_waitcnt vmcnt(2) lgkmcnt(0)
	v_fma_f64 v[131:132], v[143:144], v[137:138], v[131:132]
	s_waitcnt vmcnt(0)
	v_add_f64 v[131:132], v[149:150], -v[131:132]
	buffer_store_dword v132, off, s[0:3], 0 offset:324
	buffer_store_dword v131, off, s[0:3], 0 offset:320
	v_cmpx_lt_u32_e32 39, v0
	s_cbranch_execz .LBB63_315
; %bb.314:
	s_clause 0x1
	buffer_load_dword v131, off, s[0:3], 0 offset:312
	buffer_load_dword v132, off, s[0:3], 0 offset:316
	buffer_store_dword v130, off, s[0:3], 0 offset:312
	buffer_store_dword v130, off, s[0:3], 0 offset:316
	s_waitcnt vmcnt(0)
	ds_write_b64 v129, v[131:132]
.LBB63_315:
	s_or_b32 exec_lo, exec_lo, s4
	s_waitcnt lgkmcnt(0)
	s_waitcnt_vscnt null, 0x0
	s_barrier
	buffer_gl0_inv
	s_clause 0x1c
	buffer_load_dword v139, off, s[0:3], 0 offset:320
	buffer_load_dword v140, off, s[0:3], 0 offset:324
	;; [unrolled: 1-line block ×29, first 2 shown]
	ds_read_b128 v[131:134], v130 offset:832
	ds_read_b128 v[135:138], v130 offset:848
	buffer_load_dword v164, off, s[0:3], 0 offset:436
	s_mov_b32 s4, exec_lo
	s_waitcnt vmcnt(28) lgkmcnt(1)
	v_fma_f64 v[131:132], v[139:140], v[131:132], 0
	s_clause 0x7
	buffer_load_dword v140, off, s[0:3], 0 offset:444
	buffer_load_dword v169, off, s[0:3], 0 offset:464
	;; [unrolled: 1-line block ×8, first 2 shown]
	s_waitcnt vmcnt(34)
	v_fma_f64 v[131:132], v[141:142], v[133:134], v[131:132]
	s_waitcnt vmcnt(32) lgkmcnt(0)
	v_fma_f64 v[131:132], v[143:144], v[135:136], v[131:132]
	s_waitcnt vmcnt(30)
	v_fma_f64 v[141:142], v[145:146], v[137:138], v[131:132]
	ds_read_b128 v[131:134], v130 offset:864
	ds_read_b128 v[135:138], v130 offset:880
	s_waitcnt vmcnt(28) lgkmcnt(1)
	v_fma_f64 v[131:132], v[147:148], v[131:132], v[141:142]
	s_clause 0x7
	buffer_load_dword v142, off, s[0:3], 0 offset:476
	buffer_load_dword v143, off, s[0:3], 0 offset:496
	;; [unrolled: 1-line block ×8, first 2 shown]
	s_waitcnt vmcnt(34)
	v_fma_f64 v[131:132], v[149:150], v[133:134], v[131:132]
	s_waitcnt vmcnt(32) lgkmcnt(0)
	v_fma_f64 v[131:132], v[151:152], v[135:136], v[131:132]
	s_waitcnt vmcnt(27)
	v_fma_f64 v[149:150], v[153:154], v[137:138], v[131:132]
	ds_read_b128 v[131:134], v130 offset:896
	ds_read_b128 v[135:138], v130 offset:912
	s_waitcnt vmcnt(26) lgkmcnt(1)
	v_fma_f64 v[131:132], v[159:160], v[131:132], v[149:150]
	s_clause 0x3
	buffer_load_dword v150, off, s[0:3], 0 offset:508
	buffer_load_dword v149, off, s[0:3], 0 offset:504
	;; [unrolled: 1-line block ×4, first 2 shown]
	s_waitcnt vmcnt(29)
	v_fma_f64 v[131:132], v[157:158], v[133:134], v[131:132]
	s_waitcnt vmcnt(28) lgkmcnt(0)
	v_fma_f64 v[131:132], v[155:156], v[135:136], v[131:132]
	s_waitcnt vmcnt(23)
	v_fma_f64 v[153:154], v[161:162], v[137:138], v[131:132]
	ds_read_b128 v[131:134], v130 offset:928
	ds_read_b128 v[135:138], v130 offset:944
	s_waitcnt vmcnt(22) lgkmcnt(1)
	v_fma_f64 v[131:132], v[167:168], v[131:132], v[153:154]
	s_waitcnt vmcnt(21)
	v_fma_f64 v[131:132], v[165:166], v[133:134], v[131:132]
	s_waitcnt vmcnt(20) lgkmcnt(0)
	v_fma_f64 v[131:132], v[163:164], v[135:136], v[131:132]
	s_waitcnt vmcnt(15)
	v_fma_f64 v[139:140], v[139:140], v[137:138], v[131:132]
	ds_read_b128 v[131:134], v130 offset:960
	ds_read_b128 v[135:138], v130 offset:976
	s_waitcnt vmcnt(14) lgkmcnt(1)
	v_fma_f64 v[131:132], v[173:174], v[131:132], v[139:140]
	;; [unrolled: 10-line block ×3, first 2 shown]
	s_waitcnt vmcnt(5)
	v_fma_f64 v[130:131], v[145:146], v[133:134], v[130:131]
	s_waitcnt vmcnt(4) lgkmcnt(0)
	v_fma_f64 v[130:131], v[143:144], v[135:136], v[130:131]
	s_waitcnt vmcnt(2)
	v_fma_f64 v[130:131], v[149:150], v[137:138], v[130:131]
	s_waitcnt vmcnt(0)
	v_add_f64 v[130:131], v[151:152], -v[130:131]
	buffer_store_dword v131, off, s[0:3], 0 offset:316
	buffer_store_dword v130, off, s[0:3], 0 offset:312
	v_cmpx_lt_u32_e32 38, v0
	s_cbranch_execz .LBB63_317
; %bb.316:
	s_clause 0x1
	buffer_load_dword v130, off, s[0:3], 0 offset:304
	buffer_load_dword v131, off, s[0:3], 0 offset:308
	v_mov_b32_e32 v132, 0
	buffer_store_dword v132, off, s[0:3], 0 offset:304
	buffer_store_dword v132, off, s[0:3], 0 offset:308
	s_waitcnt vmcnt(0)
	ds_write_b64 v129, v[130:131]
.LBB63_317:
	s_or_b32 exec_lo, exec_lo, s4
	s_waitcnt lgkmcnt(0)
	s_waitcnt_vscnt null, 0x0
	s_barrier
	buffer_gl0_inv
	s_clause 0x1c
	buffer_load_dword v139, off, s[0:3], 0 offset:312
	buffer_load_dword v140, off, s[0:3], 0 offset:316
	;; [unrolled: 1-line block ×29, first 2 shown]
	v_mov_b32_e32 v130, 0
	buffer_load_dword v164, off, s[0:3], 0 offset:428
	s_mov_b32 s4, exec_lo
	ds_read2_b64 v[131:134], v130 offset0:103 offset1:104
	ds_read2_b64 v[135:138], v130 offset0:105 offset1:106
	s_waitcnt vmcnt(28) lgkmcnt(1)
	v_fma_f64 v[131:132], v[139:140], v[131:132], 0
	s_clause 0x7
	buffer_load_dword v140, off, s[0:3], 0 offset:436
	buffer_load_dword v169, off, s[0:3], 0 offset:456
	;; [unrolled: 1-line block ×8, first 2 shown]
	s_waitcnt vmcnt(34)
	v_fma_f64 v[131:132], v[141:142], v[133:134], v[131:132]
	s_waitcnt vmcnt(32) lgkmcnt(0)
	v_fma_f64 v[131:132], v[143:144], v[135:136], v[131:132]
	s_waitcnt vmcnt(30)
	v_fma_f64 v[141:142], v[145:146], v[137:138], v[131:132]
	ds_read2_b64 v[131:134], v130 offset0:107 offset1:108
	ds_read2_b64 v[135:138], v130 offset0:109 offset1:110
	s_waitcnt vmcnt(28) lgkmcnt(1)
	v_fma_f64 v[131:132], v[147:148], v[131:132], v[141:142]
	s_clause 0x7
	buffer_load_dword v142, off, s[0:3], 0 offset:468
	buffer_load_dword v143, off, s[0:3], 0 offset:488
	buffer_load_dword v145, off, s[0:3], 0 offset:480
	buffer_load_dword v147, off, s[0:3], 0 offset:472
	buffer_load_dword v141, off, s[0:3], 0 offset:464
	buffer_load_dword v148, off, s[0:3], 0 offset:476
	buffer_load_dword v146, off, s[0:3], 0 offset:484
	buffer_load_dword v144, off, s[0:3], 0 offset:492
	s_waitcnt vmcnt(34)
	v_fma_f64 v[131:132], v[149:150], v[133:134], v[131:132]
	s_waitcnt vmcnt(32) lgkmcnt(0)
	v_fma_f64 v[131:132], v[151:152], v[135:136], v[131:132]
	s_waitcnt vmcnt(27)
	v_fma_f64 v[149:150], v[153:154], v[137:138], v[131:132]
	ds_read2_b64 v[131:134], v130 offset0:111 offset1:112
	ds_read2_b64 v[135:138], v130 offset0:113 offset1:114
	s_waitcnt vmcnt(26) lgkmcnt(1)
	v_fma_f64 v[131:132], v[159:160], v[131:132], v[149:150]
	s_clause 0x5
	buffer_load_dword v150, off, s[0:3], 0 offset:500
	buffer_load_dword v151, off, s[0:3], 0 offset:504
	buffer_load_dword v149, off, s[0:3], 0 offset:496
	buffer_load_dword v152, off, s[0:3], 0 offset:508
	buffer_load_dword v153, off, s[0:3], 0 offset:304
	buffer_load_dword v154, off, s[0:3], 0 offset:308
	s_waitcnt vmcnt(31)
	v_fma_f64 v[131:132], v[157:158], v[133:134], v[131:132]
	s_waitcnt vmcnt(30) lgkmcnt(0)
	v_fma_f64 v[131:132], v[155:156], v[135:136], v[131:132]
	s_waitcnt vmcnt(25)
	v_fma_f64 v[155:156], v[161:162], v[137:138], v[131:132]
	ds_read2_b64 v[131:134], v130 offset0:115 offset1:116
	ds_read2_b64 v[135:138], v130 offset0:117 offset1:118
	s_waitcnt vmcnt(24) lgkmcnt(1)
	v_fma_f64 v[131:132], v[167:168], v[131:132], v[155:156]
	s_waitcnt vmcnt(23)
	v_fma_f64 v[131:132], v[165:166], v[133:134], v[131:132]
	s_waitcnt vmcnt(22) lgkmcnt(0)
	v_fma_f64 v[131:132], v[163:164], v[135:136], v[131:132]
	s_waitcnt vmcnt(17)
	v_fma_f64 v[139:140], v[139:140], v[137:138], v[131:132]
	ds_read2_b64 v[131:134], v130 offset0:119 offset1:120
	ds_read2_b64 v[135:138], v130 offset0:121 offset1:122
	s_waitcnt vmcnt(16) lgkmcnt(1)
	v_fma_f64 v[131:132], v[173:174], v[131:132], v[139:140]
	;; [unrolled: 10-line block ×3, first 2 shown]
	s_waitcnt vmcnt(7)
	v_fma_f64 v[131:132], v[145:146], v[133:134], v[131:132]
	ds_read_b64 v[133:134], v130 offset:1016
	s_waitcnt vmcnt(6) lgkmcnt(1)
	v_fma_f64 v[131:132], v[143:144], v[135:136], v[131:132]
	s_waitcnt vmcnt(3)
	v_fma_f64 v[131:132], v[149:150], v[137:138], v[131:132]
	s_waitcnt vmcnt(2) lgkmcnt(0)
	v_fma_f64 v[131:132], v[151:152], v[133:134], v[131:132]
	s_waitcnt vmcnt(0)
	v_add_f64 v[131:132], v[153:154], -v[131:132]
	buffer_store_dword v132, off, s[0:3], 0 offset:308
	buffer_store_dword v131, off, s[0:3], 0 offset:304
	v_cmpx_lt_u32_e32 37, v0
	s_cbranch_execz .LBB63_319
; %bb.318:
	s_clause 0x1
	buffer_load_dword v131, off, s[0:3], 0 offset:296
	buffer_load_dword v132, off, s[0:3], 0 offset:300
	buffer_store_dword v130, off, s[0:3], 0 offset:296
	buffer_store_dword v130, off, s[0:3], 0 offset:300
	s_waitcnt vmcnt(0)
	ds_write_b64 v129, v[131:132]
.LBB63_319:
	s_or_b32 exec_lo, exec_lo, s4
	s_waitcnt lgkmcnt(0)
	s_waitcnt_vscnt null, 0x0
	s_barrier
	buffer_gl0_inv
	s_clause 0x1c
	buffer_load_dword v139, off, s[0:3], 0 offset:304
	buffer_load_dword v140, off, s[0:3], 0 offset:308
	;; [unrolled: 1-line block ×29, first 2 shown]
	ds_read_b128 v[131:134], v130 offset:816
	ds_read_b128 v[135:138], v130 offset:832
	buffer_load_dword v164, off, s[0:3], 0 offset:420
	s_mov_b32 s4, exec_lo
	s_waitcnt vmcnt(28) lgkmcnt(1)
	v_fma_f64 v[131:132], v[139:140], v[131:132], 0
	s_clause 0x7
	buffer_load_dword v140, off, s[0:3], 0 offset:428
	buffer_load_dword v169, off, s[0:3], 0 offset:448
	;; [unrolled: 1-line block ×8, first 2 shown]
	s_waitcnt vmcnt(34)
	v_fma_f64 v[131:132], v[141:142], v[133:134], v[131:132]
	s_waitcnt vmcnt(32) lgkmcnt(0)
	v_fma_f64 v[131:132], v[143:144], v[135:136], v[131:132]
	s_waitcnt vmcnt(30)
	v_fma_f64 v[141:142], v[145:146], v[137:138], v[131:132]
	ds_read_b128 v[131:134], v130 offset:848
	ds_read_b128 v[135:138], v130 offset:864
	s_waitcnt vmcnt(28) lgkmcnt(1)
	v_fma_f64 v[131:132], v[147:148], v[131:132], v[141:142]
	s_clause 0x7
	buffer_load_dword v142, off, s[0:3], 0 offset:460
	buffer_load_dword v143, off, s[0:3], 0 offset:480
	buffer_load_dword v145, off, s[0:3], 0 offset:472
	buffer_load_dword v147, off, s[0:3], 0 offset:464
	buffer_load_dword v141, off, s[0:3], 0 offset:456
	buffer_load_dword v148, off, s[0:3], 0 offset:468
	buffer_load_dword v146, off, s[0:3], 0 offset:476
	buffer_load_dword v144, off, s[0:3], 0 offset:484
	s_waitcnt vmcnt(34)
	v_fma_f64 v[131:132], v[149:150], v[133:134], v[131:132]
	s_waitcnt vmcnt(32) lgkmcnt(0)
	v_fma_f64 v[131:132], v[151:152], v[135:136], v[131:132]
	s_waitcnt vmcnt(27)
	v_fma_f64 v[149:150], v[153:154], v[137:138], v[131:132]
	ds_read_b128 v[131:134], v130 offset:880
	ds_read_b128 v[135:138], v130 offset:896
	s_waitcnt vmcnt(26) lgkmcnt(1)
	v_fma_f64 v[131:132], v[159:160], v[131:132], v[149:150]
	s_clause 0x5
	buffer_load_dword v150, off, s[0:3], 0 offset:492
	buffer_load_dword v151, off, s[0:3], 0 offset:504
	;; [unrolled: 1-line block ×6, first 2 shown]
	s_waitcnt vmcnt(31)
	v_fma_f64 v[131:132], v[157:158], v[133:134], v[131:132]
	s_waitcnt vmcnt(30) lgkmcnt(0)
	v_fma_f64 v[131:132], v[155:156], v[135:136], v[131:132]
	s_waitcnt vmcnt(25)
	v_fma_f64 v[155:156], v[161:162], v[137:138], v[131:132]
	ds_read_b128 v[131:134], v130 offset:912
	s_clause 0x1
	buffer_load_dword v157, off, s[0:3], 0 offset:296
	buffer_load_dword v158, off, s[0:3], 0 offset:300
	ds_read_b128 v[135:138], v130 offset:928
	s_waitcnt vmcnt(26) lgkmcnt(1)
	v_fma_f64 v[131:132], v[167:168], v[131:132], v[155:156]
	s_waitcnt vmcnt(25)
	v_fma_f64 v[131:132], v[165:166], v[133:134], v[131:132]
	s_waitcnt vmcnt(24) lgkmcnt(0)
	v_fma_f64 v[131:132], v[163:164], v[135:136], v[131:132]
	s_waitcnt vmcnt(19)
	v_fma_f64 v[139:140], v[139:140], v[137:138], v[131:132]
	ds_read_b128 v[131:134], v130 offset:944
	ds_read_b128 v[135:138], v130 offset:960
	s_waitcnt vmcnt(18) lgkmcnt(1)
	v_fma_f64 v[131:132], v[173:174], v[131:132], v[139:140]
	s_waitcnt vmcnt(17)
	v_fma_f64 v[131:132], v[171:172], v[133:134], v[131:132]
	s_waitcnt vmcnt(16) lgkmcnt(0)
	v_fma_f64 v[131:132], v[169:170], v[135:136], v[131:132]
	s_waitcnt vmcnt(11)
	v_fma_f64 v[139:140], v[141:142], v[137:138], v[131:132]
	ds_read_b128 v[131:134], v130 offset:976
	;; [unrolled: 10-line block ×3, first 2 shown]
	s_waitcnt vmcnt(3) lgkmcnt(0)
	v_fma_f64 v[130:131], v[153:154], v[130:131], v[134:135]
	s_waitcnt vmcnt(2)
	v_fma_f64 v[130:131], v[151:152], v[132:133], v[130:131]
	s_waitcnt vmcnt(0)
	v_add_f64 v[130:131], v[157:158], -v[130:131]
	buffer_store_dword v131, off, s[0:3], 0 offset:300
	buffer_store_dword v130, off, s[0:3], 0 offset:296
	v_cmpx_lt_u32_e32 36, v0
	s_cbranch_execz .LBB63_321
; %bb.320:
	s_clause 0x1
	buffer_load_dword v130, off, s[0:3], 0 offset:288
	buffer_load_dword v131, off, s[0:3], 0 offset:292
	v_mov_b32_e32 v132, 0
	buffer_store_dword v132, off, s[0:3], 0 offset:288
	buffer_store_dword v132, off, s[0:3], 0 offset:292
	s_waitcnt vmcnt(0)
	ds_write_b64 v129, v[130:131]
.LBB63_321:
	s_or_b32 exec_lo, exec_lo, s4
	s_waitcnt lgkmcnt(0)
	s_waitcnt_vscnt null, 0x0
	s_barrier
	buffer_gl0_inv
	s_clause 0x1c
	buffer_load_dword v139, off, s[0:3], 0 offset:296
	buffer_load_dword v140, off, s[0:3], 0 offset:300
	;; [unrolled: 1-line block ×29, first 2 shown]
	v_mov_b32_e32 v130, 0
	buffer_load_dword v164, off, s[0:3], 0 offset:412
	s_mov_b32 s4, exec_lo
	ds_read2_b64 v[131:134], v130 offset0:101 offset1:102
	ds_read2_b64 v[135:138], v130 offset0:103 offset1:104
	s_waitcnt vmcnt(28) lgkmcnt(1)
	v_fma_f64 v[131:132], v[139:140], v[131:132], 0
	s_clause 0x7
	buffer_load_dword v140, off, s[0:3], 0 offset:420
	buffer_load_dword v169, off, s[0:3], 0 offset:440
	buffer_load_dword v171, off, s[0:3], 0 offset:432
	buffer_load_dword v173, off, s[0:3], 0 offset:424
	buffer_load_dword v139, off, s[0:3], 0 offset:416
	buffer_load_dword v174, off, s[0:3], 0 offset:428
	buffer_load_dword v172, off, s[0:3], 0 offset:436
	buffer_load_dword v170, off, s[0:3], 0 offset:444
	s_waitcnt vmcnt(34)
	v_fma_f64 v[131:132], v[141:142], v[133:134], v[131:132]
	s_waitcnt vmcnt(32) lgkmcnt(0)
	v_fma_f64 v[131:132], v[143:144], v[135:136], v[131:132]
	s_waitcnt vmcnt(30)
	v_fma_f64 v[141:142], v[145:146], v[137:138], v[131:132]
	ds_read2_b64 v[131:134], v130 offset0:105 offset1:106
	ds_read2_b64 v[135:138], v130 offset0:107 offset1:108
	s_waitcnt vmcnt(28) lgkmcnt(1)
	v_fma_f64 v[131:132], v[147:148], v[131:132], v[141:142]
	s_clause 0x7
	buffer_load_dword v142, off, s[0:3], 0 offset:452
	buffer_load_dword v143, off, s[0:3], 0 offset:472
	buffer_load_dword v145, off, s[0:3], 0 offset:464
	buffer_load_dword v147, off, s[0:3], 0 offset:456
	buffer_load_dword v141, off, s[0:3], 0 offset:448
	buffer_load_dword v148, off, s[0:3], 0 offset:460
	buffer_load_dword v146, off, s[0:3], 0 offset:468
	buffer_load_dword v144, off, s[0:3], 0 offset:476
	s_waitcnt vmcnt(34)
	v_fma_f64 v[131:132], v[149:150], v[133:134], v[131:132]
	s_waitcnt vmcnt(32) lgkmcnt(0)
	v_fma_f64 v[131:132], v[151:152], v[135:136], v[131:132]
	s_waitcnt vmcnt(27)
	v_fma_f64 v[149:150], v[153:154], v[137:138], v[131:132]
	;; [unrolled: 19-line block ×3, first 2 shown]
	ds_read2_b64 v[131:134], v130 offset0:113 offset1:114
	ds_read2_b64 v[135:138], v130 offset0:115 offset1:116
	s_waitcnt vmcnt(26) lgkmcnt(1)
	v_fma_f64 v[131:132], v[167:168], v[131:132], v[155:156]
	s_clause 0x1
	buffer_load_dword v155, off, s[0:3], 0 offset:288
	buffer_load_dword v156, off, s[0:3], 0 offset:292
	s_waitcnt vmcnt(27)
	v_fma_f64 v[131:132], v[165:166], v[133:134], v[131:132]
	s_waitcnt vmcnt(26) lgkmcnt(0)
	v_fma_f64 v[131:132], v[163:164], v[135:136], v[131:132]
	s_waitcnt vmcnt(21)
	v_fma_f64 v[139:140], v[139:140], v[137:138], v[131:132]
	ds_read2_b64 v[131:134], v130 offset0:117 offset1:118
	ds_read2_b64 v[135:138], v130 offset0:119 offset1:120
	s_waitcnt vmcnt(20) lgkmcnt(1)
	v_fma_f64 v[131:132], v[173:174], v[131:132], v[139:140]
	s_waitcnt vmcnt(19)
	v_fma_f64 v[131:132], v[171:172], v[133:134], v[131:132]
	s_waitcnt vmcnt(18) lgkmcnt(0)
	v_fma_f64 v[131:132], v[169:170], v[135:136], v[131:132]
	s_waitcnt vmcnt(13)
	v_fma_f64 v[139:140], v[141:142], v[137:138], v[131:132]
	ds_read2_b64 v[131:134], v130 offset0:121 offset1:122
	ds_read2_b64 v[135:138], v130 offset0:123 offset1:124
	s_waitcnt vmcnt(12) lgkmcnt(1)
	v_fma_f64 v[131:132], v[147:148], v[131:132], v[139:140]
	s_waitcnt vmcnt(11)
	v_fma_f64 v[131:132], v[145:146], v[133:134], v[131:132]
	s_waitcnt vmcnt(10) lgkmcnt(0)
	v_fma_f64 v[131:132], v[143:144], v[135:136], v[131:132]
	s_waitcnt vmcnt(5)
	v_fma_f64 v[135:136], v[149:150], v[137:138], v[131:132]
	ds_read2_b64 v[131:134], v130 offset0:125 offset1:126
	ds_read_b64 v[137:138], v130 offset:1016
	s_waitcnt vmcnt(4) lgkmcnt(1)
	v_fma_f64 v[131:132], v[159:160], v[131:132], v[135:136]
	s_waitcnt vmcnt(3)
	v_fma_f64 v[131:132], v[153:154], v[133:134], v[131:132]
	s_waitcnt vmcnt(2) lgkmcnt(0)
	v_fma_f64 v[131:132], v[151:152], v[137:138], v[131:132]
	s_waitcnt vmcnt(0)
	v_add_f64 v[131:132], v[155:156], -v[131:132]
	buffer_store_dword v132, off, s[0:3], 0 offset:292
	buffer_store_dword v131, off, s[0:3], 0 offset:288
	v_cmpx_lt_u32_e32 35, v0
	s_cbranch_execz .LBB63_323
; %bb.322:
	s_clause 0x1
	buffer_load_dword v131, off, s[0:3], 0 offset:280
	buffer_load_dword v132, off, s[0:3], 0 offset:284
	buffer_store_dword v130, off, s[0:3], 0 offset:280
	buffer_store_dword v130, off, s[0:3], 0 offset:284
	s_waitcnt vmcnt(0)
	ds_write_b64 v129, v[131:132]
.LBB63_323:
	s_or_b32 exec_lo, exec_lo, s4
	s_waitcnt lgkmcnt(0)
	s_waitcnt_vscnt null, 0x0
	s_barrier
	buffer_gl0_inv
	s_clause 0x1c
	buffer_load_dword v139, off, s[0:3], 0 offset:288
	buffer_load_dword v140, off, s[0:3], 0 offset:292
	;; [unrolled: 1-line block ×29, first 2 shown]
	ds_read_b128 v[131:134], v130 offset:800
	ds_read_b128 v[135:138], v130 offset:816
	buffer_load_dword v164, off, s[0:3], 0 offset:404
	s_mov_b32 s4, exec_lo
	s_waitcnt vmcnt(28) lgkmcnt(1)
	v_fma_f64 v[131:132], v[139:140], v[131:132], 0
	s_clause 0x7
	buffer_load_dword v140, off, s[0:3], 0 offset:412
	buffer_load_dword v169, off, s[0:3], 0 offset:432
	buffer_load_dword v171, off, s[0:3], 0 offset:424
	buffer_load_dword v173, off, s[0:3], 0 offset:416
	buffer_load_dword v139, off, s[0:3], 0 offset:408
	buffer_load_dword v174, off, s[0:3], 0 offset:420
	buffer_load_dword v172, off, s[0:3], 0 offset:428
	buffer_load_dword v170, off, s[0:3], 0 offset:436
	s_waitcnt vmcnt(34)
	v_fma_f64 v[131:132], v[141:142], v[133:134], v[131:132]
	s_waitcnt vmcnt(32) lgkmcnt(0)
	v_fma_f64 v[131:132], v[143:144], v[135:136], v[131:132]
	s_waitcnt vmcnt(30)
	v_fma_f64 v[141:142], v[145:146], v[137:138], v[131:132]
	ds_read_b128 v[131:134], v130 offset:832
	ds_read_b128 v[135:138], v130 offset:848
	s_waitcnt vmcnt(28) lgkmcnt(1)
	v_fma_f64 v[131:132], v[147:148], v[131:132], v[141:142]
	s_clause 0x7
	buffer_load_dword v142, off, s[0:3], 0 offset:444
	buffer_load_dword v143, off, s[0:3], 0 offset:464
	buffer_load_dword v145, off, s[0:3], 0 offset:456
	buffer_load_dword v147, off, s[0:3], 0 offset:448
	buffer_load_dword v141, off, s[0:3], 0 offset:440
	buffer_load_dword v148, off, s[0:3], 0 offset:452
	buffer_load_dword v146, off, s[0:3], 0 offset:460
	buffer_load_dword v144, off, s[0:3], 0 offset:468
	s_waitcnt vmcnt(34)
	v_fma_f64 v[131:132], v[149:150], v[133:134], v[131:132]
	s_waitcnt vmcnt(32) lgkmcnt(0)
	v_fma_f64 v[131:132], v[151:152], v[135:136], v[131:132]
	s_waitcnt vmcnt(27)
	v_fma_f64 v[149:150], v[153:154], v[137:138], v[131:132]
	ds_read_b128 v[131:134], v130 offset:864
	ds_read_b128 v[135:138], v130 offset:880
	;; [unrolled: 19-line block ×3, first 2 shown]
	s_waitcnt vmcnt(26) lgkmcnt(1)
	v_fma_f64 v[131:132], v[167:168], v[131:132], v[155:156]
	s_clause 0x3
	buffer_load_dword v156, off, s[0:3], 0 offset:508
	buffer_load_dword v155, off, s[0:3], 0 offset:504
	;; [unrolled: 1-line block ×4, first 2 shown]
	s_waitcnt vmcnt(29)
	v_fma_f64 v[131:132], v[165:166], v[133:134], v[131:132]
	s_waitcnt vmcnt(28) lgkmcnt(0)
	v_fma_f64 v[131:132], v[163:164], v[135:136], v[131:132]
	s_waitcnt vmcnt(23)
	v_fma_f64 v[139:140], v[139:140], v[137:138], v[131:132]
	ds_read_b128 v[131:134], v130 offset:928
	ds_read_b128 v[135:138], v130 offset:944
	s_waitcnt vmcnt(22) lgkmcnt(1)
	v_fma_f64 v[131:132], v[173:174], v[131:132], v[139:140]
	s_waitcnt vmcnt(21)
	v_fma_f64 v[131:132], v[171:172], v[133:134], v[131:132]
	s_waitcnt vmcnt(20) lgkmcnt(0)
	v_fma_f64 v[131:132], v[169:170], v[135:136], v[131:132]
	s_waitcnt vmcnt(15)
	v_fma_f64 v[139:140], v[141:142], v[137:138], v[131:132]
	ds_read_b128 v[131:134], v130 offset:960
	ds_read_b128 v[135:138], v130 offset:976
	s_waitcnt vmcnt(14) lgkmcnt(1)
	v_fma_f64 v[131:132], v[147:148], v[131:132], v[139:140]
	s_waitcnt vmcnt(13)
	v_fma_f64 v[131:132], v[145:146], v[133:134], v[131:132]
	s_waitcnt vmcnt(12) lgkmcnt(0)
	v_fma_f64 v[131:132], v[143:144], v[135:136], v[131:132]
	s_waitcnt vmcnt(7)
	v_fma_f64 v[139:140], v[149:150], v[137:138], v[131:132]
	ds_read_b128 v[131:134], v130 offset:992
	ds_read_b128 v[135:138], v130 offset:1008
	s_waitcnt vmcnt(6) lgkmcnt(1)
	v_fma_f64 v[130:131], v[159:160], v[131:132], v[139:140]
	s_waitcnt vmcnt(5)
	v_fma_f64 v[130:131], v[153:154], v[133:134], v[130:131]
	s_waitcnt vmcnt(4) lgkmcnt(0)
	v_fma_f64 v[130:131], v[151:152], v[135:136], v[130:131]
	s_waitcnt vmcnt(2)
	v_fma_f64 v[130:131], v[155:156], v[137:138], v[130:131]
	s_waitcnt vmcnt(0)
	v_add_f64 v[130:131], v[157:158], -v[130:131]
	buffer_store_dword v131, off, s[0:3], 0 offset:284
	buffer_store_dword v130, off, s[0:3], 0 offset:280
	v_cmpx_lt_u32_e32 34, v0
	s_cbranch_execz .LBB63_325
; %bb.324:
	s_clause 0x1
	buffer_load_dword v130, off, s[0:3], 0 offset:272
	buffer_load_dword v131, off, s[0:3], 0 offset:276
	v_mov_b32_e32 v132, 0
	buffer_store_dword v132, off, s[0:3], 0 offset:272
	buffer_store_dword v132, off, s[0:3], 0 offset:276
	s_waitcnt vmcnt(0)
	ds_write_b64 v129, v[130:131]
.LBB63_325:
	s_or_b32 exec_lo, exec_lo, s4
	s_waitcnt lgkmcnt(0)
	s_waitcnt_vscnt null, 0x0
	s_barrier
	buffer_gl0_inv
	s_clause 0x1c
	buffer_load_dword v139, off, s[0:3], 0 offset:280
	buffer_load_dword v140, off, s[0:3], 0 offset:284
	;; [unrolled: 1-line block ×29, first 2 shown]
	v_mov_b32_e32 v130, 0
	buffer_load_dword v164, off, s[0:3], 0 offset:396
	s_mov_b32 s4, exec_lo
	ds_read2_b64 v[131:134], v130 offset0:99 offset1:100
	ds_read2_b64 v[135:138], v130 offset0:101 offset1:102
	s_waitcnt vmcnt(28) lgkmcnt(1)
	v_fma_f64 v[131:132], v[139:140], v[131:132], 0
	s_clause 0x7
	buffer_load_dword v140, off, s[0:3], 0 offset:404
	buffer_load_dword v169, off, s[0:3], 0 offset:424
	buffer_load_dword v171, off, s[0:3], 0 offset:416
	buffer_load_dword v173, off, s[0:3], 0 offset:408
	buffer_load_dword v139, off, s[0:3], 0 offset:400
	buffer_load_dword v174, off, s[0:3], 0 offset:412
	buffer_load_dword v172, off, s[0:3], 0 offset:420
	buffer_load_dword v170, off, s[0:3], 0 offset:428
	s_waitcnt vmcnt(34)
	v_fma_f64 v[131:132], v[141:142], v[133:134], v[131:132]
	s_waitcnt vmcnt(32) lgkmcnt(0)
	v_fma_f64 v[131:132], v[143:144], v[135:136], v[131:132]
	s_waitcnt vmcnt(30)
	v_fma_f64 v[141:142], v[145:146], v[137:138], v[131:132]
	ds_read2_b64 v[131:134], v130 offset0:103 offset1:104
	ds_read2_b64 v[135:138], v130 offset0:105 offset1:106
	s_waitcnt vmcnt(28) lgkmcnt(1)
	v_fma_f64 v[131:132], v[147:148], v[131:132], v[141:142]
	s_clause 0x7
	buffer_load_dword v142, off, s[0:3], 0 offset:436
	buffer_load_dword v143, off, s[0:3], 0 offset:456
	buffer_load_dword v145, off, s[0:3], 0 offset:448
	buffer_load_dword v147, off, s[0:3], 0 offset:440
	buffer_load_dword v141, off, s[0:3], 0 offset:432
	buffer_load_dword v148, off, s[0:3], 0 offset:444
	buffer_load_dword v146, off, s[0:3], 0 offset:452
	buffer_load_dword v144, off, s[0:3], 0 offset:460
	s_waitcnt vmcnt(34)
	v_fma_f64 v[131:132], v[149:150], v[133:134], v[131:132]
	s_waitcnt vmcnt(32) lgkmcnt(0)
	v_fma_f64 v[131:132], v[151:152], v[135:136], v[131:132]
	s_waitcnt vmcnt(27)
	v_fma_f64 v[149:150], v[153:154], v[137:138], v[131:132]
	;; [unrolled: 19-line block ×3, first 2 shown]
	ds_read2_b64 v[131:134], v130 offset0:111 offset1:112
	ds_read2_b64 v[135:138], v130 offset0:113 offset1:114
	s_waitcnt vmcnt(26) lgkmcnt(1)
	v_fma_f64 v[131:132], v[167:168], v[131:132], v[155:156]
	s_clause 0x5
	buffer_load_dword v156, off, s[0:3], 0 offset:500
	buffer_load_dword v157, off, s[0:3], 0 offset:504
	;; [unrolled: 1-line block ×6, first 2 shown]
	s_waitcnt vmcnt(31)
	v_fma_f64 v[131:132], v[165:166], v[133:134], v[131:132]
	s_waitcnt vmcnt(30) lgkmcnt(0)
	v_fma_f64 v[131:132], v[163:164], v[135:136], v[131:132]
	s_waitcnt vmcnt(25)
	v_fma_f64 v[139:140], v[139:140], v[137:138], v[131:132]
	ds_read2_b64 v[131:134], v130 offset0:115 offset1:116
	ds_read2_b64 v[135:138], v130 offset0:117 offset1:118
	s_waitcnt vmcnt(24) lgkmcnt(1)
	v_fma_f64 v[131:132], v[173:174], v[131:132], v[139:140]
	s_waitcnt vmcnt(23)
	v_fma_f64 v[131:132], v[171:172], v[133:134], v[131:132]
	s_waitcnt vmcnt(22) lgkmcnt(0)
	v_fma_f64 v[131:132], v[169:170], v[135:136], v[131:132]
	s_waitcnt vmcnt(17)
	v_fma_f64 v[139:140], v[141:142], v[137:138], v[131:132]
	ds_read2_b64 v[131:134], v130 offset0:119 offset1:120
	ds_read2_b64 v[135:138], v130 offset0:121 offset1:122
	s_waitcnt vmcnt(16) lgkmcnt(1)
	v_fma_f64 v[131:132], v[147:148], v[131:132], v[139:140]
	;; [unrolled: 10-line block ×3, first 2 shown]
	s_waitcnt vmcnt(7)
	v_fma_f64 v[131:132], v[153:154], v[133:134], v[131:132]
	ds_read_b64 v[133:134], v130 offset:1016
	s_waitcnt vmcnt(6) lgkmcnt(1)
	v_fma_f64 v[131:132], v[151:152], v[135:136], v[131:132]
	s_waitcnt vmcnt(3)
	v_fma_f64 v[131:132], v[155:156], v[137:138], v[131:132]
	s_waitcnt vmcnt(2) lgkmcnt(0)
	v_fma_f64 v[131:132], v[157:158], v[133:134], v[131:132]
	s_waitcnt vmcnt(0)
	v_add_f64 v[131:132], v[161:162], -v[131:132]
	buffer_store_dword v132, off, s[0:3], 0 offset:276
	buffer_store_dword v131, off, s[0:3], 0 offset:272
	v_cmpx_lt_u32_e32 33, v0
	s_cbranch_execz .LBB63_327
; %bb.326:
	s_clause 0x1
	buffer_load_dword v131, off, s[0:3], 0 offset:264
	buffer_load_dword v132, off, s[0:3], 0 offset:268
	buffer_store_dword v130, off, s[0:3], 0 offset:264
	buffer_store_dword v130, off, s[0:3], 0 offset:268
	s_waitcnt vmcnt(0)
	ds_write_b64 v129, v[131:132]
.LBB63_327:
	s_or_b32 exec_lo, exec_lo, s4
	s_waitcnt lgkmcnt(0)
	s_waitcnt_vscnt null, 0x0
	s_barrier
	buffer_gl0_inv
	s_clause 0x1c
	buffer_load_dword v139, off, s[0:3], 0 offset:272
	buffer_load_dword v140, off, s[0:3], 0 offset:276
	;; [unrolled: 1-line block ×29, first 2 shown]
	ds_read_b128 v[131:134], v130 offset:784
	ds_read_b128 v[135:138], v130 offset:800
	buffer_load_dword v164, off, s[0:3], 0 offset:388
	s_mov_b32 s4, exec_lo
	s_waitcnt vmcnt(28) lgkmcnt(1)
	v_fma_f64 v[131:132], v[139:140], v[131:132], 0
	s_clause 0x7
	buffer_load_dword v140, off, s[0:3], 0 offset:396
	buffer_load_dword v169, off, s[0:3], 0 offset:416
	buffer_load_dword v171, off, s[0:3], 0 offset:408
	buffer_load_dword v173, off, s[0:3], 0 offset:400
	buffer_load_dword v139, off, s[0:3], 0 offset:392
	buffer_load_dword v174, off, s[0:3], 0 offset:404
	buffer_load_dword v172, off, s[0:3], 0 offset:412
	buffer_load_dword v170, off, s[0:3], 0 offset:420
	s_waitcnt vmcnt(34)
	v_fma_f64 v[131:132], v[141:142], v[133:134], v[131:132]
	s_waitcnt vmcnt(32) lgkmcnt(0)
	v_fma_f64 v[131:132], v[143:144], v[135:136], v[131:132]
	s_waitcnt vmcnt(30)
	v_fma_f64 v[141:142], v[145:146], v[137:138], v[131:132]
	ds_read_b128 v[131:134], v130 offset:816
	ds_read_b128 v[135:138], v130 offset:832
	s_waitcnt vmcnt(28) lgkmcnt(1)
	v_fma_f64 v[131:132], v[147:148], v[131:132], v[141:142]
	s_clause 0x7
	buffer_load_dword v142, off, s[0:3], 0 offset:428
	buffer_load_dword v143, off, s[0:3], 0 offset:448
	buffer_load_dword v145, off, s[0:3], 0 offset:440
	buffer_load_dword v147, off, s[0:3], 0 offset:432
	buffer_load_dword v141, off, s[0:3], 0 offset:424
	buffer_load_dword v148, off, s[0:3], 0 offset:436
	buffer_load_dword v146, off, s[0:3], 0 offset:444
	buffer_load_dword v144, off, s[0:3], 0 offset:452
	s_waitcnt vmcnt(34)
	v_fma_f64 v[131:132], v[149:150], v[133:134], v[131:132]
	s_waitcnt vmcnt(32) lgkmcnt(0)
	v_fma_f64 v[131:132], v[151:152], v[135:136], v[131:132]
	s_waitcnt vmcnt(27)
	v_fma_f64 v[149:150], v[153:154], v[137:138], v[131:132]
	ds_read_b128 v[131:134], v130 offset:848
	ds_read_b128 v[135:138], v130 offset:864
	;; [unrolled: 19-line block ×3, first 2 shown]
	s_waitcnt vmcnt(26) lgkmcnt(1)
	v_fma_f64 v[131:132], v[167:168], v[131:132], v[155:156]
	s_clause 0x5
	buffer_load_dword v156, off, s[0:3], 0 offset:492
	buffer_load_dword v157, off, s[0:3], 0 offset:504
	buffer_load_dword v161, off, s[0:3], 0 offset:496
	buffer_load_dword v155, off, s[0:3], 0 offset:488
	buffer_load_dword v162, off, s[0:3], 0 offset:500
	buffer_load_dword v158, off, s[0:3], 0 offset:508
	s_waitcnt vmcnt(31)
	v_fma_f64 v[131:132], v[165:166], v[133:134], v[131:132]
	s_waitcnt vmcnt(30) lgkmcnt(0)
	v_fma_f64 v[131:132], v[163:164], v[135:136], v[131:132]
	s_waitcnt vmcnt(25)
	v_fma_f64 v[139:140], v[139:140], v[137:138], v[131:132]
	ds_read_b128 v[131:134], v130 offset:912
	s_clause 0x1
	buffer_load_dword v163, off, s[0:3], 0 offset:264
	buffer_load_dword v164, off, s[0:3], 0 offset:268
	ds_read_b128 v[135:138], v130 offset:928
	s_waitcnt vmcnt(26) lgkmcnt(1)
	v_fma_f64 v[131:132], v[173:174], v[131:132], v[139:140]
	s_waitcnt vmcnt(25)
	v_fma_f64 v[131:132], v[171:172], v[133:134], v[131:132]
	s_waitcnt vmcnt(24) lgkmcnt(0)
	v_fma_f64 v[131:132], v[169:170], v[135:136], v[131:132]
	s_waitcnt vmcnt(19)
	v_fma_f64 v[139:140], v[141:142], v[137:138], v[131:132]
	ds_read_b128 v[131:134], v130 offset:944
	ds_read_b128 v[135:138], v130 offset:960
	s_waitcnt vmcnt(18) lgkmcnt(1)
	v_fma_f64 v[131:132], v[147:148], v[131:132], v[139:140]
	s_waitcnt vmcnt(17)
	v_fma_f64 v[131:132], v[145:146], v[133:134], v[131:132]
	s_waitcnt vmcnt(16) lgkmcnt(0)
	v_fma_f64 v[131:132], v[143:144], v[135:136], v[131:132]
	s_waitcnt vmcnt(11)
	v_fma_f64 v[139:140], v[149:150], v[137:138], v[131:132]
	ds_read_b128 v[131:134], v130 offset:976
	;; [unrolled: 10-line block ×3, first 2 shown]
	s_waitcnt vmcnt(3) lgkmcnt(0)
	v_fma_f64 v[130:131], v[161:162], v[130:131], v[134:135]
	s_waitcnt vmcnt(2)
	v_fma_f64 v[130:131], v[157:158], v[132:133], v[130:131]
	s_waitcnt vmcnt(0)
	v_add_f64 v[130:131], v[163:164], -v[130:131]
	buffer_store_dword v131, off, s[0:3], 0 offset:268
	buffer_store_dword v130, off, s[0:3], 0 offset:264
	v_cmpx_lt_u32_e32 32, v0
	s_cbranch_execz .LBB63_329
; %bb.328:
	s_clause 0x1
	buffer_load_dword v130, off, s[0:3], 0 offset:256
	buffer_load_dword v131, off, s[0:3], 0 offset:260
	v_mov_b32_e32 v132, 0
	buffer_store_dword v132, off, s[0:3], 0 offset:256
	buffer_store_dword v132, off, s[0:3], 0 offset:260
	s_waitcnt vmcnt(0)
	ds_write_b64 v129, v[130:131]
.LBB63_329:
	s_or_b32 exec_lo, exec_lo, s4
	s_waitcnt lgkmcnt(0)
	s_waitcnt_vscnt null, 0x0
	s_barrier
	buffer_gl0_inv
	s_clause 0x1c
	buffer_load_dword v139, off, s[0:3], 0 offset:264
	buffer_load_dword v140, off, s[0:3], 0 offset:268
	;; [unrolled: 1-line block ×29, first 2 shown]
	v_mov_b32_e32 v130, 0
	buffer_load_dword v164, off, s[0:3], 0 offset:380
	s_mov_b32 s4, exec_lo
	ds_read2_b64 v[131:134], v130 offset0:97 offset1:98
	ds_read2_b64 v[135:138], v130 offset0:99 offset1:100
	s_waitcnt vmcnt(28) lgkmcnt(1)
	v_fma_f64 v[131:132], v[139:140], v[131:132], 0
	s_clause 0x7
	buffer_load_dword v140, off, s[0:3], 0 offset:388
	buffer_load_dword v169, off, s[0:3], 0 offset:408
	buffer_load_dword v171, off, s[0:3], 0 offset:400
	buffer_load_dword v173, off, s[0:3], 0 offset:392
	buffer_load_dword v139, off, s[0:3], 0 offset:384
	buffer_load_dword v174, off, s[0:3], 0 offset:396
	buffer_load_dword v172, off, s[0:3], 0 offset:404
	buffer_load_dword v170, off, s[0:3], 0 offset:412
	s_waitcnt vmcnt(34)
	v_fma_f64 v[131:132], v[141:142], v[133:134], v[131:132]
	s_waitcnt vmcnt(32) lgkmcnt(0)
	v_fma_f64 v[131:132], v[143:144], v[135:136], v[131:132]
	s_waitcnt vmcnt(30)
	v_fma_f64 v[141:142], v[145:146], v[137:138], v[131:132]
	ds_read2_b64 v[131:134], v130 offset0:101 offset1:102
	ds_read2_b64 v[135:138], v130 offset0:103 offset1:104
	s_waitcnt vmcnt(28) lgkmcnt(1)
	v_fma_f64 v[131:132], v[147:148], v[131:132], v[141:142]
	s_clause 0x7
	buffer_load_dword v142, off, s[0:3], 0 offset:420
	buffer_load_dword v143, off, s[0:3], 0 offset:440
	buffer_load_dword v145, off, s[0:3], 0 offset:432
	buffer_load_dword v147, off, s[0:3], 0 offset:424
	buffer_load_dword v141, off, s[0:3], 0 offset:416
	buffer_load_dword v148, off, s[0:3], 0 offset:428
	buffer_load_dword v146, off, s[0:3], 0 offset:436
	buffer_load_dword v144, off, s[0:3], 0 offset:444
	s_waitcnt vmcnt(34)
	v_fma_f64 v[131:132], v[149:150], v[133:134], v[131:132]
	s_waitcnt vmcnt(32) lgkmcnt(0)
	v_fma_f64 v[131:132], v[151:152], v[135:136], v[131:132]
	s_waitcnt vmcnt(27)
	v_fma_f64 v[149:150], v[153:154], v[137:138], v[131:132]
	;; [unrolled: 19-line block ×4, first 2 shown]
	ds_read2_b64 v[131:134], v130 offset0:113 offset1:114
	ds_read2_b64 v[135:138], v130 offset0:115 offset1:116
	s_waitcnt vmcnt(26) lgkmcnt(1)
	v_fma_f64 v[131:132], v[173:174], v[131:132], v[139:140]
	s_clause 0x1
	buffer_load_dword v139, off, s[0:3], 0 offset:256
	buffer_load_dword v140, off, s[0:3], 0 offset:260
	s_waitcnt vmcnt(27)
	v_fma_f64 v[131:132], v[171:172], v[133:134], v[131:132]
	s_waitcnt vmcnt(26) lgkmcnt(0)
	v_fma_f64 v[131:132], v[169:170], v[135:136], v[131:132]
	s_waitcnt vmcnt(21)
	v_fma_f64 v[141:142], v[141:142], v[137:138], v[131:132]
	ds_read2_b64 v[131:134], v130 offset0:117 offset1:118
	ds_read2_b64 v[135:138], v130 offset0:119 offset1:120
	s_waitcnt vmcnt(20) lgkmcnt(1)
	v_fma_f64 v[131:132], v[147:148], v[131:132], v[141:142]
	s_waitcnt vmcnt(19)
	v_fma_f64 v[131:132], v[145:146], v[133:134], v[131:132]
	s_waitcnt vmcnt(18) lgkmcnt(0)
	v_fma_f64 v[131:132], v[143:144], v[135:136], v[131:132]
	s_waitcnt vmcnt(13)
	v_fma_f64 v[141:142], v[149:150], v[137:138], v[131:132]
	ds_read2_b64 v[131:134], v130 offset0:121 offset1:122
	ds_read2_b64 v[135:138], v130 offset0:123 offset1:124
	s_waitcnt vmcnt(12) lgkmcnt(1)
	v_fma_f64 v[131:132], v[159:160], v[131:132], v[141:142]
	s_waitcnt vmcnt(11)
	v_fma_f64 v[131:132], v[153:154], v[133:134], v[131:132]
	s_waitcnt vmcnt(10) lgkmcnt(0)
	v_fma_f64 v[131:132], v[151:152], v[135:136], v[131:132]
	s_waitcnt vmcnt(5)
	v_fma_f64 v[135:136], v[155:156], v[137:138], v[131:132]
	ds_read2_b64 v[131:134], v130 offset0:125 offset1:126
	ds_read_b64 v[137:138], v130 offset:1016
	s_waitcnt vmcnt(4) lgkmcnt(1)
	v_fma_f64 v[131:132], v[167:168], v[131:132], v[135:136]
	s_waitcnt vmcnt(3)
	v_fma_f64 v[131:132], v[161:162], v[133:134], v[131:132]
	s_waitcnt vmcnt(2) lgkmcnt(0)
	v_fma_f64 v[131:132], v[157:158], v[137:138], v[131:132]
	s_waitcnt vmcnt(0)
	v_add_f64 v[131:132], v[139:140], -v[131:132]
	buffer_store_dword v132, off, s[0:3], 0 offset:260
	buffer_store_dword v131, off, s[0:3], 0 offset:256
	v_cmpx_lt_u32_e32 31, v0
	s_cbranch_execz .LBB63_331
; %bb.330:
	s_clause 0x1
	buffer_load_dword v131, off, s[0:3], 0 offset:248
	buffer_load_dword v132, off, s[0:3], 0 offset:252
	buffer_store_dword v130, off, s[0:3], 0 offset:248
	buffer_store_dword v130, off, s[0:3], 0 offset:252
	s_waitcnt vmcnt(0)
	ds_write_b64 v129, v[131:132]
.LBB63_331:
	s_or_b32 exec_lo, exec_lo, s4
	s_waitcnt lgkmcnt(0)
	s_waitcnt_vscnt null, 0x0
	s_barrier
	buffer_gl0_inv
	s_clause 0x1c
	buffer_load_dword v139, off, s[0:3], 0 offset:256
	buffer_load_dword v140, off, s[0:3], 0 offset:260
	;; [unrolled: 1-line block ×29, first 2 shown]
	ds_read_b128 v[131:134], v130 offset:768
	ds_read_b128 v[135:138], v130 offset:784
	buffer_load_dword v164, off, s[0:3], 0 offset:372
	s_mov_b32 s4, exec_lo
	s_waitcnt vmcnt(28) lgkmcnt(1)
	v_fma_f64 v[131:132], v[139:140], v[131:132], 0
	s_clause 0x7
	buffer_load_dword v140, off, s[0:3], 0 offset:380
	buffer_load_dword v169, off, s[0:3], 0 offset:400
	buffer_load_dword v171, off, s[0:3], 0 offset:392
	buffer_load_dword v173, off, s[0:3], 0 offset:384
	buffer_load_dword v139, off, s[0:3], 0 offset:376
	buffer_load_dword v174, off, s[0:3], 0 offset:388
	buffer_load_dword v172, off, s[0:3], 0 offset:396
	buffer_load_dword v170, off, s[0:3], 0 offset:404
	s_waitcnt vmcnt(34)
	v_fma_f64 v[131:132], v[141:142], v[133:134], v[131:132]
	s_waitcnt vmcnt(32) lgkmcnt(0)
	v_fma_f64 v[131:132], v[143:144], v[135:136], v[131:132]
	s_waitcnt vmcnt(30)
	v_fma_f64 v[141:142], v[145:146], v[137:138], v[131:132]
	ds_read_b128 v[131:134], v130 offset:800
	ds_read_b128 v[135:138], v130 offset:816
	s_waitcnt vmcnt(28) lgkmcnt(1)
	v_fma_f64 v[131:132], v[147:148], v[131:132], v[141:142]
	s_clause 0x7
	buffer_load_dword v142, off, s[0:3], 0 offset:412
	buffer_load_dword v143, off, s[0:3], 0 offset:432
	buffer_load_dword v145, off, s[0:3], 0 offset:424
	buffer_load_dword v147, off, s[0:3], 0 offset:416
	buffer_load_dword v141, off, s[0:3], 0 offset:408
	buffer_load_dword v148, off, s[0:3], 0 offset:420
	buffer_load_dword v146, off, s[0:3], 0 offset:428
	buffer_load_dword v144, off, s[0:3], 0 offset:436
	s_waitcnt vmcnt(34)
	v_fma_f64 v[131:132], v[149:150], v[133:134], v[131:132]
	s_waitcnt vmcnt(32) lgkmcnt(0)
	v_fma_f64 v[131:132], v[151:152], v[135:136], v[131:132]
	s_waitcnt vmcnt(27)
	v_fma_f64 v[149:150], v[153:154], v[137:138], v[131:132]
	ds_read_b128 v[131:134], v130 offset:832
	ds_read_b128 v[135:138], v130 offset:848
	;; [unrolled: 19-line block ×4, first 2 shown]
	s_waitcnt vmcnt(26) lgkmcnt(1)
	v_fma_f64 v[131:132], v[173:174], v[131:132], v[139:140]
	s_clause 0x3
	buffer_load_dword v140, off, s[0:3], 0 offset:508
	buffer_load_dword v139, off, s[0:3], 0 offset:504
	;; [unrolled: 1-line block ×4, first 2 shown]
	s_waitcnt vmcnt(29)
	v_fma_f64 v[131:132], v[171:172], v[133:134], v[131:132]
	s_waitcnt vmcnt(28) lgkmcnt(0)
	v_fma_f64 v[131:132], v[169:170], v[135:136], v[131:132]
	s_waitcnt vmcnt(23)
	v_fma_f64 v[141:142], v[141:142], v[137:138], v[131:132]
	ds_read_b128 v[131:134], v130 offset:928
	ds_read_b128 v[135:138], v130 offset:944
	s_waitcnt vmcnt(22) lgkmcnt(1)
	v_fma_f64 v[131:132], v[147:148], v[131:132], v[141:142]
	s_waitcnt vmcnt(21)
	v_fma_f64 v[131:132], v[145:146], v[133:134], v[131:132]
	s_waitcnt vmcnt(20) lgkmcnt(0)
	v_fma_f64 v[131:132], v[143:144], v[135:136], v[131:132]
	s_waitcnt vmcnt(15)
	v_fma_f64 v[141:142], v[149:150], v[137:138], v[131:132]
	ds_read_b128 v[131:134], v130 offset:960
	ds_read_b128 v[135:138], v130 offset:976
	s_waitcnt vmcnt(14) lgkmcnt(1)
	v_fma_f64 v[131:132], v[159:160], v[131:132], v[141:142]
	;; [unrolled: 10-line block ×3, first 2 shown]
	s_waitcnt vmcnt(5)
	v_fma_f64 v[130:131], v[161:162], v[133:134], v[130:131]
	s_waitcnt vmcnt(4) lgkmcnt(0)
	v_fma_f64 v[130:131], v[157:158], v[135:136], v[130:131]
	s_waitcnt vmcnt(2)
	v_fma_f64 v[130:131], v[139:140], v[137:138], v[130:131]
	s_waitcnt vmcnt(0)
	v_add_f64 v[130:131], v[163:164], -v[130:131]
	buffer_store_dword v131, off, s[0:3], 0 offset:252
	buffer_store_dword v130, off, s[0:3], 0 offset:248
	v_cmpx_lt_u32_e32 30, v0
	s_cbranch_execz .LBB63_333
; %bb.332:
	s_clause 0x1
	buffer_load_dword v130, off, s[0:3], 0 offset:240
	buffer_load_dword v131, off, s[0:3], 0 offset:244
	v_mov_b32_e32 v132, 0
	buffer_store_dword v132, off, s[0:3], 0 offset:240
	buffer_store_dword v132, off, s[0:3], 0 offset:244
	s_waitcnt vmcnt(0)
	ds_write_b64 v129, v[130:131]
.LBB63_333:
	s_or_b32 exec_lo, exec_lo, s4
	s_waitcnt lgkmcnt(0)
	s_waitcnt_vscnt null, 0x0
	s_barrier
	buffer_gl0_inv
	s_clause 0x1c
	buffer_load_dword v139, off, s[0:3], 0 offset:248
	buffer_load_dword v140, off, s[0:3], 0 offset:252
	;; [unrolled: 1-line block ×29, first 2 shown]
	v_mov_b32_e32 v130, 0
	buffer_load_dword v164, off, s[0:3], 0 offset:364
	s_mov_b32 s4, exec_lo
	ds_read2_b64 v[131:134], v130 offset0:95 offset1:96
	ds_read2_b64 v[135:138], v130 offset0:97 offset1:98
	s_waitcnt vmcnt(28) lgkmcnt(1)
	v_fma_f64 v[131:132], v[139:140], v[131:132], 0
	s_clause 0x7
	buffer_load_dword v140, off, s[0:3], 0 offset:372
	buffer_load_dword v169, off, s[0:3], 0 offset:392
	buffer_load_dword v171, off, s[0:3], 0 offset:384
	buffer_load_dword v173, off, s[0:3], 0 offset:376
	buffer_load_dword v139, off, s[0:3], 0 offset:368
	buffer_load_dword v174, off, s[0:3], 0 offset:380
	buffer_load_dword v172, off, s[0:3], 0 offset:388
	buffer_load_dword v170, off, s[0:3], 0 offset:396
	s_waitcnt vmcnt(34)
	v_fma_f64 v[131:132], v[141:142], v[133:134], v[131:132]
	s_waitcnt vmcnt(32) lgkmcnt(0)
	v_fma_f64 v[131:132], v[143:144], v[135:136], v[131:132]
	s_waitcnt vmcnt(30)
	v_fma_f64 v[141:142], v[145:146], v[137:138], v[131:132]
	ds_read2_b64 v[131:134], v130 offset0:99 offset1:100
	ds_read2_b64 v[135:138], v130 offset0:101 offset1:102
	s_waitcnt vmcnt(28) lgkmcnt(1)
	v_fma_f64 v[131:132], v[147:148], v[131:132], v[141:142]
	s_clause 0x7
	buffer_load_dword v142, off, s[0:3], 0 offset:404
	buffer_load_dword v143, off, s[0:3], 0 offset:424
	buffer_load_dword v145, off, s[0:3], 0 offset:416
	buffer_load_dword v147, off, s[0:3], 0 offset:408
	buffer_load_dword v141, off, s[0:3], 0 offset:400
	buffer_load_dword v148, off, s[0:3], 0 offset:412
	buffer_load_dword v146, off, s[0:3], 0 offset:420
	buffer_load_dword v144, off, s[0:3], 0 offset:428
	s_waitcnt vmcnt(34)
	v_fma_f64 v[131:132], v[149:150], v[133:134], v[131:132]
	s_waitcnt vmcnt(32) lgkmcnt(0)
	v_fma_f64 v[131:132], v[151:152], v[135:136], v[131:132]
	s_waitcnt vmcnt(27)
	v_fma_f64 v[149:150], v[153:154], v[137:138], v[131:132]
	;; [unrolled: 19-line block ×4, first 2 shown]
	ds_read2_b64 v[131:134], v130 offset0:111 offset1:112
	ds_read2_b64 v[135:138], v130 offset0:113 offset1:114
	s_waitcnt vmcnt(26) lgkmcnt(1)
	v_fma_f64 v[131:132], v[173:174], v[131:132], v[139:140]
	s_clause 0x5
	buffer_load_dword v140, off, s[0:3], 0 offset:500
	buffer_load_dword v163, off, s[0:3], 0 offset:504
	;; [unrolled: 1-line block ×6, first 2 shown]
	s_waitcnt vmcnt(31)
	v_fma_f64 v[131:132], v[171:172], v[133:134], v[131:132]
	s_waitcnt vmcnt(30) lgkmcnt(0)
	v_fma_f64 v[131:132], v[169:170], v[135:136], v[131:132]
	s_waitcnt vmcnt(25)
	v_fma_f64 v[141:142], v[141:142], v[137:138], v[131:132]
	ds_read2_b64 v[131:134], v130 offset0:115 offset1:116
	ds_read2_b64 v[135:138], v130 offset0:117 offset1:118
	s_waitcnt vmcnt(24) lgkmcnt(1)
	v_fma_f64 v[131:132], v[147:148], v[131:132], v[141:142]
	s_waitcnt vmcnt(23)
	v_fma_f64 v[131:132], v[145:146], v[133:134], v[131:132]
	s_waitcnt vmcnt(22) lgkmcnt(0)
	v_fma_f64 v[131:132], v[143:144], v[135:136], v[131:132]
	s_waitcnt vmcnt(17)
	v_fma_f64 v[141:142], v[149:150], v[137:138], v[131:132]
	ds_read2_b64 v[131:134], v130 offset0:119 offset1:120
	ds_read2_b64 v[135:138], v130 offset0:121 offset1:122
	s_waitcnt vmcnt(16) lgkmcnt(1)
	v_fma_f64 v[131:132], v[159:160], v[131:132], v[141:142]
	;; [unrolled: 10-line block ×3, first 2 shown]
	s_waitcnt vmcnt(7)
	v_fma_f64 v[131:132], v[161:162], v[133:134], v[131:132]
	ds_read_b64 v[133:134], v130 offset:1016
	s_waitcnt vmcnt(6) lgkmcnt(1)
	v_fma_f64 v[131:132], v[157:158], v[135:136], v[131:132]
	s_waitcnt vmcnt(3)
	v_fma_f64 v[131:132], v[139:140], v[137:138], v[131:132]
	s_waitcnt vmcnt(2) lgkmcnt(0)
	v_fma_f64 v[131:132], v[163:164], v[133:134], v[131:132]
	s_waitcnt vmcnt(0)
	v_add_f64 v[131:132], v[165:166], -v[131:132]
	buffer_store_dword v132, off, s[0:3], 0 offset:244
	buffer_store_dword v131, off, s[0:3], 0 offset:240
	v_cmpx_lt_u32_e32 29, v0
	s_cbranch_execz .LBB63_335
; %bb.334:
	s_clause 0x1
	buffer_load_dword v131, off, s[0:3], 0 offset:232
	buffer_load_dword v132, off, s[0:3], 0 offset:236
	buffer_store_dword v130, off, s[0:3], 0 offset:232
	buffer_store_dword v130, off, s[0:3], 0 offset:236
	s_waitcnt vmcnt(0)
	ds_write_b64 v129, v[131:132]
.LBB63_335:
	s_or_b32 exec_lo, exec_lo, s4
	s_waitcnt lgkmcnt(0)
	s_waitcnt_vscnt null, 0x0
	s_barrier
	buffer_gl0_inv
	s_clause 0x1c
	buffer_load_dword v139, off, s[0:3], 0 offset:240
	buffer_load_dword v140, off, s[0:3], 0 offset:244
	;; [unrolled: 1-line block ×29, first 2 shown]
	ds_read_b128 v[131:134], v130 offset:752
	ds_read_b128 v[135:138], v130 offset:768
	buffer_load_dword v164, off, s[0:3], 0 offset:356
	s_mov_b32 s4, exec_lo
	s_waitcnt vmcnt(28) lgkmcnt(1)
	v_fma_f64 v[131:132], v[139:140], v[131:132], 0
	s_clause 0x7
	buffer_load_dword v140, off, s[0:3], 0 offset:364
	buffer_load_dword v169, off, s[0:3], 0 offset:384
	buffer_load_dword v171, off, s[0:3], 0 offset:376
	buffer_load_dword v173, off, s[0:3], 0 offset:368
	buffer_load_dword v139, off, s[0:3], 0 offset:360
	buffer_load_dword v174, off, s[0:3], 0 offset:372
	buffer_load_dword v172, off, s[0:3], 0 offset:380
	buffer_load_dword v170, off, s[0:3], 0 offset:388
	s_waitcnt vmcnt(34)
	v_fma_f64 v[131:132], v[141:142], v[133:134], v[131:132]
	s_waitcnt vmcnt(32) lgkmcnt(0)
	v_fma_f64 v[131:132], v[143:144], v[135:136], v[131:132]
	s_waitcnt vmcnt(30)
	v_fma_f64 v[141:142], v[145:146], v[137:138], v[131:132]
	ds_read_b128 v[131:134], v130 offset:784
	ds_read_b128 v[135:138], v130 offset:800
	s_waitcnt vmcnt(28) lgkmcnt(1)
	v_fma_f64 v[131:132], v[147:148], v[131:132], v[141:142]
	s_clause 0x7
	buffer_load_dword v142, off, s[0:3], 0 offset:396
	buffer_load_dword v143, off, s[0:3], 0 offset:416
	buffer_load_dword v145, off, s[0:3], 0 offset:408
	buffer_load_dword v147, off, s[0:3], 0 offset:400
	buffer_load_dword v141, off, s[0:3], 0 offset:392
	buffer_load_dword v148, off, s[0:3], 0 offset:404
	buffer_load_dword v146, off, s[0:3], 0 offset:412
	buffer_load_dword v144, off, s[0:3], 0 offset:420
	s_waitcnt vmcnt(34)
	v_fma_f64 v[131:132], v[149:150], v[133:134], v[131:132]
	s_waitcnt vmcnt(32) lgkmcnt(0)
	v_fma_f64 v[131:132], v[151:152], v[135:136], v[131:132]
	s_waitcnt vmcnt(27)
	v_fma_f64 v[149:150], v[153:154], v[137:138], v[131:132]
	ds_read_b128 v[131:134], v130 offset:816
	ds_read_b128 v[135:138], v130 offset:832
	;; [unrolled: 19-line block ×4, first 2 shown]
	s_waitcnt vmcnt(26) lgkmcnt(1)
	v_fma_f64 v[131:132], v[173:174], v[131:132], v[139:140]
	s_clause 0x5
	buffer_load_dword v140, off, s[0:3], 0 offset:492
	buffer_load_dword v163, off, s[0:3], 0 offset:504
	;; [unrolled: 1-line block ×6, first 2 shown]
	s_waitcnt vmcnt(31)
	v_fma_f64 v[131:132], v[171:172], v[133:134], v[131:132]
	s_waitcnt vmcnt(30) lgkmcnt(0)
	v_fma_f64 v[131:132], v[169:170], v[135:136], v[131:132]
	s_waitcnt vmcnt(25)
	v_fma_f64 v[141:142], v[141:142], v[137:138], v[131:132]
	ds_read_b128 v[131:134], v130 offset:912
	s_clause 0x1
	buffer_load_dword v169, off, s[0:3], 0 offset:232
	buffer_load_dword v170, off, s[0:3], 0 offset:236
	ds_read_b128 v[135:138], v130 offset:928
	s_waitcnt vmcnt(26) lgkmcnt(1)
	v_fma_f64 v[131:132], v[147:148], v[131:132], v[141:142]
	s_waitcnt vmcnt(25)
	v_fma_f64 v[131:132], v[145:146], v[133:134], v[131:132]
	s_waitcnt vmcnt(24) lgkmcnt(0)
	v_fma_f64 v[131:132], v[143:144], v[135:136], v[131:132]
	s_waitcnt vmcnt(19)
	v_fma_f64 v[141:142], v[149:150], v[137:138], v[131:132]
	ds_read_b128 v[131:134], v130 offset:944
	ds_read_b128 v[135:138], v130 offset:960
	s_waitcnt vmcnt(18) lgkmcnt(1)
	v_fma_f64 v[131:132], v[159:160], v[131:132], v[141:142]
	s_waitcnt vmcnt(17)
	v_fma_f64 v[131:132], v[153:154], v[133:134], v[131:132]
	s_waitcnt vmcnt(16) lgkmcnt(0)
	v_fma_f64 v[131:132], v[151:152], v[135:136], v[131:132]
	s_waitcnt vmcnt(11)
	v_fma_f64 v[141:142], v[155:156], v[137:138], v[131:132]
	ds_read_b128 v[131:134], v130 offset:976
	;; [unrolled: 10-line block ×3, first 2 shown]
	s_waitcnt vmcnt(3) lgkmcnt(0)
	v_fma_f64 v[130:131], v[165:166], v[130:131], v[134:135]
	s_waitcnt vmcnt(2)
	v_fma_f64 v[130:131], v[163:164], v[132:133], v[130:131]
	s_waitcnt vmcnt(0)
	v_add_f64 v[130:131], v[169:170], -v[130:131]
	buffer_store_dword v131, off, s[0:3], 0 offset:236
	buffer_store_dword v130, off, s[0:3], 0 offset:232
	v_cmpx_lt_u32_e32 28, v0
	s_cbranch_execz .LBB63_337
; %bb.336:
	s_clause 0x1
	buffer_load_dword v130, off, s[0:3], 0 offset:224
	buffer_load_dword v131, off, s[0:3], 0 offset:228
	v_mov_b32_e32 v132, 0
	buffer_store_dword v132, off, s[0:3], 0 offset:224
	buffer_store_dword v132, off, s[0:3], 0 offset:228
	s_waitcnt vmcnt(0)
	ds_write_b64 v129, v[130:131]
.LBB63_337:
	s_or_b32 exec_lo, exec_lo, s4
	s_waitcnt lgkmcnt(0)
	s_waitcnt_vscnt null, 0x0
	s_barrier
	buffer_gl0_inv
	s_clause 0x1c
	buffer_load_dword v139, off, s[0:3], 0 offset:232
	buffer_load_dword v140, off, s[0:3], 0 offset:236
	;; [unrolled: 1-line block ×29, first 2 shown]
	v_mov_b32_e32 v130, 0
	buffer_load_dword v164, off, s[0:3], 0 offset:348
	s_mov_b32 s4, exec_lo
	ds_read2_b64 v[131:134], v130 offset0:93 offset1:94
	ds_read2_b64 v[135:138], v130 offset0:95 offset1:96
	s_waitcnt vmcnt(28) lgkmcnt(1)
	v_fma_f64 v[131:132], v[139:140], v[131:132], 0
	s_clause 0x7
	buffer_load_dword v140, off, s[0:3], 0 offset:356
	buffer_load_dword v169, off, s[0:3], 0 offset:376
	buffer_load_dword v171, off, s[0:3], 0 offset:368
	buffer_load_dword v173, off, s[0:3], 0 offset:360
	buffer_load_dword v139, off, s[0:3], 0 offset:352
	buffer_load_dword v174, off, s[0:3], 0 offset:364
	buffer_load_dword v172, off, s[0:3], 0 offset:372
	buffer_load_dword v170, off, s[0:3], 0 offset:380
	s_waitcnt vmcnt(34)
	v_fma_f64 v[131:132], v[141:142], v[133:134], v[131:132]
	s_waitcnt vmcnt(32) lgkmcnt(0)
	v_fma_f64 v[131:132], v[143:144], v[135:136], v[131:132]
	s_waitcnt vmcnt(30)
	v_fma_f64 v[141:142], v[145:146], v[137:138], v[131:132]
	ds_read2_b64 v[131:134], v130 offset0:97 offset1:98
	ds_read2_b64 v[135:138], v130 offset0:99 offset1:100
	s_waitcnt vmcnt(28) lgkmcnt(1)
	v_fma_f64 v[131:132], v[147:148], v[131:132], v[141:142]
	s_clause 0x7
	buffer_load_dword v142, off, s[0:3], 0 offset:388
	buffer_load_dword v143, off, s[0:3], 0 offset:408
	buffer_load_dword v145, off, s[0:3], 0 offset:400
	buffer_load_dword v147, off, s[0:3], 0 offset:392
	buffer_load_dword v141, off, s[0:3], 0 offset:384
	buffer_load_dword v148, off, s[0:3], 0 offset:396
	buffer_load_dword v146, off, s[0:3], 0 offset:404
	buffer_load_dword v144, off, s[0:3], 0 offset:412
	s_waitcnt vmcnt(34)
	v_fma_f64 v[131:132], v[149:150], v[133:134], v[131:132]
	s_waitcnt vmcnt(32) lgkmcnt(0)
	v_fma_f64 v[131:132], v[151:152], v[135:136], v[131:132]
	s_waitcnt vmcnt(27)
	v_fma_f64 v[149:150], v[153:154], v[137:138], v[131:132]
	ds_read2_b64 v[131:134], v130 offset0:101 offset1:102
	ds_read2_b64 v[135:138], v130 offset0:103 offset1:104
	s_waitcnt vmcnt(26) lgkmcnt(1)
	v_fma_f64 v[131:132], v[159:160], v[131:132], v[149:150]
	s_clause 0x7
	buffer_load_dword v150, off, s[0:3], 0 offset:420
	buffer_load_dword v151, off, s[0:3], 0 offset:440
	buffer_load_dword v153, off, s[0:3], 0 offset:432
	buffer_load_dword v159, off, s[0:3], 0 offset:424
	buffer_load_dword v149, off, s[0:3], 0 offset:416
	buffer_load_dword v160, off, s[0:3], 0 offset:428
	buffer_load_dword v154, off, s[0:3], 0 offset:436
	buffer_load_dword v152, off, s[0:3], 0 offset:444
	s_waitcnt vmcnt(33)
	v_fma_f64 v[131:132], v[157:158], v[133:134], v[131:132]
	s_waitcnt vmcnt(32) lgkmcnt(0)
	v_fma_f64 v[131:132], v[155:156], v[135:136], v[131:132]
	s_waitcnt vmcnt(27)
	v_fma_f64 v[155:156], v[161:162], v[137:138], v[131:132]
	ds_read2_b64 v[131:134], v130 offset0:105 offset1:106
	ds_read2_b64 v[135:138], v130 offset0:107 offset1:108
	s_waitcnt vmcnt(26) lgkmcnt(1)
	v_fma_f64 v[131:132], v[167:168], v[131:132], v[155:156]
	s_clause 0x7
	buffer_load_dword v156, off, s[0:3], 0 offset:452
	buffer_load_dword v157, off, s[0:3], 0 offset:472
	buffer_load_dword v161, off, s[0:3], 0 offset:464
	buffer_load_dword v167, off, s[0:3], 0 offset:456
	buffer_load_dword v155, off, s[0:3], 0 offset:448
	buffer_load_dword v168, off, s[0:3], 0 offset:460
	buffer_load_dword v162, off, s[0:3], 0 offset:468
	buffer_load_dword v158, off, s[0:3], 0 offset:476
	s_waitcnt vmcnt(33)
	v_fma_f64 v[131:132], v[165:166], v[133:134], v[131:132]
	s_waitcnt vmcnt(32) lgkmcnt(0)
	v_fma_f64 v[131:132], v[163:164], v[135:136], v[131:132]
	s_waitcnt vmcnt(27)
	v_fma_f64 v[139:140], v[139:140], v[137:138], v[131:132]
	ds_read2_b64 v[131:134], v130 offset0:109 offset1:110
	ds_read2_b64 v[135:138], v130 offset0:111 offset1:112
	s_waitcnt vmcnt(26) lgkmcnt(1)
	v_fma_f64 v[131:132], v[173:174], v[131:132], v[139:140]
	s_clause 0x7
	buffer_load_dword v140, off, s[0:3], 0 offset:484
	buffer_load_dword v163, off, s[0:3], 0 offset:504
	buffer_load_dword v165, off, s[0:3], 0 offset:496
	buffer_load_dword v173, off, s[0:3], 0 offset:488
	buffer_load_dword v139, off, s[0:3], 0 offset:480
	buffer_load_dword v174, off, s[0:3], 0 offset:492
	buffer_load_dword v166, off, s[0:3], 0 offset:500
	buffer_load_dword v164, off, s[0:3], 0 offset:508
	s_waitcnt vmcnt(33)
	v_fma_f64 v[131:132], v[171:172], v[133:134], v[131:132]
	s_waitcnt vmcnt(32) lgkmcnt(0)
	v_fma_f64 v[131:132], v[169:170], v[135:136], v[131:132]
	s_waitcnt vmcnt(27)
	v_fma_f64 v[141:142], v[141:142], v[137:138], v[131:132]
	ds_read2_b64 v[131:134], v130 offset0:113 offset1:114
	ds_read2_b64 v[135:138], v130 offset0:115 offset1:116
	s_waitcnt vmcnt(26) lgkmcnt(1)
	v_fma_f64 v[131:132], v[147:148], v[131:132], v[141:142]
	s_clause 0x1
	buffer_load_dword v141, off, s[0:3], 0 offset:224
	buffer_load_dword v142, off, s[0:3], 0 offset:228
	s_waitcnt vmcnt(27)
	v_fma_f64 v[131:132], v[145:146], v[133:134], v[131:132]
	s_waitcnt vmcnt(26) lgkmcnt(0)
	v_fma_f64 v[131:132], v[143:144], v[135:136], v[131:132]
	s_waitcnt vmcnt(21)
	v_fma_f64 v[143:144], v[149:150], v[137:138], v[131:132]
	ds_read2_b64 v[131:134], v130 offset0:117 offset1:118
	ds_read2_b64 v[135:138], v130 offset0:119 offset1:120
	s_waitcnt vmcnt(20) lgkmcnt(1)
	v_fma_f64 v[131:132], v[159:160], v[131:132], v[143:144]
	s_waitcnt vmcnt(19)
	v_fma_f64 v[131:132], v[153:154], v[133:134], v[131:132]
	s_waitcnt vmcnt(18) lgkmcnt(0)
	v_fma_f64 v[131:132], v[151:152], v[135:136], v[131:132]
	s_waitcnt vmcnt(13)
	v_fma_f64 v[143:144], v[155:156], v[137:138], v[131:132]
	ds_read2_b64 v[131:134], v130 offset0:121 offset1:122
	ds_read2_b64 v[135:138], v130 offset0:123 offset1:124
	s_waitcnt vmcnt(12) lgkmcnt(1)
	v_fma_f64 v[131:132], v[167:168], v[131:132], v[143:144]
	s_waitcnt vmcnt(11)
	v_fma_f64 v[131:132], v[161:162], v[133:134], v[131:132]
	s_waitcnt vmcnt(10) lgkmcnt(0)
	v_fma_f64 v[131:132], v[157:158], v[135:136], v[131:132]
	s_waitcnt vmcnt(5)
	v_fma_f64 v[135:136], v[139:140], v[137:138], v[131:132]
	ds_read2_b64 v[131:134], v130 offset0:125 offset1:126
	ds_read_b64 v[137:138], v130 offset:1016
	s_waitcnt vmcnt(4) lgkmcnt(1)
	v_fma_f64 v[131:132], v[173:174], v[131:132], v[135:136]
	s_waitcnt vmcnt(3)
	v_fma_f64 v[131:132], v[165:166], v[133:134], v[131:132]
	s_waitcnt vmcnt(2) lgkmcnt(0)
	v_fma_f64 v[131:132], v[163:164], v[137:138], v[131:132]
	s_waitcnt vmcnt(0)
	v_add_f64 v[131:132], v[141:142], -v[131:132]
	buffer_store_dword v132, off, s[0:3], 0 offset:228
	buffer_store_dword v131, off, s[0:3], 0 offset:224
	v_cmpx_lt_u32_e32 27, v0
	s_cbranch_execz .LBB63_339
; %bb.338:
	s_clause 0x1
	buffer_load_dword v131, off, s[0:3], 0 offset:216
	buffer_load_dword v132, off, s[0:3], 0 offset:220
	buffer_store_dword v130, off, s[0:3], 0 offset:216
	buffer_store_dword v130, off, s[0:3], 0 offset:220
	s_waitcnt vmcnt(0)
	ds_write_b64 v129, v[131:132]
.LBB63_339:
	s_or_b32 exec_lo, exec_lo, s4
	s_waitcnt lgkmcnt(0)
	s_waitcnt_vscnt null, 0x0
	s_barrier
	buffer_gl0_inv
	s_clause 0x1c
	buffer_load_dword v139, off, s[0:3], 0 offset:224
	buffer_load_dword v140, off, s[0:3], 0 offset:228
	;; [unrolled: 1-line block ×29, first 2 shown]
	ds_read_b128 v[131:134], v130 offset:736
	ds_read_b128 v[135:138], v130 offset:752
	buffer_load_dword v164, off, s[0:3], 0 offset:340
	s_mov_b32 s4, exec_lo
	s_waitcnt vmcnt(28) lgkmcnt(1)
	v_fma_f64 v[131:132], v[139:140], v[131:132], 0
	s_clause 0x7
	buffer_load_dword v140, off, s[0:3], 0 offset:348
	buffer_load_dword v169, off, s[0:3], 0 offset:368
	buffer_load_dword v171, off, s[0:3], 0 offset:360
	buffer_load_dword v173, off, s[0:3], 0 offset:352
	buffer_load_dword v139, off, s[0:3], 0 offset:344
	buffer_load_dword v174, off, s[0:3], 0 offset:356
	buffer_load_dword v172, off, s[0:3], 0 offset:364
	buffer_load_dword v170, off, s[0:3], 0 offset:372
	s_waitcnt vmcnt(34)
	v_fma_f64 v[131:132], v[141:142], v[133:134], v[131:132]
	s_waitcnt vmcnt(32) lgkmcnt(0)
	v_fma_f64 v[131:132], v[143:144], v[135:136], v[131:132]
	s_waitcnt vmcnt(30)
	v_fma_f64 v[141:142], v[145:146], v[137:138], v[131:132]
	ds_read_b128 v[131:134], v130 offset:768
	ds_read_b128 v[135:138], v130 offset:784
	s_waitcnt vmcnt(28) lgkmcnt(1)
	v_fma_f64 v[131:132], v[147:148], v[131:132], v[141:142]
	s_clause 0x7
	buffer_load_dword v142, off, s[0:3], 0 offset:380
	buffer_load_dword v143, off, s[0:3], 0 offset:400
	buffer_load_dword v145, off, s[0:3], 0 offset:392
	buffer_load_dword v147, off, s[0:3], 0 offset:384
	buffer_load_dword v141, off, s[0:3], 0 offset:376
	buffer_load_dword v148, off, s[0:3], 0 offset:388
	buffer_load_dword v146, off, s[0:3], 0 offset:396
	buffer_load_dword v144, off, s[0:3], 0 offset:404
	s_waitcnt vmcnt(34)
	v_fma_f64 v[131:132], v[149:150], v[133:134], v[131:132]
	s_waitcnt vmcnt(32) lgkmcnt(0)
	v_fma_f64 v[131:132], v[151:152], v[135:136], v[131:132]
	s_waitcnt vmcnt(27)
	v_fma_f64 v[149:150], v[153:154], v[137:138], v[131:132]
	ds_read_b128 v[131:134], v130 offset:800
	ds_read_b128 v[135:138], v130 offset:816
	;; [unrolled: 19-line block ×5, first 2 shown]
	s_waitcnt vmcnt(26) lgkmcnt(1)
	v_fma_f64 v[131:132], v[147:148], v[131:132], v[141:142]
	s_clause 0x1
	buffer_load_dword v142, off, s[0:3], 0 offset:508
	buffer_load_dword v141, off, s[0:3], 0 offset:504
	s_waitcnt vmcnt(27)
	v_fma_f64 v[131:132], v[145:146], v[133:134], v[131:132]
	s_clause 0x1
	buffer_load_dword v145, off, s[0:3], 0 offset:216
	buffer_load_dword v146, off, s[0:3], 0 offset:220
	s_waitcnt vmcnt(28) lgkmcnt(0)
	v_fma_f64 v[131:132], v[143:144], v[135:136], v[131:132]
	s_waitcnt vmcnt(23)
	v_fma_f64 v[143:144], v[149:150], v[137:138], v[131:132]
	ds_read_b128 v[131:134], v130 offset:928
	ds_read_b128 v[135:138], v130 offset:944
	s_waitcnt vmcnt(22) lgkmcnt(1)
	v_fma_f64 v[131:132], v[159:160], v[131:132], v[143:144]
	s_waitcnt vmcnt(21)
	v_fma_f64 v[131:132], v[153:154], v[133:134], v[131:132]
	s_waitcnt vmcnt(20) lgkmcnt(0)
	v_fma_f64 v[131:132], v[151:152], v[135:136], v[131:132]
	s_waitcnt vmcnt(15)
	v_fma_f64 v[143:144], v[155:156], v[137:138], v[131:132]
	ds_read_b128 v[131:134], v130 offset:960
	ds_read_b128 v[135:138], v130 offset:976
	s_waitcnt vmcnt(14) lgkmcnt(1)
	v_fma_f64 v[131:132], v[167:168], v[131:132], v[143:144]
	s_waitcnt vmcnt(13)
	v_fma_f64 v[131:132], v[161:162], v[133:134], v[131:132]
	;; [unrolled: 10-line block ×3, first 2 shown]
	s_waitcnt vmcnt(4) lgkmcnt(0)
	v_fma_f64 v[130:131], v[163:164], v[135:136], v[130:131]
	s_waitcnt vmcnt(2)
	v_fma_f64 v[130:131], v[141:142], v[137:138], v[130:131]
	s_waitcnt vmcnt(0)
	v_add_f64 v[130:131], v[145:146], -v[130:131]
	buffer_store_dword v131, off, s[0:3], 0 offset:220
	buffer_store_dword v130, off, s[0:3], 0 offset:216
	v_cmpx_lt_u32_e32 26, v0
	s_cbranch_execz .LBB63_341
; %bb.340:
	s_clause 0x1
	buffer_load_dword v130, off, s[0:3], 0 offset:208
	buffer_load_dword v131, off, s[0:3], 0 offset:212
	v_mov_b32_e32 v132, 0
	buffer_store_dword v132, off, s[0:3], 0 offset:208
	buffer_store_dword v132, off, s[0:3], 0 offset:212
	s_waitcnt vmcnt(0)
	ds_write_b64 v129, v[130:131]
.LBB63_341:
	s_or_b32 exec_lo, exec_lo, s4
	s_waitcnt lgkmcnt(0)
	s_waitcnt_vscnt null, 0x0
	s_barrier
	buffer_gl0_inv
	s_clause 0x1c
	buffer_load_dword v139, off, s[0:3], 0 offset:216
	buffer_load_dword v140, off, s[0:3], 0 offset:220
	;; [unrolled: 1-line block ×29, first 2 shown]
	v_mov_b32_e32 v130, 0
	buffer_load_dword v164, off, s[0:3], 0 offset:332
	s_mov_b32 s4, exec_lo
	ds_read2_b64 v[131:134], v130 offset0:91 offset1:92
	ds_read2_b64 v[135:138], v130 offset0:93 offset1:94
	s_waitcnt vmcnt(28) lgkmcnt(1)
	v_fma_f64 v[131:132], v[139:140], v[131:132], 0
	s_clause 0x7
	buffer_load_dword v140, off, s[0:3], 0 offset:340
	buffer_load_dword v169, off, s[0:3], 0 offset:360
	buffer_load_dword v171, off, s[0:3], 0 offset:352
	buffer_load_dword v173, off, s[0:3], 0 offset:344
	buffer_load_dword v139, off, s[0:3], 0 offset:336
	buffer_load_dword v174, off, s[0:3], 0 offset:348
	buffer_load_dword v172, off, s[0:3], 0 offset:356
	buffer_load_dword v170, off, s[0:3], 0 offset:364
	s_waitcnt vmcnt(34)
	v_fma_f64 v[131:132], v[141:142], v[133:134], v[131:132]
	s_waitcnt vmcnt(32) lgkmcnt(0)
	v_fma_f64 v[131:132], v[143:144], v[135:136], v[131:132]
	s_waitcnt vmcnt(30)
	v_fma_f64 v[141:142], v[145:146], v[137:138], v[131:132]
	ds_read2_b64 v[131:134], v130 offset0:95 offset1:96
	ds_read2_b64 v[135:138], v130 offset0:97 offset1:98
	s_waitcnt vmcnt(28) lgkmcnt(1)
	v_fma_f64 v[131:132], v[147:148], v[131:132], v[141:142]
	s_clause 0x7
	buffer_load_dword v142, off, s[0:3], 0 offset:372
	buffer_load_dword v143, off, s[0:3], 0 offset:392
	buffer_load_dword v145, off, s[0:3], 0 offset:384
	buffer_load_dword v147, off, s[0:3], 0 offset:376
	buffer_load_dword v141, off, s[0:3], 0 offset:368
	buffer_load_dword v148, off, s[0:3], 0 offset:380
	buffer_load_dword v146, off, s[0:3], 0 offset:388
	buffer_load_dword v144, off, s[0:3], 0 offset:396
	s_waitcnt vmcnt(34)
	v_fma_f64 v[131:132], v[149:150], v[133:134], v[131:132]
	s_waitcnt vmcnt(32) lgkmcnt(0)
	v_fma_f64 v[131:132], v[151:152], v[135:136], v[131:132]
	s_waitcnt vmcnt(27)
	v_fma_f64 v[149:150], v[153:154], v[137:138], v[131:132]
	;; [unrolled: 19-line block ×5, first 2 shown]
	ds_read2_b64 v[131:134], v130 offset0:111 offset1:112
	ds_read2_b64 v[135:138], v130 offset0:113 offset1:114
	s_waitcnt vmcnt(26) lgkmcnt(1)
	v_fma_f64 v[131:132], v[147:148], v[131:132], v[141:142]
	s_clause 0x3
	buffer_load_dword v142, off, s[0:3], 0 offset:500
	buffer_load_dword v147, off, s[0:3], 0 offset:504
	buffer_load_dword v141, off, s[0:3], 0 offset:496
	buffer_load_dword v148, off, s[0:3], 0 offset:508
	s_waitcnt vmcnt(29)
	v_fma_f64 v[131:132], v[145:146], v[133:134], v[131:132]
	s_waitcnt vmcnt(28) lgkmcnt(0)
	v_fma_f64 v[131:132], v[143:144], v[135:136], v[131:132]
	s_clause 0x1
	buffer_load_dword v143, off, s[0:3], 0 offset:208
	buffer_load_dword v144, off, s[0:3], 0 offset:212
	s_waitcnt vmcnt(25)
	v_fma_f64 v[145:146], v[149:150], v[137:138], v[131:132]
	ds_read2_b64 v[131:134], v130 offset0:115 offset1:116
	ds_read2_b64 v[135:138], v130 offset0:117 offset1:118
	s_waitcnt vmcnt(24) lgkmcnt(1)
	v_fma_f64 v[131:132], v[159:160], v[131:132], v[145:146]
	s_waitcnt vmcnt(23)
	v_fma_f64 v[131:132], v[153:154], v[133:134], v[131:132]
	s_waitcnt vmcnt(22) lgkmcnt(0)
	v_fma_f64 v[131:132], v[151:152], v[135:136], v[131:132]
	s_waitcnt vmcnt(17)
	v_fma_f64 v[145:146], v[155:156], v[137:138], v[131:132]
	ds_read2_b64 v[131:134], v130 offset0:119 offset1:120
	ds_read2_b64 v[135:138], v130 offset0:121 offset1:122
	s_waitcnt vmcnt(16) lgkmcnt(1)
	v_fma_f64 v[131:132], v[167:168], v[131:132], v[145:146]
	s_waitcnt vmcnt(15)
	v_fma_f64 v[131:132], v[161:162], v[133:134], v[131:132]
	s_waitcnt vmcnt(14) lgkmcnt(0)
	v_fma_f64 v[131:132], v[157:158], v[135:136], v[131:132]
	s_waitcnt vmcnt(9)
	v_fma_f64 v[139:140], v[139:140], v[137:138], v[131:132]
	ds_read2_b64 v[131:134], v130 offset0:123 offset1:124
	ds_read2_b64 v[135:138], v130 offset0:125 offset1:126
	s_waitcnt vmcnt(8) lgkmcnt(1)
	v_fma_f64 v[131:132], v[173:174], v[131:132], v[139:140]
	s_waitcnt vmcnt(7)
	v_fma_f64 v[131:132], v[165:166], v[133:134], v[131:132]
	ds_read_b64 v[133:134], v130 offset:1016
	s_waitcnt vmcnt(6) lgkmcnt(1)
	v_fma_f64 v[131:132], v[163:164], v[135:136], v[131:132]
	s_waitcnt vmcnt(3)
	v_fma_f64 v[131:132], v[141:142], v[137:138], v[131:132]
	s_waitcnt vmcnt(2) lgkmcnt(0)
	v_fma_f64 v[131:132], v[147:148], v[133:134], v[131:132]
	s_waitcnt vmcnt(0)
	v_add_f64 v[131:132], v[143:144], -v[131:132]
	buffer_store_dword v132, off, s[0:3], 0 offset:212
	buffer_store_dword v131, off, s[0:3], 0 offset:208
	v_cmpx_lt_u32_e32 25, v0
	s_cbranch_execz .LBB63_343
; %bb.342:
	s_clause 0x1
	buffer_load_dword v131, off, s[0:3], 0 offset:200
	buffer_load_dword v132, off, s[0:3], 0 offset:204
	buffer_store_dword v130, off, s[0:3], 0 offset:200
	buffer_store_dword v130, off, s[0:3], 0 offset:204
	s_waitcnt vmcnt(0)
	ds_write_b64 v129, v[131:132]
.LBB63_343:
	s_or_b32 exec_lo, exec_lo, s4
	s_waitcnt lgkmcnt(0)
	s_waitcnt_vscnt null, 0x0
	s_barrier
	buffer_gl0_inv
	s_clause 0x1c
	buffer_load_dword v139, off, s[0:3], 0 offset:208
	buffer_load_dword v140, off, s[0:3], 0 offset:212
	;; [unrolled: 1-line block ×29, first 2 shown]
	ds_read_b128 v[131:134], v130 offset:720
	ds_read_b128 v[135:138], v130 offset:736
	buffer_load_dword v164, off, s[0:3], 0 offset:324
	s_mov_b32 s4, exec_lo
	s_waitcnt vmcnt(28) lgkmcnt(1)
	v_fma_f64 v[131:132], v[139:140], v[131:132], 0
	s_clause 0x7
	buffer_load_dword v140, off, s[0:3], 0 offset:332
	buffer_load_dword v169, off, s[0:3], 0 offset:352
	buffer_load_dword v171, off, s[0:3], 0 offset:344
	buffer_load_dword v173, off, s[0:3], 0 offset:336
	buffer_load_dword v139, off, s[0:3], 0 offset:328
	buffer_load_dword v174, off, s[0:3], 0 offset:340
	buffer_load_dword v172, off, s[0:3], 0 offset:348
	buffer_load_dword v170, off, s[0:3], 0 offset:356
	s_waitcnt vmcnt(34)
	v_fma_f64 v[131:132], v[141:142], v[133:134], v[131:132]
	s_waitcnt vmcnt(32) lgkmcnt(0)
	v_fma_f64 v[131:132], v[143:144], v[135:136], v[131:132]
	s_waitcnt vmcnt(30)
	v_fma_f64 v[141:142], v[145:146], v[137:138], v[131:132]
	ds_read_b128 v[131:134], v130 offset:752
	ds_read_b128 v[135:138], v130 offset:768
	s_waitcnt vmcnt(28) lgkmcnt(1)
	v_fma_f64 v[131:132], v[147:148], v[131:132], v[141:142]
	s_clause 0x7
	buffer_load_dword v142, off, s[0:3], 0 offset:364
	buffer_load_dword v143, off, s[0:3], 0 offset:384
	buffer_load_dword v145, off, s[0:3], 0 offset:376
	buffer_load_dword v147, off, s[0:3], 0 offset:368
	buffer_load_dword v141, off, s[0:3], 0 offset:360
	buffer_load_dword v148, off, s[0:3], 0 offset:372
	buffer_load_dword v146, off, s[0:3], 0 offset:380
	buffer_load_dword v144, off, s[0:3], 0 offset:388
	s_waitcnt vmcnt(34)
	v_fma_f64 v[131:132], v[149:150], v[133:134], v[131:132]
	s_waitcnt vmcnt(32) lgkmcnt(0)
	v_fma_f64 v[131:132], v[151:152], v[135:136], v[131:132]
	s_waitcnt vmcnt(27)
	v_fma_f64 v[149:150], v[153:154], v[137:138], v[131:132]
	ds_read_b128 v[131:134], v130 offset:784
	ds_read_b128 v[135:138], v130 offset:800
	s_waitcnt vmcnt(26) lgkmcnt(1)
	v_fma_f64 v[131:132], v[159:160], v[131:132], v[149:150]
	s_clause 0x7
	buffer_load_dword v150, off, s[0:3], 0 offset:396
	buffer_load_dword v151, off, s[0:3], 0 offset:416
	buffer_load_dword v153, off, s[0:3], 0 offset:408
	buffer_load_dword v159, off, s[0:3], 0 offset:400
	buffer_load_dword v149, off, s[0:3], 0 offset:392
	buffer_load_dword v160, off, s[0:3], 0 offset:404
	buffer_load_dword v154, off, s[0:3], 0 offset:412
	buffer_load_dword v152, off, s[0:3], 0 offset:420
	s_waitcnt vmcnt(33)
	v_fma_f64 v[131:132], v[157:158], v[133:134], v[131:132]
	s_waitcnt vmcnt(32) lgkmcnt(0)
	v_fma_f64 v[131:132], v[155:156], v[135:136], v[131:132]
	s_waitcnt vmcnt(27)
	v_fma_f64 v[155:156], v[161:162], v[137:138], v[131:132]
	ds_read_b128 v[131:134], v130 offset:816
	ds_read_b128 v[135:138], v130 offset:832
	s_waitcnt vmcnt(26) lgkmcnt(1)
	v_fma_f64 v[131:132], v[167:168], v[131:132], v[155:156]
	s_clause 0x7
	buffer_load_dword v156, off, s[0:3], 0 offset:428
	buffer_load_dword v157, off, s[0:3], 0 offset:448
	buffer_load_dword v161, off, s[0:3], 0 offset:440
	buffer_load_dword v167, off, s[0:3], 0 offset:432
	buffer_load_dword v155, off, s[0:3], 0 offset:424
	buffer_load_dword v168, off, s[0:3], 0 offset:436
	buffer_load_dword v162, off, s[0:3], 0 offset:444
	buffer_load_dword v158, off, s[0:3], 0 offset:452
	s_waitcnt vmcnt(33)
	v_fma_f64 v[131:132], v[165:166], v[133:134], v[131:132]
	s_waitcnt vmcnt(32) lgkmcnt(0)
	v_fma_f64 v[131:132], v[163:164], v[135:136], v[131:132]
	s_waitcnt vmcnt(27)
	v_fma_f64 v[139:140], v[139:140], v[137:138], v[131:132]
	ds_read_b128 v[131:134], v130 offset:848
	ds_read_b128 v[135:138], v130 offset:864
	s_waitcnt vmcnt(26) lgkmcnt(1)
	v_fma_f64 v[131:132], v[173:174], v[131:132], v[139:140]
	s_clause 0x7
	buffer_load_dword v140, off, s[0:3], 0 offset:460
	buffer_load_dword v163, off, s[0:3], 0 offset:480
	buffer_load_dword v165, off, s[0:3], 0 offset:472
	buffer_load_dword v173, off, s[0:3], 0 offset:464
	buffer_load_dword v139, off, s[0:3], 0 offset:456
	buffer_load_dword v174, off, s[0:3], 0 offset:468
	buffer_load_dword v166, off, s[0:3], 0 offset:476
	buffer_load_dword v164, off, s[0:3], 0 offset:484
	s_waitcnt vmcnt(33)
	v_fma_f64 v[131:132], v[171:172], v[133:134], v[131:132]
	s_waitcnt vmcnt(32) lgkmcnt(0)
	v_fma_f64 v[131:132], v[169:170], v[135:136], v[131:132]
	s_waitcnt vmcnt(27)
	v_fma_f64 v[141:142], v[141:142], v[137:138], v[131:132]
	ds_read_b128 v[131:134], v130 offset:880
	ds_read_b128 v[135:138], v130 offset:896
	s_waitcnt vmcnt(26) lgkmcnt(1)
	v_fma_f64 v[131:132], v[147:148], v[131:132], v[141:142]
	s_clause 0x5
	buffer_load_dword v142, off, s[0:3], 0 offset:492
	buffer_load_dword v147, off, s[0:3], 0 offset:504
	;; [unrolled: 1-line block ×6, first 2 shown]
	s_waitcnt vmcnt(31)
	v_fma_f64 v[131:132], v[145:146], v[133:134], v[131:132]
	s_waitcnt vmcnt(30) lgkmcnt(0)
	v_fma_f64 v[131:132], v[143:144], v[135:136], v[131:132]
	s_waitcnt vmcnt(25)
	v_fma_f64 v[143:144], v[149:150], v[137:138], v[131:132]
	ds_read_b128 v[131:134], v130 offset:912
	s_clause 0x1
	buffer_load_dword v145, off, s[0:3], 0 offset:200
	buffer_load_dword v146, off, s[0:3], 0 offset:204
	ds_read_b128 v[135:138], v130 offset:928
	s_waitcnt vmcnt(26) lgkmcnt(1)
	v_fma_f64 v[131:132], v[159:160], v[131:132], v[143:144]
	s_waitcnt vmcnt(25)
	v_fma_f64 v[131:132], v[153:154], v[133:134], v[131:132]
	s_waitcnt vmcnt(24) lgkmcnt(0)
	v_fma_f64 v[131:132], v[151:152], v[135:136], v[131:132]
	s_waitcnt vmcnt(19)
	v_fma_f64 v[143:144], v[155:156], v[137:138], v[131:132]
	ds_read_b128 v[131:134], v130 offset:944
	ds_read_b128 v[135:138], v130 offset:960
	s_waitcnt vmcnt(18) lgkmcnt(1)
	v_fma_f64 v[131:132], v[167:168], v[131:132], v[143:144]
	s_waitcnt vmcnt(17)
	v_fma_f64 v[131:132], v[161:162], v[133:134], v[131:132]
	s_waitcnt vmcnt(16) lgkmcnt(0)
	v_fma_f64 v[131:132], v[157:158], v[135:136], v[131:132]
	s_waitcnt vmcnt(11)
	v_fma_f64 v[139:140], v[139:140], v[137:138], v[131:132]
	ds_read_b128 v[131:134], v130 offset:976
	;; [unrolled: 10-line block ×3, first 2 shown]
	s_waitcnt vmcnt(3) lgkmcnt(0)
	v_fma_f64 v[130:131], v[169:170], v[130:131], v[134:135]
	s_waitcnt vmcnt(2)
	v_fma_f64 v[130:131], v[147:148], v[132:133], v[130:131]
	s_waitcnt vmcnt(0)
	v_add_f64 v[130:131], v[145:146], -v[130:131]
	buffer_store_dword v131, off, s[0:3], 0 offset:204
	buffer_store_dword v130, off, s[0:3], 0 offset:200
	v_cmpx_lt_u32_e32 24, v0
	s_cbranch_execz .LBB63_345
; %bb.344:
	s_clause 0x1
	buffer_load_dword v130, off, s[0:3], 0 offset:192
	buffer_load_dword v131, off, s[0:3], 0 offset:196
	v_mov_b32_e32 v132, 0
	buffer_store_dword v132, off, s[0:3], 0 offset:192
	buffer_store_dword v132, off, s[0:3], 0 offset:196
	s_waitcnt vmcnt(0)
	ds_write_b64 v129, v[130:131]
.LBB63_345:
	s_or_b32 exec_lo, exec_lo, s4
	s_waitcnt lgkmcnt(0)
	s_waitcnt_vscnt null, 0x0
	s_barrier
	buffer_gl0_inv
	s_clause 0x1c
	buffer_load_dword v139, off, s[0:3], 0 offset:200
	buffer_load_dword v140, off, s[0:3], 0 offset:204
	;; [unrolled: 1-line block ×29, first 2 shown]
	v_mov_b32_e32 v130, 0
	buffer_load_dword v164, off, s[0:3], 0 offset:316
	s_mov_b32 s4, exec_lo
	ds_read2_b64 v[131:134], v130 offset0:89 offset1:90
	ds_read2_b64 v[135:138], v130 offset0:91 offset1:92
	s_waitcnt vmcnt(28) lgkmcnt(1)
	v_fma_f64 v[131:132], v[139:140], v[131:132], 0
	s_clause 0x7
	buffer_load_dword v140, off, s[0:3], 0 offset:324
	buffer_load_dword v169, off, s[0:3], 0 offset:344
	buffer_load_dword v171, off, s[0:3], 0 offset:336
	buffer_load_dword v173, off, s[0:3], 0 offset:328
	buffer_load_dword v139, off, s[0:3], 0 offset:320
	buffer_load_dword v174, off, s[0:3], 0 offset:332
	buffer_load_dword v172, off, s[0:3], 0 offset:340
	buffer_load_dword v170, off, s[0:3], 0 offset:348
	s_waitcnt vmcnt(34)
	v_fma_f64 v[131:132], v[141:142], v[133:134], v[131:132]
	s_waitcnt vmcnt(32) lgkmcnt(0)
	v_fma_f64 v[131:132], v[143:144], v[135:136], v[131:132]
	s_waitcnt vmcnt(30)
	v_fma_f64 v[141:142], v[145:146], v[137:138], v[131:132]
	ds_read2_b64 v[131:134], v130 offset0:93 offset1:94
	ds_read2_b64 v[135:138], v130 offset0:95 offset1:96
	s_waitcnt vmcnt(28) lgkmcnt(1)
	v_fma_f64 v[131:132], v[147:148], v[131:132], v[141:142]
	s_clause 0x7
	buffer_load_dword v142, off, s[0:3], 0 offset:356
	buffer_load_dword v143, off, s[0:3], 0 offset:376
	buffer_load_dword v145, off, s[0:3], 0 offset:368
	buffer_load_dword v147, off, s[0:3], 0 offset:360
	buffer_load_dword v141, off, s[0:3], 0 offset:352
	buffer_load_dword v148, off, s[0:3], 0 offset:364
	buffer_load_dword v146, off, s[0:3], 0 offset:372
	buffer_load_dword v144, off, s[0:3], 0 offset:380
	s_waitcnt vmcnt(34)
	v_fma_f64 v[131:132], v[149:150], v[133:134], v[131:132]
	s_waitcnt vmcnt(32) lgkmcnt(0)
	v_fma_f64 v[131:132], v[151:152], v[135:136], v[131:132]
	s_waitcnt vmcnt(27)
	v_fma_f64 v[149:150], v[153:154], v[137:138], v[131:132]
	;; [unrolled: 19-line block ×6, first 2 shown]
	ds_read2_b64 v[131:134], v130 offset0:113 offset1:114
	ds_read2_b64 v[135:138], v130 offset0:115 offset1:116
	s_waitcnt vmcnt(26) lgkmcnt(1)
	v_fma_f64 v[131:132], v[159:160], v[131:132], v[143:144]
	s_clause 0x1
	buffer_load_dword v143, off, s[0:3], 0 offset:192
	buffer_load_dword v144, off, s[0:3], 0 offset:196
	s_waitcnt vmcnt(27)
	v_fma_f64 v[131:132], v[153:154], v[133:134], v[131:132]
	s_waitcnt vmcnt(26) lgkmcnt(0)
	v_fma_f64 v[131:132], v[151:152], v[135:136], v[131:132]
	s_waitcnt vmcnt(21)
	v_fma_f64 v[145:146], v[155:156], v[137:138], v[131:132]
	ds_read2_b64 v[131:134], v130 offset0:117 offset1:118
	ds_read2_b64 v[135:138], v130 offset0:119 offset1:120
	s_waitcnt vmcnt(20) lgkmcnt(1)
	v_fma_f64 v[131:132], v[167:168], v[131:132], v[145:146]
	s_waitcnt vmcnt(19)
	v_fma_f64 v[131:132], v[161:162], v[133:134], v[131:132]
	s_waitcnt vmcnt(18) lgkmcnt(0)
	v_fma_f64 v[131:132], v[157:158], v[135:136], v[131:132]
	s_waitcnt vmcnt(13)
	v_fma_f64 v[139:140], v[139:140], v[137:138], v[131:132]
	ds_read2_b64 v[131:134], v130 offset0:121 offset1:122
	ds_read2_b64 v[135:138], v130 offset0:123 offset1:124
	s_waitcnt vmcnt(12) lgkmcnt(1)
	v_fma_f64 v[131:132], v[173:174], v[131:132], v[139:140]
	s_waitcnt vmcnt(11)
	v_fma_f64 v[131:132], v[165:166], v[133:134], v[131:132]
	s_waitcnt vmcnt(10) lgkmcnt(0)
	v_fma_f64 v[131:132], v[163:164], v[135:136], v[131:132]
	s_waitcnt vmcnt(5)
	v_fma_f64 v[135:136], v[141:142], v[137:138], v[131:132]
	ds_read2_b64 v[131:134], v130 offset0:125 offset1:126
	ds_read_b64 v[137:138], v130 offset:1016
	s_waitcnt vmcnt(4) lgkmcnt(1)
	v_fma_f64 v[131:132], v[171:172], v[131:132], v[135:136]
	s_waitcnt vmcnt(3)
	v_fma_f64 v[131:132], v[169:170], v[133:134], v[131:132]
	s_waitcnt vmcnt(2) lgkmcnt(0)
	v_fma_f64 v[131:132], v[147:148], v[137:138], v[131:132]
	s_waitcnt vmcnt(0)
	v_add_f64 v[131:132], v[143:144], -v[131:132]
	buffer_store_dword v132, off, s[0:3], 0 offset:196
	buffer_store_dword v131, off, s[0:3], 0 offset:192
	v_cmpx_lt_u32_e32 23, v0
	s_cbranch_execz .LBB63_347
; %bb.346:
	s_clause 0x1
	buffer_load_dword v131, off, s[0:3], 0 offset:184
	buffer_load_dword v132, off, s[0:3], 0 offset:188
	buffer_store_dword v130, off, s[0:3], 0 offset:184
	buffer_store_dword v130, off, s[0:3], 0 offset:188
	s_waitcnt vmcnt(0)
	ds_write_b64 v129, v[131:132]
.LBB63_347:
	s_or_b32 exec_lo, exec_lo, s4
	s_waitcnt lgkmcnt(0)
	s_waitcnt_vscnt null, 0x0
	s_barrier
	buffer_gl0_inv
	s_clause 0x1c
	buffer_load_dword v139, off, s[0:3], 0 offset:192
	buffer_load_dword v140, off, s[0:3], 0 offset:196
	;; [unrolled: 1-line block ×29, first 2 shown]
	ds_read_b128 v[131:134], v130 offset:704
	ds_read_b128 v[135:138], v130 offset:720
	buffer_load_dword v164, off, s[0:3], 0 offset:308
	s_mov_b32 s4, exec_lo
	s_waitcnt vmcnt(28) lgkmcnt(1)
	v_fma_f64 v[131:132], v[139:140], v[131:132], 0
	s_clause 0x7
	buffer_load_dword v140, off, s[0:3], 0 offset:316
	buffer_load_dword v169, off, s[0:3], 0 offset:336
	buffer_load_dword v171, off, s[0:3], 0 offset:328
	buffer_load_dword v173, off, s[0:3], 0 offset:320
	buffer_load_dword v139, off, s[0:3], 0 offset:312
	buffer_load_dword v174, off, s[0:3], 0 offset:324
	buffer_load_dword v172, off, s[0:3], 0 offset:332
	buffer_load_dword v170, off, s[0:3], 0 offset:340
	s_waitcnt vmcnt(34)
	v_fma_f64 v[131:132], v[141:142], v[133:134], v[131:132]
	s_waitcnt vmcnt(32) lgkmcnt(0)
	v_fma_f64 v[131:132], v[143:144], v[135:136], v[131:132]
	s_waitcnt vmcnt(30)
	v_fma_f64 v[141:142], v[145:146], v[137:138], v[131:132]
	ds_read_b128 v[131:134], v130 offset:736
	ds_read_b128 v[135:138], v130 offset:752
	s_waitcnt vmcnt(28) lgkmcnt(1)
	v_fma_f64 v[131:132], v[147:148], v[131:132], v[141:142]
	s_clause 0x7
	buffer_load_dword v142, off, s[0:3], 0 offset:348
	buffer_load_dword v143, off, s[0:3], 0 offset:368
	buffer_load_dword v145, off, s[0:3], 0 offset:360
	buffer_load_dword v147, off, s[0:3], 0 offset:352
	buffer_load_dword v141, off, s[0:3], 0 offset:344
	buffer_load_dword v148, off, s[0:3], 0 offset:356
	buffer_load_dword v146, off, s[0:3], 0 offset:364
	buffer_load_dword v144, off, s[0:3], 0 offset:372
	s_waitcnt vmcnt(34)
	v_fma_f64 v[131:132], v[149:150], v[133:134], v[131:132]
	s_waitcnt vmcnt(32) lgkmcnt(0)
	v_fma_f64 v[131:132], v[151:152], v[135:136], v[131:132]
	s_waitcnt vmcnt(27)
	v_fma_f64 v[149:150], v[153:154], v[137:138], v[131:132]
	ds_read_b128 v[131:134], v130 offset:768
	ds_read_b128 v[135:138], v130 offset:784
	;; [unrolled: 19-line block ×6, first 2 shown]
	s_waitcnt vmcnt(26) lgkmcnt(1)
	v_fma_f64 v[131:132], v[159:160], v[131:132], v[143:144]
	s_clause 0x3
	buffer_load_dword v144, off, s[0:3], 0 offset:508
	buffer_load_dword v143, off, s[0:3], 0 offset:504
	;; [unrolled: 1-line block ×4, first 2 shown]
	s_waitcnt vmcnt(29)
	v_fma_f64 v[131:132], v[153:154], v[133:134], v[131:132]
	s_waitcnt vmcnt(28) lgkmcnt(0)
	v_fma_f64 v[131:132], v[151:152], v[135:136], v[131:132]
	s_waitcnt vmcnt(23)
	v_fma_f64 v[149:150], v[155:156], v[137:138], v[131:132]
	ds_read_b128 v[131:134], v130 offset:928
	ds_read_b128 v[135:138], v130 offset:944
	s_waitcnt vmcnt(22) lgkmcnt(1)
	v_fma_f64 v[131:132], v[167:168], v[131:132], v[149:150]
	s_waitcnt vmcnt(21)
	v_fma_f64 v[131:132], v[161:162], v[133:134], v[131:132]
	s_waitcnt vmcnt(20) lgkmcnt(0)
	v_fma_f64 v[131:132], v[157:158], v[135:136], v[131:132]
	s_waitcnt vmcnt(15)
	v_fma_f64 v[139:140], v[139:140], v[137:138], v[131:132]
	ds_read_b128 v[131:134], v130 offset:960
	ds_read_b128 v[135:138], v130 offset:976
	s_waitcnt vmcnt(14) lgkmcnt(1)
	v_fma_f64 v[131:132], v[173:174], v[131:132], v[139:140]
	;; [unrolled: 10-line block ×3, first 2 shown]
	s_waitcnt vmcnt(5)
	v_fma_f64 v[130:131], v[169:170], v[133:134], v[130:131]
	s_waitcnt vmcnt(4) lgkmcnt(0)
	v_fma_f64 v[130:131], v[147:148], v[135:136], v[130:131]
	s_waitcnt vmcnt(2)
	v_fma_f64 v[130:131], v[143:144], v[137:138], v[130:131]
	s_waitcnt vmcnt(0)
	v_add_f64 v[130:131], v[145:146], -v[130:131]
	buffer_store_dword v131, off, s[0:3], 0 offset:188
	buffer_store_dword v130, off, s[0:3], 0 offset:184
	v_cmpx_lt_u32_e32 22, v0
	s_cbranch_execz .LBB63_349
; %bb.348:
	s_clause 0x1
	buffer_load_dword v130, off, s[0:3], 0 offset:176
	buffer_load_dword v131, off, s[0:3], 0 offset:180
	v_mov_b32_e32 v132, 0
	buffer_store_dword v132, off, s[0:3], 0 offset:176
	buffer_store_dword v132, off, s[0:3], 0 offset:180
	s_waitcnt vmcnt(0)
	ds_write_b64 v129, v[130:131]
.LBB63_349:
	s_or_b32 exec_lo, exec_lo, s4
	s_waitcnt lgkmcnt(0)
	s_waitcnt_vscnt null, 0x0
	s_barrier
	buffer_gl0_inv
	s_clause 0x1c
	buffer_load_dword v139, off, s[0:3], 0 offset:184
	buffer_load_dword v140, off, s[0:3], 0 offset:188
	buffer_load_dword v141, off, s[0:3], 0 offset:192
	buffer_load_dword v142, off, s[0:3], 0 offset:196
	buffer_load_dword v143, off, s[0:3], 0 offset:200
	buffer_load_dword v144, off, s[0:3], 0 offset:204
	buffer_load_dword v145, off, s[0:3], 0 offset:208
	buffer_load_dword v146, off, s[0:3], 0 offset:212
	buffer_load_dword v147, off, s[0:3], 0 offset:216
	buffer_load_dword v148, off, s[0:3], 0 offset:220
	buffer_load_dword v149, off, s[0:3], 0 offset:224
	buffer_load_dword v150, off, s[0:3], 0 offset:228
	buffer_load_dword v151, off, s[0:3], 0 offset:232
	buffer_load_dword v152, off, s[0:3], 0 offset:236
	buffer_load_dword v154, off, s[0:3], 0 offset:244
	buffer_load_dword v155, off, s[0:3], 0 offset:264
	buffer_load_dword v157, off, s[0:3], 0 offset:256
	buffer_load_dword v159, off, s[0:3], 0 offset:248
	buffer_load_dword v153, off, s[0:3], 0 offset:240
	buffer_load_dword v160, off, s[0:3], 0 offset:252
	buffer_load_dword v158, off, s[0:3], 0 offset:260
	buffer_load_dword v156, off, s[0:3], 0 offset:268
	buffer_load_dword v162, off, s[0:3], 0 offset:276
	buffer_load_dword v163, off, s[0:3], 0 offset:296
	buffer_load_dword v165, off, s[0:3], 0 offset:288
	buffer_load_dword v167, off, s[0:3], 0 offset:280
	buffer_load_dword v161, off, s[0:3], 0 offset:272
	buffer_load_dword v168, off, s[0:3], 0 offset:284
	buffer_load_dword v166, off, s[0:3], 0 offset:292
	v_mov_b32_e32 v130, 0
	buffer_load_dword v164, off, s[0:3], 0 offset:300
	s_mov_b32 s4, exec_lo
	ds_read2_b64 v[131:134], v130 offset0:87 offset1:88
	ds_read2_b64 v[135:138], v130 offset0:89 offset1:90
	s_waitcnt vmcnt(28) lgkmcnt(1)
	v_fma_f64 v[131:132], v[139:140], v[131:132], 0
	s_clause 0x7
	buffer_load_dword v140, off, s[0:3], 0 offset:308
	buffer_load_dword v169, off, s[0:3], 0 offset:328
	buffer_load_dword v171, off, s[0:3], 0 offset:320
	buffer_load_dword v173, off, s[0:3], 0 offset:312
	buffer_load_dword v139, off, s[0:3], 0 offset:304
	buffer_load_dword v174, off, s[0:3], 0 offset:316
	buffer_load_dword v172, off, s[0:3], 0 offset:324
	buffer_load_dword v170, off, s[0:3], 0 offset:332
	s_waitcnt vmcnt(34)
	v_fma_f64 v[131:132], v[141:142], v[133:134], v[131:132]
	s_waitcnt vmcnt(32) lgkmcnt(0)
	v_fma_f64 v[131:132], v[143:144], v[135:136], v[131:132]
	s_waitcnt vmcnt(30)
	v_fma_f64 v[141:142], v[145:146], v[137:138], v[131:132]
	ds_read2_b64 v[131:134], v130 offset0:91 offset1:92
	ds_read2_b64 v[135:138], v130 offset0:93 offset1:94
	s_waitcnt vmcnt(28) lgkmcnt(1)
	v_fma_f64 v[131:132], v[147:148], v[131:132], v[141:142]
	s_clause 0x7
	buffer_load_dword v142, off, s[0:3], 0 offset:340
	buffer_load_dword v143, off, s[0:3], 0 offset:360
	buffer_load_dword v145, off, s[0:3], 0 offset:352
	buffer_load_dword v147, off, s[0:3], 0 offset:344
	buffer_load_dword v141, off, s[0:3], 0 offset:336
	buffer_load_dword v148, off, s[0:3], 0 offset:348
	buffer_load_dword v146, off, s[0:3], 0 offset:356
	buffer_load_dword v144, off, s[0:3], 0 offset:364
	s_waitcnt vmcnt(34)
	v_fma_f64 v[131:132], v[149:150], v[133:134], v[131:132]
	s_waitcnt vmcnt(32) lgkmcnt(0)
	v_fma_f64 v[131:132], v[151:152], v[135:136], v[131:132]
	s_waitcnt vmcnt(27)
	v_fma_f64 v[149:150], v[153:154], v[137:138], v[131:132]
	;; [unrolled: 19-line block ×6, first 2 shown]
	ds_read2_b64 v[131:134], v130 offset0:111 offset1:112
	ds_read2_b64 v[135:138], v130 offset0:113 offset1:114
	s_waitcnt vmcnt(26) lgkmcnt(1)
	v_fma_f64 v[131:132], v[159:160], v[131:132], v[143:144]
	s_clause 0x5
	buffer_load_dword v144, off, s[0:3], 0 offset:500
	buffer_load_dword v145, off, s[0:3], 0 offset:504
	;; [unrolled: 1-line block ×6, first 2 shown]
	s_waitcnt vmcnt(31)
	v_fma_f64 v[131:132], v[153:154], v[133:134], v[131:132]
	s_waitcnt vmcnt(30) lgkmcnt(0)
	v_fma_f64 v[131:132], v[151:152], v[135:136], v[131:132]
	s_waitcnt vmcnt(25)
	v_fma_f64 v[151:152], v[155:156], v[137:138], v[131:132]
	ds_read2_b64 v[131:134], v130 offset0:115 offset1:116
	ds_read2_b64 v[135:138], v130 offset0:117 offset1:118
	s_waitcnt vmcnt(24) lgkmcnt(1)
	v_fma_f64 v[131:132], v[167:168], v[131:132], v[151:152]
	s_waitcnt vmcnt(23)
	v_fma_f64 v[131:132], v[161:162], v[133:134], v[131:132]
	s_waitcnt vmcnt(22) lgkmcnt(0)
	v_fma_f64 v[131:132], v[157:158], v[135:136], v[131:132]
	s_waitcnt vmcnt(17)
	v_fma_f64 v[139:140], v[139:140], v[137:138], v[131:132]
	ds_read2_b64 v[131:134], v130 offset0:119 offset1:120
	ds_read2_b64 v[135:138], v130 offset0:121 offset1:122
	s_waitcnt vmcnt(16) lgkmcnt(1)
	v_fma_f64 v[131:132], v[173:174], v[131:132], v[139:140]
	;; [unrolled: 10-line block ×3, first 2 shown]
	s_waitcnt vmcnt(7)
	v_fma_f64 v[131:132], v[169:170], v[133:134], v[131:132]
	ds_read_b64 v[133:134], v130 offset:1016
	s_waitcnt vmcnt(6) lgkmcnt(1)
	v_fma_f64 v[131:132], v[147:148], v[135:136], v[131:132]
	s_waitcnt vmcnt(3)
	v_fma_f64 v[131:132], v[143:144], v[137:138], v[131:132]
	s_waitcnt vmcnt(2) lgkmcnt(0)
	v_fma_f64 v[131:132], v[145:146], v[133:134], v[131:132]
	s_waitcnt vmcnt(0)
	v_add_f64 v[131:132], v[149:150], -v[131:132]
	buffer_store_dword v132, off, s[0:3], 0 offset:180
	buffer_store_dword v131, off, s[0:3], 0 offset:176
	v_cmpx_lt_u32_e32 21, v0
	s_cbranch_execz .LBB63_351
; %bb.350:
	s_clause 0x1
	buffer_load_dword v131, off, s[0:3], 0 offset:168
	buffer_load_dword v132, off, s[0:3], 0 offset:172
	buffer_store_dword v130, off, s[0:3], 0 offset:168
	buffer_store_dword v130, off, s[0:3], 0 offset:172
	s_waitcnt vmcnt(0)
	ds_write_b64 v129, v[131:132]
.LBB63_351:
	s_or_b32 exec_lo, exec_lo, s4
	s_waitcnt lgkmcnt(0)
	s_waitcnt_vscnt null, 0x0
	s_barrier
	buffer_gl0_inv
	s_clause 0x1c
	buffer_load_dword v139, off, s[0:3], 0 offset:176
	buffer_load_dword v140, off, s[0:3], 0 offset:180
	;; [unrolled: 1-line block ×29, first 2 shown]
	ds_read_b128 v[131:134], v130 offset:688
	ds_read_b128 v[135:138], v130 offset:704
	buffer_load_dword v164, off, s[0:3], 0 offset:292
	s_mov_b32 s4, exec_lo
	s_waitcnt vmcnt(28) lgkmcnt(1)
	v_fma_f64 v[131:132], v[139:140], v[131:132], 0
	s_clause 0x7
	buffer_load_dword v140, off, s[0:3], 0 offset:300
	buffer_load_dword v169, off, s[0:3], 0 offset:320
	buffer_load_dword v171, off, s[0:3], 0 offset:312
	buffer_load_dword v173, off, s[0:3], 0 offset:304
	buffer_load_dword v139, off, s[0:3], 0 offset:296
	buffer_load_dword v174, off, s[0:3], 0 offset:308
	buffer_load_dword v172, off, s[0:3], 0 offset:316
	buffer_load_dword v170, off, s[0:3], 0 offset:324
	s_waitcnt vmcnt(34)
	v_fma_f64 v[131:132], v[141:142], v[133:134], v[131:132]
	s_waitcnt vmcnt(32) lgkmcnt(0)
	v_fma_f64 v[131:132], v[143:144], v[135:136], v[131:132]
	s_waitcnt vmcnt(30)
	v_fma_f64 v[141:142], v[145:146], v[137:138], v[131:132]
	ds_read_b128 v[131:134], v130 offset:720
	ds_read_b128 v[135:138], v130 offset:736
	s_waitcnt vmcnt(28) lgkmcnt(1)
	v_fma_f64 v[131:132], v[147:148], v[131:132], v[141:142]
	s_clause 0x7
	buffer_load_dword v142, off, s[0:3], 0 offset:332
	buffer_load_dword v143, off, s[0:3], 0 offset:352
	buffer_load_dword v145, off, s[0:3], 0 offset:344
	buffer_load_dword v147, off, s[0:3], 0 offset:336
	buffer_load_dword v141, off, s[0:3], 0 offset:328
	buffer_load_dword v148, off, s[0:3], 0 offset:340
	buffer_load_dword v146, off, s[0:3], 0 offset:348
	buffer_load_dword v144, off, s[0:3], 0 offset:356
	s_waitcnt vmcnt(34)
	v_fma_f64 v[131:132], v[149:150], v[133:134], v[131:132]
	s_waitcnt vmcnt(32) lgkmcnt(0)
	v_fma_f64 v[131:132], v[151:152], v[135:136], v[131:132]
	s_waitcnt vmcnt(27)
	v_fma_f64 v[149:150], v[153:154], v[137:138], v[131:132]
	ds_read_b128 v[131:134], v130 offset:752
	ds_read_b128 v[135:138], v130 offset:768
	;; [unrolled: 19-line block ×6, first 2 shown]
	s_waitcnt vmcnt(26) lgkmcnt(1)
	v_fma_f64 v[131:132], v[159:160], v[131:132], v[143:144]
	s_clause 0x5
	buffer_load_dword v144, off, s[0:3], 0 offset:492
	buffer_load_dword v145, off, s[0:3], 0 offset:504
	;; [unrolled: 1-line block ×6, first 2 shown]
	s_waitcnt vmcnt(31)
	v_fma_f64 v[131:132], v[153:154], v[133:134], v[131:132]
	s_waitcnt vmcnt(30) lgkmcnt(0)
	v_fma_f64 v[131:132], v[151:152], v[135:136], v[131:132]
	s_waitcnt vmcnt(25)
	v_fma_f64 v[151:152], v[155:156], v[137:138], v[131:132]
	ds_read_b128 v[131:134], v130 offset:912
	s_clause 0x1
	buffer_load_dword v153, off, s[0:3], 0 offset:168
	buffer_load_dword v154, off, s[0:3], 0 offset:172
	ds_read_b128 v[135:138], v130 offset:928
	s_waitcnt vmcnt(26) lgkmcnt(1)
	v_fma_f64 v[131:132], v[167:168], v[131:132], v[151:152]
	s_waitcnt vmcnt(25)
	v_fma_f64 v[131:132], v[161:162], v[133:134], v[131:132]
	s_waitcnt vmcnt(24) lgkmcnt(0)
	v_fma_f64 v[131:132], v[157:158], v[135:136], v[131:132]
	s_waitcnt vmcnt(19)
	v_fma_f64 v[139:140], v[139:140], v[137:138], v[131:132]
	ds_read_b128 v[131:134], v130 offset:944
	ds_read_b128 v[135:138], v130 offset:960
	s_waitcnt vmcnt(18) lgkmcnt(1)
	v_fma_f64 v[131:132], v[173:174], v[131:132], v[139:140]
	s_waitcnt vmcnt(17)
	v_fma_f64 v[131:132], v[165:166], v[133:134], v[131:132]
	s_waitcnt vmcnt(16) lgkmcnt(0)
	v_fma_f64 v[131:132], v[163:164], v[135:136], v[131:132]
	s_waitcnt vmcnt(11)
	v_fma_f64 v[139:140], v[141:142], v[137:138], v[131:132]
	ds_read_b128 v[131:134], v130 offset:976
	;; [unrolled: 10-line block ×3, first 2 shown]
	s_waitcnt vmcnt(3) lgkmcnt(0)
	v_fma_f64 v[130:131], v[149:150], v[130:131], v[134:135]
	s_waitcnt vmcnt(2)
	v_fma_f64 v[130:131], v[145:146], v[132:133], v[130:131]
	s_waitcnt vmcnt(0)
	v_add_f64 v[130:131], v[153:154], -v[130:131]
	buffer_store_dword v131, off, s[0:3], 0 offset:172
	buffer_store_dword v130, off, s[0:3], 0 offset:168
	v_cmpx_lt_u32_e32 20, v0
	s_cbranch_execz .LBB63_353
; %bb.352:
	s_clause 0x1
	buffer_load_dword v130, off, s[0:3], 0 offset:160
	buffer_load_dword v131, off, s[0:3], 0 offset:164
	v_mov_b32_e32 v132, 0
	buffer_store_dword v132, off, s[0:3], 0 offset:160
	buffer_store_dword v132, off, s[0:3], 0 offset:164
	s_waitcnt vmcnt(0)
	ds_write_b64 v129, v[130:131]
.LBB63_353:
	s_or_b32 exec_lo, exec_lo, s4
	s_waitcnt lgkmcnt(0)
	s_waitcnt_vscnt null, 0x0
	s_barrier
	buffer_gl0_inv
	s_clause 0x1c
	buffer_load_dword v139, off, s[0:3], 0 offset:168
	buffer_load_dword v140, off, s[0:3], 0 offset:172
	buffer_load_dword v141, off, s[0:3], 0 offset:176
	buffer_load_dword v142, off, s[0:3], 0 offset:180
	buffer_load_dword v143, off, s[0:3], 0 offset:184
	buffer_load_dword v144, off, s[0:3], 0 offset:188
	buffer_load_dword v145, off, s[0:3], 0 offset:192
	buffer_load_dword v146, off, s[0:3], 0 offset:196
	buffer_load_dword v147, off, s[0:3], 0 offset:200
	buffer_load_dword v148, off, s[0:3], 0 offset:204
	buffer_load_dword v149, off, s[0:3], 0 offset:208
	buffer_load_dword v150, off, s[0:3], 0 offset:212
	buffer_load_dword v151, off, s[0:3], 0 offset:216
	buffer_load_dword v152, off, s[0:3], 0 offset:220
	buffer_load_dword v154, off, s[0:3], 0 offset:228
	buffer_load_dword v155, off, s[0:3], 0 offset:248
	buffer_load_dword v157, off, s[0:3], 0 offset:240
	buffer_load_dword v159, off, s[0:3], 0 offset:232
	buffer_load_dword v153, off, s[0:3], 0 offset:224
	buffer_load_dword v160, off, s[0:3], 0 offset:236
	buffer_load_dword v158, off, s[0:3], 0 offset:244
	buffer_load_dword v156, off, s[0:3], 0 offset:252
	buffer_load_dword v162, off, s[0:3], 0 offset:260
	buffer_load_dword v163, off, s[0:3], 0 offset:280
	buffer_load_dword v165, off, s[0:3], 0 offset:272
	buffer_load_dword v167, off, s[0:3], 0 offset:264
	buffer_load_dword v161, off, s[0:3], 0 offset:256
	buffer_load_dword v168, off, s[0:3], 0 offset:268
	buffer_load_dword v166, off, s[0:3], 0 offset:276
	v_mov_b32_e32 v130, 0
	buffer_load_dword v164, off, s[0:3], 0 offset:284
	s_mov_b32 s4, exec_lo
	ds_read2_b64 v[131:134], v130 offset0:85 offset1:86
	ds_read2_b64 v[135:138], v130 offset0:87 offset1:88
	s_waitcnt vmcnt(28) lgkmcnt(1)
	v_fma_f64 v[131:132], v[139:140], v[131:132], 0
	s_clause 0x7
	buffer_load_dword v140, off, s[0:3], 0 offset:292
	buffer_load_dword v169, off, s[0:3], 0 offset:312
	buffer_load_dword v171, off, s[0:3], 0 offset:304
	buffer_load_dword v173, off, s[0:3], 0 offset:296
	buffer_load_dword v139, off, s[0:3], 0 offset:288
	buffer_load_dword v174, off, s[0:3], 0 offset:300
	buffer_load_dword v172, off, s[0:3], 0 offset:308
	buffer_load_dword v170, off, s[0:3], 0 offset:316
	s_waitcnt vmcnt(34)
	v_fma_f64 v[131:132], v[141:142], v[133:134], v[131:132]
	s_waitcnt vmcnt(32) lgkmcnt(0)
	v_fma_f64 v[131:132], v[143:144], v[135:136], v[131:132]
	s_waitcnt vmcnt(30)
	v_fma_f64 v[141:142], v[145:146], v[137:138], v[131:132]
	ds_read2_b64 v[131:134], v130 offset0:89 offset1:90
	ds_read2_b64 v[135:138], v130 offset0:91 offset1:92
	s_waitcnt vmcnt(28) lgkmcnt(1)
	v_fma_f64 v[131:132], v[147:148], v[131:132], v[141:142]
	s_clause 0x7
	buffer_load_dword v142, off, s[0:3], 0 offset:324
	buffer_load_dword v143, off, s[0:3], 0 offset:344
	buffer_load_dword v145, off, s[0:3], 0 offset:336
	buffer_load_dword v147, off, s[0:3], 0 offset:328
	buffer_load_dword v141, off, s[0:3], 0 offset:320
	buffer_load_dword v148, off, s[0:3], 0 offset:332
	buffer_load_dword v146, off, s[0:3], 0 offset:340
	buffer_load_dword v144, off, s[0:3], 0 offset:348
	s_waitcnt vmcnt(34)
	v_fma_f64 v[131:132], v[149:150], v[133:134], v[131:132]
	s_waitcnt vmcnt(32) lgkmcnt(0)
	v_fma_f64 v[131:132], v[151:152], v[135:136], v[131:132]
	s_waitcnt vmcnt(27)
	v_fma_f64 v[149:150], v[153:154], v[137:138], v[131:132]
	;; [unrolled: 19-line block ×7, first 2 shown]
	ds_read2_b64 v[131:134], v130 offset0:113 offset1:114
	ds_read2_b64 v[135:138], v130 offset0:115 offset1:116
	s_waitcnt vmcnt(26) lgkmcnt(1)
	v_fma_f64 v[131:132], v[167:168], v[131:132], v[151:152]
	s_clause 0x1
	buffer_load_dword v151, off, s[0:3], 0 offset:160
	buffer_load_dword v152, off, s[0:3], 0 offset:164
	s_waitcnt vmcnt(27)
	v_fma_f64 v[131:132], v[161:162], v[133:134], v[131:132]
	s_waitcnt vmcnt(26) lgkmcnt(0)
	v_fma_f64 v[131:132], v[157:158], v[135:136], v[131:132]
	s_waitcnt vmcnt(21)
	v_fma_f64 v[139:140], v[139:140], v[137:138], v[131:132]
	ds_read2_b64 v[131:134], v130 offset0:117 offset1:118
	ds_read2_b64 v[135:138], v130 offset0:119 offset1:120
	s_waitcnt vmcnt(20) lgkmcnt(1)
	v_fma_f64 v[131:132], v[173:174], v[131:132], v[139:140]
	s_waitcnt vmcnt(19)
	v_fma_f64 v[131:132], v[165:166], v[133:134], v[131:132]
	s_waitcnt vmcnt(18) lgkmcnt(0)
	v_fma_f64 v[131:132], v[163:164], v[135:136], v[131:132]
	s_waitcnt vmcnt(13)
	v_fma_f64 v[139:140], v[141:142], v[137:138], v[131:132]
	ds_read2_b64 v[131:134], v130 offset0:121 offset1:122
	ds_read2_b64 v[135:138], v130 offset0:123 offset1:124
	s_waitcnt vmcnt(12) lgkmcnt(1)
	v_fma_f64 v[131:132], v[171:172], v[131:132], v[139:140]
	s_waitcnt vmcnt(11)
	v_fma_f64 v[131:132], v[169:170], v[133:134], v[131:132]
	s_waitcnt vmcnt(10) lgkmcnt(0)
	v_fma_f64 v[131:132], v[147:148], v[135:136], v[131:132]
	s_waitcnt vmcnt(5)
	v_fma_f64 v[135:136], v[143:144], v[137:138], v[131:132]
	ds_read2_b64 v[131:134], v130 offset0:125 offset1:126
	ds_read_b64 v[137:138], v130 offset:1016
	s_waitcnt vmcnt(4) lgkmcnt(1)
	v_fma_f64 v[131:132], v[159:160], v[131:132], v[135:136]
	s_waitcnt vmcnt(3)
	v_fma_f64 v[131:132], v[149:150], v[133:134], v[131:132]
	s_waitcnt vmcnt(2) lgkmcnt(0)
	v_fma_f64 v[131:132], v[145:146], v[137:138], v[131:132]
	s_waitcnt vmcnt(0)
	v_add_f64 v[131:132], v[151:152], -v[131:132]
	buffer_store_dword v132, off, s[0:3], 0 offset:164
	buffer_store_dword v131, off, s[0:3], 0 offset:160
	v_cmpx_lt_u32_e32 19, v0
	s_cbranch_execz .LBB63_355
; %bb.354:
	s_clause 0x1
	buffer_load_dword v131, off, s[0:3], 0 offset:152
	buffer_load_dword v132, off, s[0:3], 0 offset:156
	buffer_store_dword v130, off, s[0:3], 0 offset:152
	buffer_store_dword v130, off, s[0:3], 0 offset:156
	s_waitcnt vmcnt(0)
	ds_write_b64 v129, v[131:132]
.LBB63_355:
	s_or_b32 exec_lo, exec_lo, s4
	s_waitcnt lgkmcnt(0)
	s_waitcnt_vscnt null, 0x0
	s_barrier
	buffer_gl0_inv
	s_clause 0x1c
	buffer_load_dword v139, off, s[0:3], 0 offset:160
	buffer_load_dword v140, off, s[0:3], 0 offset:164
	;; [unrolled: 1-line block ×29, first 2 shown]
	ds_read_b128 v[131:134], v130 offset:672
	ds_read_b128 v[135:138], v130 offset:688
	buffer_load_dword v164, off, s[0:3], 0 offset:276
	s_mov_b32 s4, exec_lo
	s_waitcnt vmcnt(28) lgkmcnt(1)
	v_fma_f64 v[131:132], v[139:140], v[131:132], 0
	s_clause 0x7
	buffer_load_dword v140, off, s[0:3], 0 offset:284
	buffer_load_dword v169, off, s[0:3], 0 offset:304
	buffer_load_dword v171, off, s[0:3], 0 offset:296
	buffer_load_dword v173, off, s[0:3], 0 offset:288
	buffer_load_dword v139, off, s[0:3], 0 offset:280
	buffer_load_dword v174, off, s[0:3], 0 offset:292
	buffer_load_dword v172, off, s[0:3], 0 offset:300
	buffer_load_dword v170, off, s[0:3], 0 offset:308
	s_waitcnt vmcnt(34)
	v_fma_f64 v[131:132], v[141:142], v[133:134], v[131:132]
	s_waitcnt vmcnt(32) lgkmcnt(0)
	v_fma_f64 v[131:132], v[143:144], v[135:136], v[131:132]
	s_waitcnt vmcnt(30)
	v_fma_f64 v[141:142], v[145:146], v[137:138], v[131:132]
	ds_read_b128 v[131:134], v130 offset:704
	ds_read_b128 v[135:138], v130 offset:720
	s_waitcnt vmcnt(28) lgkmcnt(1)
	v_fma_f64 v[131:132], v[147:148], v[131:132], v[141:142]
	s_clause 0x7
	buffer_load_dword v142, off, s[0:3], 0 offset:316
	buffer_load_dword v143, off, s[0:3], 0 offset:336
	buffer_load_dword v145, off, s[0:3], 0 offset:328
	buffer_load_dword v147, off, s[0:3], 0 offset:320
	buffer_load_dword v141, off, s[0:3], 0 offset:312
	buffer_load_dword v148, off, s[0:3], 0 offset:324
	buffer_load_dword v146, off, s[0:3], 0 offset:332
	buffer_load_dword v144, off, s[0:3], 0 offset:340
	s_waitcnt vmcnt(34)
	v_fma_f64 v[131:132], v[149:150], v[133:134], v[131:132]
	s_waitcnt vmcnt(32) lgkmcnt(0)
	v_fma_f64 v[131:132], v[151:152], v[135:136], v[131:132]
	s_waitcnt vmcnt(27)
	v_fma_f64 v[149:150], v[153:154], v[137:138], v[131:132]
	ds_read_b128 v[131:134], v130 offset:736
	ds_read_b128 v[135:138], v130 offset:752
	;; [unrolled: 19-line block ×7, first 2 shown]
	s_waitcnt vmcnt(26) lgkmcnt(1)
	v_fma_f64 v[131:132], v[167:168], v[131:132], v[151:152]
	s_clause 0x3
	buffer_load_dword v152, off, s[0:3], 0 offset:508
	buffer_load_dword v151, off, s[0:3], 0 offset:504
	;; [unrolled: 1-line block ×4, first 2 shown]
	s_waitcnt vmcnt(29)
	v_fma_f64 v[131:132], v[161:162], v[133:134], v[131:132]
	s_waitcnt vmcnt(28) lgkmcnt(0)
	v_fma_f64 v[131:132], v[157:158], v[135:136], v[131:132]
	s_waitcnt vmcnt(23)
	v_fma_f64 v[139:140], v[139:140], v[137:138], v[131:132]
	ds_read_b128 v[131:134], v130 offset:928
	ds_read_b128 v[135:138], v130 offset:944
	s_waitcnt vmcnt(22) lgkmcnt(1)
	v_fma_f64 v[131:132], v[173:174], v[131:132], v[139:140]
	s_waitcnt vmcnt(21)
	v_fma_f64 v[131:132], v[165:166], v[133:134], v[131:132]
	s_waitcnt vmcnt(20) lgkmcnt(0)
	v_fma_f64 v[131:132], v[163:164], v[135:136], v[131:132]
	s_waitcnt vmcnt(15)
	v_fma_f64 v[139:140], v[141:142], v[137:138], v[131:132]
	ds_read_b128 v[131:134], v130 offset:960
	ds_read_b128 v[135:138], v130 offset:976
	s_waitcnt vmcnt(14) lgkmcnt(1)
	v_fma_f64 v[131:132], v[171:172], v[131:132], v[139:140]
	;; [unrolled: 10-line block ×3, first 2 shown]
	s_waitcnt vmcnt(5)
	v_fma_f64 v[130:131], v[149:150], v[133:134], v[130:131]
	s_waitcnt vmcnt(4) lgkmcnt(0)
	v_fma_f64 v[130:131], v[145:146], v[135:136], v[130:131]
	s_waitcnt vmcnt(2)
	v_fma_f64 v[130:131], v[151:152], v[137:138], v[130:131]
	s_waitcnt vmcnt(0)
	v_add_f64 v[130:131], v[153:154], -v[130:131]
	buffer_store_dword v131, off, s[0:3], 0 offset:156
	buffer_store_dword v130, off, s[0:3], 0 offset:152
	v_cmpx_lt_u32_e32 18, v0
	s_cbranch_execz .LBB63_357
; %bb.356:
	s_clause 0x1
	buffer_load_dword v130, off, s[0:3], 0 offset:144
	buffer_load_dword v131, off, s[0:3], 0 offset:148
	v_mov_b32_e32 v132, 0
	buffer_store_dword v132, off, s[0:3], 0 offset:144
	buffer_store_dword v132, off, s[0:3], 0 offset:148
	s_waitcnt vmcnt(0)
	ds_write_b64 v129, v[130:131]
.LBB63_357:
	s_or_b32 exec_lo, exec_lo, s4
	s_waitcnt lgkmcnt(0)
	s_waitcnt_vscnt null, 0x0
	s_barrier
	buffer_gl0_inv
	s_clause 0x1c
	buffer_load_dword v139, off, s[0:3], 0 offset:152
	buffer_load_dword v140, off, s[0:3], 0 offset:156
	buffer_load_dword v141, off, s[0:3], 0 offset:160
	buffer_load_dword v142, off, s[0:3], 0 offset:164
	buffer_load_dword v143, off, s[0:3], 0 offset:168
	buffer_load_dword v144, off, s[0:3], 0 offset:172
	buffer_load_dword v145, off, s[0:3], 0 offset:176
	buffer_load_dword v146, off, s[0:3], 0 offset:180
	buffer_load_dword v147, off, s[0:3], 0 offset:184
	buffer_load_dword v148, off, s[0:3], 0 offset:188
	buffer_load_dword v149, off, s[0:3], 0 offset:192
	buffer_load_dword v150, off, s[0:3], 0 offset:196
	buffer_load_dword v151, off, s[0:3], 0 offset:200
	buffer_load_dword v152, off, s[0:3], 0 offset:204
	buffer_load_dword v154, off, s[0:3], 0 offset:212
	buffer_load_dword v155, off, s[0:3], 0 offset:232
	buffer_load_dword v157, off, s[0:3], 0 offset:224
	buffer_load_dword v159, off, s[0:3], 0 offset:216
	buffer_load_dword v153, off, s[0:3], 0 offset:208
	buffer_load_dword v160, off, s[0:3], 0 offset:220
	buffer_load_dword v158, off, s[0:3], 0 offset:228
	buffer_load_dword v156, off, s[0:3], 0 offset:236
	buffer_load_dword v162, off, s[0:3], 0 offset:244
	buffer_load_dword v163, off, s[0:3], 0 offset:264
	buffer_load_dword v165, off, s[0:3], 0 offset:256
	buffer_load_dword v167, off, s[0:3], 0 offset:248
	buffer_load_dword v161, off, s[0:3], 0 offset:240
	buffer_load_dword v168, off, s[0:3], 0 offset:252
	buffer_load_dword v166, off, s[0:3], 0 offset:260
	v_mov_b32_e32 v130, 0
	buffer_load_dword v164, off, s[0:3], 0 offset:268
	s_mov_b32 s4, exec_lo
	ds_read2_b64 v[131:134], v130 offset0:83 offset1:84
	ds_read2_b64 v[135:138], v130 offset0:85 offset1:86
	s_waitcnt vmcnt(28) lgkmcnt(1)
	v_fma_f64 v[131:132], v[139:140], v[131:132], 0
	s_clause 0x7
	buffer_load_dword v140, off, s[0:3], 0 offset:276
	buffer_load_dword v169, off, s[0:3], 0 offset:296
	buffer_load_dword v171, off, s[0:3], 0 offset:288
	buffer_load_dword v173, off, s[0:3], 0 offset:280
	buffer_load_dword v139, off, s[0:3], 0 offset:272
	buffer_load_dword v174, off, s[0:3], 0 offset:284
	buffer_load_dword v172, off, s[0:3], 0 offset:292
	buffer_load_dword v170, off, s[0:3], 0 offset:300
	s_waitcnt vmcnt(34)
	v_fma_f64 v[131:132], v[141:142], v[133:134], v[131:132]
	s_waitcnt vmcnt(32) lgkmcnt(0)
	v_fma_f64 v[131:132], v[143:144], v[135:136], v[131:132]
	s_waitcnt vmcnt(30)
	v_fma_f64 v[141:142], v[145:146], v[137:138], v[131:132]
	ds_read2_b64 v[131:134], v130 offset0:87 offset1:88
	ds_read2_b64 v[135:138], v130 offset0:89 offset1:90
	s_waitcnt vmcnt(28) lgkmcnt(1)
	v_fma_f64 v[131:132], v[147:148], v[131:132], v[141:142]
	s_clause 0x7
	buffer_load_dword v142, off, s[0:3], 0 offset:308
	buffer_load_dword v143, off, s[0:3], 0 offset:328
	buffer_load_dword v145, off, s[0:3], 0 offset:320
	buffer_load_dword v147, off, s[0:3], 0 offset:312
	buffer_load_dword v141, off, s[0:3], 0 offset:304
	buffer_load_dword v148, off, s[0:3], 0 offset:316
	buffer_load_dword v146, off, s[0:3], 0 offset:324
	buffer_load_dword v144, off, s[0:3], 0 offset:332
	s_waitcnt vmcnt(34)
	v_fma_f64 v[131:132], v[149:150], v[133:134], v[131:132]
	s_waitcnt vmcnt(32) lgkmcnt(0)
	v_fma_f64 v[131:132], v[151:152], v[135:136], v[131:132]
	s_waitcnt vmcnt(27)
	v_fma_f64 v[149:150], v[153:154], v[137:138], v[131:132]
	;; [unrolled: 19-line block ×7, first 2 shown]
	ds_read2_b64 v[131:134], v130 offset0:111 offset1:112
	ds_read2_b64 v[135:138], v130 offset0:113 offset1:114
	s_waitcnt vmcnt(26) lgkmcnt(1)
	v_fma_f64 v[131:132], v[167:168], v[131:132], v[151:152]
	s_clause 0x5
	buffer_load_dword v152, off, s[0:3], 0 offset:500
	buffer_load_dword v153, off, s[0:3], 0 offset:504
	;; [unrolled: 1-line block ×6, first 2 shown]
	s_waitcnt vmcnt(31)
	v_fma_f64 v[131:132], v[161:162], v[133:134], v[131:132]
	s_waitcnt vmcnt(30) lgkmcnt(0)
	v_fma_f64 v[131:132], v[157:158], v[135:136], v[131:132]
	s_waitcnt vmcnt(25)
	v_fma_f64 v[139:140], v[139:140], v[137:138], v[131:132]
	ds_read2_b64 v[131:134], v130 offset0:115 offset1:116
	ds_read2_b64 v[135:138], v130 offset0:117 offset1:118
	s_waitcnt vmcnt(24) lgkmcnt(1)
	v_fma_f64 v[131:132], v[173:174], v[131:132], v[139:140]
	s_waitcnt vmcnt(23)
	v_fma_f64 v[131:132], v[165:166], v[133:134], v[131:132]
	s_waitcnt vmcnt(22) lgkmcnt(0)
	v_fma_f64 v[131:132], v[163:164], v[135:136], v[131:132]
	s_waitcnt vmcnt(17)
	v_fma_f64 v[139:140], v[141:142], v[137:138], v[131:132]
	ds_read2_b64 v[131:134], v130 offset0:119 offset1:120
	ds_read2_b64 v[135:138], v130 offset0:121 offset1:122
	s_waitcnt vmcnt(16) lgkmcnt(1)
	v_fma_f64 v[131:132], v[171:172], v[131:132], v[139:140]
	;; [unrolled: 10-line block ×3, first 2 shown]
	s_waitcnt vmcnt(7)
	v_fma_f64 v[131:132], v[149:150], v[133:134], v[131:132]
	ds_read_b64 v[133:134], v130 offset:1016
	s_waitcnt vmcnt(6) lgkmcnt(1)
	v_fma_f64 v[131:132], v[145:146], v[135:136], v[131:132]
	s_waitcnt vmcnt(3)
	v_fma_f64 v[131:132], v[151:152], v[137:138], v[131:132]
	s_waitcnt vmcnt(2) lgkmcnt(0)
	v_fma_f64 v[131:132], v[153:154], v[133:134], v[131:132]
	s_waitcnt vmcnt(0)
	v_add_f64 v[131:132], v[155:156], -v[131:132]
	buffer_store_dword v132, off, s[0:3], 0 offset:148
	buffer_store_dword v131, off, s[0:3], 0 offset:144
	v_cmpx_lt_u32_e32 17, v0
	s_cbranch_execz .LBB63_359
; %bb.358:
	s_clause 0x1
	buffer_load_dword v131, off, s[0:3], 0 offset:136
	buffer_load_dword v132, off, s[0:3], 0 offset:140
	buffer_store_dword v130, off, s[0:3], 0 offset:136
	buffer_store_dword v130, off, s[0:3], 0 offset:140
	s_waitcnt vmcnt(0)
	ds_write_b64 v129, v[131:132]
.LBB63_359:
	s_or_b32 exec_lo, exec_lo, s4
	s_waitcnt lgkmcnt(0)
	s_waitcnt_vscnt null, 0x0
	s_barrier
	buffer_gl0_inv
	s_clause 0x1c
	buffer_load_dword v139, off, s[0:3], 0 offset:144
	buffer_load_dword v140, off, s[0:3], 0 offset:148
	;; [unrolled: 1-line block ×29, first 2 shown]
	ds_read_b128 v[131:134], v130 offset:656
	ds_read_b128 v[135:138], v130 offset:672
	buffer_load_dword v164, off, s[0:3], 0 offset:260
	s_mov_b32 s4, exec_lo
	s_waitcnt vmcnt(28) lgkmcnt(1)
	v_fma_f64 v[131:132], v[139:140], v[131:132], 0
	s_clause 0x7
	buffer_load_dword v140, off, s[0:3], 0 offset:268
	buffer_load_dword v169, off, s[0:3], 0 offset:288
	buffer_load_dword v171, off, s[0:3], 0 offset:280
	buffer_load_dword v173, off, s[0:3], 0 offset:272
	buffer_load_dword v139, off, s[0:3], 0 offset:264
	buffer_load_dword v174, off, s[0:3], 0 offset:276
	buffer_load_dword v172, off, s[0:3], 0 offset:284
	buffer_load_dword v170, off, s[0:3], 0 offset:292
	s_waitcnt vmcnt(34)
	v_fma_f64 v[131:132], v[141:142], v[133:134], v[131:132]
	s_waitcnt vmcnt(32) lgkmcnt(0)
	v_fma_f64 v[131:132], v[143:144], v[135:136], v[131:132]
	s_waitcnt vmcnt(30)
	v_fma_f64 v[141:142], v[145:146], v[137:138], v[131:132]
	ds_read_b128 v[131:134], v130 offset:688
	ds_read_b128 v[135:138], v130 offset:704
	s_waitcnt vmcnt(28) lgkmcnt(1)
	v_fma_f64 v[131:132], v[147:148], v[131:132], v[141:142]
	s_clause 0x7
	buffer_load_dword v142, off, s[0:3], 0 offset:300
	buffer_load_dword v143, off, s[0:3], 0 offset:320
	buffer_load_dword v145, off, s[0:3], 0 offset:312
	buffer_load_dword v147, off, s[0:3], 0 offset:304
	buffer_load_dword v141, off, s[0:3], 0 offset:296
	buffer_load_dword v148, off, s[0:3], 0 offset:308
	buffer_load_dword v146, off, s[0:3], 0 offset:316
	buffer_load_dword v144, off, s[0:3], 0 offset:324
	s_waitcnt vmcnt(34)
	v_fma_f64 v[131:132], v[149:150], v[133:134], v[131:132]
	s_waitcnt vmcnt(32) lgkmcnt(0)
	v_fma_f64 v[131:132], v[151:152], v[135:136], v[131:132]
	s_waitcnt vmcnt(27)
	v_fma_f64 v[149:150], v[153:154], v[137:138], v[131:132]
	ds_read_b128 v[131:134], v130 offset:720
	ds_read_b128 v[135:138], v130 offset:736
	;; [unrolled: 19-line block ×7, first 2 shown]
	s_waitcnt vmcnt(26) lgkmcnt(1)
	v_fma_f64 v[131:132], v[167:168], v[131:132], v[151:152]
	s_clause 0x5
	buffer_load_dword v152, off, s[0:3], 0 offset:492
	buffer_load_dword v153, off, s[0:3], 0 offset:504
	;; [unrolled: 1-line block ×6, first 2 shown]
	s_waitcnt vmcnt(31)
	v_fma_f64 v[131:132], v[161:162], v[133:134], v[131:132]
	s_waitcnt vmcnt(30) lgkmcnt(0)
	v_fma_f64 v[131:132], v[157:158], v[135:136], v[131:132]
	s_waitcnt vmcnt(25)
	v_fma_f64 v[139:140], v[139:140], v[137:138], v[131:132]
	ds_read_b128 v[131:134], v130 offset:912
	s_clause 0x1
	buffer_load_dword v157, off, s[0:3], 0 offset:136
	buffer_load_dword v158, off, s[0:3], 0 offset:140
	ds_read_b128 v[135:138], v130 offset:928
	s_waitcnt vmcnt(26) lgkmcnt(1)
	v_fma_f64 v[131:132], v[173:174], v[131:132], v[139:140]
	s_waitcnt vmcnt(25)
	v_fma_f64 v[131:132], v[165:166], v[133:134], v[131:132]
	s_waitcnt vmcnt(24) lgkmcnt(0)
	v_fma_f64 v[131:132], v[163:164], v[135:136], v[131:132]
	s_waitcnt vmcnt(19)
	v_fma_f64 v[139:140], v[141:142], v[137:138], v[131:132]
	ds_read_b128 v[131:134], v130 offset:944
	ds_read_b128 v[135:138], v130 offset:960
	s_waitcnt vmcnt(18) lgkmcnt(1)
	v_fma_f64 v[131:132], v[171:172], v[131:132], v[139:140]
	s_waitcnt vmcnt(17)
	v_fma_f64 v[131:132], v[169:170], v[133:134], v[131:132]
	s_waitcnt vmcnt(16) lgkmcnt(0)
	v_fma_f64 v[131:132], v[147:148], v[135:136], v[131:132]
	s_waitcnt vmcnt(11)
	v_fma_f64 v[139:140], v[143:144], v[137:138], v[131:132]
	ds_read_b128 v[131:134], v130 offset:976
	;; [unrolled: 10-line block ×3, first 2 shown]
	s_waitcnt vmcnt(3) lgkmcnt(0)
	v_fma_f64 v[130:131], v[155:156], v[130:131], v[134:135]
	s_waitcnt vmcnt(2)
	v_fma_f64 v[130:131], v[153:154], v[132:133], v[130:131]
	s_waitcnt vmcnt(0)
	v_add_f64 v[130:131], v[157:158], -v[130:131]
	buffer_store_dword v131, off, s[0:3], 0 offset:140
	buffer_store_dword v130, off, s[0:3], 0 offset:136
	v_cmpx_lt_u32_e32 16, v0
	s_cbranch_execz .LBB63_361
; %bb.360:
	s_clause 0x1
	buffer_load_dword v130, off, s[0:3], 0 offset:128
	buffer_load_dword v131, off, s[0:3], 0 offset:132
	v_mov_b32_e32 v132, 0
	buffer_store_dword v132, off, s[0:3], 0 offset:128
	buffer_store_dword v132, off, s[0:3], 0 offset:132
	s_waitcnt vmcnt(0)
	ds_write_b64 v129, v[130:131]
.LBB63_361:
	s_or_b32 exec_lo, exec_lo, s4
	s_waitcnt lgkmcnt(0)
	s_waitcnt_vscnt null, 0x0
	s_barrier
	buffer_gl0_inv
	s_clause 0x1c
	buffer_load_dword v139, off, s[0:3], 0 offset:136
	buffer_load_dword v140, off, s[0:3], 0 offset:140
	;; [unrolled: 1-line block ×29, first 2 shown]
	v_mov_b32_e32 v130, 0
	buffer_load_dword v164, off, s[0:3], 0 offset:252
	s_mov_b32 s4, exec_lo
	ds_read2_b64 v[131:134], v130 offset0:81 offset1:82
	ds_read2_b64 v[135:138], v130 offset0:83 offset1:84
	s_waitcnt vmcnt(28) lgkmcnt(1)
	v_fma_f64 v[131:132], v[139:140], v[131:132], 0
	s_clause 0x7
	buffer_load_dword v140, off, s[0:3], 0 offset:260
	buffer_load_dword v169, off, s[0:3], 0 offset:280
	buffer_load_dword v171, off, s[0:3], 0 offset:272
	buffer_load_dword v173, off, s[0:3], 0 offset:264
	buffer_load_dword v139, off, s[0:3], 0 offset:256
	buffer_load_dword v174, off, s[0:3], 0 offset:268
	buffer_load_dword v172, off, s[0:3], 0 offset:276
	buffer_load_dword v170, off, s[0:3], 0 offset:284
	s_waitcnt vmcnt(34)
	v_fma_f64 v[131:132], v[141:142], v[133:134], v[131:132]
	s_waitcnt vmcnt(32) lgkmcnt(0)
	v_fma_f64 v[131:132], v[143:144], v[135:136], v[131:132]
	s_waitcnt vmcnt(30)
	v_fma_f64 v[141:142], v[145:146], v[137:138], v[131:132]
	ds_read2_b64 v[131:134], v130 offset0:85 offset1:86
	ds_read2_b64 v[135:138], v130 offset0:87 offset1:88
	s_waitcnt vmcnt(28) lgkmcnt(1)
	v_fma_f64 v[131:132], v[147:148], v[131:132], v[141:142]
	s_clause 0x7
	buffer_load_dword v142, off, s[0:3], 0 offset:292
	buffer_load_dword v143, off, s[0:3], 0 offset:312
	buffer_load_dword v145, off, s[0:3], 0 offset:304
	buffer_load_dword v147, off, s[0:3], 0 offset:296
	buffer_load_dword v141, off, s[0:3], 0 offset:288
	buffer_load_dword v148, off, s[0:3], 0 offset:300
	buffer_load_dword v146, off, s[0:3], 0 offset:308
	buffer_load_dword v144, off, s[0:3], 0 offset:316
	s_waitcnt vmcnt(34)
	v_fma_f64 v[131:132], v[149:150], v[133:134], v[131:132]
	s_waitcnt vmcnt(32) lgkmcnt(0)
	v_fma_f64 v[131:132], v[151:152], v[135:136], v[131:132]
	s_waitcnt vmcnt(27)
	v_fma_f64 v[149:150], v[153:154], v[137:138], v[131:132]
	;; [unrolled: 19-line block ×8, first 2 shown]
	ds_read2_b64 v[131:134], v130 offset0:113 offset1:114
	ds_read2_b64 v[135:138], v130 offset0:115 offset1:116
	s_waitcnt vmcnt(26) lgkmcnt(1)
	v_fma_f64 v[131:132], v[173:174], v[131:132], v[139:140]
	s_clause 0x1
	buffer_load_dword v139, off, s[0:3], 0 offset:128
	buffer_load_dword v140, off, s[0:3], 0 offset:132
	s_waitcnt vmcnt(27)
	v_fma_f64 v[131:132], v[165:166], v[133:134], v[131:132]
	s_waitcnt vmcnt(26) lgkmcnt(0)
	v_fma_f64 v[131:132], v[163:164], v[135:136], v[131:132]
	s_waitcnt vmcnt(21)
	v_fma_f64 v[141:142], v[141:142], v[137:138], v[131:132]
	ds_read2_b64 v[131:134], v130 offset0:117 offset1:118
	ds_read2_b64 v[135:138], v130 offset0:119 offset1:120
	s_waitcnt vmcnt(20) lgkmcnt(1)
	v_fma_f64 v[131:132], v[171:172], v[131:132], v[141:142]
	s_waitcnt vmcnt(19)
	v_fma_f64 v[131:132], v[169:170], v[133:134], v[131:132]
	s_waitcnt vmcnt(18) lgkmcnt(0)
	v_fma_f64 v[131:132], v[147:148], v[135:136], v[131:132]
	s_waitcnt vmcnt(13)
	v_fma_f64 v[141:142], v[143:144], v[137:138], v[131:132]
	ds_read2_b64 v[131:134], v130 offset0:121 offset1:122
	ds_read2_b64 v[135:138], v130 offset0:123 offset1:124
	s_waitcnt vmcnt(12) lgkmcnt(1)
	v_fma_f64 v[131:132], v[159:160], v[131:132], v[141:142]
	s_waitcnt vmcnt(11)
	v_fma_f64 v[131:132], v[149:150], v[133:134], v[131:132]
	s_waitcnt vmcnt(10) lgkmcnt(0)
	v_fma_f64 v[131:132], v[145:146], v[135:136], v[131:132]
	s_waitcnt vmcnt(5)
	v_fma_f64 v[135:136], v[151:152], v[137:138], v[131:132]
	ds_read2_b64 v[131:134], v130 offset0:125 offset1:126
	ds_read_b64 v[137:138], v130 offset:1016
	s_waitcnt vmcnt(4) lgkmcnt(1)
	v_fma_f64 v[131:132], v[167:168], v[131:132], v[135:136]
	s_waitcnt vmcnt(3)
	v_fma_f64 v[131:132], v[155:156], v[133:134], v[131:132]
	s_waitcnt vmcnt(2) lgkmcnt(0)
	v_fma_f64 v[131:132], v[153:154], v[137:138], v[131:132]
	s_waitcnt vmcnt(0)
	v_add_f64 v[131:132], v[139:140], -v[131:132]
	buffer_store_dword v132, off, s[0:3], 0 offset:132
	buffer_store_dword v131, off, s[0:3], 0 offset:128
	v_cmpx_lt_u32_e32 15, v0
	s_cbranch_execz .LBB63_363
; %bb.362:
	s_clause 0x1
	buffer_load_dword v131, off, s[0:3], 0 offset:120
	buffer_load_dword v132, off, s[0:3], 0 offset:124
	buffer_store_dword v130, off, s[0:3], 0 offset:120
	buffer_store_dword v130, off, s[0:3], 0 offset:124
	s_waitcnt vmcnt(0)
	ds_write_b64 v129, v[131:132]
.LBB63_363:
	s_or_b32 exec_lo, exec_lo, s4
	s_waitcnt lgkmcnt(0)
	s_waitcnt_vscnt null, 0x0
	s_barrier
	buffer_gl0_inv
	s_clause 0x1c
	buffer_load_dword v139, off, s[0:3], 0 offset:128
	buffer_load_dword v140, off, s[0:3], 0 offset:132
	;; [unrolled: 1-line block ×29, first 2 shown]
	ds_read_b128 v[131:134], v130 offset:640
	ds_read_b128 v[135:138], v130 offset:656
	buffer_load_dword v164, off, s[0:3], 0 offset:244
	s_mov_b32 s4, exec_lo
	s_waitcnt vmcnt(28) lgkmcnt(1)
	v_fma_f64 v[131:132], v[139:140], v[131:132], 0
	s_clause 0x7
	buffer_load_dword v140, off, s[0:3], 0 offset:252
	buffer_load_dword v169, off, s[0:3], 0 offset:272
	buffer_load_dword v171, off, s[0:3], 0 offset:264
	buffer_load_dword v173, off, s[0:3], 0 offset:256
	buffer_load_dword v139, off, s[0:3], 0 offset:248
	buffer_load_dword v174, off, s[0:3], 0 offset:260
	buffer_load_dword v172, off, s[0:3], 0 offset:268
	buffer_load_dword v170, off, s[0:3], 0 offset:276
	s_waitcnt vmcnt(34)
	v_fma_f64 v[131:132], v[141:142], v[133:134], v[131:132]
	s_waitcnt vmcnt(32) lgkmcnt(0)
	v_fma_f64 v[131:132], v[143:144], v[135:136], v[131:132]
	s_waitcnt vmcnt(30)
	v_fma_f64 v[141:142], v[145:146], v[137:138], v[131:132]
	ds_read_b128 v[131:134], v130 offset:672
	ds_read_b128 v[135:138], v130 offset:688
	s_waitcnt vmcnt(28) lgkmcnt(1)
	v_fma_f64 v[131:132], v[147:148], v[131:132], v[141:142]
	s_clause 0x7
	buffer_load_dword v142, off, s[0:3], 0 offset:284
	buffer_load_dword v143, off, s[0:3], 0 offset:304
	buffer_load_dword v145, off, s[0:3], 0 offset:296
	buffer_load_dword v147, off, s[0:3], 0 offset:288
	buffer_load_dword v141, off, s[0:3], 0 offset:280
	buffer_load_dword v148, off, s[0:3], 0 offset:292
	buffer_load_dword v146, off, s[0:3], 0 offset:300
	buffer_load_dword v144, off, s[0:3], 0 offset:308
	s_waitcnt vmcnt(34)
	v_fma_f64 v[131:132], v[149:150], v[133:134], v[131:132]
	s_waitcnt vmcnt(32) lgkmcnt(0)
	v_fma_f64 v[131:132], v[151:152], v[135:136], v[131:132]
	s_waitcnt vmcnt(27)
	v_fma_f64 v[149:150], v[153:154], v[137:138], v[131:132]
	ds_read_b128 v[131:134], v130 offset:704
	ds_read_b128 v[135:138], v130 offset:720
	;; [unrolled: 19-line block ×8, first 2 shown]
	s_waitcnt vmcnt(26) lgkmcnt(1)
	v_fma_f64 v[131:132], v[173:174], v[131:132], v[139:140]
	s_clause 0x3
	buffer_load_dword v140, off, s[0:3], 0 offset:508
	buffer_load_dword v139, off, s[0:3], 0 offset:504
	;; [unrolled: 1-line block ×4, first 2 shown]
	s_waitcnt vmcnt(29)
	v_fma_f64 v[131:132], v[165:166], v[133:134], v[131:132]
	s_waitcnt vmcnt(28) lgkmcnt(0)
	v_fma_f64 v[131:132], v[163:164], v[135:136], v[131:132]
	s_waitcnt vmcnt(23)
	v_fma_f64 v[141:142], v[141:142], v[137:138], v[131:132]
	ds_read_b128 v[131:134], v130 offset:928
	ds_read_b128 v[135:138], v130 offset:944
	s_waitcnt vmcnt(22) lgkmcnt(1)
	v_fma_f64 v[131:132], v[171:172], v[131:132], v[141:142]
	s_waitcnt vmcnt(21)
	v_fma_f64 v[131:132], v[169:170], v[133:134], v[131:132]
	s_waitcnt vmcnt(20) lgkmcnt(0)
	v_fma_f64 v[131:132], v[147:148], v[135:136], v[131:132]
	s_waitcnt vmcnt(15)
	v_fma_f64 v[141:142], v[143:144], v[137:138], v[131:132]
	ds_read_b128 v[131:134], v130 offset:960
	ds_read_b128 v[135:138], v130 offset:976
	s_waitcnt vmcnt(14) lgkmcnt(1)
	v_fma_f64 v[131:132], v[159:160], v[131:132], v[141:142]
	;; [unrolled: 10-line block ×3, first 2 shown]
	s_waitcnt vmcnt(5)
	v_fma_f64 v[130:131], v[155:156], v[133:134], v[130:131]
	s_waitcnt vmcnt(4) lgkmcnt(0)
	v_fma_f64 v[130:131], v[153:154], v[135:136], v[130:131]
	s_waitcnt vmcnt(2)
	v_fma_f64 v[130:131], v[139:140], v[137:138], v[130:131]
	s_waitcnt vmcnt(0)
	v_add_f64 v[130:131], v[157:158], -v[130:131]
	buffer_store_dword v131, off, s[0:3], 0 offset:124
	buffer_store_dword v130, off, s[0:3], 0 offset:120
	v_cmpx_lt_u32_e32 14, v0
	s_cbranch_execz .LBB63_365
; %bb.364:
	s_clause 0x1
	buffer_load_dword v130, off, s[0:3], 0 offset:112
	buffer_load_dword v131, off, s[0:3], 0 offset:116
	v_mov_b32_e32 v132, 0
	buffer_store_dword v132, off, s[0:3], 0 offset:112
	buffer_store_dword v132, off, s[0:3], 0 offset:116
	s_waitcnt vmcnt(0)
	ds_write_b64 v129, v[130:131]
.LBB63_365:
	s_or_b32 exec_lo, exec_lo, s4
	s_waitcnt lgkmcnt(0)
	s_waitcnt_vscnt null, 0x0
	s_barrier
	buffer_gl0_inv
	s_clause 0x1c
	buffer_load_dword v139, off, s[0:3], 0 offset:120
	buffer_load_dword v140, off, s[0:3], 0 offset:124
	;; [unrolled: 1-line block ×29, first 2 shown]
	v_mov_b32_e32 v130, 0
	buffer_load_dword v164, off, s[0:3], 0 offset:236
	s_mov_b32 s4, exec_lo
	ds_read2_b64 v[131:134], v130 offset0:79 offset1:80
	ds_read2_b64 v[135:138], v130 offset0:81 offset1:82
	s_waitcnt vmcnt(28) lgkmcnt(1)
	v_fma_f64 v[131:132], v[139:140], v[131:132], 0
	s_clause 0x7
	buffer_load_dword v140, off, s[0:3], 0 offset:244
	buffer_load_dword v169, off, s[0:3], 0 offset:264
	buffer_load_dword v171, off, s[0:3], 0 offset:256
	buffer_load_dword v173, off, s[0:3], 0 offset:248
	buffer_load_dword v139, off, s[0:3], 0 offset:240
	buffer_load_dword v174, off, s[0:3], 0 offset:252
	buffer_load_dword v172, off, s[0:3], 0 offset:260
	buffer_load_dword v170, off, s[0:3], 0 offset:268
	s_waitcnt vmcnt(34)
	v_fma_f64 v[131:132], v[141:142], v[133:134], v[131:132]
	s_waitcnt vmcnt(32) lgkmcnt(0)
	v_fma_f64 v[131:132], v[143:144], v[135:136], v[131:132]
	s_waitcnt vmcnt(30)
	v_fma_f64 v[141:142], v[145:146], v[137:138], v[131:132]
	ds_read2_b64 v[131:134], v130 offset0:83 offset1:84
	ds_read2_b64 v[135:138], v130 offset0:85 offset1:86
	s_waitcnt vmcnt(28) lgkmcnt(1)
	v_fma_f64 v[131:132], v[147:148], v[131:132], v[141:142]
	s_clause 0x7
	buffer_load_dword v142, off, s[0:3], 0 offset:276
	buffer_load_dword v143, off, s[0:3], 0 offset:296
	buffer_load_dword v145, off, s[0:3], 0 offset:288
	buffer_load_dword v147, off, s[0:3], 0 offset:280
	buffer_load_dword v141, off, s[0:3], 0 offset:272
	buffer_load_dword v148, off, s[0:3], 0 offset:284
	buffer_load_dword v146, off, s[0:3], 0 offset:292
	buffer_load_dword v144, off, s[0:3], 0 offset:300
	s_waitcnt vmcnt(34)
	v_fma_f64 v[131:132], v[149:150], v[133:134], v[131:132]
	s_waitcnt vmcnt(32) lgkmcnt(0)
	v_fma_f64 v[131:132], v[151:152], v[135:136], v[131:132]
	s_waitcnt vmcnt(27)
	v_fma_f64 v[149:150], v[153:154], v[137:138], v[131:132]
	;; [unrolled: 19-line block ×8, first 2 shown]
	ds_read2_b64 v[131:134], v130 offset0:111 offset1:112
	ds_read2_b64 v[135:138], v130 offset0:113 offset1:114
	s_waitcnt vmcnt(26) lgkmcnt(1)
	v_fma_f64 v[131:132], v[173:174], v[131:132], v[139:140]
	s_clause 0x5
	buffer_load_dword v140, off, s[0:3], 0 offset:500
	buffer_load_dword v157, off, s[0:3], 0 offset:504
	;; [unrolled: 1-line block ×6, first 2 shown]
	s_waitcnt vmcnt(31)
	v_fma_f64 v[131:132], v[165:166], v[133:134], v[131:132]
	s_waitcnt vmcnt(30) lgkmcnt(0)
	v_fma_f64 v[131:132], v[163:164], v[135:136], v[131:132]
	s_waitcnt vmcnt(25)
	v_fma_f64 v[141:142], v[141:142], v[137:138], v[131:132]
	ds_read2_b64 v[131:134], v130 offset0:115 offset1:116
	ds_read2_b64 v[135:138], v130 offset0:117 offset1:118
	s_waitcnt vmcnt(24) lgkmcnt(1)
	v_fma_f64 v[131:132], v[171:172], v[131:132], v[141:142]
	s_waitcnt vmcnt(23)
	v_fma_f64 v[131:132], v[169:170], v[133:134], v[131:132]
	s_waitcnt vmcnt(22) lgkmcnt(0)
	v_fma_f64 v[131:132], v[147:148], v[135:136], v[131:132]
	s_waitcnt vmcnt(17)
	v_fma_f64 v[141:142], v[143:144], v[137:138], v[131:132]
	ds_read2_b64 v[131:134], v130 offset0:119 offset1:120
	ds_read2_b64 v[135:138], v130 offset0:121 offset1:122
	s_waitcnt vmcnt(16) lgkmcnt(1)
	v_fma_f64 v[131:132], v[159:160], v[131:132], v[141:142]
	;; [unrolled: 10-line block ×3, first 2 shown]
	s_waitcnt vmcnt(7)
	v_fma_f64 v[131:132], v[155:156], v[133:134], v[131:132]
	ds_read_b64 v[133:134], v130 offset:1016
	s_waitcnt vmcnt(6) lgkmcnt(1)
	v_fma_f64 v[131:132], v[153:154], v[135:136], v[131:132]
	s_waitcnt vmcnt(3)
	v_fma_f64 v[131:132], v[139:140], v[137:138], v[131:132]
	s_waitcnt vmcnt(2) lgkmcnt(0)
	v_fma_f64 v[131:132], v[157:158], v[133:134], v[131:132]
	s_waitcnt vmcnt(0)
	v_add_f64 v[131:132], v[161:162], -v[131:132]
	buffer_store_dword v132, off, s[0:3], 0 offset:116
	buffer_store_dword v131, off, s[0:3], 0 offset:112
	v_cmpx_lt_u32_e32 13, v0
	s_cbranch_execz .LBB63_367
; %bb.366:
	s_clause 0x1
	buffer_load_dword v131, off, s[0:3], 0 offset:104
	buffer_load_dword v132, off, s[0:3], 0 offset:108
	buffer_store_dword v130, off, s[0:3], 0 offset:104
	buffer_store_dword v130, off, s[0:3], 0 offset:108
	s_waitcnt vmcnt(0)
	ds_write_b64 v129, v[131:132]
.LBB63_367:
	s_or_b32 exec_lo, exec_lo, s4
	s_waitcnt lgkmcnt(0)
	s_waitcnt_vscnt null, 0x0
	s_barrier
	buffer_gl0_inv
	s_clause 0x1c
	buffer_load_dword v139, off, s[0:3], 0 offset:112
	buffer_load_dword v140, off, s[0:3], 0 offset:116
	buffer_load_dword v141, off, s[0:3], 0 offset:120
	buffer_load_dword v142, off, s[0:3], 0 offset:124
	buffer_load_dword v143, off, s[0:3], 0 offset:128
	buffer_load_dword v144, off, s[0:3], 0 offset:132
	buffer_load_dword v145, off, s[0:3], 0 offset:136
	buffer_load_dword v146, off, s[0:3], 0 offset:140
	buffer_load_dword v147, off, s[0:3], 0 offset:144
	buffer_load_dword v148, off, s[0:3], 0 offset:148
	buffer_load_dword v149, off, s[0:3], 0 offset:152
	buffer_load_dword v150, off, s[0:3], 0 offset:156
	buffer_load_dword v151, off, s[0:3], 0 offset:160
	buffer_load_dword v152, off, s[0:3], 0 offset:164
	buffer_load_dword v154, off, s[0:3], 0 offset:172
	buffer_load_dword v155, off, s[0:3], 0 offset:192
	buffer_load_dword v157, off, s[0:3], 0 offset:184
	buffer_load_dword v159, off, s[0:3], 0 offset:176
	buffer_load_dword v153, off, s[0:3], 0 offset:168
	buffer_load_dword v160, off, s[0:3], 0 offset:180
	buffer_load_dword v158, off, s[0:3], 0 offset:188
	buffer_load_dword v156, off, s[0:3], 0 offset:196
	buffer_load_dword v162, off, s[0:3], 0 offset:204
	buffer_load_dword v163, off, s[0:3], 0 offset:224
	buffer_load_dword v165, off, s[0:3], 0 offset:216
	buffer_load_dword v167, off, s[0:3], 0 offset:208
	buffer_load_dword v161, off, s[0:3], 0 offset:200
	buffer_load_dword v168, off, s[0:3], 0 offset:212
	buffer_load_dword v166, off, s[0:3], 0 offset:220
	ds_read_b128 v[131:134], v130 offset:624
	ds_read_b128 v[135:138], v130 offset:640
	buffer_load_dword v164, off, s[0:3], 0 offset:228
	s_mov_b32 s4, exec_lo
	s_waitcnt vmcnt(28) lgkmcnt(1)
	v_fma_f64 v[131:132], v[139:140], v[131:132], 0
	s_clause 0x7
	buffer_load_dword v140, off, s[0:3], 0 offset:236
	buffer_load_dword v169, off, s[0:3], 0 offset:256
	buffer_load_dword v171, off, s[0:3], 0 offset:248
	buffer_load_dword v173, off, s[0:3], 0 offset:240
	buffer_load_dword v139, off, s[0:3], 0 offset:232
	buffer_load_dword v174, off, s[0:3], 0 offset:244
	buffer_load_dword v172, off, s[0:3], 0 offset:252
	buffer_load_dword v170, off, s[0:3], 0 offset:260
	s_waitcnt vmcnt(34)
	v_fma_f64 v[131:132], v[141:142], v[133:134], v[131:132]
	s_waitcnt vmcnt(32) lgkmcnt(0)
	v_fma_f64 v[131:132], v[143:144], v[135:136], v[131:132]
	s_waitcnt vmcnt(30)
	v_fma_f64 v[141:142], v[145:146], v[137:138], v[131:132]
	ds_read_b128 v[131:134], v130 offset:656
	ds_read_b128 v[135:138], v130 offset:672
	s_waitcnt vmcnt(28) lgkmcnt(1)
	v_fma_f64 v[131:132], v[147:148], v[131:132], v[141:142]
	s_clause 0x7
	buffer_load_dword v142, off, s[0:3], 0 offset:268
	buffer_load_dword v143, off, s[0:3], 0 offset:288
	buffer_load_dword v145, off, s[0:3], 0 offset:280
	buffer_load_dword v147, off, s[0:3], 0 offset:272
	buffer_load_dword v141, off, s[0:3], 0 offset:264
	buffer_load_dword v148, off, s[0:3], 0 offset:276
	buffer_load_dword v146, off, s[0:3], 0 offset:284
	buffer_load_dword v144, off, s[0:3], 0 offset:292
	s_waitcnt vmcnt(34)
	v_fma_f64 v[131:132], v[149:150], v[133:134], v[131:132]
	s_waitcnt vmcnt(32) lgkmcnt(0)
	v_fma_f64 v[131:132], v[151:152], v[135:136], v[131:132]
	s_waitcnt vmcnt(27)
	v_fma_f64 v[149:150], v[153:154], v[137:138], v[131:132]
	ds_read_b128 v[131:134], v130 offset:688
	ds_read_b128 v[135:138], v130 offset:704
	;; [unrolled: 19-line block ×8, first 2 shown]
	s_waitcnt vmcnt(26) lgkmcnt(1)
	v_fma_f64 v[131:132], v[173:174], v[131:132], v[139:140]
	s_clause 0x5
	buffer_load_dword v140, off, s[0:3], 0 offset:492
	buffer_load_dword v157, off, s[0:3], 0 offset:504
	;; [unrolled: 1-line block ×6, first 2 shown]
	s_waitcnt vmcnt(31)
	v_fma_f64 v[131:132], v[165:166], v[133:134], v[131:132]
	s_waitcnt vmcnt(30) lgkmcnt(0)
	v_fma_f64 v[131:132], v[163:164], v[135:136], v[131:132]
	s_waitcnt vmcnt(25)
	v_fma_f64 v[141:142], v[141:142], v[137:138], v[131:132]
	ds_read_b128 v[131:134], v130 offset:912
	s_clause 0x1
	buffer_load_dword v163, off, s[0:3], 0 offset:104
	buffer_load_dword v164, off, s[0:3], 0 offset:108
	ds_read_b128 v[135:138], v130 offset:928
	s_waitcnt vmcnt(26) lgkmcnt(1)
	v_fma_f64 v[131:132], v[171:172], v[131:132], v[141:142]
	s_waitcnt vmcnt(25)
	v_fma_f64 v[131:132], v[169:170], v[133:134], v[131:132]
	s_waitcnt vmcnt(24) lgkmcnt(0)
	v_fma_f64 v[131:132], v[147:148], v[135:136], v[131:132]
	s_waitcnt vmcnt(19)
	v_fma_f64 v[141:142], v[143:144], v[137:138], v[131:132]
	ds_read_b128 v[131:134], v130 offset:944
	ds_read_b128 v[135:138], v130 offset:960
	s_waitcnt vmcnt(18) lgkmcnt(1)
	v_fma_f64 v[131:132], v[159:160], v[131:132], v[141:142]
	s_waitcnt vmcnt(17)
	v_fma_f64 v[131:132], v[149:150], v[133:134], v[131:132]
	s_waitcnt vmcnt(16) lgkmcnt(0)
	v_fma_f64 v[131:132], v[145:146], v[135:136], v[131:132]
	s_waitcnt vmcnt(11)
	v_fma_f64 v[141:142], v[151:152], v[137:138], v[131:132]
	ds_read_b128 v[131:134], v130 offset:976
	;; [unrolled: 10-line block ×3, first 2 shown]
	s_waitcnt vmcnt(3) lgkmcnt(0)
	v_fma_f64 v[130:131], v[161:162], v[130:131], v[134:135]
	s_waitcnt vmcnt(2)
	v_fma_f64 v[130:131], v[157:158], v[132:133], v[130:131]
	s_waitcnt vmcnt(0)
	v_add_f64 v[130:131], v[163:164], -v[130:131]
	buffer_store_dword v131, off, s[0:3], 0 offset:108
	buffer_store_dword v130, off, s[0:3], 0 offset:104
	v_cmpx_lt_u32_e32 12, v0
	s_cbranch_execz .LBB63_369
; %bb.368:
	s_clause 0x1
	buffer_load_dword v130, off, s[0:3], 0 offset:96
	buffer_load_dword v131, off, s[0:3], 0 offset:100
	v_mov_b32_e32 v132, 0
	buffer_store_dword v132, off, s[0:3], 0 offset:96
	buffer_store_dword v132, off, s[0:3], 0 offset:100
	s_waitcnt vmcnt(0)
	ds_write_b64 v129, v[130:131]
.LBB63_369:
	s_or_b32 exec_lo, exec_lo, s4
	s_waitcnt lgkmcnt(0)
	s_waitcnt_vscnt null, 0x0
	s_barrier
	buffer_gl0_inv
	s_clause 0x1c
	buffer_load_dword v139, off, s[0:3], 0 offset:104
	buffer_load_dword v140, off, s[0:3], 0 offset:108
	buffer_load_dword v141, off, s[0:3], 0 offset:112
	buffer_load_dword v142, off, s[0:3], 0 offset:116
	buffer_load_dword v143, off, s[0:3], 0 offset:120
	buffer_load_dword v144, off, s[0:3], 0 offset:124
	buffer_load_dword v145, off, s[0:3], 0 offset:128
	buffer_load_dword v146, off, s[0:3], 0 offset:132
	buffer_load_dword v147, off, s[0:3], 0 offset:136
	buffer_load_dword v148, off, s[0:3], 0 offset:140
	buffer_load_dword v149, off, s[0:3], 0 offset:144
	buffer_load_dword v150, off, s[0:3], 0 offset:148
	buffer_load_dword v151, off, s[0:3], 0 offset:152
	buffer_load_dword v152, off, s[0:3], 0 offset:156
	buffer_load_dword v154, off, s[0:3], 0 offset:164
	buffer_load_dword v155, off, s[0:3], 0 offset:184
	buffer_load_dword v157, off, s[0:3], 0 offset:176
	buffer_load_dword v159, off, s[0:3], 0 offset:168
	buffer_load_dword v153, off, s[0:3], 0 offset:160
	buffer_load_dword v160, off, s[0:3], 0 offset:172
	buffer_load_dword v158, off, s[0:3], 0 offset:180
	buffer_load_dword v156, off, s[0:3], 0 offset:188
	buffer_load_dword v162, off, s[0:3], 0 offset:196
	buffer_load_dword v163, off, s[0:3], 0 offset:216
	buffer_load_dword v165, off, s[0:3], 0 offset:208
	buffer_load_dword v167, off, s[0:3], 0 offset:200
	buffer_load_dword v161, off, s[0:3], 0 offset:192
	buffer_load_dword v168, off, s[0:3], 0 offset:204
	buffer_load_dword v166, off, s[0:3], 0 offset:212
	v_mov_b32_e32 v130, 0
	buffer_load_dword v164, off, s[0:3], 0 offset:220
	s_mov_b32 s4, exec_lo
	ds_read2_b64 v[131:134], v130 offset0:77 offset1:78
	ds_read2_b64 v[135:138], v130 offset0:79 offset1:80
	s_waitcnt vmcnt(28) lgkmcnt(1)
	v_fma_f64 v[131:132], v[139:140], v[131:132], 0
	s_clause 0x7
	buffer_load_dword v140, off, s[0:3], 0 offset:228
	buffer_load_dword v169, off, s[0:3], 0 offset:248
	buffer_load_dword v171, off, s[0:3], 0 offset:240
	buffer_load_dword v173, off, s[0:3], 0 offset:232
	buffer_load_dword v139, off, s[0:3], 0 offset:224
	buffer_load_dword v174, off, s[0:3], 0 offset:236
	buffer_load_dword v172, off, s[0:3], 0 offset:244
	buffer_load_dword v170, off, s[0:3], 0 offset:252
	s_waitcnt vmcnt(34)
	v_fma_f64 v[131:132], v[141:142], v[133:134], v[131:132]
	s_waitcnt vmcnt(32) lgkmcnt(0)
	v_fma_f64 v[131:132], v[143:144], v[135:136], v[131:132]
	s_waitcnt vmcnt(30)
	v_fma_f64 v[141:142], v[145:146], v[137:138], v[131:132]
	ds_read2_b64 v[131:134], v130 offset0:81 offset1:82
	ds_read2_b64 v[135:138], v130 offset0:83 offset1:84
	s_waitcnt vmcnt(28) lgkmcnt(1)
	v_fma_f64 v[131:132], v[147:148], v[131:132], v[141:142]
	s_clause 0x7
	buffer_load_dword v142, off, s[0:3], 0 offset:260
	buffer_load_dword v143, off, s[0:3], 0 offset:280
	buffer_load_dword v145, off, s[0:3], 0 offset:272
	buffer_load_dword v147, off, s[0:3], 0 offset:264
	buffer_load_dword v141, off, s[0:3], 0 offset:256
	buffer_load_dword v148, off, s[0:3], 0 offset:268
	buffer_load_dword v146, off, s[0:3], 0 offset:276
	buffer_load_dword v144, off, s[0:3], 0 offset:284
	s_waitcnt vmcnt(34)
	v_fma_f64 v[131:132], v[149:150], v[133:134], v[131:132]
	s_waitcnt vmcnt(32) lgkmcnt(0)
	v_fma_f64 v[131:132], v[151:152], v[135:136], v[131:132]
	s_waitcnt vmcnt(27)
	v_fma_f64 v[149:150], v[153:154], v[137:138], v[131:132]
	;; [unrolled: 19-line block ×9, first 2 shown]
	ds_read2_b64 v[131:134], v130 offset0:113 offset1:114
	ds_read2_b64 v[135:138], v130 offset0:115 offset1:116
	s_waitcnt vmcnt(26) lgkmcnt(1)
	v_fma_f64 v[131:132], v[171:172], v[131:132], v[141:142]
	s_clause 0x1
	buffer_load_dword v141, off, s[0:3], 0 offset:96
	buffer_load_dword v142, off, s[0:3], 0 offset:100
	s_waitcnt vmcnt(27)
	v_fma_f64 v[131:132], v[169:170], v[133:134], v[131:132]
	s_waitcnt vmcnt(26) lgkmcnt(0)
	v_fma_f64 v[131:132], v[147:148], v[135:136], v[131:132]
	s_waitcnt vmcnt(21)
	v_fma_f64 v[143:144], v[143:144], v[137:138], v[131:132]
	ds_read2_b64 v[131:134], v130 offset0:117 offset1:118
	ds_read2_b64 v[135:138], v130 offset0:119 offset1:120
	s_waitcnt vmcnt(20) lgkmcnt(1)
	v_fma_f64 v[131:132], v[159:160], v[131:132], v[143:144]
	s_waitcnt vmcnt(19)
	v_fma_f64 v[131:132], v[149:150], v[133:134], v[131:132]
	s_waitcnt vmcnt(18) lgkmcnt(0)
	v_fma_f64 v[131:132], v[145:146], v[135:136], v[131:132]
	s_waitcnt vmcnt(13)
	v_fma_f64 v[143:144], v[151:152], v[137:138], v[131:132]
	ds_read2_b64 v[131:134], v130 offset0:121 offset1:122
	ds_read2_b64 v[135:138], v130 offset0:123 offset1:124
	s_waitcnt vmcnt(12) lgkmcnt(1)
	v_fma_f64 v[131:132], v[167:168], v[131:132], v[143:144]
	s_waitcnt vmcnt(11)
	v_fma_f64 v[131:132], v[155:156], v[133:134], v[131:132]
	s_waitcnt vmcnt(10) lgkmcnt(0)
	v_fma_f64 v[131:132], v[153:154], v[135:136], v[131:132]
	s_waitcnt vmcnt(5)
	v_fma_f64 v[135:136], v[139:140], v[137:138], v[131:132]
	ds_read2_b64 v[131:134], v130 offset0:125 offset1:126
	ds_read_b64 v[137:138], v130 offset:1016
	s_waitcnt vmcnt(4) lgkmcnt(1)
	v_fma_f64 v[131:132], v[173:174], v[131:132], v[135:136]
	s_waitcnt vmcnt(3)
	v_fma_f64 v[131:132], v[161:162], v[133:134], v[131:132]
	s_waitcnt vmcnt(2) lgkmcnt(0)
	v_fma_f64 v[131:132], v[157:158], v[137:138], v[131:132]
	s_waitcnt vmcnt(0)
	v_add_f64 v[131:132], v[141:142], -v[131:132]
	buffer_store_dword v132, off, s[0:3], 0 offset:100
	buffer_store_dword v131, off, s[0:3], 0 offset:96
	v_cmpx_lt_u32_e32 11, v0
	s_cbranch_execz .LBB63_371
; %bb.370:
	s_clause 0x1
	buffer_load_dword v131, off, s[0:3], 0 offset:88
	buffer_load_dword v132, off, s[0:3], 0 offset:92
	buffer_store_dword v130, off, s[0:3], 0 offset:88
	buffer_store_dword v130, off, s[0:3], 0 offset:92
	s_waitcnt vmcnt(0)
	ds_write_b64 v129, v[131:132]
.LBB63_371:
	s_or_b32 exec_lo, exec_lo, s4
	s_waitcnt lgkmcnt(0)
	s_waitcnt_vscnt null, 0x0
	s_barrier
	buffer_gl0_inv
	s_clause 0x1c
	buffer_load_dword v139, off, s[0:3], 0 offset:96
	buffer_load_dword v140, off, s[0:3], 0 offset:100
	;; [unrolled: 1-line block ×29, first 2 shown]
	ds_read_b128 v[131:134], v130 offset:608
	ds_read_b128 v[135:138], v130 offset:624
	buffer_load_dword v164, off, s[0:3], 0 offset:212
	s_mov_b32 s4, exec_lo
	s_waitcnt vmcnt(28) lgkmcnt(1)
	v_fma_f64 v[131:132], v[139:140], v[131:132], 0
	s_clause 0x7
	buffer_load_dword v140, off, s[0:3], 0 offset:220
	buffer_load_dword v169, off, s[0:3], 0 offset:240
	buffer_load_dword v171, off, s[0:3], 0 offset:232
	buffer_load_dword v173, off, s[0:3], 0 offset:224
	buffer_load_dword v139, off, s[0:3], 0 offset:216
	buffer_load_dword v174, off, s[0:3], 0 offset:228
	buffer_load_dword v172, off, s[0:3], 0 offset:236
	buffer_load_dword v170, off, s[0:3], 0 offset:244
	s_waitcnt vmcnt(34)
	v_fma_f64 v[131:132], v[141:142], v[133:134], v[131:132]
	s_waitcnt vmcnt(32) lgkmcnt(0)
	v_fma_f64 v[131:132], v[143:144], v[135:136], v[131:132]
	s_waitcnt vmcnt(30)
	v_fma_f64 v[141:142], v[145:146], v[137:138], v[131:132]
	ds_read_b128 v[131:134], v130 offset:640
	ds_read_b128 v[135:138], v130 offset:656
	s_waitcnt vmcnt(28) lgkmcnt(1)
	v_fma_f64 v[131:132], v[147:148], v[131:132], v[141:142]
	s_clause 0x7
	buffer_load_dword v142, off, s[0:3], 0 offset:252
	buffer_load_dword v143, off, s[0:3], 0 offset:272
	buffer_load_dword v145, off, s[0:3], 0 offset:264
	buffer_load_dword v147, off, s[0:3], 0 offset:256
	buffer_load_dword v141, off, s[0:3], 0 offset:248
	buffer_load_dword v148, off, s[0:3], 0 offset:260
	buffer_load_dword v146, off, s[0:3], 0 offset:268
	buffer_load_dword v144, off, s[0:3], 0 offset:276
	s_waitcnt vmcnt(34)
	v_fma_f64 v[131:132], v[149:150], v[133:134], v[131:132]
	s_waitcnt vmcnt(32) lgkmcnt(0)
	v_fma_f64 v[131:132], v[151:152], v[135:136], v[131:132]
	s_waitcnt vmcnt(27)
	v_fma_f64 v[149:150], v[153:154], v[137:138], v[131:132]
	ds_read_b128 v[131:134], v130 offset:672
	ds_read_b128 v[135:138], v130 offset:688
	;; [unrolled: 19-line block ×9, first 2 shown]
	s_waitcnt vmcnt(26) lgkmcnt(1)
	v_fma_f64 v[131:132], v[171:172], v[131:132], v[141:142]
	s_clause 0x3
	buffer_load_dword v142, off, s[0:3], 0 offset:508
	buffer_load_dword v141, off, s[0:3], 0 offset:504
	buffer_load_dword v163, off, s[0:3], 0 offset:88
	buffer_load_dword v164, off, s[0:3], 0 offset:92
	s_waitcnt vmcnt(29)
	v_fma_f64 v[131:132], v[169:170], v[133:134], v[131:132]
	s_waitcnt vmcnt(28) lgkmcnt(0)
	v_fma_f64 v[131:132], v[147:148], v[135:136], v[131:132]
	s_waitcnt vmcnt(23)
	v_fma_f64 v[143:144], v[143:144], v[137:138], v[131:132]
	ds_read_b128 v[131:134], v130 offset:928
	ds_read_b128 v[135:138], v130 offset:944
	s_waitcnt vmcnt(22) lgkmcnt(1)
	v_fma_f64 v[131:132], v[159:160], v[131:132], v[143:144]
	s_waitcnt vmcnt(21)
	v_fma_f64 v[131:132], v[149:150], v[133:134], v[131:132]
	s_waitcnt vmcnt(20) lgkmcnt(0)
	v_fma_f64 v[131:132], v[145:146], v[135:136], v[131:132]
	s_waitcnt vmcnt(15)
	v_fma_f64 v[143:144], v[151:152], v[137:138], v[131:132]
	ds_read_b128 v[131:134], v130 offset:960
	ds_read_b128 v[135:138], v130 offset:976
	s_waitcnt vmcnt(14) lgkmcnt(1)
	v_fma_f64 v[131:132], v[167:168], v[131:132], v[143:144]
	;; [unrolled: 10-line block ×3, first 2 shown]
	s_waitcnt vmcnt(5)
	v_fma_f64 v[130:131], v[161:162], v[133:134], v[130:131]
	s_waitcnt vmcnt(4) lgkmcnt(0)
	v_fma_f64 v[130:131], v[157:158], v[135:136], v[130:131]
	s_waitcnt vmcnt(2)
	v_fma_f64 v[130:131], v[141:142], v[137:138], v[130:131]
	s_waitcnt vmcnt(0)
	v_add_f64 v[130:131], v[163:164], -v[130:131]
	buffer_store_dword v131, off, s[0:3], 0 offset:92
	buffer_store_dword v130, off, s[0:3], 0 offset:88
	v_cmpx_lt_u32_e32 10, v0
	s_cbranch_execz .LBB63_373
; %bb.372:
	s_clause 0x1
	buffer_load_dword v130, off, s[0:3], 0 offset:80
	buffer_load_dword v131, off, s[0:3], 0 offset:84
	v_mov_b32_e32 v132, 0
	buffer_store_dword v132, off, s[0:3], 0 offset:80
	buffer_store_dword v132, off, s[0:3], 0 offset:84
	s_waitcnt vmcnt(0)
	ds_write_b64 v129, v[130:131]
.LBB63_373:
	s_or_b32 exec_lo, exec_lo, s4
	s_waitcnt lgkmcnt(0)
	s_waitcnt_vscnt null, 0x0
	s_barrier
	buffer_gl0_inv
	s_clause 0x1c
	buffer_load_dword v139, off, s[0:3], 0 offset:88
	buffer_load_dword v140, off, s[0:3], 0 offset:92
	;; [unrolled: 1-line block ×29, first 2 shown]
	v_mov_b32_e32 v130, 0
	buffer_load_dword v164, off, s[0:3], 0 offset:204
	s_mov_b32 s4, exec_lo
	ds_read2_b64 v[131:134], v130 offset0:75 offset1:76
	ds_read2_b64 v[135:138], v130 offset0:77 offset1:78
	s_waitcnt vmcnt(28) lgkmcnt(1)
	v_fma_f64 v[131:132], v[139:140], v[131:132], 0
	s_clause 0x7
	buffer_load_dword v140, off, s[0:3], 0 offset:212
	buffer_load_dword v169, off, s[0:3], 0 offset:232
	buffer_load_dword v171, off, s[0:3], 0 offset:224
	buffer_load_dword v173, off, s[0:3], 0 offset:216
	buffer_load_dword v139, off, s[0:3], 0 offset:208
	buffer_load_dword v174, off, s[0:3], 0 offset:220
	buffer_load_dword v172, off, s[0:3], 0 offset:228
	buffer_load_dword v170, off, s[0:3], 0 offset:236
	s_waitcnt vmcnt(34)
	v_fma_f64 v[131:132], v[141:142], v[133:134], v[131:132]
	s_waitcnt vmcnt(32) lgkmcnt(0)
	v_fma_f64 v[131:132], v[143:144], v[135:136], v[131:132]
	s_waitcnt vmcnt(30)
	v_fma_f64 v[141:142], v[145:146], v[137:138], v[131:132]
	ds_read2_b64 v[131:134], v130 offset0:79 offset1:80
	ds_read2_b64 v[135:138], v130 offset0:81 offset1:82
	s_waitcnt vmcnt(28) lgkmcnt(1)
	v_fma_f64 v[131:132], v[147:148], v[131:132], v[141:142]
	s_clause 0x7
	buffer_load_dword v142, off, s[0:3], 0 offset:244
	buffer_load_dword v143, off, s[0:3], 0 offset:264
	buffer_load_dword v145, off, s[0:3], 0 offset:256
	buffer_load_dword v147, off, s[0:3], 0 offset:248
	buffer_load_dword v141, off, s[0:3], 0 offset:240
	buffer_load_dword v148, off, s[0:3], 0 offset:252
	buffer_load_dword v146, off, s[0:3], 0 offset:260
	buffer_load_dword v144, off, s[0:3], 0 offset:268
	s_waitcnt vmcnt(34)
	v_fma_f64 v[131:132], v[149:150], v[133:134], v[131:132]
	s_waitcnt vmcnt(32) lgkmcnt(0)
	v_fma_f64 v[131:132], v[151:152], v[135:136], v[131:132]
	s_waitcnt vmcnt(27)
	v_fma_f64 v[149:150], v[153:154], v[137:138], v[131:132]
	;; [unrolled: 19-line block ×9, first 2 shown]
	ds_read2_b64 v[131:134], v130 offset0:111 offset1:112
	ds_read2_b64 v[135:138], v130 offset0:113 offset1:114
	s_waitcnt vmcnt(26) lgkmcnt(1)
	v_fma_f64 v[131:132], v[171:172], v[131:132], v[141:142]
	s_clause 0x3
	buffer_load_dword v142, off, s[0:3], 0 offset:500
	buffer_load_dword v163, off, s[0:3], 0 offset:504
	;; [unrolled: 1-line block ×4, first 2 shown]
	s_waitcnt vmcnt(29)
	v_fma_f64 v[131:132], v[169:170], v[133:134], v[131:132]
	s_waitcnt vmcnt(28) lgkmcnt(0)
	v_fma_f64 v[131:132], v[147:148], v[135:136], v[131:132]
	s_clause 0x1
	buffer_load_dword v147, off, s[0:3], 0 offset:80
	buffer_load_dword v148, off, s[0:3], 0 offset:84
	s_waitcnt vmcnt(25)
	v_fma_f64 v[143:144], v[143:144], v[137:138], v[131:132]
	ds_read2_b64 v[131:134], v130 offset0:115 offset1:116
	ds_read2_b64 v[135:138], v130 offset0:117 offset1:118
	s_waitcnt vmcnt(24) lgkmcnt(1)
	v_fma_f64 v[131:132], v[159:160], v[131:132], v[143:144]
	s_waitcnt vmcnt(23)
	v_fma_f64 v[131:132], v[149:150], v[133:134], v[131:132]
	s_waitcnt vmcnt(22) lgkmcnt(0)
	v_fma_f64 v[131:132], v[145:146], v[135:136], v[131:132]
	s_waitcnt vmcnt(17)
	v_fma_f64 v[143:144], v[151:152], v[137:138], v[131:132]
	ds_read2_b64 v[131:134], v130 offset0:119 offset1:120
	ds_read2_b64 v[135:138], v130 offset0:121 offset1:122
	s_waitcnt vmcnt(16) lgkmcnt(1)
	v_fma_f64 v[131:132], v[167:168], v[131:132], v[143:144]
	s_waitcnt vmcnt(15)
	v_fma_f64 v[131:132], v[155:156], v[133:134], v[131:132]
	s_waitcnt vmcnt(14) lgkmcnt(0)
	v_fma_f64 v[131:132], v[153:154], v[135:136], v[131:132]
	s_waitcnt vmcnt(9)
	v_fma_f64 v[139:140], v[139:140], v[137:138], v[131:132]
	ds_read2_b64 v[131:134], v130 offset0:123 offset1:124
	ds_read2_b64 v[135:138], v130 offset0:125 offset1:126
	s_waitcnt vmcnt(8) lgkmcnt(1)
	v_fma_f64 v[131:132], v[173:174], v[131:132], v[139:140]
	s_waitcnt vmcnt(7)
	v_fma_f64 v[131:132], v[161:162], v[133:134], v[131:132]
	ds_read_b64 v[133:134], v130 offset:1016
	s_waitcnt vmcnt(6) lgkmcnt(1)
	v_fma_f64 v[131:132], v[157:158], v[135:136], v[131:132]
	s_waitcnt vmcnt(3)
	v_fma_f64 v[131:132], v[141:142], v[137:138], v[131:132]
	s_waitcnt vmcnt(2) lgkmcnt(0)
	v_fma_f64 v[131:132], v[163:164], v[133:134], v[131:132]
	s_waitcnt vmcnt(0)
	v_add_f64 v[131:132], v[147:148], -v[131:132]
	buffer_store_dword v132, off, s[0:3], 0 offset:84
	buffer_store_dword v131, off, s[0:3], 0 offset:80
	v_cmpx_lt_u32_e32 9, v0
	s_cbranch_execz .LBB63_375
; %bb.374:
	s_clause 0x1
	buffer_load_dword v131, off, s[0:3], 0 offset:72
	buffer_load_dword v132, off, s[0:3], 0 offset:76
	buffer_store_dword v130, off, s[0:3], 0 offset:72
	buffer_store_dword v130, off, s[0:3], 0 offset:76
	s_waitcnt vmcnt(0)
	ds_write_b64 v129, v[131:132]
.LBB63_375:
	s_or_b32 exec_lo, exec_lo, s4
	s_waitcnt lgkmcnt(0)
	s_waitcnt_vscnt null, 0x0
	s_barrier
	buffer_gl0_inv
	s_clause 0x1c
	buffer_load_dword v139, off, s[0:3], 0 offset:80
	buffer_load_dword v140, off, s[0:3], 0 offset:84
	;; [unrolled: 1-line block ×29, first 2 shown]
	ds_read_b128 v[131:134], v130 offset:592
	ds_read_b128 v[135:138], v130 offset:608
	buffer_load_dword v164, off, s[0:3], 0 offset:196
	s_mov_b32 s4, exec_lo
	s_waitcnt vmcnt(28) lgkmcnt(1)
	v_fma_f64 v[131:132], v[139:140], v[131:132], 0
	s_clause 0x7
	buffer_load_dword v140, off, s[0:3], 0 offset:204
	buffer_load_dword v169, off, s[0:3], 0 offset:224
	buffer_load_dword v171, off, s[0:3], 0 offset:216
	buffer_load_dword v173, off, s[0:3], 0 offset:208
	buffer_load_dword v139, off, s[0:3], 0 offset:200
	buffer_load_dword v174, off, s[0:3], 0 offset:212
	buffer_load_dword v172, off, s[0:3], 0 offset:220
	buffer_load_dword v170, off, s[0:3], 0 offset:228
	s_waitcnt vmcnt(34)
	v_fma_f64 v[131:132], v[141:142], v[133:134], v[131:132]
	s_waitcnt vmcnt(32) lgkmcnt(0)
	v_fma_f64 v[131:132], v[143:144], v[135:136], v[131:132]
	s_waitcnt vmcnt(30)
	v_fma_f64 v[141:142], v[145:146], v[137:138], v[131:132]
	ds_read_b128 v[131:134], v130 offset:624
	ds_read_b128 v[135:138], v130 offset:640
	s_waitcnt vmcnt(28) lgkmcnt(1)
	v_fma_f64 v[131:132], v[147:148], v[131:132], v[141:142]
	s_clause 0x7
	buffer_load_dword v142, off, s[0:3], 0 offset:236
	buffer_load_dword v143, off, s[0:3], 0 offset:256
	buffer_load_dword v145, off, s[0:3], 0 offset:248
	buffer_load_dword v147, off, s[0:3], 0 offset:240
	buffer_load_dword v141, off, s[0:3], 0 offset:232
	buffer_load_dword v148, off, s[0:3], 0 offset:244
	buffer_load_dword v146, off, s[0:3], 0 offset:252
	buffer_load_dword v144, off, s[0:3], 0 offset:260
	s_waitcnt vmcnt(34)
	v_fma_f64 v[131:132], v[149:150], v[133:134], v[131:132]
	s_waitcnt vmcnt(32) lgkmcnt(0)
	v_fma_f64 v[131:132], v[151:152], v[135:136], v[131:132]
	s_waitcnt vmcnt(27)
	v_fma_f64 v[149:150], v[153:154], v[137:138], v[131:132]
	ds_read_b128 v[131:134], v130 offset:656
	ds_read_b128 v[135:138], v130 offset:672
	;; [unrolled: 19-line block ×9, first 2 shown]
	s_waitcnt vmcnt(26) lgkmcnt(1)
	v_fma_f64 v[131:132], v[171:172], v[131:132], v[141:142]
	s_clause 0x5
	buffer_load_dword v142, off, s[0:3], 0 offset:492
	buffer_load_dword v163, off, s[0:3], 0 offset:504
	;; [unrolled: 1-line block ×6, first 2 shown]
	s_waitcnt vmcnt(31)
	v_fma_f64 v[131:132], v[169:170], v[133:134], v[131:132]
	s_waitcnt vmcnt(30) lgkmcnt(0)
	v_fma_f64 v[131:132], v[147:148], v[135:136], v[131:132]
	s_waitcnt vmcnt(25)
	v_fma_f64 v[143:144], v[143:144], v[137:138], v[131:132]
	ds_read_b128 v[131:134], v130 offset:912
	s_clause 0x1
	buffer_load_dword v147, off, s[0:3], 0 offset:72
	buffer_load_dword v148, off, s[0:3], 0 offset:76
	ds_read_b128 v[135:138], v130 offset:928
	s_waitcnt vmcnt(26) lgkmcnt(1)
	v_fma_f64 v[131:132], v[159:160], v[131:132], v[143:144]
	s_waitcnt vmcnt(25)
	v_fma_f64 v[131:132], v[149:150], v[133:134], v[131:132]
	s_waitcnt vmcnt(24) lgkmcnt(0)
	v_fma_f64 v[131:132], v[145:146], v[135:136], v[131:132]
	s_waitcnt vmcnt(19)
	v_fma_f64 v[143:144], v[151:152], v[137:138], v[131:132]
	ds_read_b128 v[131:134], v130 offset:944
	ds_read_b128 v[135:138], v130 offset:960
	s_waitcnt vmcnt(18) lgkmcnt(1)
	v_fma_f64 v[131:132], v[167:168], v[131:132], v[143:144]
	s_waitcnt vmcnt(17)
	v_fma_f64 v[131:132], v[155:156], v[133:134], v[131:132]
	s_waitcnt vmcnt(16) lgkmcnt(0)
	v_fma_f64 v[131:132], v[153:154], v[135:136], v[131:132]
	s_waitcnt vmcnt(11)
	v_fma_f64 v[139:140], v[139:140], v[137:138], v[131:132]
	ds_read_b128 v[131:134], v130 offset:976
	;; [unrolled: 10-line block ×3, first 2 shown]
	s_waitcnt vmcnt(3) lgkmcnt(0)
	v_fma_f64 v[130:131], v[165:166], v[130:131], v[134:135]
	s_waitcnt vmcnt(2)
	v_fma_f64 v[130:131], v[163:164], v[132:133], v[130:131]
	s_waitcnt vmcnt(0)
	v_add_f64 v[130:131], v[147:148], -v[130:131]
	buffer_store_dword v131, off, s[0:3], 0 offset:76
	buffer_store_dword v130, off, s[0:3], 0 offset:72
	v_cmpx_lt_u32_e32 8, v0
	s_cbranch_execz .LBB63_377
; %bb.376:
	s_clause 0x1
	buffer_load_dword v130, off, s[0:3], 0 offset:64
	buffer_load_dword v131, off, s[0:3], 0 offset:68
	v_mov_b32_e32 v132, 0
	buffer_store_dword v132, off, s[0:3], 0 offset:64
	buffer_store_dword v132, off, s[0:3], 0 offset:68
	s_waitcnt vmcnt(0)
	ds_write_b64 v129, v[130:131]
.LBB63_377:
	s_or_b32 exec_lo, exec_lo, s4
	s_waitcnt lgkmcnt(0)
	s_waitcnt_vscnt null, 0x0
	s_barrier
	buffer_gl0_inv
	s_clause 0x1c
	buffer_load_dword v139, off, s[0:3], 0 offset:72
	buffer_load_dword v140, off, s[0:3], 0 offset:76
	;; [unrolled: 1-line block ×29, first 2 shown]
	v_mov_b32_e32 v130, 0
	buffer_load_dword v164, off, s[0:3], 0 offset:188
	s_mov_b32 s4, exec_lo
	ds_read2_b64 v[131:134], v130 offset0:73 offset1:74
	ds_read2_b64 v[135:138], v130 offset0:75 offset1:76
	s_waitcnt vmcnt(28) lgkmcnt(1)
	v_fma_f64 v[131:132], v[139:140], v[131:132], 0
	s_clause 0x7
	buffer_load_dword v140, off, s[0:3], 0 offset:196
	buffer_load_dword v169, off, s[0:3], 0 offset:216
	buffer_load_dword v171, off, s[0:3], 0 offset:208
	buffer_load_dword v173, off, s[0:3], 0 offset:200
	buffer_load_dword v139, off, s[0:3], 0 offset:192
	buffer_load_dword v174, off, s[0:3], 0 offset:204
	buffer_load_dword v172, off, s[0:3], 0 offset:212
	buffer_load_dword v170, off, s[0:3], 0 offset:220
	s_waitcnt vmcnt(34)
	v_fma_f64 v[131:132], v[141:142], v[133:134], v[131:132]
	s_waitcnt vmcnt(32) lgkmcnt(0)
	v_fma_f64 v[131:132], v[143:144], v[135:136], v[131:132]
	s_waitcnt vmcnt(30)
	v_fma_f64 v[141:142], v[145:146], v[137:138], v[131:132]
	ds_read2_b64 v[131:134], v130 offset0:77 offset1:78
	ds_read2_b64 v[135:138], v130 offset0:79 offset1:80
	s_waitcnt vmcnt(28) lgkmcnt(1)
	v_fma_f64 v[131:132], v[147:148], v[131:132], v[141:142]
	s_clause 0x7
	buffer_load_dword v142, off, s[0:3], 0 offset:228
	buffer_load_dword v143, off, s[0:3], 0 offset:248
	buffer_load_dword v145, off, s[0:3], 0 offset:240
	buffer_load_dword v147, off, s[0:3], 0 offset:232
	buffer_load_dword v141, off, s[0:3], 0 offset:224
	buffer_load_dword v148, off, s[0:3], 0 offset:236
	buffer_load_dword v146, off, s[0:3], 0 offset:244
	buffer_load_dword v144, off, s[0:3], 0 offset:252
	s_waitcnt vmcnt(34)
	v_fma_f64 v[131:132], v[149:150], v[133:134], v[131:132]
	s_waitcnt vmcnt(32) lgkmcnt(0)
	v_fma_f64 v[131:132], v[151:152], v[135:136], v[131:132]
	s_waitcnt vmcnt(27)
	v_fma_f64 v[149:150], v[153:154], v[137:138], v[131:132]
	;; [unrolled: 19-line block ×10, first 2 shown]
	ds_read2_b64 v[131:134], v130 offset0:113 offset1:114
	ds_read2_b64 v[135:138], v130 offset0:115 offset1:116
	s_waitcnt vmcnt(26) lgkmcnt(1)
	v_fma_f64 v[131:132], v[159:160], v[131:132], v[143:144]
	s_clause 0x1
	buffer_load_dword v143, off, s[0:3], 0 offset:64
	buffer_load_dword v144, off, s[0:3], 0 offset:68
	s_waitcnt vmcnt(27)
	v_fma_f64 v[131:132], v[149:150], v[133:134], v[131:132]
	s_waitcnt vmcnt(26) lgkmcnt(0)
	v_fma_f64 v[131:132], v[145:146], v[135:136], v[131:132]
	s_waitcnt vmcnt(21)
	v_fma_f64 v[145:146], v[151:152], v[137:138], v[131:132]
	ds_read2_b64 v[131:134], v130 offset0:117 offset1:118
	ds_read2_b64 v[135:138], v130 offset0:119 offset1:120
	s_waitcnt vmcnt(20) lgkmcnt(1)
	v_fma_f64 v[131:132], v[167:168], v[131:132], v[145:146]
	s_waitcnt vmcnt(19)
	v_fma_f64 v[131:132], v[155:156], v[133:134], v[131:132]
	s_waitcnt vmcnt(18) lgkmcnt(0)
	v_fma_f64 v[131:132], v[153:154], v[135:136], v[131:132]
	s_waitcnt vmcnt(13)
	v_fma_f64 v[139:140], v[139:140], v[137:138], v[131:132]
	ds_read2_b64 v[131:134], v130 offset0:121 offset1:122
	ds_read2_b64 v[135:138], v130 offset0:123 offset1:124
	s_waitcnt vmcnt(12) lgkmcnt(1)
	v_fma_f64 v[131:132], v[173:174], v[131:132], v[139:140]
	s_waitcnt vmcnt(11)
	v_fma_f64 v[131:132], v[161:162], v[133:134], v[131:132]
	s_waitcnt vmcnt(10) lgkmcnt(0)
	v_fma_f64 v[131:132], v[157:158], v[135:136], v[131:132]
	s_waitcnt vmcnt(5)
	v_fma_f64 v[135:136], v[141:142], v[137:138], v[131:132]
	ds_read2_b64 v[131:134], v130 offset0:125 offset1:126
	ds_read_b64 v[137:138], v130 offset:1016
	s_waitcnt vmcnt(4) lgkmcnt(1)
	v_fma_f64 v[131:132], v[171:172], v[131:132], v[135:136]
	s_waitcnt vmcnt(3)
	v_fma_f64 v[131:132], v[165:166], v[133:134], v[131:132]
	s_waitcnt vmcnt(2) lgkmcnt(0)
	v_fma_f64 v[131:132], v[163:164], v[137:138], v[131:132]
	s_waitcnt vmcnt(0)
	v_add_f64 v[131:132], v[143:144], -v[131:132]
	buffer_store_dword v132, off, s[0:3], 0 offset:68
	buffer_store_dword v131, off, s[0:3], 0 offset:64
	v_cmpx_lt_u32_e32 7, v0
	s_cbranch_execz .LBB63_379
; %bb.378:
	s_clause 0x1
	buffer_load_dword v131, off, s[0:3], 0 offset:56
	buffer_load_dword v132, off, s[0:3], 0 offset:60
	buffer_store_dword v130, off, s[0:3], 0 offset:56
	buffer_store_dword v130, off, s[0:3], 0 offset:60
	s_waitcnt vmcnt(0)
	ds_write_b64 v129, v[131:132]
.LBB63_379:
	s_or_b32 exec_lo, exec_lo, s4
	s_waitcnt lgkmcnt(0)
	s_waitcnt_vscnt null, 0x0
	s_barrier
	buffer_gl0_inv
	s_clause 0x1c
	buffer_load_dword v139, off, s[0:3], 0 offset:64
	buffer_load_dword v140, off, s[0:3], 0 offset:68
	buffer_load_dword v141, off, s[0:3], 0 offset:72
	buffer_load_dword v142, off, s[0:3], 0 offset:76
	buffer_load_dword v143, off, s[0:3], 0 offset:80
	buffer_load_dword v144, off, s[0:3], 0 offset:84
	buffer_load_dword v145, off, s[0:3], 0 offset:88
	buffer_load_dword v146, off, s[0:3], 0 offset:92
	buffer_load_dword v147, off, s[0:3], 0 offset:96
	buffer_load_dword v148, off, s[0:3], 0 offset:100
	buffer_load_dword v149, off, s[0:3], 0 offset:104
	buffer_load_dword v150, off, s[0:3], 0 offset:108
	buffer_load_dword v151, off, s[0:3], 0 offset:112
	buffer_load_dword v152, off, s[0:3], 0 offset:116
	buffer_load_dword v154, off, s[0:3], 0 offset:124
	buffer_load_dword v155, off, s[0:3], 0 offset:144
	buffer_load_dword v157, off, s[0:3], 0 offset:136
	buffer_load_dword v159, off, s[0:3], 0 offset:128
	buffer_load_dword v153, off, s[0:3], 0 offset:120
	buffer_load_dword v160, off, s[0:3], 0 offset:132
	buffer_load_dword v158, off, s[0:3], 0 offset:140
	buffer_load_dword v156, off, s[0:3], 0 offset:148
	buffer_load_dword v162, off, s[0:3], 0 offset:156
	buffer_load_dword v163, off, s[0:3], 0 offset:176
	buffer_load_dword v165, off, s[0:3], 0 offset:168
	buffer_load_dword v167, off, s[0:3], 0 offset:160
	buffer_load_dword v161, off, s[0:3], 0 offset:152
	buffer_load_dword v168, off, s[0:3], 0 offset:164
	buffer_load_dword v166, off, s[0:3], 0 offset:172
	ds_read_b128 v[131:134], v130 offset:576
	ds_read_b128 v[135:138], v130 offset:592
	buffer_load_dword v164, off, s[0:3], 0 offset:180
	s_mov_b32 s4, exec_lo
	s_waitcnt vmcnt(28) lgkmcnt(1)
	v_fma_f64 v[131:132], v[139:140], v[131:132], 0
	s_clause 0x7
	buffer_load_dword v140, off, s[0:3], 0 offset:188
	buffer_load_dword v169, off, s[0:3], 0 offset:208
	buffer_load_dword v171, off, s[0:3], 0 offset:200
	buffer_load_dword v173, off, s[0:3], 0 offset:192
	buffer_load_dword v139, off, s[0:3], 0 offset:184
	buffer_load_dword v174, off, s[0:3], 0 offset:196
	buffer_load_dword v172, off, s[0:3], 0 offset:204
	buffer_load_dword v170, off, s[0:3], 0 offset:212
	s_waitcnt vmcnt(34)
	v_fma_f64 v[131:132], v[141:142], v[133:134], v[131:132]
	s_waitcnt vmcnt(32) lgkmcnt(0)
	v_fma_f64 v[131:132], v[143:144], v[135:136], v[131:132]
	s_waitcnt vmcnt(30)
	v_fma_f64 v[141:142], v[145:146], v[137:138], v[131:132]
	ds_read_b128 v[131:134], v130 offset:608
	ds_read_b128 v[135:138], v130 offset:624
	s_waitcnt vmcnt(28) lgkmcnt(1)
	v_fma_f64 v[131:132], v[147:148], v[131:132], v[141:142]
	s_clause 0x7
	buffer_load_dword v142, off, s[0:3], 0 offset:220
	buffer_load_dword v143, off, s[0:3], 0 offset:240
	buffer_load_dword v145, off, s[0:3], 0 offset:232
	buffer_load_dword v147, off, s[0:3], 0 offset:224
	buffer_load_dword v141, off, s[0:3], 0 offset:216
	buffer_load_dword v148, off, s[0:3], 0 offset:228
	buffer_load_dword v146, off, s[0:3], 0 offset:236
	buffer_load_dword v144, off, s[0:3], 0 offset:244
	s_waitcnt vmcnt(34)
	v_fma_f64 v[131:132], v[149:150], v[133:134], v[131:132]
	s_waitcnt vmcnt(32) lgkmcnt(0)
	v_fma_f64 v[131:132], v[151:152], v[135:136], v[131:132]
	s_waitcnt vmcnt(27)
	v_fma_f64 v[149:150], v[153:154], v[137:138], v[131:132]
	ds_read_b128 v[131:134], v130 offset:640
	ds_read_b128 v[135:138], v130 offset:656
	;; [unrolled: 19-line block ×10, first 2 shown]
	s_waitcnt vmcnt(26) lgkmcnt(1)
	v_fma_f64 v[131:132], v[159:160], v[131:132], v[143:144]
	s_clause 0x3
	buffer_load_dword v144, off, s[0:3], 0 offset:508
	buffer_load_dword v143, off, s[0:3], 0 offset:504
	;; [unrolled: 1-line block ×4, first 2 shown]
	s_waitcnt vmcnt(29)
	v_fma_f64 v[131:132], v[149:150], v[133:134], v[131:132]
	s_waitcnt vmcnt(28) lgkmcnt(0)
	v_fma_f64 v[131:132], v[145:146], v[135:136], v[131:132]
	s_waitcnt vmcnt(23)
	v_fma_f64 v[145:146], v[151:152], v[137:138], v[131:132]
	ds_read_b128 v[131:134], v130 offset:928
	ds_read_b128 v[135:138], v130 offset:944
	s_waitcnt vmcnt(22) lgkmcnt(1)
	v_fma_f64 v[131:132], v[167:168], v[131:132], v[145:146]
	s_waitcnt vmcnt(21)
	v_fma_f64 v[131:132], v[155:156], v[133:134], v[131:132]
	s_waitcnt vmcnt(20) lgkmcnt(0)
	v_fma_f64 v[131:132], v[153:154], v[135:136], v[131:132]
	s_waitcnt vmcnt(15)
	v_fma_f64 v[139:140], v[139:140], v[137:138], v[131:132]
	ds_read_b128 v[131:134], v130 offset:960
	ds_read_b128 v[135:138], v130 offset:976
	s_waitcnt vmcnt(14) lgkmcnt(1)
	v_fma_f64 v[131:132], v[173:174], v[131:132], v[139:140]
	;; [unrolled: 10-line block ×3, first 2 shown]
	s_waitcnt vmcnt(5)
	v_fma_f64 v[130:131], v[165:166], v[133:134], v[130:131]
	s_waitcnt vmcnt(4) lgkmcnt(0)
	v_fma_f64 v[130:131], v[163:164], v[135:136], v[130:131]
	s_waitcnt vmcnt(2)
	v_fma_f64 v[130:131], v[143:144], v[137:138], v[130:131]
	s_waitcnt vmcnt(0)
	v_add_f64 v[130:131], v[147:148], -v[130:131]
	buffer_store_dword v131, off, s[0:3], 0 offset:60
	buffer_store_dword v130, off, s[0:3], 0 offset:56
	v_cmpx_lt_u32_e32 6, v0
	s_cbranch_execz .LBB63_381
; %bb.380:
	s_clause 0x1
	buffer_load_dword v130, off, s[0:3], 0 offset:48
	buffer_load_dword v131, off, s[0:3], 0 offset:52
	v_mov_b32_e32 v132, 0
	buffer_store_dword v132, off, s[0:3], 0 offset:48
	buffer_store_dword v132, off, s[0:3], 0 offset:52
	s_waitcnt vmcnt(0)
	ds_write_b64 v129, v[130:131]
.LBB63_381:
	s_or_b32 exec_lo, exec_lo, s4
	s_waitcnt lgkmcnt(0)
	s_waitcnt_vscnt null, 0x0
	s_barrier
	buffer_gl0_inv
	s_clause 0x1c
	buffer_load_dword v139, off, s[0:3], 0 offset:56
	buffer_load_dword v140, off, s[0:3], 0 offset:60
	;; [unrolled: 1-line block ×29, first 2 shown]
	v_mov_b32_e32 v130, 0
	buffer_load_dword v164, off, s[0:3], 0 offset:172
	s_mov_b32 s4, exec_lo
	ds_read2_b64 v[131:134], v130 offset0:71 offset1:72
	ds_read2_b64 v[135:138], v130 offset0:73 offset1:74
	s_waitcnt vmcnt(28) lgkmcnt(1)
	v_fma_f64 v[131:132], v[139:140], v[131:132], 0
	s_clause 0x7
	buffer_load_dword v140, off, s[0:3], 0 offset:180
	buffer_load_dword v169, off, s[0:3], 0 offset:200
	buffer_load_dword v171, off, s[0:3], 0 offset:192
	buffer_load_dword v173, off, s[0:3], 0 offset:184
	buffer_load_dword v139, off, s[0:3], 0 offset:176
	buffer_load_dword v174, off, s[0:3], 0 offset:188
	buffer_load_dword v172, off, s[0:3], 0 offset:196
	buffer_load_dword v170, off, s[0:3], 0 offset:204
	s_waitcnt vmcnt(34)
	v_fma_f64 v[131:132], v[141:142], v[133:134], v[131:132]
	s_waitcnt vmcnt(32) lgkmcnt(0)
	v_fma_f64 v[131:132], v[143:144], v[135:136], v[131:132]
	s_waitcnt vmcnt(30)
	v_fma_f64 v[141:142], v[145:146], v[137:138], v[131:132]
	ds_read2_b64 v[131:134], v130 offset0:75 offset1:76
	ds_read2_b64 v[135:138], v130 offset0:77 offset1:78
	s_waitcnt vmcnt(28) lgkmcnt(1)
	v_fma_f64 v[131:132], v[147:148], v[131:132], v[141:142]
	s_clause 0x7
	buffer_load_dword v142, off, s[0:3], 0 offset:212
	buffer_load_dword v143, off, s[0:3], 0 offset:232
	buffer_load_dword v145, off, s[0:3], 0 offset:224
	buffer_load_dword v147, off, s[0:3], 0 offset:216
	buffer_load_dword v141, off, s[0:3], 0 offset:208
	buffer_load_dword v148, off, s[0:3], 0 offset:220
	buffer_load_dword v146, off, s[0:3], 0 offset:228
	buffer_load_dword v144, off, s[0:3], 0 offset:236
	s_waitcnt vmcnt(34)
	v_fma_f64 v[131:132], v[149:150], v[133:134], v[131:132]
	s_waitcnt vmcnt(32) lgkmcnt(0)
	v_fma_f64 v[131:132], v[151:152], v[135:136], v[131:132]
	s_waitcnt vmcnt(27)
	v_fma_f64 v[149:150], v[153:154], v[137:138], v[131:132]
	;; [unrolled: 19-line block ×10, first 2 shown]
	ds_read2_b64 v[131:134], v130 offset0:111 offset1:112
	ds_read2_b64 v[135:138], v130 offset0:113 offset1:114
	s_waitcnt vmcnt(26) lgkmcnt(1)
	v_fma_f64 v[131:132], v[159:160], v[131:132], v[143:144]
	s_clause 0x3
	buffer_load_dword v144, off, s[0:3], 0 offset:500
	buffer_load_dword v147, off, s[0:3], 0 offset:504
	;; [unrolled: 1-line block ×4, first 2 shown]
	s_waitcnt vmcnt(29)
	v_fma_f64 v[131:132], v[149:150], v[133:134], v[131:132]
	s_waitcnt vmcnt(28) lgkmcnt(0)
	v_fma_f64 v[131:132], v[145:146], v[135:136], v[131:132]
	s_clause 0x1
	buffer_load_dword v145, off, s[0:3], 0 offset:48
	buffer_load_dword v146, off, s[0:3], 0 offset:52
	s_waitcnt vmcnt(25)
	v_fma_f64 v[149:150], v[151:152], v[137:138], v[131:132]
	ds_read2_b64 v[131:134], v130 offset0:115 offset1:116
	ds_read2_b64 v[135:138], v130 offset0:117 offset1:118
	s_waitcnt vmcnt(24) lgkmcnt(1)
	v_fma_f64 v[131:132], v[167:168], v[131:132], v[149:150]
	s_waitcnt vmcnt(23)
	v_fma_f64 v[131:132], v[155:156], v[133:134], v[131:132]
	s_waitcnt vmcnt(22) lgkmcnt(0)
	v_fma_f64 v[131:132], v[153:154], v[135:136], v[131:132]
	s_waitcnt vmcnt(17)
	v_fma_f64 v[139:140], v[139:140], v[137:138], v[131:132]
	ds_read2_b64 v[131:134], v130 offset0:119 offset1:120
	ds_read2_b64 v[135:138], v130 offset0:121 offset1:122
	s_waitcnt vmcnt(16) lgkmcnt(1)
	v_fma_f64 v[131:132], v[173:174], v[131:132], v[139:140]
	s_waitcnt vmcnt(15)
	v_fma_f64 v[131:132], v[161:162], v[133:134], v[131:132]
	s_waitcnt vmcnt(14) lgkmcnt(0)
	v_fma_f64 v[131:132], v[157:158], v[135:136], v[131:132]
	s_waitcnt vmcnt(9)
	v_fma_f64 v[139:140], v[141:142], v[137:138], v[131:132]
	ds_read2_b64 v[131:134], v130 offset0:123 offset1:124
	ds_read2_b64 v[135:138], v130 offset0:125 offset1:126
	s_waitcnt vmcnt(8) lgkmcnt(1)
	v_fma_f64 v[131:132], v[171:172], v[131:132], v[139:140]
	s_waitcnt vmcnt(7)
	v_fma_f64 v[131:132], v[165:166], v[133:134], v[131:132]
	ds_read_b64 v[133:134], v130 offset:1016
	s_waitcnt vmcnt(6) lgkmcnt(1)
	v_fma_f64 v[131:132], v[163:164], v[135:136], v[131:132]
	s_waitcnt vmcnt(3)
	v_fma_f64 v[131:132], v[143:144], v[137:138], v[131:132]
	s_waitcnt vmcnt(2) lgkmcnt(0)
	v_fma_f64 v[131:132], v[147:148], v[133:134], v[131:132]
	s_waitcnt vmcnt(0)
	v_add_f64 v[131:132], v[145:146], -v[131:132]
	buffer_store_dword v132, off, s[0:3], 0 offset:52
	buffer_store_dword v131, off, s[0:3], 0 offset:48
	v_cmpx_lt_u32_e32 5, v0
	s_cbranch_execz .LBB63_383
; %bb.382:
	s_clause 0x1
	buffer_load_dword v131, off, s[0:3], 0 offset:40
	buffer_load_dword v132, off, s[0:3], 0 offset:44
	buffer_store_dword v130, off, s[0:3], 0 offset:40
	buffer_store_dword v130, off, s[0:3], 0 offset:44
	s_waitcnt vmcnt(0)
	ds_write_b64 v129, v[131:132]
.LBB63_383:
	s_or_b32 exec_lo, exec_lo, s4
	s_waitcnt lgkmcnt(0)
	s_waitcnt_vscnt null, 0x0
	s_barrier
	buffer_gl0_inv
	s_clause 0x1c
	buffer_load_dword v139, off, s[0:3], 0 offset:48
	buffer_load_dword v140, off, s[0:3], 0 offset:52
	;; [unrolled: 1-line block ×29, first 2 shown]
	ds_read_b128 v[131:134], v130 offset:560
	ds_read_b128 v[135:138], v130 offset:576
	buffer_load_dword v164, off, s[0:3], 0 offset:164
	s_mov_b32 s4, exec_lo
	s_waitcnt vmcnt(28) lgkmcnt(1)
	v_fma_f64 v[131:132], v[139:140], v[131:132], 0
	s_clause 0x7
	buffer_load_dword v140, off, s[0:3], 0 offset:172
	buffer_load_dword v169, off, s[0:3], 0 offset:192
	buffer_load_dword v171, off, s[0:3], 0 offset:184
	buffer_load_dword v173, off, s[0:3], 0 offset:176
	buffer_load_dword v139, off, s[0:3], 0 offset:168
	buffer_load_dword v174, off, s[0:3], 0 offset:180
	buffer_load_dword v172, off, s[0:3], 0 offset:188
	buffer_load_dword v170, off, s[0:3], 0 offset:196
	s_waitcnt vmcnt(34)
	v_fma_f64 v[131:132], v[141:142], v[133:134], v[131:132]
	s_waitcnt vmcnt(32) lgkmcnt(0)
	v_fma_f64 v[131:132], v[143:144], v[135:136], v[131:132]
	s_waitcnt vmcnt(30)
	v_fma_f64 v[141:142], v[145:146], v[137:138], v[131:132]
	ds_read_b128 v[131:134], v130 offset:592
	ds_read_b128 v[135:138], v130 offset:608
	s_waitcnt vmcnt(28) lgkmcnt(1)
	v_fma_f64 v[131:132], v[147:148], v[131:132], v[141:142]
	s_clause 0x7
	buffer_load_dword v142, off, s[0:3], 0 offset:204
	buffer_load_dword v143, off, s[0:3], 0 offset:224
	buffer_load_dword v145, off, s[0:3], 0 offset:216
	buffer_load_dword v147, off, s[0:3], 0 offset:208
	buffer_load_dword v141, off, s[0:3], 0 offset:200
	buffer_load_dword v148, off, s[0:3], 0 offset:212
	buffer_load_dword v146, off, s[0:3], 0 offset:220
	buffer_load_dword v144, off, s[0:3], 0 offset:228
	s_waitcnt vmcnt(34)
	v_fma_f64 v[131:132], v[149:150], v[133:134], v[131:132]
	s_waitcnt vmcnt(32) lgkmcnt(0)
	v_fma_f64 v[131:132], v[151:152], v[135:136], v[131:132]
	s_waitcnt vmcnt(27)
	v_fma_f64 v[149:150], v[153:154], v[137:138], v[131:132]
	ds_read_b128 v[131:134], v130 offset:624
	ds_read_b128 v[135:138], v130 offset:640
	;; [unrolled: 19-line block ×10, first 2 shown]
	s_waitcnt vmcnt(26) lgkmcnt(1)
	v_fma_f64 v[131:132], v[159:160], v[131:132], v[143:144]
	s_clause 0x5
	buffer_load_dword v144, off, s[0:3], 0 offset:492
	buffer_load_dword v147, off, s[0:3], 0 offset:504
	;; [unrolled: 1-line block ×6, first 2 shown]
	s_waitcnt vmcnt(31)
	v_fma_f64 v[131:132], v[149:150], v[133:134], v[131:132]
	s_waitcnt vmcnt(30) lgkmcnt(0)
	v_fma_f64 v[131:132], v[145:146], v[135:136], v[131:132]
	s_waitcnt vmcnt(25)
	v_fma_f64 v[145:146], v[151:152], v[137:138], v[131:132]
	ds_read_b128 v[131:134], v130 offset:912
	s_clause 0x1
	buffer_load_dword v149, off, s[0:3], 0 offset:40
	buffer_load_dword v150, off, s[0:3], 0 offset:44
	ds_read_b128 v[135:138], v130 offset:928
	s_waitcnt vmcnt(26) lgkmcnt(1)
	v_fma_f64 v[131:132], v[167:168], v[131:132], v[145:146]
	s_waitcnt vmcnt(25)
	v_fma_f64 v[131:132], v[155:156], v[133:134], v[131:132]
	s_waitcnt vmcnt(24) lgkmcnt(0)
	v_fma_f64 v[131:132], v[153:154], v[135:136], v[131:132]
	s_waitcnt vmcnt(19)
	v_fma_f64 v[139:140], v[139:140], v[137:138], v[131:132]
	ds_read_b128 v[131:134], v130 offset:944
	ds_read_b128 v[135:138], v130 offset:960
	s_waitcnt vmcnt(18) lgkmcnt(1)
	v_fma_f64 v[131:132], v[173:174], v[131:132], v[139:140]
	s_waitcnt vmcnt(17)
	v_fma_f64 v[131:132], v[161:162], v[133:134], v[131:132]
	s_waitcnt vmcnt(16) lgkmcnt(0)
	v_fma_f64 v[131:132], v[157:158], v[135:136], v[131:132]
	s_waitcnt vmcnt(11)
	v_fma_f64 v[139:140], v[141:142], v[137:138], v[131:132]
	ds_read_b128 v[131:134], v130 offset:976
	;; [unrolled: 10-line block ×3, first 2 shown]
	s_waitcnt vmcnt(3) lgkmcnt(0)
	v_fma_f64 v[130:131], v[159:160], v[130:131], v[134:135]
	s_waitcnt vmcnt(2)
	v_fma_f64 v[130:131], v[147:148], v[132:133], v[130:131]
	s_waitcnt vmcnt(0)
	v_add_f64 v[130:131], v[149:150], -v[130:131]
	buffer_store_dword v131, off, s[0:3], 0 offset:44
	buffer_store_dword v130, off, s[0:3], 0 offset:40
	v_cmpx_lt_u32_e32 4, v0
	s_cbranch_execz .LBB63_385
; %bb.384:
	s_clause 0x1
	buffer_load_dword v130, off, s[0:3], 0 offset:32
	buffer_load_dword v131, off, s[0:3], 0 offset:36
	v_mov_b32_e32 v132, 0
	buffer_store_dword v132, off, s[0:3], 0 offset:32
	buffer_store_dword v132, off, s[0:3], 0 offset:36
	s_waitcnt vmcnt(0)
	ds_write_b64 v129, v[130:131]
.LBB63_385:
	s_or_b32 exec_lo, exec_lo, s4
	s_waitcnt lgkmcnt(0)
	s_waitcnt_vscnt null, 0x0
	s_barrier
	buffer_gl0_inv
	s_clause 0x1c
	buffer_load_dword v139, off, s[0:3], 0 offset:40
	buffer_load_dword v140, off, s[0:3], 0 offset:44
	;; [unrolled: 1-line block ×29, first 2 shown]
	v_mov_b32_e32 v130, 0
	buffer_load_dword v164, off, s[0:3], 0 offset:156
	s_mov_b32 s4, exec_lo
	ds_read2_b64 v[131:134], v130 offset0:69 offset1:70
	ds_read2_b64 v[135:138], v130 offset0:71 offset1:72
	s_waitcnt vmcnt(28) lgkmcnt(1)
	v_fma_f64 v[131:132], v[139:140], v[131:132], 0
	s_clause 0x7
	buffer_load_dword v140, off, s[0:3], 0 offset:164
	buffer_load_dword v169, off, s[0:3], 0 offset:184
	buffer_load_dword v171, off, s[0:3], 0 offset:176
	buffer_load_dword v173, off, s[0:3], 0 offset:168
	buffer_load_dword v139, off, s[0:3], 0 offset:160
	buffer_load_dword v174, off, s[0:3], 0 offset:172
	buffer_load_dword v172, off, s[0:3], 0 offset:180
	buffer_load_dword v170, off, s[0:3], 0 offset:188
	s_waitcnt vmcnt(34)
	v_fma_f64 v[131:132], v[141:142], v[133:134], v[131:132]
	s_waitcnt vmcnt(32) lgkmcnt(0)
	v_fma_f64 v[131:132], v[143:144], v[135:136], v[131:132]
	s_waitcnt vmcnt(30)
	v_fma_f64 v[141:142], v[145:146], v[137:138], v[131:132]
	ds_read2_b64 v[131:134], v130 offset0:73 offset1:74
	ds_read2_b64 v[135:138], v130 offset0:75 offset1:76
	s_waitcnt vmcnt(28) lgkmcnt(1)
	v_fma_f64 v[131:132], v[147:148], v[131:132], v[141:142]
	s_clause 0x7
	buffer_load_dword v142, off, s[0:3], 0 offset:196
	buffer_load_dword v143, off, s[0:3], 0 offset:216
	buffer_load_dword v145, off, s[0:3], 0 offset:208
	buffer_load_dword v147, off, s[0:3], 0 offset:200
	buffer_load_dword v141, off, s[0:3], 0 offset:192
	buffer_load_dword v148, off, s[0:3], 0 offset:204
	buffer_load_dword v146, off, s[0:3], 0 offset:212
	buffer_load_dword v144, off, s[0:3], 0 offset:220
	s_waitcnt vmcnt(34)
	v_fma_f64 v[131:132], v[149:150], v[133:134], v[131:132]
	s_waitcnt vmcnt(32) lgkmcnt(0)
	v_fma_f64 v[131:132], v[151:152], v[135:136], v[131:132]
	s_waitcnt vmcnt(27)
	v_fma_f64 v[149:150], v[153:154], v[137:138], v[131:132]
	;; [unrolled: 19-line block ×11, first 2 shown]
	ds_read2_b64 v[131:134], v130 offset0:113 offset1:114
	ds_read2_b64 v[135:138], v130 offset0:115 offset1:116
	s_waitcnt vmcnt(26) lgkmcnt(1)
	v_fma_f64 v[131:132], v[167:168], v[131:132], v[145:146]
	s_clause 0x1
	buffer_load_dword v145, off, s[0:3], 0 offset:32
	buffer_load_dword v146, off, s[0:3], 0 offset:36
	s_waitcnt vmcnt(27)
	v_fma_f64 v[131:132], v[155:156], v[133:134], v[131:132]
	s_waitcnt vmcnt(26) lgkmcnt(0)
	v_fma_f64 v[131:132], v[153:154], v[135:136], v[131:132]
	s_waitcnt vmcnt(21)
	v_fma_f64 v[139:140], v[139:140], v[137:138], v[131:132]
	ds_read2_b64 v[131:134], v130 offset0:117 offset1:118
	ds_read2_b64 v[135:138], v130 offset0:119 offset1:120
	s_waitcnt vmcnt(20) lgkmcnt(1)
	v_fma_f64 v[131:132], v[173:174], v[131:132], v[139:140]
	s_waitcnt vmcnt(19)
	v_fma_f64 v[131:132], v[161:162], v[133:134], v[131:132]
	s_waitcnt vmcnt(18) lgkmcnt(0)
	v_fma_f64 v[131:132], v[157:158], v[135:136], v[131:132]
	s_waitcnt vmcnt(13)
	v_fma_f64 v[139:140], v[141:142], v[137:138], v[131:132]
	ds_read2_b64 v[131:134], v130 offset0:121 offset1:122
	ds_read2_b64 v[135:138], v130 offset0:123 offset1:124
	s_waitcnt vmcnt(12) lgkmcnt(1)
	v_fma_f64 v[131:132], v[171:172], v[131:132], v[139:140]
	s_waitcnt vmcnt(11)
	v_fma_f64 v[131:132], v[165:166], v[133:134], v[131:132]
	s_waitcnt vmcnt(10) lgkmcnt(0)
	v_fma_f64 v[131:132], v[163:164], v[135:136], v[131:132]
	s_waitcnt vmcnt(5)
	v_fma_f64 v[135:136], v[143:144], v[137:138], v[131:132]
	ds_read2_b64 v[131:134], v130 offset0:125 offset1:126
	ds_read_b64 v[137:138], v130 offset:1016
	s_waitcnt vmcnt(4) lgkmcnt(1)
	v_fma_f64 v[131:132], v[169:170], v[131:132], v[135:136]
	s_waitcnt vmcnt(3)
	v_fma_f64 v[131:132], v[159:160], v[133:134], v[131:132]
	s_waitcnt vmcnt(2) lgkmcnt(0)
	v_fma_f64 v[131:132], v[147:148], v[137:138], v[131:132]
	s_waitcnt vmcnt(0)
	v_add_f64 v[131:132], v[145:146], -v[131:132]
	buffer_store_dword v132, off, s[0:3], 0 offset:36
	buffer_store_dword v131, off, s[0:3], 0 offset:32
	v_cmpx_lt_u32_e32 3, v0
	s_cbranch_execz .LBB63_387
; %bb.386:
	s_clause 0x1
	buffer_load_dword v131, off, s[0:3], 0 offset:24
	buffer_load_dword v132, off, s[0:3], 0 offset:28
	buffer_store_dword v130, off, s[0:3], 0 offset:24
	buffer_store_dword v130, off, s[0:3], 0 offset:28
	s_waitcnt vmcnt(0)
	ds_write_b64 v129, v[131:132]
.LBB63_387:
	s_or_b32 exec_lo, exec_lo, s4
	s_waitcnt lgkmcnt(0)
	s_waitcnt_vscnt null, 0x0
	s_barrier
	buffer_gl0_inv
	s_clause 0x1c
	buffer_load_dword v139, off, s[0:3], 0 offset:32
	buffer_load_dword v140, off, s[0:3], 0 offset:36
	;; [unrolled: 1-line block ×29, first 2 shown]
	ds_read_b128 v[131:134], v130 offset:544
	ds_read_b128 v[135:138], v130 offset:560
	buffer_load_dword v164, off, s[0:3], 0 offset:148
	s_mov_b32 s4, exec_lo
	s_waitcnt vmcnt(28) lgkmcnt(1)
	v_fma_f64 v[131:132], v[139:140], v[131:132], 0
	s_clause 0x7
	buffer_load_dword v140, off, s[0:3], 0 offset:156
	buffer_load_dword v169, off, s[0:3], 0 offset:176
	buffer_load_dword v171, off, s[0:3], 0 offset:168
	buffer_load_dword v173, off, s[0:3], 0 offset:160
	buffer_load_dword v139, off, s[0:3], 0 offset:152
	buffer_load_dword v174, off, s[0:3], 0 offset:164
	buffer_load_dword v172, off, s[0:3], 0 offset:172
	buffer_load_dword v170, off, s[0:3], 0 offset:180
	s_waitcnt vmcnt(34)
	v_fma_f64 v[131:132], v[141:142], v[133:134], v[131:132]
	s_waitcnt vmcnt(32) lgkmcnt(0)
	v_fma_f64 v[131:132], v[143:144], v[135:136], v[131:132]
	s_waitcnt vmcnt(30)
	v_fma_f64 v[141:142], v[145:146], v[137:138], v[131:132]
	ds_read_b128 v[131:134], v130 offset:576
	ds_read_b128 v[135:138], v130 offset:592
	s_waitcnt vmcnt(28) lgkmcnt(1)
	v_fma_f64 v[131:132], v[147:148], v[131:132], v[141:142]
	s_clause 0x7
	buffer_load_dword v142, off, s[0:3], 0 offset:188
	buffer_load_dword v143, off, s[0:3], 0 offset:208
	buffer_load_dword v145, off, s[0:3], 0 offset:200
	buffer_load_dword v147, off, s[0:3], 0 offset:192
	buffer_load_dword v141, off, s[0:3], 0 offset:184
	buffer_load_dword v148, off, s[0:3], 0 offset:196
	buffer_load_dword v146, off, s[0:3], 0 offset:204
	buffer_load_dword v144, off, s[0:3], 0 offset:212
	s_waitcnt vmcnt(34)
	v_fma_f64 v[131:132], v[149:150], v[133:134], v[131:132]
	s_waitcnt vmcnt(32) lgkmcnt(0)
	v_fma_f64 v[131:132], v[151:152], v[135:136], v[131:132]
	s_waitcnt vmcnt(27)
	v_fma_f64 v[149:150], v[153:154], v[137:138], v[131:132]
	ds_read_b128 v[131:134], v130 offset:608
	ds_read_b128 v[135:138], v130 offset:624
	;; [unrolled: 19-line block ×11, first 2 shown]
	s_waitcnt vmcnt(26) lgkmcnt(1)
	v_fma_f64 v[131:132], v[167:168], v[131:132], v[145:146]
	s_clause 0x3
	buffer_load_dword v146, off, s[0:3], 0 offset:508
	buffer_load_dword v145, off, s[0:3], 0 offset:504
	;; [unrolled: 1-line block ×4, first 2 shown]
	s_waitcnt vmcnt(29)
	v_fma_f64 v[131:132], v[155:156], v[133:134], v[131:132]
	s_waitcnt vmcnt(28) lgkmcnt(0)
	v_fma_f64 v[131:132], v[153:154], v[135:136], v[131:132]
	s_waitcnt vmcnt(23)
	v_fma_f64 v[139:140], v[139:140], v[137:138], v[131:132]
	ds_read_b128 v[131:134], v130 offset:928
	ds_read_b128 v[135:138], v130 offset:944
	s_waitcnt vmcnt(22) lgkmcnt(1)
	v_fma_f64 v[131:132], v[173:174], v[131:132], v[139:140]
	s_waitcnt vmcnt(21)
	v_fma_f64 v[131:132], v[161:162], v[133:134], v[131:132]
	s_waitcnt vmcnt(20) lgkmcnt(0)
	v_fma_f64 v[131:132], v[157:158], v[135:136], v[131:132]
	s_waitcnt vmcnt(15)
	v_fma_f64 v[139:140], v[141:142], v[137:138], v[131:132]
	ds_read_b128 v[131:134], v130 offset:960
	ds_read_b128 v[135:138], v130 offset:976
	s_waitcnt vmcnt(14) lgkmcnt(1)
	v_fma_f64 v[131:132], v[171:172], v[131:132], v[139:140]
	;; [unrolled: 10-line block ×3, first 2 shown]
	s_waitcnt vmcnt(5)
	v_fma_f64 v[130:131], v[159:160], v[133:134], v[130:131]
	s_waitcnt vmcnt(4) lgkmcnt(0)
	v_fma_f64 v[130:131], v[147:148], v[135:136], v[130:131]
	s_waitcnt vmcnt(2)
	v_fma_f64 v[130:131], v[145:146], v[137:138], v[130:131]
	s_waitcnt vmcnt(0)
	v_add_f64 v[130:131], v[149:150], -v[130:131]
	buffer_store_dword v131, off, s[0:3], 0 offset:28
	buffer_store_dword v130, off, s[0:3], 0 offset:24
	v_cmpx_lt_u32_e32 2, v0
	s_cbranch_execz .LBB63_389
; %bb.388:
	s_clause 0x1
	buffer_load_dword v130, off, s[0:3], 0 offset:16
	buffer_load_dword v131, off, s[0:3], 0 offset:20
	v_mov_b32_e32 v132, 0
	buffer_store_dword v132, off, s[0:3], 0 offset:16
	buffer_store_dword v132, off, s[0:3], 0 offset:20
	s_waitcnt vmcnt(0)
	ds_write_b64 v129, v[130:131]
.LBB63_389:
	s_or_b32 exec_lo, exec_lo, s4
	s_waitcnt lgkmcnt(0)
	s_waitcnt_vscnt null, 0x0
	s_barrier
	buffer_gl0_inv
	s_clause 0x1c
	buffer_load_dword v139, off, s[0:3], 0 offset:24
	buffer_load_dword v140, off, s[0:3], 0 offset:28
	;; [unrolled: 1-line block ×29, first 2 shown]
	v_mov_b32_e32 v130, 0
	buffer_load_dword v164, off, s[0:3], 0 offset:140
	s_mov_b32 s4, exec_lo
	ds_read2_b64 v[131:134], v130 offset0:67 offset1:68
	ds_read2_b64 v[135:138], v130 offset0:69 offset1:70
	s_waitcnt vmcnt(28) lgkmcnt(1)
	v_fma_f64 v[131:132], v[139:140], v[131:132], 0
	s_clause 0x7
	buffer_load_dword v140, off, s[0:3], 0 offset:148
	buffer_load_dword v169, off, s[0:3], 0 offset:168
	buffer_load_dword v171, off, s[0:3], 0 offset:160
	buffer_load_dword v173, off, s[0:3], 0 offset:152
	buffer_load_dword v139, off, s[0:3], 0 offset:144
	buffer_load_dword v174, off, s[0:3], 0 offset:156
	buffer_load_dword v172, off, s[0:3], 0 offset:164
	buffer_load_dword v170, off, s[0:3], 0 offset:172
	s_waitcnt vmcnt(34)
	v_fma_f64 v[131:132], v[141:142], v[133:134], v[131:132]
	s_waitcnt vmcnt(32) lgkmcnt(0)
	v_fma_f64 v[131:132], v[143:144], v[135:136], v[131:132]
	s_waitcnt vmcnt(30)
	v_fma_f64 v[141:142], v[145:146], v[137:138], v[131:132]
	ds_read2_b64 v[131:134], v130 offset0:71 offset1:72
	ds_read2_b64 v[135:138], v130 offset0:73 offset1:74
	s_waitcnt vmcnt(28) lgkmcnt(1)
	v_fma_f64 v[131:132], v[147:148], v[131:132], v[141:142]
	s_clause 0x7
	buffer_load_dword v142, off, s[0:3], 0 offset:180
	buffer_load_dword v143, off, s[0:3], 0 offset:200
	buffer_load_dword v145, off, s[0:3], 0 offset:192
	buffer_load_dword v147, off, s[0:3], 0 offset:184
	buffer_load_dword v141, off, s[0:3], 0 offset:176
	buffer_load_dword v148, off, s[0:3], 0 offset:188
	buffer_load_dword v146, off, s[0:3], 0 offset:196
	buffer_load_dword v144, off, s[0:3], 0 offset:204
	s_waitcnt vmcnt(34)
	v_fma_f64 v[131:132], v[149:150], v[133:134], v[131:132]
	s_waitcnt vmcnt(32) lgkmcnt(0)
	v_fma_f64 v[131:132], v[151:152], v[135:136], v[131:132]
	s_waitcnt vmcnt(27)
	v_fma_f64 v[149:150], v[153:154], v[137:138], v[131:132]
	ds_read2_b64 v[131:134], v130 offset0:75 offset1:76
	ds_read2_b64 v[135:138], v130 offset0:77 offset1:78
	s_waitcnt vmcnt(26) lgkmcnt(1)
	v_fma_f64 v[131:132], v[159:160], v[131:132], v[149:150]
	s_clause 0x7
	buffer_load_dword v150, off, s[0:3], 0 offset:212
	buffer_load_dword v151, off, s[0:3], 0 offset:232
	buffer_load_dword v153, off, s[0:3], 0 offset:224
	buffer_load_dword v159, off, s[0:3], 0 offset:216
	buffer_load_dword v149, off, s[0:3], 0 offset:208
	buffer_load_dword v160, off, s[0:3], 0 offset:220
	buffer_load_dword v154, off, s[0:3], 0 offset:228
	buffer_load_dword v152, off, s[0:3], 0 offset:236
	s_waitcnt vmcnt(33)
	v_fma_f64 v[131:132], v[157:158], v[133:134], v[131:132]
	s_waitcnt vmcnt(32) lgkmcnt(0)
	v_fma_f64 v[131:132], v[155:156], v[135:136], v[131:132]
	s_waitcnt vmcnt(27)
	v_fma_f64 v[155:156], v[161:162], v[137:138], v[131:132]
	ds_read2_b64 v[131:134], v130 offset0:79 offset1:80
	ds_read2_b64 v[135:138], v130 offset0:81 offset1:82
	s_waitcnt vmcnt(26) lgkmcnt(1)
	v_fma_f64 v[131:132], v[167:168], v[131:132], v[155:156]
	s_clause 0x7
	buffer_load_dword v156, off, s[0:3], 0 offset:244
	buffer_load_dword v157, off, s[0:3], 0 offset:264
	buffer_load_dword v161, off, s[0:3], 0 offset:256
	buffer_load_dword v167, off, s[0:3], 0 offset:248
	buffer_load_dword v155, off, s[0:3], 0 offset:240
	buffer_load_dword v168, off, s[0:3], 0 offset:252
	buffer_load_dword v162, off, s[0:3], 0 offset:260
	buffer_load_dword v158, off, s[0:3], 0 offset:268
	s_waitcnt vmcnt(33)
	v_fma_f64 v[131:132], v[165:166], v[133:134], v[131:132]
	s_waitcnt vmcnt(32) lgkmcnt(0)
	v_fma_f64 v[131:132], v[163:164], v[135:136], v[131:132]
	s_waitcnt vmcnt(27)
	v_fma_f64 v[139:140], v[139:140], v[137:138], v[131:132]
	ds_read2_b64 v[131:134], v130 offset0:83 offset1:84
	ds_read2_b64 v[135:138], v130 offset0:85 offset1:86
	s_waitcnt vmcnt(26) lgkmcnt(1)
	v_fma_f64 v[131:132], v[173:174], v[131:132], v[139:140]
	s_clause 0x7
	buffer_load_dword v140, off, s[0:3], 0 offset:276
	buffer_load_dword v163, off, s[0:3], 0 offset:296
	buffer_load_dword v165, off, s[0:3], 0 offset:288
	buffer_load_dword v173, off, s[0:3], 0 offset:280
	buffer_load_dword v139, off, s[0:3], 0 offset:272
	buffer_load_dword v174, off, s[0:3], 0 offset:284
	buffer_load_dword v166, off, s[0:3], 0 offset:292
	buffer_load_dword v164, off, s[0:3], 0 offset:300
	s_waitcnt vmcnt(33)
	v_fma_f64 v[131:132], v[171:172], v[133:134], v[131:132]
	s_waitcnt vmcnt(32) lgkmcnt(0)
	v_fma_f64 v[131:132], v[169:170], v[135:136], v[131:132]
	s_waitcnt vmcnt(27)
	v_fma_f64 v[141:142], v[141:142], v[137:138], v[131:132]
	ds_read2_b64 v[131:134], v130 offset0:87 offset1:88
	ds_read2_b64 v[135:138], v130 offset0:89 offset1:90
	s_waitcnt vmcnt(26) lgkmcnt(1)
	v_fma_f64 v[131:132], v[147:148], v[131:132], v[141:142]
	s_clause 0x7
	buffer_load_dword v142, off, s[0:3], 0 offset:308
	buffer_load_dword v147, off, s[0:3], 0 offset:328
	buffer_load_dword v169, off, s[0:3], 0 offset:320
	buffer_load_dword v171, off, s[0:3], 0 offset:312
	buffer_load_dword v141, off, s[0:3], 0 offset:304
	buffer_load_dword v172, off, s[0:3], 0 offset:316
	buffer_load_dword v170, off, s[0:3], 0 offset:324
	buffer_load_dword v148, off, s[0:3], 0 offset:332
	s_waitcnt vmcnt(33)
	v_fma_f64 v[131:132], v[145:146], v[133:134], v[131:132]
	s_waitcnt vmcnt(32) lgkmcnt(0)
	v_fma_f64 v[131:132], v[143:144], v[135:136], v[131:132]
	s_waitcnt vmcnt(27)
	v_fma_f64 v[143:144], v[149:150], v[137:138], v[131:132]
	ds_read2_b64 v[131:134], v130 offset0:91 offset1:92
	ds_read2_b64 v[135:138], v130 offset0:93 offset1:94
	s_waitcnt vmcnt(26) lgkmcnt(1)
	v_fma_f64 v[131:132], v[159:160], v[131:132], v[143:144]
	s_clause 0x7
	buffer_load_dword v144, off, s[0:3], 0 offset:340
	buffer_load_dword v145, off, s[0:3], 0 offset:360
	buffer_load_dword v149, off, s[0:3], 0 offset:352
	buffer_load_dword v159, off, s[0:3], 0 offset:344
	buffer_load_dword v143, off, s[0:3], 0 offset:336
	buffer_load_dword v160, off, s[0:3], 0 offset:348
	buffer_load_dword v150, off, s[0:3], 0 offset:356
	buffer_load_dword v146, off, s[0:3], 0 offset:364
	s_waitcnt vmcnt(33)
	v_fma_f64 v[131:132], v[153:154], v[133:134], v[131:132]
	s_waitcnt vmcnt(32) lgkmcnt(0)
	v_fma_f64 v[131:132], v[151:152], v[135:136], v[131:132]
	s_waitcnt vmcnt(27)
	v_fma_f64 v[151:152], v[155:156], v[137:138], v[131:132]
	ds_read2_b64 v[131:134], v130 offset0:95 offset1:96
	ds_read2_b64 v[135:138], v130 offset0:97 offset1:98
	s_waitcnt vmcnt(26) lgkmcnt(1)
	v_fma_f64 v[131:132], v[167:168], v[131:132], v[151:152]
	s_clause 0x7
	buffer_load_dword v152, off, s[0:3], 0 offset:372
	buffer_load_dword v153, off, s[0:3], 0 offset:392
	buffer_load_dword v155, off, s[0:3], 0 offset:384
	buffer_load_dword v167, off, s[0:3], 0 offset:376
	buffer_load_dword v151, off, s[0:3], 0 offset:368
	buffer_load_dword v168, off, s[0:3], 0 offset:380
	buffer_load_dword v156, off, s[0:3], 0 offset:388
	buffer_load_dword v154, off, s[0:3], 0 offset:396
	s_waitcnt vmcnt(33)
	v_fma_f64 v[131:132], v[161:162], v[133:134], v[131:132]
	s_waitcnt vmcnt(32) lgkmcnt(0)
	v_fma_f64 v[131:132], v[157:158], v[135:136], v[131:132]
	s_waitcnt vmcnt(27)
	v_fma_f64 v[139:140], v[139:140], v[137:138], v[131:132]
	ds_read2_b64 v[131:134], v130 offset0:99 offset1:100
	ds_read2_b64 v[135:138], v130 offset0:101 offset1:102
	s_waitcnt vmcnt(26) lgkmcnt(1)
	v_fma_f64 v[131:132], v[173:174], v[131:132], v[139:140]
	s_clause 0x7
	buffer_load_dword v140, off, s[0:3], 0 offset:404
	buffer_load_dword v157, off, s[0:3], 0 offset:424
	buffer_load_dword v161, off, s[0:3], 0 offset:416
	buffer_load_dword v173, off, s[0:3], 0 offset:408
	buffer_load_dword v139, off, s[0:3], 0 offset:400
	buffer_load_dword v174, off, s[0:3], 0 offset:412
	buffer_load_dword v162, off, s[0:3], 0 offset:420
	buffer_load_dword v158, off, s[0:3], 0 offset:428
	s_waitcnt vmcnt(33)
	v_fma_f64 v[131:132], v[165:166], v[133:134], v[131:132]
	s_waitcnt vmcnt(32) lgkmcnt(0)
	v_fma_f64 v[131:132], v[163:164], v[135:136], v[131:132]
	s_waitcnt vmcnt(27)
	v_fma_f64 v[141:142], v[141:142], v[137:138], v[131:132]
	ds_read2_b64 v[131:134], v130 offset0:103 offset1:104
	ds_read2_b64 v[135:138], v130 offset0:105 offset1:106
	s_waitcnt vmcnt(26) lgkmcnt(1)
	v_fma_f64 v[131:132], v[171:172], v[131:132], v[141:142]
	s_clause 0x7
	buffer_load_dword v142, off, s[0:3], 0 offset:436
	buffer_load_dword v163, off, s[0:3], 0 offset:456
	buffer_load_dword v165, off, s[0:3], 0 offset:448
	buffer_load_dword v171, off, s[0:3], 0 offset:440
	buffer_load_dword v141, off, s[0:3], 0 offset:432
	buffer_load_dword v172, off, s[0:3], 0 offset:444
	buffer_load_dword v166, off, s[0:3], 0 offset:452
	buffer_load_dword v164, off, s[0:3], 0 offset:460
	s_waitcnt vmcnt(33)
	v_fma_f64 v[131:132], v[169:170], v[133:134], v[131:132]
	s_waitcnt vmcnt(32) lgkmcnt(0)
	v_fma_f64 v[131:132], v[147:148], v[135:136], v[131:132]
	s_waitcnt vmcnt(27)
	v_fma_f64 v[143:144], v[143:144], v[137:138], v[131:132]
	ds_read2_b64 v[131:134], v130 offset0:107 offset1:108
	ds_read2_b64 v[135:138], v130 offset0:109 offset1:110
	s_waitcnt vmcnt(26) lgkmcnt(1)
	v_fma_f64 v[131:132], v[159:160], v[131:132], v[143:144]
	s_clause 0x7
	buffer_load_dword v144, off, s[0:3], 0 offset:468
	buffer_load_dword v147, off, s[0:3], 0 offset:488
	buffer_load_dword v159, off, s[0:3], 0 offset:480
	buffer_load_dword v169, off, s[0:3], 0 offset:472
	buffer_load_dword v143, off, s[0:3], 0 offset:464
	buffer_load_dword v170, off, s[0:3], 0 offset:476
	buffer_load_dword v160, off, s[0:3], 0 offset:484
	buffer_load_dword v148, off, s[0:3], 0 offset:492
	s_waitcnt vmcnt(33)
	v_fma_f64 v[131:132], v[149:150], v[133:134], v[131:132]
	s_waitcnt vmcnt(32) lgkmcnt(0)
	v_fma_f64 v[131:132], v[145:146], v[135:136], v[131:132]
	s_waitcnt vmcnt(27)
	v_fma_f64 v[145:146], v[151:152], v[137:138], v[131:132]
	ds_read2_b64 v[131:134], v130 offset0:111 offset1:112
	ds_read2_b64 v[135:138], v130 offset0:113 offset1:114
	s_waitcnt vmcnt(26) lgkmcnt(1)
	v_fma_f64 v[131:132], v[167:168], v[131:132], v[145:146]
	s_clause 0x5
	buffer_load_dword v146, off, s[0:3], 0 offset:500
	buffer_load_dword v149, off, s[0:3], 0 offset:504
	;; [unrolled: 1-line block ×6, first 2 shown]
	s_waitcnt vmcnt(31)
	v_fma_f64 v[131:132], v[155:156], v[133:134], v[131:132]
	s_waitcnt vmcnt(30) lgkmcnt(0)
	v_fma_f64 v[131:132], v[153:154], v[135:136], v[131:132]
	s_waitcnt vmcnt(25)
	v_fma_f64 v[139:140], v[139:140], v[137:138], v[131:132]
	ds_read2_b64 v[131:134], v130 offset0:115 offset1:116
	ds_read2_b64 v[135:138], v130 offset0:117 offset1:118
	s_waitcnt vmcnt(24) lgkmcnt(1)
	v_fma_f64 v[131:132], v[173:174], v[131:132], v[139:140]
	s_waitcnt vmcnt(23)
	v_fma_f64 v[131:132], v[161:162], v[133:134], v[131:132]
	s_waitcnt vmcnt(22) lgkmcnt(0)
	v_fma_f64 v[131:132], v[157:158], v[135:136], v[131:132]
	s_waitcnt vmcnt(17)
	v_fma_f64 v[139:140], v[141:142], v[137:138], v[131:132]
	ds_read2_b64 v[131:134], v130 offset0:119 offset1:120
	ds_read2_b64 v[135:138], v130 offset0:121 offset1:122
	s_waitcnt vmcnt(16) lgkmcnt(1)
	v_fma_f64 v[131:132], v[171:172], v[131:132], v[139:140]
	;; [unrolled: 10-line block ×3, first 2 shown]
	s_waitcnt vmcnt(7)
	v_fma_f64 v[131:132], v[159:160], v[133:134], v[131:132]
	ds_read_b64 v[133:134], v130 offset:1016
	s_waitcnt vmcnt(6) lgkmcnt(1)
	v_fma_f64 v[131:132], v[147:148], v[135:136], v[131:132]
	s_waitcnt vmcnt(3)
	v_fma_f64 v[131:132], v[145:146], v[137:138], v[131:132]
	s_waitcnt vmcnt(2) lgkmcnt(0)
	v_fma_f64 v[131:132], v[149:150], v[133:134], v[131:132]
	s_waitcnt vmcnt(0)
	v_add_f64 v[131:132], v[151:152], -v[131:132]
	buffer_store_dword v132, off, s[0:3], 0 offset:20
	buffer_store_dword v131, off, s[0:3], 0 offset:16
	v_cmpx_lt_u32_e32 1, v0
	s_cbranch_execz .LBB63_391
; %bb.390:
	s_clause 0x1
	buffer_load_dword v131, off, s[0:3], 0 offset:8
	buffer_load_dword v132, off, s[0:3], 0 offset:12
	buffer_store_dword v130, off, s[0:3], 0 offset:8
	buffer_store_dword v130, off, s[0:3], 0 offset:12
	s_waitcnt vmcnt(0)
	ds_write_b64 v129, v[131:132]
.LBB63_391:
	s_or_b32 exec_lo, exec_lo, s4
	s_waitcnt lgkmcnt(0)
	s_waitcnt_vscnt null, 0x0
	s_barrier
	buffer_gl0_inv
	s_clause 0x1c
	buffer_load_dword v139, off, s[0:3], 0 offset:16
	buffer_load_dword v140, off, s[0:3], 0 offset:20
	;; [unrolled: 1-line block ×29, first 2 shown]
	ds_read_b128 v[131:134], v130 offset:528
	ds_read_b128 v[135:138], v130 offset:544
	buffer_load_dword v164, off, s[0:3], 0 offset:132
	s_mov_b32 s4, exec_lo
	s_waitcnt vmcnt(28) lgkmcnt(1)
	v_fma_f64 v[131:132], v[139:140], v[131:132], 0
	s_clause 0x7
	buffer_load_dword v140, off, s[0:3], 0 offset:140
	buffer_load_dword v169, off, s[0:3], 0 offset:160
	buffer_load_dword v171, off, s[0:3], 0 offset:152
	buffer_load_dword v173, off, s[0:3], 0 offset:144
	buffer_load_dword v139, off, s[0:3], 0 offset:136
	buffer_load_dword v174, off, s[0:3], 0 offset:148
	buffer_load_dword v172, off, s[0:3], 0 offset:156
	buffer_load_dword v170, off, s[0:3], 0 offset:164
	s_waitcnt vmcnt(34)
	v_fma_f64 v[131:132], v[141:142], v[133:134], v[131:132]
	s_waitcnt vmcnt(32) lgkmcnt(0)
	v_fma_f64 v[131:132], v[143:144], v[135:136], v[131:132]
	s_waitcnt vmcnt(30)
	v_fma_f64 v[141:142], v[145:146], v[137:138], v[131:132]
	ds_read_b128 v[131:134], v130 offset:560
	ds_read_b128 v[135:138], v130 offset:576
	s_waitcnt vmcnt(28) lgkmcnt(1)
	v_fma_f64 v[131:132], v[147:148], v[131:132], v[141:142]
	s_clause 0x7
	buffer_load_dword v142, off, s[0:3], 0 offset:172
	buffer_load_dword v143, off, s[0:3], 0 offset:192
	buffer_load_dword v145, off, s[0:3], 0 offset:184
	buffer_load_dword v147, off, s[0:3], 0 offset:176
	buffer_load_dword v141, off, s[0:3], 0 offset:168
	buffer_load_dword v148, off, s[0:3], 0 offset:180
	buffer_load_dword v146, off, s[0:3], 0 offset:188
	buffer_load_dword v144, off, s[0:3], 0 offset:196
	s_waitcnt vmcnt(34)
	v_fma_f64 v[131:132], v[149:150], v[133:134], v[131:132]
	s_waitcnt vmcnt(32) lgkmcnt(0)
	v_fma_f64 v[131:132], v[151:152], v[135:136], v[131:132]
	s_waitcnt vmcnt(27)
	v_fma_f64 v[149:150], v[153:154], v[137:138], v[131:132]
	ds_read_b128 v[131:134], v130 offset:592
	ds_read_b128 v[135:138], v130 offset:608
	s_waitcnt vmcnt(26) lgkmcnt(1)
	v_fma_f64 v[131:132], v[159:160], v[131:132], v[149:150]
	s_clause 0x7
	buffer_load_dword v150, off, s[0:3], 0 offset:204
	buffer_load_dword v151, off, s[0:3], 0 offset:224
	buffer_load_dword v153, off, s[0:3], 0 offset:216
	buffer_load_dword v159, off, s[0:3], 0 offset:208
	buffer_load_dword v149, off, s[0:3], 0 offset:200
	buffer_load_dword v160, off, s[0:3], 0 offset:212
	buffer_load_dword v154, off, s[0:3], 0 offset:220
	buffer_load_dword v152, off, s[0:3], 0 offset:228
	s_waitcnt vmcnt(33)
	v_fma_f64 v[131:132], v[157:158], v[133:134], v[131:132]
	s_waitcnt vmcnt(32) lgkmcnt(0)
	v_fma_f64 v[131:132], v[155:156], v[135:136], v[131:132]
	s_waitcnt vmcnt(27)
	v_fma_f64 v[155:156], v[161:162], v[137:138], v[131:132]
	ds_read_b128 v[131:134], v130 offset:624
	ds_read_b128 v[135:138], v130 offset:640
	s_waitcnt vmcnt(26) lgkmcnt(1)
	v_fma_f64 v[131:132], v[167:168], v[131:132], v[155:156]
	s_clause 0x7
	buffer_load_dword v156, off, s[0:3], 0 offset:236
	buffer_load_dword v157, off, s[0:3], 0 offset:256
	buffer_load_dword v161, off, s[0:3], 0 offset:248
	buffer_load_dword v167, off, s[0:3], 0 offset:240
	buffer_load_dword v155, off, s[0:3], 0 offset:232
	buffer_load_dword v168, off, s[0:3], 0 offset:244
	buffer_load_dword v162, off, s[0:3], 0 offset:252
	buffer_load_dword v158, off, s[0:3], 0 offset:260
	s_waitcnt vmcnt(33)
	v_fma_f64 v[131:132], v[165:166], v[133:134], v[131:132]
	s_waitcnt vmcnt(32) lgkmcnt(0)
	v_fma_f64 v[131:132], v[163:164], v[135:136], v[131:132]
	s_waitcnt vmcnt(27)
	v_fma_f64 v[139:140], v[139:140], v[137:138], v[131:132]
	ds_read_b128 v[131:134], v130 offset:656
	ds_read_b128 v[135:138], v130 offset:672
	s_waitcnt vmcnt(26) lgkmcnt(1)
	v_fma_f64 v[131:132], v[173:174], v[131:132], v[139:140]
	s_clause 0x7
	buffer_load_dword v140, off, s[0:3], 0 offset:268
	buffer_load_dword v163, off, s[0:3], 0 offset:288
	buffer_load_dword v165, off, s[0:3], 0 offset:280
	buffer_load_dword v173, off, s[0:3], 0 offset:272
	buffer_load_dword v139, off, s[0:3], 0 offset:264
	buffer_load_dword v174, off, s[0:3], 0 offset:276
	buffer_load_dword v166, off, s[0:3], 0 offset:284
	buffer_load_dword v164, off, s[0:3], 0 offset:292
	s_waitcnt vmcnt(33)
	v_fma_f64 v[131:132], v[171:172], v[133:134], v[131:132]
	s_waitcnt vmcnt(32) lgkmcnt(0)
	v_fma_f64 v[131:132], v[169:170], v[135:136], v[131:132]
	s_waitcnt vmcnt(27)
	v_fma_f64 v[141:142], v[141:142], v[137:138], v[131:132]
	ds_read_b128 v[131:134], v130 offset:688
	ds_read_b128 v[135:138], v130 offset:704
	s_waitcnt vmcnt(26) lgkmcnt(1)
	v_fma_f64 v[131:132], v[147:148], v[131:132], v[141:142]
	s_clause 0x7
	buffer_load_dword v142, off, s[0:3], 0 offset:300
	buffer_load_dword v147, off, s[0:3], 0 offset:320
	buffer_load_dword v169, off, s[0:3], 0 offset:312
	buffer_load_dword v171, off, s[0:3], 0 offset:304
	buffer_load_dword v141, off, s[0:3], 0 offset:296
	buffer_load_dword v172, off, s[0:3], 0 offset:308
	buffer_load_dword v170, off, s[0:3], 0 offset:316
	buffer_load_dword v148, off, s[0:3], 0 offset:324
	s_waitcnt vmcnt(33)
	v_fma_f64 v[131:132], v[145:146], v[133:134], v[131:132]
	s_waitcnt vmcnt(32) lgkmcnt(0)
	v_fma_f64 v[131:132], v[143:144], v[135:136], v[131:132]
	s_waitcnt vmcnt(27)
	v_fma_f64 v[143:144], v[149:150], v[137:138], v[131:132]
	ds_read_b128 v[131:134], v130 offset:720
	ds_read_b128 v[135:138], v130 offset:736
	s_waitcnt vmcnt(26) lgkmcnt(1)
	v_fma_f64 v[131:132], v[159:160], v[131:132], v[143:144]
	s_clause 0x7
	buffer_load_dword v144, off, s[0:3], 0 offset:332
	buffer_load_dword v145, off, s[0:3], 0 offset:352
	buffer_load_dword v149, off, s[0:3], 0 offset:344
	buffer_load_dword v159, off, s[0:3], 0 offset:336
	buffer_load_dword v143, off, s[0:3], 0 offset:328
	buffer_load_dword v160, off, s[0:3], 0 offset:340
	buffer_load_dword v150, off, s[0:3], 0 offset:348
	buffer_load_dword v146, off, s[0:3], 0 offset:356
	s_waitcnt vmcnt(33)
	v_fma_f64 v[131:132], v[153:154], v[133:134], v[131:132]
	s_waitcnt vmcnt(32) lgkmcnt(0)
	v_fma_f64 v[131:132], v[151:152], v[135:136], v[131:132]
	s_waitcnt vmcnt(27)
	v_fma_f64 v[151:152], v[155:156], v[137:138], v[131:132]
	ds_read_b128 v[131:134], v130 offset:752
	ds_read_b128 v[135:138], v130 offset:768
	s_waitcnt vmcnt(26) lgkmcnt(1)
	v_fma_f64 v[131:132], v[167:168], v[131:132], v[151:152]
	s_clause 0x7
	buffer_load_dword v152, off, s[0:3], 0 offset:364
	buffer_load_dword v153, off, s[0:3], 0 offset:384
	buffer_load_dword v155, off, s[0:3], 0 offset:376
	buffer_load_dword v167, off, s[0:3], 0 offset:368
	buffer_load_dword v151, off, s[0:3], 0 offset:360
	buffer_load_dword v168, off, s[0:3], 0 offset:372
	buffer_load_dword v156, off, s[0:3], 0 offset:380
	buffer_load_dword v154, off, s[0:3], 0 offset:388
	s_waitcnt vmcnt(33)
	v_fma_f64 v[131:132], v[161:162], v[133:134], v[131:132]
	s_waitcnt vmcnt(32) lgkmcnt(0)
	v_fma_f64 v[131:132], v[157:158], v[135:136], v[131:132]
	s_waitcnt vmcnt(27)
	v_fma_f64 v[139:140], v[139:140], v[137:138], v[131:132]
	ds_read_b128 v[131:134], v130 offset:784
	ds_read_b128 v[135:138], v130 offset:800
	s_waitcnt vmcnt(26) lgkmcnt(1)
	v_fma_f64 v[131:132], v[173:174], v[131:132], v[139:140]
	s_clause 0x7
	buffer_load_dword v140, off, s[0:3], 0 offset:396
	buffer_load_dword v157, off, s[0:3], 0 offset:416
	buffer_load_dword v161, off, s[0:3], 0 offset:408
	buffer_load_dword v173, off, s[0:3], 0 offset:400
	buffer_load_dword v139, off, s[0:3], 0 offset:392
	buffer_load_dword v174, off, s[0:3], 0 offset:404
	buffer_load_dword v162, off, s[0:3], 0 offset:412
	buffer_load_dword v158, off, s[0:3], 0 offset:420
	s_waitcnt vmcnt(33)
	v_fma_f64 v[131:132], v[165:166], v[133:134], v[131:132]
	s_waitcnt vmcnt(32) lgkmcnt(0)
	v_fma_f64 v[131:132], v[163:164], v[135:136], v[131:132]
	s_waitcnt vmcnt(27)
	v_fma_f64 v[141:142], v[141:142], v[137:138], v[131:132]
	ds_read_b128 v[131:134], v130 offset:816
	ds_read_b128 v[135:138], v130 offset:832
	s_waitcnt vmcnt(26) lgkmcnt(1)
	v_fma_f64 v[131:132], v[171:172], v[131:132], v[141:142]
	s_clause 0x7
	buffer_load_dword v142, off, s[0:3], 0 offset:428
	buffer_load_dword v163, off, s[0:3], 0 offset:448
	buffer_load_dword v165, off, s[0:3], 0 offset:440
	buffer_load_dword v171, off, s[0:3], 0 offset:432
	buffer_load_dword v141, off, s[0:3], 0 offset:424
	buffer_load_dword v172, off, s[0:3], 0 offset:436
	buffer_load_dword v166, off, s[0:3], 0 offset:444
	buffer_load_dword v164, off, s[0:3], 0 offset:452
	s_waitcnt vmcnt(33)
	v_fma_f64 v[131:132], v[169:170], v[133:134], v[131:132]
	s_waitcnt vmcnt(32) lgkmcnt(0)
	v_fma_f64 v[131:132], v[147:148], v[135:136], v[131:132]
	s_waitcnt vmcnt(27)
	v_fma_f64 v[143:144], v[143:144], v[137:138], v[131:132]
	ds_read_b128 v[131:134], v130 offset:848
	ds_read_b128 v[135:138], v130 offset:864
	s_waitcnt vmcnt(26) lgkmcnt(1)
	v_fma_f64 v[131:132], v[159:160], v[131:132], v[143:144]
	s_clause 0x7
	buffer_load_dword v144, off, s[0:3], 0 offset:460
	buffer_load_dword v147, off, s[0:3], 0 offset:480
	buffer_load_dword v159, off, s[0:3], 0 offset:472
	buffer_load_dword v169, off, s[0:3], 0 offset:464
	buffer_load_dword v143, off, s[0:3], 0 offset:456
	buffer_load_dword v170, off, s[0:3], 0 offset:468
	buffer_load_dword v160, off, s[0:3], 0 offset:476
	buffer_load_dword v148, off, s[0:3], 0 offset:484
	s_waitcnt vmcnt(33)
	v_fma_f64 v[131:132], v[149:150], v[133:134], v[131:132]
	s_waitcnt vmcnt(32) lgkmcnt(0)
	v_fma_f64 v[131:132], v[145:146], v[135:136], v[131:132]
	s_waitcnt vmcnt(27)
	v_fma_f64 v[145:146], v[151:152], v[137:138], v[131:132]
	ds_read_b128 v[131:134], v130 offset:880
	ds_read_b128 v[135:138], v130 offset:896
	s_waitcnt vmcnt(26) lgkmcnt(1)
	v_fma_f64 v[131:132], v[167:168], v[131:132], v[145:146]
	s_clause 0x5
	buffer_load_dword v146, off, s[0:3], 0 offset:492
	buffer_load_dword v149, off, s[0:3], 0 offset:504
	;; [unrolled: 1-line block ×6, first 2 shown]
	s_waitcnt vmcnt(31)
	v_fma_f64 v[131:132], v[155:156], v[133:134], v[131:132]
	s_waitcnt vmcnt(30) lgkmcnt(0)
	v_fma_f64 v[131:132], v[153:154], v[135:136], v[131:132]
	s_waitcnt vmcnt(25)
	v_fma_f64 v[139:140], v[139:140], v[137:138], v[131:132]
	ds_read_b128 v[131:134], v130 offset:912
	s_clause 0x1
	buffer_load_dword v153, off, s[0:3], 0 offset:8
	buffer_load_dword v154, off, s[0:3], 0 offset:12
	ds_read_b128 v[135:138], v130 offset:928
	s_waitcnt vmcnt(26) lgkmcnt(1)
	v_fma_f64 v[131:132], v[173:174], v[131:132], v[139:140]
	s_waitcnt vmcnt(25)
	v_fma_f64 v[131:132], v[161:162], v[133:134], v[131:132]
	s_waitcnt vmcnt(24) lgkmcnt(0)
	v_fma_f64 v[131:132], v[157:158], v[135:136], v[131:132]
	s_waitcnt vmcnt(19)
	v_fma_f64 v[139:140], v[141:142], v[137:138], v[131:132]
	ds_read_b128 v[131:134], v130 offset:944
	ds_read_b128 v[135:138], v130 offset:960
	s_waitcnt vmcnt(18) lgkmcnt(1)
	v_fma_f64 v[131:132], v[171:172], v[131:132], v[139:140]
	s_waitcnt vmcnt(17)
	v_fma_f64 v[131:132], v[165:166], v[133:134], v[131:132]
	s_waitcnt vmcnt(16) lgkmcnt(0)
	v_fma_f64 v[131:132], v[163:164], v[135:136], v[131:132]
	s_waitcnt vmcnt(11)
	v_fma_f64 v[139:140], v[143:144], v[137:138], v[131:132]
	ds_read_b128 v[131:134], v130 offset:976
	;; [unrolled: 10-line block ×3, first 2 shown]
	s_waitcnt vmcnt(3) lgkmcnt(0)
	v_fma_f64 v[130:131], v[151:152], v[130:131], v[134:135]
	s_waitcnt vmcnt(2)
	v_fma_f64 v[130:131], v[149:150], v[132:133], v[130:131]
	s_waitcnt vmcnt(0)
	v_add_f64 v[130:131], v[153:154], -v[130:131]
	buffer_store_dword v131, off, s[0:3], 0 offset:12
	buffer_store_dword v130, off, s[0:3], 0 offset:8
	v_cmpx_ne_u32_e32 0, v0
	s_cbranch_execz .LBB63_393
; %bb.392:
	s_clause 0x1
	buffer_load_dword v130, off, s[0:3], 0
	buffer_load_dword v131, off, s[0:3], 0 offset:4
	v_mov_b32_e32 v0, 0
	buffer_store_dword v0, off, s[0:3], 0
	buffer_store_dword v0, off, s[0:3], 0 offset:4
	s_waitcnt vmcnt(0)
	ds_write_b64 v129, v[130:131]
.LBB63_393:
	s_or_b32 exec_lo, exec_lo, s4
	s_waitcnt lgkmcnt(0)
	s_waitcnt_vscnt null, 0x0
	s_barrier
	buffer_gl0_inv
	s_clause 0x1c
	buffer_load_dword v137, off, s[0:3], 0 offset:8
	buffer_load_dword v138, off, s[0:3], 0 offset:12
	;; [unrolled: 1-line block ×29, first 2 shown]
	v_mov_b32_e32 v0, 0
	buffer_load_dword v162, off, s[0:3], 0 offset:124
	s_and_b32 vcc_lo, exec_lo, s22
	ds_read2_b64 v[129:132], v0 offset0:65 offset1:66
	ds_read2_b64 v[133:136], v0 offset0:67 offset1:68
	s_waitcnt vmcnt(28) lgkmcnt(1)
	v_fma_f64 v[129:130], v[137:138], v[129:130], 0
	s_clause 0x7
	buffer_load_dword v138, off, s[0:3], 0 offset:132
	buffer_load_dword v167, off, s[0:3], 0 offset:152
	buffer_load_dword v169, off, s[0:3], 0 offset:144
	buffer_load_dword v171, off, s[0:3], 0 offset:136
	buffer_load_dword v137, off, s[0:3], 0 offset:128
	buffer_load_dword v172, off, s[0:3], 0 offset:140
	buffer_load_dword v170, off, s[0:3], 0 offset:148
	buffer_load_dword v168, off, s[0:3], 0 offset:156
	s_waitcnt vmcnt(34)
	v_fma_f64 v[129:130], v[139:140], v[131:132], v[129:130]
	s_waitcnt vmcnt(32) lgkmcnt(0)
	v_fma_f64 v[129:130], v[141:142], v[133:134], v[129:130]
	s_waitcnt vmcnt(30)
	v_fma_f64 v[139:140], v[143:144], v[135:136], v[129:130]
	ds_read2_b64 v[129:132], v0 offset0:69 offset1:70
	ds_read2_b64 v[133:136], v0 offset0:71 offset1:72
	s_waitcnt vmcnt(28) lgkmcnt(1)
	v_fma_f64 v[129:130], v[145:146], v[129:130], v[139:140]
	s_clause 0x7
	buffer_load_dword v140, off, s[0:3], 0 offset:164
	buffer_load_dword v141, off, s[0:3], 0 offset:184
	buffer_load_dword v143, off, s[0:3], 0 offset:176
	buffer_load_dword v145, off, s[0:3], 0 offset:168
	buffer_load_dword v139, off, s[0:3], 0 offset:160
	buffer_load_dword v146, off, s[0:3], 0 offset:172
	buffer_load_dword v144, off, s[0:3], 0 offset:180
	buffer_load_dword v142, off, s[0:3], 0 offset:188
	s_waitcnt vmcnt(34)
	v_fma_f64 v[129:130], v[147:148], v[131:132], v[129:130]
	s_waitcnt vmcnt(32) lgkmcnt(0)
	v_fma_f64 v[129:130], v[149:150], v[133:134], v[129:130]
	s_waitcnt vmcnt(27)
	v_fma_f64 v[147:148], v[151:152], v[135:136], v[129:130]
	ds_read2_b64 v[129:132], v0 offset0:73 offset1:74
	ds_read2_b64 v[133:136], v0 offset0:75 offset1:76
	s_waitcnt vmcnt(26) lgkmcnt(1)
	v_fma_f64 v[129:130], v[157:158], v[129:130], v[147:148]
	s_clause 0x7
	buffer_load_dword v148, off, s[0:3], 0 offset:196
	buffer_load_dword v149, off, s[0:3], 0 offset:216
	buffer_load_dword v151, off, s[0:3], 0 offset:208
	buffer_load_dword v157, off, s[0:3], 0 offset:200
	buffer_load_dword v147, off, s[0:3], 0 offset:192
	buffer_load_dword v158, off, s[0:3], 0 offset:204
	buffer_load_dword v152, off, s[0:3], 0 offset:212
	buffer_load_dword v150, off, s[0:3], 0 offset:220
	s_waitcnt vmcnt(33)
	v_fma_f64 v[129:130], v[155:156], v[131:132], v[129:130]
	s_waitcnt vmcnt(32) lgkmcnt(0)
	v_fma_f64 v[129:130], v[153:154], v[133:134], v[129:130]
	s_waitcnt vmcnt(27)
	v_fma_f64 v[153:154], v[159:160], v[135:136], v[129:130]
	ds_read2_b64 v[129:132], v0 offset0:77 offset1:78
	ds_read2_b64 v[133:136], v0 offset0:79 offset1:80
	s_waitcnt vmcnt(26) lgkmcnt(1)
	v_fma_f64 v[129:130], v[165:166], v[129:130], v[153:154]
	s_clause 0x7
	buffer_load_dword v154, off, s[0:3], 0 offset:228
	buffer_load_dword v155, off, s[0:3], 0 offset:248
	buffer_load_dword v159, off, s[0:3], 0 offset:240
	buffer_load_dword v165, off, s[0:3], 0 offset:232
	buffer_load_dword v153, off, s[0:3], 0 offset:224
	buffer_load_dword v166, off, s[0:3], 0 offset:236
	buffer_load_dword v160, off, s[0:3], 0 offset:244
	buffer_load_dword v156, off, s[0:3], 0 offset:252
	s_waitcnt vmcnt(33)
	v_fma_f64 v[129:130], v[163:164], v[131:132], v[129:130]
	s_waitcnt vmcnt(32) lgkmcnt(0)
	v_fma_f64 v[129:130], v[161:162], v[133:134], v[129:130]
	s_waitcnt vmcnt(27)
	v_fma_f64 v[137:138], v[137:138], v[135:136], v[129:130]
	ds_read2_b64 v[129:132], v0 offset0:81 offset1:82
	ds_read2_b64 v[133:136], v0 offset0:83 offset1:84
	s_waitcnt vmcnt(26) lgkmcnt(1)
	v_fma_f64 v[129:130], v[171:172], v[129:130], v[137:138]
	s_clause 0x7
	buffer_load_dword v138, off, s[0:3], 0 offset:260
	buffer_load_dword v161, off, s[0:3], 0 offset:280
	buffer_load_dword v163, off, s[0:3], 0 offset:272
	buffer_load_dword v171, off, s[0:3], 0 offset:264
	buffer_load_dword v137, off, s[0:3], 0 offset:256
	buffer_load_dword v172, off, s[0:3], 0 offset:268
	buffer_load_dword v164, off, s[0:3], 0 offset:276
	buffer_load_dword v162, off, s[0:3], 0 offset:284
	s_waitcnt vmcnt(33)
	v_fma_f64 v[129:130], v[169:170], v[131:132], v[129:130]
	s_waitcnt vmcnt(32) lgkmcnt(0)
	v_fma_f64 v[129:130], v[167:168], v[133:134], v[129:130]
	s_waitcnt vmcnt(27)
	v_fma_f64 v[139:140], v[139:140], v[135:136], v[129:130]
	ds_read2_b64 v[129:132], v0 offset0:85 offset1:86
	ds_read2_b64 v[133:136], v0 offset0:87 offset1:88
	s_waitcnt vmcnt(26) lgkmcnt(1)
	v_fma_f64 v[129:130], v[145:146], v[129:130], v[139:140]
	s_clause 0x7
	buffer_load_dword v140, off, s[0:3], 0 offset:292
	buffer_load_dword v145, off, s[0:3], 0 offset:312
	buffer_load_dword v167, off, s[0:3], 0 offset:304
	buffer_load_dword v169, off, s[0:3], 0 offset:296
	buffer_load_dword v139, off, s[0:3], 0 offset:288
	buffer_load_dword v170, off, s[0:3], 0 offset:300
	buffer_load_dword v168, off, s[0:3], 0 offset:308
	buffer_load_dword v146, off, s[0:3], 0 offset:316
	s_waitcnt vmcnt(33)
	v_fma_f64 v[129:130], v[143:144], v[131:132], v[129:130]
	s_waitcnt vmcnt(32) lgkmcnt(0)
	v_fma_f64 v[129:130], v[141:142], v[133:134], v[129:130]
	s_waitcnt vmcnt(27)
	v_fma_f64 v[141:142], v[147:148], v[135:136], v[129:130]
	ds_read2_b64 v[129:132], v0 offset0:89 offset1:90
	ds_read2_b64 v[133:136], v0 offset0:91 offset1:92
	s_waitcnt vmcnt(26) lgkmcnt(1)
	v_fma_f64 v[129:130], v[157:158], v[129:130], v[141:142]
	s_clause 0x7
	buffer_load_dword v142, off, s[0:3], 0 offset:324
	buffer_load_dword v143, off, s[0:3], 0 offset:344
	buffer_load_dword v147, off, s[0:3], 0 offset:336
	buffer_load_dword v157, off, s[0:3], 0 offset:328
	buffer_load_dword v141, off, s[0:3], 0 offset:320
	buffer_load_dword v158, off, s[0:3], 0 offset:332
	buffer_load_dword v148, off, s[0:3], 0 offset:340
	buffer_load_dword v144, off, s[0:3], 0 offset:348
	s_waitcnt vmcnt(33)
	v_fma_f64 v[129:130], v[151:152], v[131:132], v[129:130]
	s_waitcnt vmcnt(32) lgkmcnt(0)
	v_fma_f64 v[129:130], v[149:150], v[133:134], v[129:130]
	s_waitcnt vmcnt(27)
	v_fma_f64 v[149:150], v[153:154], v[135:136], v[129:130]
	ds_read2_b64 v[129:132], v0 offset0:93 offset1:94
	ds_read2_b64 v[133:136], v0 offset0:95 offset1:96
	s_waitcnt vmcnt(26) lgkmcnt(1)
	v_fma_f64 v[129:130], v[165:166], v[129:130], v[149:150]
	s_clause 0x7
	buffer_load_dword v150, off, s[0:3], 0 offset:356
	buffer_load_dword v151, off, s[0:3], 0 offset:376
	buffer_load_dword v153, off, s[0:3], 0 offset:368
	buffer_load_dword v165, off, s[0:3], 0 offset:360
	buffer_load_dword v149, off, s[0:3], 0 offset:352
	buffer_load_dword v166, off, s[0:3], 0 offset:364
	buffer_load_dword v154, off, s[0:3], 0 offset:372
	buffer_load_dword v152, off, s[0:3], 0 offset:380
	s_waitcnt vmcnt(33)
	v_fma_f64 v[129:130], v[159:160], v[131:132], v[129:130]
	s_waitcnt vmcnt(32) lgkmcnt(0)
	v_fma_f64 v[129:130], v[155:156], v[133:134], v[129:130]
	s_waitcnt vmcnt(27)
	v_fma_f64 v[137:138], v[137:138], v[135:136], v[129:130]
	ds_read2_b64 v[129:132], v0 offset0:97 offset1:98
	ds_read2_b64 v[133:136], v0 offset0:99 offset1:100
	s_waitcnt vmcnt(26) lgkmcnt(1)
	v_fma_f64 v[129:130], v[171:172], v[129:130], v[137:138]
	s_clause 0x7
	buffer_load_dword v156, off, s[0:3], 0 offset:388
	buffer_load_dword v159, off, s[0:3], 0 offset:408
	buffer_load_dword v171, off, s[0:3], 0 offset:400
	buffer_load_dword v173, off, s[0:3], 0 offset:392
	buffer_load_dword v155, off, s[0:3], 0 offset:384
	buffer_load_dword v174, off, s[0:3], 0 offset:396
	buffer_load_dword v172, off, s[0:3], 0 offset:404
	buffer_load_dword v160, off, s[0:3], 0 offset:412
	s_waitcnt vmcnt(33)
	v_fma_f64 v[129:130], v[163:164], v[131:132], v[129:130]
	s_waitcnt vmcnt(32) lgkmcnt(0)
	v_fma_f64 v[129:130], v[161:162], v[133:134], v[129:130]
	s_waitcnt vmcnt(27)
	v_fma_f64 v[137:138], v[139:140], v[135:136], v[129:130]
	ds_read2_b64 v[129:132], v0 offset0:101 offset1:102
	ds_read2_b64 v[133:136], v0 offset0:103 offset1:104
	s_waitcnt vmcnt(26) lgkmcnt(1)
	v_fma_f64 v[129:130], v[169:170], v[129:130], v[137:138]
	s_clause 0x7
	buffer_load_dword v162, off, s[0:3], 0 offset:420
	buffer_load_dword v163, off, s[0:3], 0 offset:440
	buffer_load_dword v169, off, s[0:3], 0 offset:432
	buffer_load_dword v175, off, s[0:3], 0 offset:424
	buffer_load_dword v161, off, s[0:3], 0 offset:416
	buffer_load_dword v176, off, s[0:3], 0 offset:428
	buffer_load_dword v170, off, s[0:3], 0 offset:436
	buffer_load_dword v164, off, s[0:3], 0 offset:444
	s_waitcnt vmcnt(33)
	v_fma_f64 v[129:130], v[167:168], v[131:132], v[129:130]
	s_waitcnt vmcnt(32) lgkmcnt(0)
	v_fma_f64 v[129:130], v[145:146], v[133:134], v[129:130]
	s_waitcnt vmcnt(27)
	v_fma_f64 v[137:138], v[141:142], v[135:136], v[129:130]
	ds_read2_b64 v[129:132], v0 offset0:105 offset1:106
	ds_read2_b64 v[133:136], v0 offset0:107 offset1:108
	s_waitcnt vmcnt(26) lgkmcnt(1)
	v_fma_f64 v[129:130], v[157:158], v[129:130], v[137:138]
	s_clause 0x7
	buffer_load_dword v142, off, s[0:3], 0 offset:452
	buffer_load_dword v145, off, s[0:3], 0 offset:472
	buffer_load_dword v157, off, s[0:3], 0 offset:464
	buffer_load_dword v167, off, s[0:3], 0 offset:456
	buffer_load_dword v141, off, s[0:3], 0 offset:448
	buffer_load_dword v168, off, s[0:3], 0 offset:460
	buffer_load_dword v158, off, s[0:3], 0 offset:468
	buffer_load_dword v146, off, s[0:3], 0 offset:476
	s_waitcnt vmcnt(33)
	v_fma_f64 v[129:130], v[147:148], v[131:132], v[129:130]
	s_waitcnt vmcnt(32) lgkmcnt(0)
	v_fma_f64 v[129:130], v[143:144], v[133:134], v[129:130]
	s_waitcnt vmcnt(27)
	v_fma_f64 v[138:139], v[149:150], v[135:136], v[129:130]
	ds_read2_b64 v[130:133], v0 offset0:109 offset1:110
	ds_read2_b64 v[134:137], v0 offset0:111 offset1:112
	s_waitcnt vmcnt(26) lgkmcnt(1)
	v_fma_f64 v[129:130], v[165:166], v[130:131], v[138:139]
	s_clause 0x6
	buffer_load_dword v144, off, s[0:3], 0 offset:484
	buffer_load_dword v147, off, s[0:3], 0 offset:504
	;; [unrolled: 1-line block ×7, first 2 shown]
	s_waitcnt vmcnt(32)
	v_fma_f64 v[129:130], v[153:154], v[132:133], v[129:130]
	buffer_load_dword v132, off, s[0:3], 0 offset:500
	s_waitcnt vmcnt(32) lgkmcnt(0)
	v_fma_f64 v[129:130], v[151:152], v[134:135], v[129:130]
	s_waitcnt vmcnt(27)
	v_fma_f64 v[129:130], v[155:156], v[136:137], v[129:130]
	ds_read2_b64 v[133:136], v0 offset0:113 offset1:114
	ds_read2_b64 v[137:140], v0 offset0:115 offset1:116
	s_clause 0x1
	buffer_load_dword v151, off, s[0:3], 0
	buffer_load_dword v152, off, s[0:3], 0 offset:4
	s_waitcnt vmcnt(28) lgkmcnt(1)
	v_fma_f64 v[129:130], v[173:174], v[133:134], v[129:130]
	s_waitcnt vmcnt(27)
	v_fma_f64 v[129:130], v[171:172], v[135:136], v[129:130]
	s_waitcnt vmcnt(26) lgkmcnt(0)
	v_fma_f64 v[129:130], v[159:160], v[137:138], v[129:130]
	s_waitcnt vmcnt(21)
	v_fma_f64 v[129:130], v[161:162], v[139:140], v[129:130]
	ds_read2_b64 v[133:136], v0 offset0:117 offset1:118
	ds_read2_b64 v[137:140], v0 offset0:119 offset1:120
	s_waitcnt vmcnt(20) lgkmcnt(1)
	v_fma_f64 v[129:130], v[175:176], v[133:134], v[129:130]
	s_waitcnt vmcnt(19)
	v_fma_f64 v[129:130], v[169:170], v[135:136], v[129:130]
	s_waitcnt vmcnt(18) lgkmcnt(0)
	v_fma_f64 v[129:130], v[163:164], v[137:138], v[129:130]
	s_waitcnt vmcnt(13)
	v_fma_f64 v[129:130], v[141:142], v[139:140], v[129:130]
	ds_read2_b64 v[133:136], v0 offset0:121 offset1:122
	ds_read2_b64 v[137:140], v0 offset0:123 offset1:124
	s_waitcnt vmcnt(12) lgkmcnt(1)
	v_fma_f64 v[129:130], v[167:168], v[133:134], v[129:130]
	s_waitcnt vmcnt(11)
	v_fma_f64 v[129:130], v[157:158], v[135:136], v[129:130]
	s_waitcnt vmcnt(10) lgkmcnt(0)
	v_fma_f64 v[129:130], v[145:146], v[137:138], v[129:130]
	ds_read2_b64 v[133:136], v0 offset0:125 offset1:126
	ds_read_b64 v[137:138], v0 offset:1016
	s_waitcnt vmcnt(5)
	v_fma_f64 v[129:130], v[143:144], v[139:140], v[129:130]
	s_waitcnt vmcnt(4) lgkmcnt(1)
	v_fma_f64 v[129:130], v[149:150], v[133:134], v[129:130]
	s_waitcnt vmcnt(2)
	v_fma_f64 v[129:130], v[131:132], v[135:136], v[129:130]
	s_waitcnt lgkmcnt(0)
	v_fma_f64 v[129:130], v[147:148], v[137:138], v[129:130]
	s_waitcnt vmcnt(0)
	v_add_f64 v[129:130], v[151:152], -v[129:130]
	buffer_store_dword v130, off, s[0:3], 0 offset:4
	buffer_store_dword v129, off, s[0:3], 0
	s_cbranch_vccz .LBB63_520
; %bb.394:
	global_load_dword v0, v0, s[20:21] offset:248
	s_waitcnt vmcnt(0)
	v_add_nc_u32_e32 v0, -1, v0
	v_cmp_ne_u32_e32 vcc_lo, 62, v0
	s_cbranch_vccz .LBB63_396
; %bb.395:
	v_lshlrev_b32_e32 v0, 3, v0
	s_clause 0x1
	buffer_load_dword v129, v0, s[0:3], 0 offen offset:4
	buffer_load_dword v130, v0, s[0:3], 0 offen
	s_waitcnt vmcnt(1)
	buffer_store_dword v129, off, s[0:3], 0 offset:500
	s_waitcnt vmcnt(0)
	buffer_store_dword v130, off, s[0:3], 0 offset:496
	buffer_store_dword v132, v0, s[0:3], 0 offen offset:4
	buffer_store_dword v131, v0, s[0:3], 0 offen
.LBB63_396:
	v_mov_b32_e32 v0, 0
	global_load_dword v129, v0, s[20:21] offset:244
	s_waitcnt vmcnt(0)
	v_add_nc_u32_e32 v129, -1, v129
	v_cmp_eq_u32_e32 vcc_lo, 61, v129
	s_cbranch_vccnz .LBB63_398
; %bb.397:
	v_lshlrev_b32_e32 v129, 3, v129
	s_clause 0x3
	buffer_load_dword v130, v129, s[0:3], 0 offen
	buffer_load_dword v131, v129, s[0:3], 0 offen offset:4
	buffer_load_dword v132, off, s[0:3], 0 offset:488
	buffer_load_dword v133, off, s[0:3], 0 offset:492
	s_waitcnt vmcnt(3)
	buffer_store_dword v130, off, s[0:3], 0 offset:488
	s_waitcnt vmcnt(2)
	buffer_store_dword v131, off, s[0:3], 0 offset:492
	s_waitcnt vmcnt(1)
	buffer_store_dword v132, v129, s[0:3], 0 offen
	s_waitcnt vmcnt(0)
	buffer_store_dword v133, v129, s[0:3], 0 offen offset:4
.LBB63_398:
	global_load_dword v0, v0, s[20:21] offset:240
	s_waitcnt vmcnt(0)
	v_add_nc_u32_e32 v0, -1, v0
	v_cmp_eq_u32_e32 vcc_lo, 60, v0
	s_cbranch_vccnz .LBB63_400
; %bb.399:
	v_lshlrev_b32_e32 v0, 3, v0
	s_clause 0x3
	buffer_load_dword v129, v0, s[0:3], 0 offen
	buffer_load_dword v130, v0, s[0:3], 0 offen offset:4
	buffer_load_dword v131, off, s[0:3], 0 offset:484
	buffer_load_dword v132, off, s[0:3], 0 offset:480
	s_waitcnt vmcnt(3)
	buffer_store_dword v129, off, s[0:3], 0 offset:480
	s_waitcnt vmcnt(2)
	buffer_store_dword v130, off, s[0:3], 0 offset:484
	s_waitcnt vmcnt(1)
	buffer_store_dword v131, v0, s[0:3], 0 offen offset:4
	s_waitcnt vmcnt(0)
	buffer_store_dword v132, v0, s[0:3], 0 offen
.LBB63_400:
	v_mov_b32_e32 v0, 0
	global_load_dword v129, v0, s[20:21] offset:236
	s_waitcnt vmcnt(0)
	v_add_nc_u32_e32 v129, -1, v129
	v_cmp_eq_u32_e32 vcc_lo, 59, v129
	s_cbranch_vccnz .LBB63_402
; %bb.401:
	v_lshlrev_b32_e32 v129, 3, v129
	s_clause 0x3
	buffer_load_dword v130, v129, s[0:3], 0 offen
	buffer_load_dword v131, v129, s[0:3], 0 offen offset:4
	buffer_load_dword v132, off, s[0:3], 0 offset:472
	buffer_load_dword v133, off, s[0:3], 0 offset:476
	s_waitcnt vmcnt(3)
	buffer_store_dword v130, off, s[0:3], 0 offset:472
	s_waitcnt vmcnt(2)
	buffer_store_dword v131, off, s[0:3], 0 offset:476
	s_waitcnt vmcnt(1)
	buffer_store_dword v132, v129, s[0:3], 0 offen
	s_waitcnt vmcnt(0)
	buffer_store_dword v133, v129, s[0:3], 0 offen offset:4
.LBB63_402:
	global_load_dword v0, v0, s[20:21] offset:232
	s_waitcnt vmcnt(0)
	v_add_nc_u32_e32 v0, -1, v0
	v_cmp_eq_u32_e32 vcc_lo, 58, v0
	s_cbranch_vccnz .LBB63_404
; %bb.403:
	v_lshlrev_b32_e32 v0, 3, v0
	s_clause 0x3
	buffer_load_dword v129, v0, s[0:3], 0 offen
	buffer_load_dword v130, v0, s[0:3], 0 offen offset:4
	buffer_load_dword v131, off, s[0:3], 0 offset:468
	buffer_load_dword v132, off, s[0:3], 0 offset:464
	s_waitcnt vmcnt(3)
	buffer_store_dword v129, off, s[0:3], 0 offset:464
	s_waitcnt vmcnt(2)
	buffer_store_dword v130, off, s[0:3], 0 offset:468
	s_waitcnt vmcnt(1)
	buffer_store_dword v131, v0, s[0:3], 0 offen offset:4
	s_waitcnt vmcnt(0)
	buffer_store_dword v132, v0, s[0:3], 0 offen
.LBB63_404:
	;; [unrolled: 43-line block ×30, first 2 shown]
	v_mov_b32_e32 v0, 0
	global_load_dword v129, v0, s[20:21] offset:4
	s_waitcnt vmcnt(0)
	v_add_nc_u32_e32 v129, -1, v129
	v_cmp_eq_u32_e32 vcc_lo, 1, v129
	s_cbranch_vccnz .LBB63_518
; %bb.517:
	v_lshlrev_b32_e32 v129, 3, v129
	s_clause 0x3
	buffer_load_dword v130, v129, s[0:3], 0 offen
	buffer_load_dword v131, v129, s[0:3], 0 offen offset:4
	buffer_load_dword v132, off, s[0:3], 0 offset:8
	buffer_load_dword v133, off, s[0:3], 0 offset:12
	s_waitcnt vmcnt(3)
	buffer_store_dword v130, off, s[0:3], 0 offset:8
	s_waitcnt vmcnt(2)
	buffer_store_dword v131, off, s[0:3], 0 offset:12
	s_waitcnt vmcnt(1)
	buffer_store_dword v132, v129, s[0:3], 0 offen
	s_waitcnt vmcnt(0)
	buffer_store_dword v133, v129, s[0:3], 0 offen offset:4
.LBB63_518:
	global_load_dword v0, v0, s[20:21]
	s_clause 0x1
	buffer_load_dword v129, off, s[0:3], 0
	buffer_load_dword v130, off, s[0:3], 0 offset:4
	s_waitcnt vmcnt(2)
	v_add_nc_u32_e32 v0, -1, v0
	v_cmp_eq_u32_e32 vcc_lo, 0, v0
	s_cbranch_vccnz .LBB63_520
; %bb.519:
	v_lshlrev_b32_e32 v0, 3, v0
	s_clause 0x1
	buffer_load_dword v131, v0, s[0:3], 0 offen offset:4
	buffer_load_dword v132, v0, s[0:3], 0 offen
	s_waitcnt vmcnt(1)
	buffer_store_dword v131, off, s[0:3], 0 offset:4
	s_waitcnt vmcnt(0)
	buffer_store_dword v132, off, s[0:3], 0
	buffer_store_dword v130, v0, s[0:3], 0 offen offset:4
	buffer_store_dword v129, v0, s[0:3], 0 offen
	s_clause 0x1
	buffer_load_dword v129, off, s[0:3], 0
	buffer_load_dword v130, off, s[0:3], 0 offset:4
.LBB63_520:
	s_clause 0x1f
	buffer_load_dword v131, off, s[0:3], 0 offset:8
	buffer_load_dword v132, off, s[0:3], 0 offset:12
	;; [unrolled: 1-line block ×32, first 2 shown]
	s_waitcnt vmcnt(32)
	global_store_dwordx2 v[67:68], v[129:130], off
	s_clause 0x17
	buffer_load_dword v67, off, s[0:3], 0 offset:136
	buffer_load_dword v68, off, s[0:3], 0 offset:140
	;; [unrolled: 1-line block ×24, first 2 shown]
	s_waitcnt vmcnt(54)
	global_store_dwordx2 v[57:58], v[131:132], off
	s_clause 0x7
	buffer_load_dword v57, off, s[0:3], 0 offset:232
	buffer_load_dword v58, off, s[0:3], 0 offset:236
	;; [unrolled: 1-line block ×8, first 2 shown]
	s_waitcnt vmcnt(60)
	global_store_dwordx2 v[1:2], v[133:134], off
	s_waitcnt vmcnt(58)
	global_store_dwordx2 v[5:6], v[135:136], off
	s_clause 0x7
	buffer_load_dword v0, off, s[0:3], 0 offset:264
	buffer_load_dword v1, off, s[0:3], 0 offset:268
	;; [unrolled: 1-line block ×8, first 2 shown]
	s_waitcnt vmcnt(62)
	global_store_dwordx2 v[3:4], v[137:138], off
	global_store_dwordx2 v[9:10], v[139:140], off
	s_clause 0x7
	buffer_load_dword v2, off, s[0:3], 0 offset:296
	buffer_load_dword v3, off, s[0:3], 0 offset:300
	;; [unrolled: 1-line block ×8, first 2 shown]
	s_waitcnt vmcnt(62)
	global_store_dwordx2 v[7:8], v[141:142], off
	global_store_dwordx2 v[13:14], v[143:144], off
	s_clause 0x7
	buffer_load_dword v7, off, s[0:3], 0 offset:328
	buffer_load_dword v8, off, s[0:3], 0 offset:332
	;; [unrolled: 1-line block ×8, first 2 shown]
	global_store_dwordx2 v[11:12], v[145:146], off
	global_store_dwordx2 v[17:18], v[147:148], off
	s_clause 0x7
	buffer_load_dword v11, off, s[0:3], 0 offset:360
	buffer_load_dword v12, off, s[0:3], 0 offset:364
	;; [unrolled: 1-line block ×8, first 2 shown]
	s_waitcnt vmcnt(62)
	global_store_dwordx2 v[15:16], v[149:150], off
	global_store_dwordx2 v[21:22], v[151:152], off
	s_clause 0x7
	buffer_load_dword v15, off, s[0:3], 0 offset:392
	buffer_load_dword v16, off, s[0:3], 0 offset:396
	buffer_load_dword v21, off, s[0:3], 0 offset:400
	buffer_load_dword v22, off, s[0:3], 0 offset:404
	buffer_load_dword v149, off, s[0:3], 0 offset:408
	buffer_load_dword v150, off, s[0:3], 0 offset:412
	buffer_load_dword v151, off, s[0:3], 0 offset:416
	buffer_load_dword v152, off, s[0:3], 0 offset:420
	global_store_dwordx2 v[19:20], v[153:154], off
	global_store_dwordx2 v[25:26], v[155:156], off
	s_clause 0x7
	buffer_load_dword v19, off, s[0:3], 0 offset:424
	buffer_load_dword v20, off, s[0:3], 0 offset:428
	buffer_load_dword v25, off, s[0:3], 0 offset:432
	buffer_load_dword v26, off, s[0:3], 0 offset:436
	buffer_load_dword v153, off, s[0:3], 0 offset:440
	buffer_load_dword v154, off, s[0:3], 0 offset:444
	buffer_load_dword v155, off, s[0:3], 0 offset:448
	buffer_load_dword v156, off, s[0:3], 0 offset:452
	;; [unrolled: 11-line block ×3, first 2 shown]
	global_store_dwordx2 v[29:30], v[161:162], off
	s_clause 0x5
	buffer_load_dword v29, off, s[0:3], 0 offset:488
	buffer_load_dword v30, off, s[0:3], 0 offset:492
	;; [unrolled: 1-line block ×6, first 2 shown]
	global_store_dwordx2 v[27:28], v[67:68], off
	s_waitcnt vmcnt(62)
	global_store_dwordx2 v[33:34], v[129:130], off
	global_store_dwordx2 v[35:36], v[163:164], off
	;; [unrolled: 1-line block ×15, first 2 shown]
	s_waitcnt vmcnt(60)
	global_store_dwordx2 v[65:66], v[0:1], off
	s_waitcnt vmcnt(58)
	global_store_dwordx2 v[69:70], v[5:6], off
	;; [unrolled: 2-line block ×31, first 2 shown]
	s_endpgm
	.section	.rodata,"a",@progbits
	.p2align	6, 0x0
	.amdhsa_kernel _ZN9rocsolver6v33100L18getri_kernel_smallILi64EdPdEEvT1_iilPiilS4_bb
		.amdhsa_group_segment_fixed_size 1032
		.amdhsa_private_segment_fixed_size 528
		.amdhsa_kernarg_size 60
		.amdhsa_user_sgpr_count 6
		.amdhsa_user_sgpr_private_segment_buffer 1
		.amdhsa_user_sgpr_dispatch_ptr 0
		.amdhsa_user_sgpr_queue_ptr 0
		.amdhsa_user_sgpr_kernarg_segment_ptr 1
		.amdhsa_user_sgpr_dispatch_id 0
		.amdhsa_user_sgpr_flat_scratch_init 0
		.amdhsa_user_sgpr_private_segment_size 0
		.amdhsa_wavefront_size32 1
		.amdhsa_uses_dynamic_stack 0
		.amdhsa_system_sgpr_private_segment_wavefront_offset 1
		.amdhsa_system_sgpr_workgroup_id_x 1
		.amdhsa_system_sgpr_workgroup_id_y 0
		.amdhsa_system_sgpr_workgroup_id_z 0
		.amdhsa_system_sgpr_workgroup_info 0
		.amdhsa_system_vgpr_workitem_id 0
		.amdhsa_next_free_vgpr 189
		.amdhsa_next_free_sgpr 23
		.amdhsa_reserve_vcc 1
		.amdhsa_reserve_flat_scratch 0
		.amdhsa_float_round_mode_32 0
		.amdhsa_float_round_mode_16_64 0
		.amdhsa_float_denorm_mode_32 3
		.amdhsa_float_denorm_mode_16_64 3
		.amdhsa_dx10_clamp 1
		.amdhsa_ieee_mode 1
		.amdhsa_fp16_overflow 0
		.amdhsa_workgroup_processor_mode 1
		.amdhsa_memory_ordered 1
		.amdhsa_forward_progress 1
		.amdhsa_shared_vgpr_count 0
		.amdhsa_exception_fp_ieee_invalid_op 0
		.amdhsa_exception_fp_denorm_src 0
		.amdhsa_exception_fp_ieee_div_zero 0
		.amdhsa_exception_fp_ieee_overflow 0
		.amdhsa_exception_fp_ieee_underflow 0
		.amdhsa_exception_fp_ieee_inexact 0
		.amdhsa_exception_int_div_zero 0
	.end_amdhsa_kernel
	.section	.text._ZN9rocsolver6v33100L18getri_kernel_smallILi64EdPdEEvT1_iilPiilS4_bb,"axG",@progbits,_ZN9rocsolver6v33100L18getri_kernel_smallILi64EdPdEEvT1_iilPiilS4_bb,comdat
.Lfunc_end63:
	.size	_ZN9rocsolver6v33100L18getri_kernel_smallILi64EdPdEEvT1_iilPiilS4_bb, .Lfunc_end63-_ZN9rocsolver6v33100L18getri_kernel_smallILi64EdPdEEvT1_iilPiilS4_bb
                                        ; -- End function
	.set _ZN9rocsolver6v33100L18getri_kernel_smallILi64EdPdEEvT1_iilPiilS4_bb.num_vgpr, 189
	.set _ZN9rocsolver6v33100L18getri_kernel_smallILi64EdPdEEvT1_iilPiilS4_bb.num_agpr, 0
	.set _ZN9rocsolver6v33100L18getri_kernel_smallILi64EdPdEEvT1_iilPiilS4_bb.numbered_sgpr, 23
	.set _ZN9rocsolver6v33100L18getri_kernel_smallILi64EdPdEEvT1_iilPiilS4_bb.num_named_barrier, 0
	.set _ZN9rocsolver6v33100L18getri_kernel_smallILi64EdPdEEvT1_iilPiilS4_bb.private_seg_size, 528
	.set _ZN9rocsolver6v33100L18getri_kernel_smallILi64EdPdEEvT1_iilPiilS4_bb.uses_vcc, 1
	.set _ZN9rocsolver6v33100L18getri_kernel_smallILi64EdPdEEvT1_iilPiilS4_bb.uses_flat_scratch, 0
	.set _ZN9rocsolver6v33100L18getri_kernel_smallILi64EdPdEEvT1_iilPiilS4_bb.has_dyn_sized_stack, 0
	.set _ZN9rocsolver6v33100L18getri_kernel_smallILi64EdPdEEvT1_iilPiilS4_bb.has_recursion, 0
	.set _ZN9rocsolver6v33100L18getri_kernel_smallILi64EdPdEEvT1_iilPiilS4_bb.has_indirect_call, 0
	.section	.AMDGPU.csdata,"",@progbits
; Kernel info:
; codeLenInByte = 101844
; TotalNumSgprs: 25
; NumVgprs: 189
; ScratchSize: 528
; MemoryBound: 1
; FloatMode: 240
; IeeeMode: 1
; LDSByteSize: 1032 bytes/workgroup (compile time only)
; SGPRBlocks: 0
; VGPRBlocks: 23
; NumSGPRsForWavesPerEU: 25
; NumVGPRsForWavesPerEU: 189
; Occupancy: 5
; WaveLimiterHint : 1
; COMPUTE_PGM_RSRC2:SCRATCH_EN: 1
; COMPUTE_PGM_RSRC2:USER_SGPR: 6
; COMPUTE_PGM_RSRC2:TRAP_HANDLER: 0
; COMPUTE_PGM_RSRC2:TGID_X_EN: 1
; COMPUTE_PGM_RSRC2:TGID_Y_EN: 0
; COMPUTE_PGM_RSRC2:TGID_Z_EN: 0
; COMPUTE_PGM_RSRC2:TIDIG_COMP_CNT: 0
	.section	.text._ZN9rocsolver6v33100L18getri_kernel_smallILi1EdPKPdEEvT1_iilPiilS6_bb,"axG",@progbits,_ZN9rocsolver6v33100L18getri_kernel_smallILi1EdPKPdEEvT1_iilPiilS6_bb,comdat
	.globl	_ZN9rocsolver6v33100L18getri_kernel_smallILi1EdPKPdEEvT1_iilPiilS6_bb ; -- Begin function _ZN9rocsolver6v33100L18getri_kernel_smallILi1EdPKPdEEvT1_iilPiilS6_bb
	.p2align	8
	.type	_ZN9rocsolver6v33100L18getri_kernel_smallILi1EdPKPdEEvT1_iilPiilS6_bb,@function
_ZN9rocsolver6v33100L18getri_kernel_smallILi1EdPKPdEEvT1_iilPiilS6_bb: ; @_ZN9rocsolver6v33100L18getri_kernel_smallILi1EdPKPdEEvT1_iilPiilS6_bb
; %bb.0:
	s_mov_b32 s1, 0
	s_mov_b32 s0, exec_lo
	v_cmpx_eq_u32_e32 0, v0
	s_cbranch_execz .LBB64_14
; %bb.1:
	s_clause 0x3
	s_load_dword s2, s[4:5], 0x8
	s_load_dword s0, s[4:5], 0x38
	s_load_dwordx2 s[8:9], s[4:5], 0x0
	s_load_dwordx2 s[4:5], s[4:5], 0x30
	s_waitcnt lgkmcnt(0)
	s_ashr_i32 s3, s2, 31
	s_bitcmp1_b32 s0, 0
	s_cselect_b32 s0, -1, 0
	s_ashr_i32 s7, s6, 31
	s_lshl_b64 s[10:11], s[6:7], 3
	s_add_u32 s8, s8, s10
	s_addc_u32 s9, s9, s11
	s_lshl_b64 s[2:3], s[2:3], 3
	s_load_dwordx2 s[8:9], s[8:9], 0x0
	s_waitcnt lgkmcnt(0)
	s_add_u32 s2, s8, s2
	s_addc_u32 s3, s9, s3
	v_mov_b32_e32 v0, s2
	v_mov_b32_e32 v1, s3
	s_and_b32 vcc_lo, exec_lo, s0
	flat_load_dwordx2 v[0:1], v[0:1]
	s_cbranch_vccnz .LBB64_3
; %bb.2:
	s_lshl_b64 s[0:1], s[6:7], 2
	s_add_u32 s0, s4, s0
	s_addc_u32 s1, s5, s1
	s_load_dword s0, s[0:1], 0x0
	s_mov_b32 s1, -1
	s_waitcnt lgkmcnt(0)
	s_cmp_eq_u32 s0, 0
	s_cselect_b32 s0, -1, 0
	s_cbranch_execz .LBB64_4
	s_branch .LBB64_11
.LBB64_3:
                                        ; implicit-def: $sgpr0
.LBB64_4:
	v_mov_b32_e32 v2, 0
	s_mov_b32 s8, exec_lo
	ds_write_b32 v2, v2
	s_waitcnt vmcnt(0) lgkmcnt(0)
	s_barrier
	buffer_gl0_inv
	v_cmpx_eq_f64_e32 0, v[0:1]
	s_cbranch_execz .LBB64_8
; %bb.5:
	ds_read_b32 v3, v2
	s_mov_b32 s9, 0
	s_waitcnt lgkmcnt(0)
	v_cmp_ne_u32_e32 vcc_lo, 0, v3
	v_cmp_gt_i32_e64 s0, 2, v3
	s_and_b32 s0, vcc_lo, s0
	s_and_b32 vcc_lo, exec_lo, s0
	s_cbranch_vccnz .LBB64_8
; %bb.6:
	v_mov_b32_e32 v4, 1
	v_mov_b32_e32 v5, 0
.LBB64_7:                               ; =>This Inner Loop Header: Depth=1
	ds_cmpst_rtn_b32 v3, v5, v3, v4
	s_waitcnt lgkmcnt(0)
	v_cmp_ne_u32_e32 vcc_lo, 0, v3
	v_cmp_gt_i32_e64 s0, 2, v3
	s_and_b32 s0, vcc_lo, s0
	s_and_b32 s0, exec_lo, s0
	s_or_b32 s9, s0, s9
	s_andn2_b32 exec_lo, exec_lo, s9
	s_cbranch_execnz .LBB64_7
.LBB64_8:
	s_or_b32 exec_lo, exec_lo, s8
	s_barrier
	buffer_gl0_inv
	ds_read_b32 v3, v2
	s_lshl_b64 s[6:7], s[6:7], 2
	s_add_u32 s4, s4, s6
	s_addc_u32 s5, s5, s7
	s_waitcnt lgkmcnt(0)
	v_cmp_ne_u32_e32 vcc_lo, 0, v3
	global_store_dword v2, v3, s[4:5]
	s_cbranch_vccnz .LBB64_10
; %bb.9:
	v_div_scale_f64 v[2:3], null, v[0:1], v[0:1], 1.0
	s_mov_b32 s1, -1
	v_rcp_f64_e32 v[4:5], v[2:3]
	v_fma_f64 v[6:7], -v[2:3], v[4:5], 1.0
	v_fma_f64 v[4:5], v[4:5], v[6:7], v[4:5]
	v_fma_f64 v[6:7], -v[2:3], v[4:5], 1.0
	v_fma_f64 v[4:5], v[4:5], v[6:7], v[4:5]
	v_div_scale_f64 v[6:7], vcc_lo, 1.0, v[0:1], 1.0
	v_mul_f64 v[8:9], v[6:7], v[4:5]
	v_fma_f64 v[2:3], -v[2:3], v[8:9], v[6:7]
	v_div_fmas_f64 v[2:3], v[2:3], v[4:5], v[8:9]
	v_div_fixup_f64 v[0:1], v[2:3], v[0:1], 1.0
.LBB64_10:
	s_mov_b32 s0, -1
.LBB64_11:
	s_and_b32 vcc_lo, exec_lo, s1
	s_cbranch_vccz .LBB64_14
; %bb.12:
	s_andn2_b32 vcc_lo, exec_lo, s0
	s_cbranch_vccnz .LBB64_14
; %bb.13:
	v_mov_b32_e32 v2, s2
	v_mov_b32_e32 v3, s3
	s_waitcnt vmcnt(0) lgkmcnt(0)
	flat_store_dwordx2 v[2:3], v[0:1]
.LBB64_14:
	s_endpgm
	.section	.rodata,"a",@progbits
	.p2align	6, 0x0
	.amdhsa_kernel _ZN9rocsolver6v33100L18getri_kernel_smallILi1EdPKPdEEvT1_iilPiilS6_bb
		.amdhsa_group_segment_fixed_size 4
		.amdhsa_private_segment_fixed_size 0
		.amdhsa_kernarg_size 60
		.amdhsa_user_sgpr_count 6
		.amdhsa_user_sgpr_private_segment_buffer 1
		.amdhsa_user_sgpr_dispatch_ptr 0
		.amdhsa_user_sgpr_queue_ptr 0
		.amdhsa_user_sgpr_kernarg_segment_ptr 1
		.amdhsa_user_sgpr_dispatch_id 0
		.amdhsa_user_sgpr_flat_scratch_init 0
		.amdhsa_user_sgpr_private_segment_size 0
		.amdhsa_wavefront_size32 1
		.amdhsa_uses_dynamic_stack 0
		.amdhsa_system_sgpr_private_segment_wavefront_offset 0
		.amdhsa_system_sgpr_workgroup_id_x 1
		.amdhsa_system_sgpr_workgroup_id_y 0
		.amdhsa_system_sgpr_workgroup_id_z 0
		.amdhsa_system_sgpr_workgroup_info 0
		.amdhsa_system_vgpr_workitem_id 0
		.amdhsa_next_free_vgpr 10
		.amdhsa_next_free_sgpr 12
		.amdhsa_reserve_vcc 1
		.amdhsa_reserve_flat_scratch 0
		.amdhsa_float_round_mode_32 0
		.amdhsa_float_round_mode_16_64 0
		.amdhsa_float_denorm_mode_32 3
		.amdhsa_float_denorm_mode_16_64 3
		.amdhsa_dx10_clamp 1
		.amdhsa_ieee_mode 1
		.amdhsa_fp16_overflow 0
		.amdhsa_workgroup_processor_mode 1
		.amdhsa_memory_ordered 1
		.amdhsa_forward_progress 1
		.amdhsa_shared_vgpr_count 0
		.amdhsa_exception_fp_ieee_invalid_op 0
		.amdhsa_exception_fp_denorm_src 0
		.amdhsa_exception_fp_ieee_div_zero 0
		.amdhsa_exception_fp_ieee_overflow 0
		.amdhsa_exception_fp_ieee_underflow 0
		.amdhsa_exception_fp_ieee_inexact 0
		.amdhsa_exception_int_div_zero 0
	.end_amdhsa_kernel
	.section	.text._ZN9rocsolver6v33100L18getri_kernel_smallILi1EdPKPdEEvT1_iilPiilS6_bb,"axG",@progbits,_ZN9rocsolver6v33100L18getri_kernel_smallILi1EdPKPdEEvT1_iilPiilS6_bb,comdat
.Lfunc_end64:
	.size	_ZN9rocsolver6v33100L18getri_kernel_smallILi1EdPKPdEEvT1_iilPiilS6_bb, .Lfunc_end64-_ZN9rocsolver6v33100L18getri_kernel_smallILi1EdPKPdEEvT1_iilPiilS6_bb
                                        ; -- End function
	.set _ZN9rocsolver6v33100L18getri_kernel_smallILi1EdPKPdEEvT1_iilPiilS6_bb.num_vgpr, 10
	.set _ZN9rocsolver6v33100L18getri_kernel_smallILi1EdPKPdEEvT1_iilPiilS6_bb.num_agpr, 0
	.set _ZN9rocsolver6v33100L18getri_kernel_smallILi1EdPKPdEEvT1_iilPiilS6_bb.numbered_sgpr, 12
	.set _ZN9rocsolver6v33100L18getri_kernel_smallILi1EdPKPdEEvT1_iilPiilS6_bb.num_named_barrier, 0
	.set _ZN9rocsolver6v33100L18getri_kernel_smallILi1EdPKPdEEvT1_iilPiilS6_bb.private_seg_size, 0
	.set _ZN9rocsolver6v33100L18getri_kernel_smallILi1EdPKPdEEvT1_iilPiilS6_bb.uses_vcc, 1
	.set _ZN9rocsolver6v33100L18getri_kernel_smallILi1EdPKPdEEvT1_iilPiilS6_bb.uses_flat_scratch, 0
	.set _ZN9rocsolver6v33100L18getri_kernel_smallILi1EdPKPdEEvT1_iilPiilS6_bb.has_dyn_sized_stack, 0
	.set _ZN9rocsolver6v33100L18getri_kernel_smallILi1EdPKPdEEvT1_iilPiilS6_bb.has_recursion, 0
	.set _ZN9rocsolver6v33100L18getri_kernel_smallILi1EdPKPdEEvT1_iilPiilS6_bb.has_indirect_call, 0
	.section	.AMDGPU.csdata,"",@progbits
; Kernel info:
; codeLenInByte = 496
; TotalNumSgprs: 14
; NumVgprs: 10
; ScratchSize: 0
; MemoryBound: 0
; FloatMode: 240
; IeeeMode: 1
; LDSByteSize: 4 bytes/workgroup (compile time only)
; SGPRBlocks: 0
; VGPRBlocks: 1
; NumSGPRsForWavesPerEU: 14
; NumVGPRsForWavesPerEU: 10
; Occupancy: 16
; WaveLimiterHint : 1
; COMPUTE_PGM_RSRC2:SCRATCH_EN: 0
; COMPUTE_PGM_RSRC2:USER_SGPR: 6
; COMPUTE_PGM_RSRC2:TRAP_HANDLER: 0
; COMPUTE_PGM_RSRC2:TGID_X_EN: 1
; COMPUTE_PGM_RSRC2:TGID_Y_EN: 0
; COMPUTE_PGM_RSRC2:TGID_Z_EN: 0
; COMPUTE_PGM_RSRC2:TIDIG_COMP_CNT: 0
	.section	.text._ZN9rocsolver6v33100L18getri_kernel_smallILi2EdPKPdEEvT1_iilPiilS6_bb,"axG",@progbits,_ZN9rocsolver6v33100L18getri_kernel_smallILi2EdPKPdEEvT1_iilPiilS6_bb,comdat
	.globl	_ZN9rocsolver6v33100L18getri_kernel_smallILi2EdPKPdEEvT1_iilPiilS6_bb ; -- Begin function _ZN9rocsolver6v33100L18getri_kernel_smallILi2EdPKPdEEvT1_iilPiilS6_bb
	.p2align	8
	.type	_ZN9rocsolver6v33100L18getri_kernel_smallILi2EdPKPdEEvT1_iilPiilS6_bb,@function
_ZN9rocsolver6v33100L18getri_kernel_smallILi2EdPKPdEEvT1_iilPiilS6_bb: ; @_ZN9rocsolver6v33100L18getri_kernel_smallILi2EdPKPdEEvT1_iilPiilS6_bb
; %bb.0:
	s_mov_b32 s0, exec_lo
	v_cmpx_gt_u32_e32 2, v0
	s_cbranch_execz .LBB65_16
; %bb.1:
	s_clause 0x2
	s_load_dword s13, s[4:5], 0x38
	s_load_dwordx2 s[8:9], s[4:5], 0x0
	s_load_dwordx4 s[0:3], s[4:5], 0x28
	s_waitcnt lgkmcnt(0)
	s_bitcmp1_b32 s13, 8
	s_cselect_b32 s12, -1, 0
	s_ashr_i32 s7, s6, 31
	s_lshl_b64 s[10:11], s[6:7], 3
	s_add_u32 s8, s8, s10
	s_addc_u32 s9, s9, s11
	s_load_dwordx2 s[10:11], s[8:9], 0x0
	s_bfe_u32 s8, s13, 0x10008
	s_cmp_eq_u32 s8, 0
                                        ; implicit-def: $sgpr8_sgpr9
	s_cbranch_scc1 .LBB65_3
; %bb.2:
	s_clause 0x1
	s_load_dword s8, s[4:5], 0x20
	s_load_dwordx2 s[14:15], s[4:5], 0x18
	s_mul_i32 s9, s0, s7
	s_mul_hi_u32 s13, s0, s6
	s_mul_i32 s1, s1, s6
	s_add_i32 s9, s13, s9
	s_mul_i32 s0, s0, s6
	s_add_i32 s1, s9, s1
	s_lshl_b64 s[0:1], s[0:1], 2
	s_waitcnt lgkmcnt(0)
	s_ashr_i32 s9, s8, 31
	s_add_u32 s13, s14, s0
	s_addc_u32 s14, s15, s1
	s_lshl_b64 s[0:1], s[8:9], 2
	s_add_u32 s8, s13, s0
	s_addc_u32 s9, s14, s1
.LBB65_3:
	s_clause 0x1
	s_load_dwordx2 s[0:1], s[4:5], 0x8
	s_load_dword s13, s[4:5], 0x38
	v_lshlrev_b32_e32 v11, 3, v0
	s_waitcnt lgkmcnt(0)
	s_ashr_i32 s5, s0, 31
	s_mov_b32 s4, s0
	s_mov_b32 s0, s1
	s_lshl_b64 s[4:5], s[4:5], 3
	s_add_u32 s4, s10, s4
	s_addc_u32 s5, s11, s5
	v_add_co_u32 v5, s4, s4, v11
	s_ashr_i32 s1, s1, 31
	v_add_co_ci_u32_e64 v6, null, s5, 0, s4
	s_lshl_b64 s[0:1], s[0:1], 3
	s_bitcmp0_b32 s13, 0
	v_add_co_u32 v7, vcc_lo, v5, s0
	v_add_co_ci_u32_e64 v8, null, s1, v6, vcc_lo
	s_clause 0x1
	flat_load_dwordx2 v[1:2], v[5:6]
	flat_load_dwordx2 v[3:4], v[7:8]
	s_mov_b32 s0, -1
	s_cbranch_scc1 .LBB65_14
; %bb.4:
	v_cmp_eq_u32_e64 s0, 0, v0
	s_and_saveexec_b32 s1, s0
; %bb.5:
	v_mov_b32_e32 v9, 0
	ds_write_b32 v9, v9 offset:32
; %bb.6:
	s_or_b32 exec_lo, exec_lo, s1
	v_cmp_eq_u32_e32 vcc_lo, 1, v0
	s_mov_b32 s4, exec_lo
	s_waitcnt vmcnt(0) lgkmcnt(0)
	s_barrier
	buffer_gl0_inv
	v_cndmask_b32_e32 v10, v2, v4, vcc_lo
	v_cndmask_b32_e32 v9, v1, v3, vcc_lo
	v_cmpx_eq_f64_e32 0, v[9:10]
	s_cbranch_execz .LBB65_10
; %bb.7:
	v_mov_b32_e32 v12, 0
	s_mov_b32 s5, 0
	ds_read_b32 v13, v12 offset:32
	s_waitcnt lgkmcnt(0)
	v_readfirstlane_b32 s1, v13
	v_add_nc_u32_e32 v13, 1, v0
	s_cmp_eq_u32 s1, 0
	v_cmp_gt_i32_e32 vcc_lo, s1, v13
	s_cselect_b32 s10, -1, 0
	s_or_b32 s10, s10, vcc_lo
	s_and_b32 exec_lo, exec_lo, s10
	s_cbranch_execz .LBB65_10
; %bb.8:
	v_mov_b32_e32 v14, s1
.LBB65_9:                               ; =>This Inner Loop Header: Depth=1
	ds_cmpst_rtn_b32 v14, v12, v14, v13 offset:32
	s_waitcnt lgkmcnt(0)
	v_cmp_ne_u32_e32 vcc_lo, 0, v14
	v_cmp_le_i32_e64 s1, v14, v13
	s_and_b32 s1, vcc_lo, s1
	s_and_b32 s1, exec_lo, s1
	s_or_b32 s5, s1, s5
	s_andn2_b32 exec_lo, exec_lo, s5
	s_cbranch_execnz .LBB65_9
.LBB65_10:
	s_or_b32 exec_lo, exec_lo, s4
	v_mov_b32_e32 v12, 0
	s_barrier
	buffer_gl0_inv
	ds_read_b32 v13, v12 offset:32
	s_and_saveexec_b32 s1, s0
	s_cbranch_execz .LBB65_12
; %bb.11:
	s_lshl_b64 s[4:5], s[6:7], 2
	s_add_u32 s4, s2, s4
	s_addc_u32 s5, s3, s5
	s_waitcnt lgkmcnt(0)
	global_store_dword v12, v13, s[4:5]
.LBB65_12:
	s_or_b32 exec_lo, exec_lo, s1
	s_waitcnt lgkmcnt(0)
	v_cmp_ne_u32_e32 vcc_lo, 0, v13
	s_cbranch_vccz .LBB65_17
; %bb.13:
	s_mov_b32 s0, 0
                                        ; implicit-def: $vgpr1_vgpr2_vgpr3_vgpr4
.LBB65_14:
	s_and_b32 vcc_lo, exec_lo, s0
	s_cbranch_vccz .LBB65_16
.LBB65_15:
	s_lshl_b64 s[0:1], s[6:7], 2
	v_mov_b32_e32 v9, 0
	s_add_u32 s0, s2, s0
	s_addc_u32 s1, s3, s1
	global_load_dword v9, v9, s[0:1]
	s_waitcnt vmcnt(0)
	v_cmp_ne_u32_e32 vcc_lo, 0, v9
	s_cbranch_vccz .LBB65_20
.LBB65_16:
	s_endpgm
.LBB65_17:
	v_div_scale_f64 v[12:13], null, v[9:10], v[9:10], 1.0
	v_div_scale_f64 v[18:19], vcc_lo, 1.0, v[9:10], 1.0
	v_rcp_f64_e32 v[14:15], v[12:13]
	v_fma_f64 v[16:17], -v[12:13], v[14:15], 1.0
	v_fma_f64 v[14:15], v[14:15], v[16:17], v[14:15]
	v_fma_f64 v[16:17], -v[12:13], v[14:15], 1.0
	v_fma_f64 v[14:15], v[14:15], v[16:17], v[14:15]
	v_mul_f64 v[16:17], v[18:19], v[14:15]
	v_fma_f64 v[12:13], -v[12:13], v[16:17], v[18:19]
	v_div_fmas_f64 v[12:13], v[12:13], v[14:15], v[16:17]
	v_cmp_eq_u32_e32 vcc_lo, 1, v0
	v_div_fixup_f64 v[9:10], v[12:13], v[9:10], 1.0
	v_cndmask_b32_e32 v4, v4, v10, vcc_lo
	v_cndmask_b32_e32 v3, v3, v9, vcc_lo
	v_cmp_eq_u32_e32 vcc_lo, 0, v0
	v_cndmask_b32_e32 v2, v2, v10, vcc_lo
	v_xor_b32_e32 v10, 0x80000000, v10
	v_cndmask_b32_e32 v1, v1, v9, vcc_lo
	ds_write2_b64 v11, v[9:10], v[3:4] offset1:2
	s_waitcnt lgkmcnt(0)
	s_waitcnt_vscnt null, 0x0
	s_barrier
	buffer_gl0_inv
	s_and_saveexec_b32 s1, s0
	s_cbranch_execz .LBB65_19
; %bb.18:
	v_mov_b32_e32 v3, 0
	ds_read2_b64 v[9:12], v3 offset0:1 offset1:2
	s_waitcnt lgkmcnt(0)
	v_fma_f64 v[3:4], v[1:2], v[11:12], 0
	v_mul_f64 v[3:4], v[3:4], v[9:10]
.LBB65_19:
	s_or_b32 exec_lo, exec_lo, s1
	s_barrier
	buffer_gl0_inv
	s_cbranch_execnz .LBB65_15
	s_branch .LBB65_16
.LBB65_20:
	s_mov_b32 s0, exec_lo
	v_cmpx_eq_u32_e32 1, v0
	s_cbranch_execz .LBB65_22
; %bb.21:
	s_mov_b32 s1, 0
	s_waitcnt lgkmcnt(0)
	v_mov_b32_e32 v12, v4
	v_mov_b32_e32 v9, v1
	;; [unrolled: 1-line block ×7, first 2 shown]
	ds_write_b64 v0, v[1:2] offset:24
	v_mov_b32_e32 v1, v9
	v_mov_b32_e32 v2, v10
	;; [unrolled: 1-line block ×4, first 2 shown]
.LBB65_22:
	s_or_b32 exec_lo, exec_lo, s0
	v_mov_b32_e32 v0, 0
	s_waitcnt lgkmcnt(0)
	s_waitcnt_vscnt null, 0x0
	s_barrier
	buffer_gl0_inv
	s_and_b32 vcc_lo, exec_lo, s12
	ds_read_b64 v[9:10], v0 offset:24
	s_waitcnt lgkmcnt(0)
	v_fma_f64 v[9:10], v[3:4], v[9:10], 0
	v_add_f64 v[1:2], v[1:2], -v[9:10]
	s_cbranch_vccz .LBB65_24
; %bb.23:
	global_load_dword v0, v0, s[8:9]
	s_waitcnt vmcnt(0)
	v_add_nc_u32_e32 v0, -1, v0
	v_cmp_eq_u32_e32 vcc_lo, 1, v0
	v_cmp_eq_u32_e64 s0, 0, v0
	v_cndmask_b32_e32 v9, v2, v4, vcc_lo
	v_cndmask_b32_e32 v10, v1, v3, vcc_lo
	;; [unrolled: 1-line block ×4, first 2 shown]
	v_cndmask_b32_e64 v9, v9, v2, s0
	v_cndmask_b32_e64 v10, v10, v1, s0
	;; [unrolled: 1-line block ×6, first 2 shown]
.LBB65_24:
	flat_store_dwordx2 v[5:6], v[1:2]
	flat_store_dwordx2 v[7:8], v[3:4]
	s_endpgm
	.section	.rodata,"a",@progbits
	.p2align	6, 0x0
	.amdhsa_kernel _ZN9rocsolver6v33100L18getri_kernel_smallILi2EdPKPdEEvT1_iilPiilS6_bb
		.amdhsa_group_segment_fixed_size 40
		.amdhsa_private_segment_fixed_size 0
		.amdhsa_kernarg_size 60
		.amdhsa_user_sgpr_count 6
		.amdhsa_user_sgpr_private_segment_buffer 1
		.amdhsa_user_sgpr_dispatch_ptr 0
		.amdhsa_user_sgpr_queue_ptr 0
		.amdhsa_user_sgpr_kernarg_segment_ptr 1
		.amdhsa_user_sgpr_dispatch_id 0
		.amdhsa_user_sgpr_flat_scratch_init 0
		.amdhsa_user_sgpr_private_segment_size 0
		.amdhsa_wavefront_size32 1
		.amdhsa_uses_dynamic_stack 0
		.amdhsa_system_sgpr_private_segment_wavefront_offset 0
		.amdhsa_system_sgpr_workgroup_id_x 1
		.amdhsa_system_sgpr_workgroup_id_y 0
		.amdhsa_system_sgpr_workgroup_id_z 0
		.amdhsa_system_sgpr_workgroup_info 0
		.amdhsa_system_vgpr_workitem_id 0
		.amdhsa_next_free_vgpr 20
		.amdhsa_next_free_sgpr 16
		.amdhsa_reserve_vcc 1
		.amdhsa_reserve_flat_scratch 1
		.amdhsa_float_round_mode_32 0
		.amdhsa_float_round_mode_16_64 0
		.amdhsa_float_denorm_mode_32 3
		.amdhsa_float_denorm_mode_16_64 3
		.amdhsa_dx10_clamp 1
		.amdhsa_ieee_mode 1
		.amdhsa_fp16_overflow 0
		.amdhsa_workgroup_processor_mode 1
		.amdhsa_memory_ordered 1
		.amdhsa_forward_progress 1
		.amdhsa_shared_vgpr_count 0
		.amdhsa_exception_fp_ieee_invalid_op 0
		.amdhsa_exception_fp_denorm_src 0
		.amdhsa_exception_fp_ieee_div_zero 0
		.amdhsa_exception_fp_ieee_overflow 0
		.amdhsa_exception_fp_ieee_underflow 0
		.amdhsa_exception_fp_ieee_inexact 0
		.amdhsa_exception_int_div_zero 0
	.end_amdhsa_kernel
	.section	.text._ZN9rocsolver6v33100L18getri_kernel_smallILi2EdPKPdEEvT1_iilPiilS6_bb,"axG",@progbits,_ZN9rocsolver6v33100L18getri_kernel_smallILi2EdPKPdEEvT1_iilPiilS6_bb,comdat
.Lfunc_end65:
	.size	_ZN9rocsolver6v33100L18getri_kernel_smallILi2EdPKPdEEvT1_iilPiilS6_bb, .Lfunc_end65-_ZN9rocsolver6v33100L18getri_kernel_smallILi2EdPKPdEEvT1_iilPiilS6_bb
                                        ; -- End function
	.set _ZN9rocsolver6v33100L18getri_kernel_smallILi2EdPKPdEEvT1_iilPiilS6_bb.num_vgpr, 20
	.set _ZN9rocsolver6v33100L18getri_kernel_smallILi2EdPKPdEEvT1_iilPiilS6_bb.num_agpr, 0
	.set _ZN9rocsolver6v33100L18getri_kernel_smallILi2EdPKPdEEvT1_iilPiilS6_bb.numbered_sgpr, 16
	.set _ZN9rocsolver6v33100L18getri_kernel_smallILi2EdPKPdEEvT1_iilPiilS6_bb.num_named_barrier, 0
	.set _ZN9rocsolver6v33100L18getri_kernel_smallILi2EdPKPdEEvT1_iilPiilS6_bb.private_seg_size, 0
	.set _ZN9rocsolver6v33100L18getri_kernel_smallILi2EdPKPdEEvT1_iilPiilS6_bb.uses_vcc, 1
	.set _ZN9rocsolver6v33100L18getri_kernel_smallILi2EdPKPdEEvT1_iilPiilS6_bb.uses_flat_scratch, 1
	.set _ZN9rocsolver6v33100L18getri_kernel_smallILi2EdPKPdEEvT1_iilPiilS6_bb.has_dyn_sized_stack, 0
	.set _ZN9rocsolver6v33100L18getri_kernel_smallILi2EdPKPdEEvT1_iilPiilS6_bb.has_recursion, 0
	.set _ZN9rocsolver6v33100L18getri_kernel_smallILi2EdPKPdEEvT1_iilPiilS6_bb.has_indirect_call, 0
	.section	.AMDGPU.csdata,"",@progbits
; Kernel info:
; codeLenInByte = 1044
; TotalNumSgprs: 18
; NumVgprs: 20
; ScratchSize: 0
; MemoryBound: 0
; FloatMode: 240
; IeeeMode: 1
; LDSByteSize: 40 bytes/workgroup (compile time only)
; SGPRBlocks: 0
; VGPRBlocks: 2
; NumSGPRsForWavesPerEU: 18
; NumVGPRsForWavesPerEU: 20
; Occupancy: 16
; WaveLimiterHint : 1
; COMPUTE_PGM_RSRC2:SCRATCH_EN: 0
; COMPUTE_PGM_RSRC2:USER_SGPR: 6
; COMPUTE_PGM_RSRC2:TRAP_HANDLER: 0
; COMPUTE_PGM_RSRC2:TGID_X_EN: 1
; COMPUTE_PGM_RSRC2:TGID_Y_EN: 0
; COMPUTE_PGM_RSRC2:TGID_Z_EN: 0
; COMPUTE_PGM_RSRC2:TIDIG_COMP_CNT: 0
	.section	.text._ZN9rocsolver6v33100L18getri_kernel_smallILi3EdPKPdEEvT1_iilPiilS6_bb,"axG",@progbits,_ZN9rocsolver6v33100L18getri_kernel_smallILi3EdPKPdEEvT1_iilPiilS6_bb,comdat
	.globl	_ZN9rocsolver6v33100L18getri_kernel_smallILi3EdPKPdEEvT1_iilPiilS6_bb ; -- Begin function _ZN9rocsolver6v33100L18getri_kernel_smallILi3EdPKPdEEvT1_iilPiilS6_bb
	.p2align	8
	.type	_ZN9rocsolver6v33100L18getri_kernel_smallILi3EdPKPdEEvT1_iilPiilS6_bb,@function
_ZN9rocsolver6v33100L18getri_kernel_smallILi3EdPKPdEEvT1_iilPiilS6_bb: ; @_ZN9rocsolver6v33100L18getri_kernel_smallILi3EdPKPdEEvT1_iilPiilS6_bb
; %bb.0:
	s_mov_b32 s0, exec_lo
	v_cmpx_gt_u32_e32 3, v0
	s_cbranch_execz .LBB66_16
; %bb.1:
	s_clause 0x2
	s_load_dword s2, s[4:5], 0x38
	s_load_dwordx2 s[0:1], s[4:5], 0x0
	s_load_dwordx4 s[8:11], s[4:5], 0x28
	s_waitcnt lgkmcnt(0)
	s_bitcmp1_b32 s2, 8
	s_cselect_b32 s3, -1, 0
	s_ashr_i32 s7, s6, 31
	s_lshl_b64 s[12:13], s[6:7], 3
	s_add_u32 s0, s0, s12
	s_addc_u32 s1, s1, s13
	s_bfe_u32 s2, s2, 0x10008
	s_load_dwordx2 s[0:1], s[0:1], 0x0
	s_cmp_eq_u32 s2, 0
                                        ; implicit-def: $sgpr12_sgpr13
	s_cbranch_scc1 .LBB66_3
; %bb.2:
	s_clause 0x1
	s_load_dword s12, s[4:5], 0x20
	s_load_dwordx2 s[14:15], s[4:5], 0x18
	s_mul_i32 s2, s8, s7
	s_mul_hi_u32 s13, s8, s6
	s_mul_i32 s9, s9, s6
	s_add_i32 s2, s13, s2
	s_mul_i32 s8, s8, s6
	s_add_i32 s9, s2, s9
	s_lshl_b64 s[8:9], s[8:9], 2
	s_waitcnt lgkmcnt(0)
	s_ashr_i32 s13, s12, 31
	s_add_u32 s2, s14, s8
	s_addc_u32 s14, s15, s9
	s_lshl_b64 s[8:9], s[12:13], 2
	s_add_u32 s12, s2, s8
	s_addc_u32 s13, s14, s9
.LBB66_3:
	s_clause 0x1
	s_load_dwordx2 s[8:9], s[4:5], 0x8
	s_load_dword s2, s[4:5], 0x38
	v_lshlrev_b32_e32 v15, 3, v0
	s_waitcnt lgkmcnt(0)
	v_add3_u32 v1, s9, s9, v0
	s_ashr_i32 s5, s8, 31
	s_mov_b32 s4, s8
	s_mov_b32 s8, s9
	s_lshl_b64 s[4:5], s[4:5], 3
	v_ashrrev_i32_e32 v2, 31, v1
	s_add_u32 s4, s0, s4
	s_addc_u32 s5, s1, s5
	v_add_co_u32 v7, s0, s4, v15
	s_ashr_i32 s9, s9, 31
	v_lshlrev_b64 v[1:2], 3, v[1:2]
	v_add_co_ci_u32_e64 v8, null, s5, 0, s0
	s_lshl_b64 s[0:1], s[8:9], 3
	s_bitcmp0_b32 s2, 0
	v_add_co_u32 v11, vcc_lo, v7, s0
	v_add_co_ci_u32_e64 v12, null, s1, v8, vcc_lo
	v_add_co_u32 v9, vcc_lo, s4, v1
	v_add_co_ci_u32_e64 v10, null, s5, v2, vcc_lo
	s_clause 0x2
	flat_load_dwordx2 v[1:2], v[7:8]
	flat_load_dwordx2 v[3:4], v[11:12]
	;; [unrolled: 1-line block ×3, first 2 shown]
	s_mov_b32 s0, -1
	s_cbranch_scc1 .LBB66_14
; %bb.4:
	v_cmp_eq_u32_e64 s0, 0, v0
	s_and_saveexec_b32 s1, s0
; %bb.5:
	v_mov_b32_e32 v13, 0
	ds_write_b32 v13, v13 offset:24
; %bb.6:
	s_or_b32 exec_lo, exec_lo, s1
	v_cmp_eq_u32_e32 vcc_lo, 1, v0
	s_mov_b32 s2, exec_lo
	s_waitcnt vmcnt(0) lgkmcnt(0)
	s_barrier
	buffer_gl0_inv
	v_cndmask_b32_e32 v13, v2, v4, vcc_lo
	v_cndmask_b32_e32 v16, v1, v3, vcc_lo
	v_cmp_eq_u32_e32 vcc_lo, 2, v0
	v_cndmask_b32_e32 v14, v13, v6, vcc_lo
	v_cndmask_b32_e32 v13, v16, v5, vcc_lo
	v_cmpx_eq_f64_e32 0, v[13:14]
	s_cbranch_execz .LBB66_10
; %bb.7:
	v_mov_b32_e32 v16, 0
	s_mov_b32 s4, 0
	ds_read_b32 v17, v16 offset:24
	s_waitcnt lgkmcnt(0)
	v_readfirstlane_b32 s1, v17
	v_add_nc_u32_e32 v17, 1, v0
	s_cmp_eq_u32 s1, 0
	v_cmp_gt_i32_e32 vcc_lo, s1, v17
	s_cselect_b32 s5, -1, 0
	s_or_b32 s5, s5, vcc_lo
	s_and_b32 exec_lo, exec_lo, s5
	s_cbranch_execz .LBB66_10
; %bb.8:
	v_mov_b32_e32 v18, s1
.LBB66_9:                               ; =>This Inner Loop Header: Depth=1
	ds_cmpst_rtn_b32 v18, v16, v18, v17 offset:24
	s_waitcnt lgkmcnt(0)
	v_cmp_ne_u32_e32 vcc_lo, 0, v18
	v_cmp_le_i32_e64 s1, v18, v17
	s_and_b32 s1, vcc_lo, s1
	s_and_b32 s1, exec_lo, s1
	s_or_b32 s4, s1, s4
	s_andn2_b32 exec_lo, exec_lo, s4
	s_cbranch_execnz .LBB66_9
.LBB66_10:
	s_or_b32 exec_lo, exec_lo, s2
	v_mov_b32_e32 v16, 0
	s_barrier
	buffer_gl0_inv
	ds_read_b32 v17, v16 offset:24
	s_and_saveexec_b32 s1, s0
	s_cbranch_execz .LBB66_12
; %bb.11:
	s_lshl_b64 s[4:5], s[6:7], 2
	s_add_u32 s4, s10, s4
	s_addc_u32 s5, s11, s5
	s_waitcnt lgkmcnt(0)
	global_store_dword v16, v17, s[4:5]
.LBB66_12:
	s_or_b32 exec_lo, exec_lo, s1
	s_waitcnt lgkmcnt(0)
	v_cmp_ne_u32_e32 vcc_lo, 0, v17
	s_cbranch_vccz .LBB66_17
; %bb.13:
	s_mov_b32 s0, 0
                                        ; implicit-def: $vgpr1_vgpr2_vgpr3_vgpr4_vgpr5_vgpr6
.LBB66_14:
	s_and_b32 vcc_lo, exec_lo, s0
	s_cbranch_vccz .LBB66_16
.LBB66_15:
	s_lshl_b64 s[0:1], s[6:7], 2
	v_mov_b32_e32 v13, 0
	s_add_u32 s0, s10, s0
	s_addc_u32 s1, s11, s1
	global_load_dword v13, v13, s[0:1]
	s_waitcnt vmcnt(0)
	v_cmp_ne_u32_e32 vcc_lo, 0, v13
	s_cbranch_vccz .LBB66_24
.LBB66_16:
	s_endpgm
.LBB66_17:
	v_div_scale_f64 v[16:17], null, v[13:14], v[13:14], 1.0
	v_div_scale_f64 v[22:23], vcc_lo, 1.0, v[13:14], 1.0
	v_cmp_eq_u32_e64 s1, 2, v0
	v_cmp_eq_u32_e64 s2, 0, v0
	v_rcp_f64_e32 v[18:19], v[16:17]
	v_fma_f64 v[20:21], -v[16:17], v[18:19], 1.0
	v_fma_f64 v[18:19], v[18:19], v[20:21], v[18:19]
	v_fma_f64 v[20:21], -v[16:17], v[18:19], 1.0
	v_fma_f64 v[18:19], v[18:19], v[20:21], v[18:19]
	v_mul_f64 v[20:21], v[22:23], v[18:19]
	v_fma_f64 v[16:17], -v[16:17], v[20:21], v[22:23]
	v_div_fmas_f64 v[16:17], v[16:17], v[18:19], v[20:21]
	v_cmp_eq_u32_e32 vcc_lo, 1, v0
	v_div_fixup_f64 v[13:14], v[16:17], v[13:14], 1.0
	v_add_nc_u32_e32 v16, 32, v15
	v_cndmask_b32_e32 v4, v4, v14, vcc_lo
	v_cndmask_b32_e32 v3, v3, v13, vcc_lo
	v_xor_b32_e32 v18, 0x80000000, v14
	v_mov_b32_e32 v17, v13
	v_cndmask_b32_e64 v6, v6, v14, s1
	v_cndmask_b32_e64 v5, v5, v13, s1
	;; [unrolled: 1-line block ×4, first 2 shown]
	ds_write2_b64 v15, v[17:18], v[3:4] offset1:4
	s_waitcnt lgkmcnt(0)
	s_waitcnt_vscnt null, 0x0
	s_barrier
	buffer_gl0_inv
	s_and_saveexec_b32 s1, s0
	s_cbranch_execz .LBB66_19
; %bb.18:
	ds_read_b64 v[3:4], v16
	v_mov_b32_e32 v15, 0
	ds_read_b64 v[17:18], v15 offset:8
	s_waitcnt lgkmcnt(1)
	v_fma_f64 v[3:4], v[13:14], v[3:4], 0
	s_waitcnt lgkmcnt(0)
	v_mul_f64 v[3:4], v[3:4], v[17:18]
.LBB66_19:
	s_or_b32 exec_lo, exec_lo, s1
	s_mov_b32 s1, exec_lo
	s_barrier
	buffer_gl0_inv
	ds_write_b64 v16, v[5:6]
	s_waitcnt lgkmcnt(0)
	s_barrier
	buffer_gl0_inv
	v_cmpx_ne_u32_e32 2, v0
	s_cbranch_execz .LBB66_23
; %bb.20:
	ds_read_b64 v[13:14], v16
	v_cmp_eq_u32_e32 vcc_lo, 1, v0
	v_cndmask_b32_e32 v15, v2, v4, vcc_lo
	v_cndmask_b32_e32 v16, v1, v3, vcc_lo
	v_cmp_eq_u32_e32 vcc_lo, 2, v0
	v_cndmask_b32_e32 v6, v15, v6, vcc_lo
	v_cndmask_b32_e32 v5, v16, v5, vcc_lo
	s_waitcnt lgkmcnt(0)
	v_fma_f64 v[5:6], v[5:6], v[13:14], 0
	s_and_saveexec_b32 s2, s0
	s_cbranch_execz .LBB66_22
; %bb.21:
	v_mov_b32_e32 v13, 0
	ds_read_b64 v[13:14], v13 offset:40
	s_waitcnt lgkmcnt(0)
	v_fma_f64 v[5:6], v[3:4], v[13:14], v[5:6]
.LBB66_22:
	s_or_b32 exec_lo, exec_lo, s2
	v_mov_b32_e32 v13, 0
	ds_read_b64 v[13:14], v13 offset:16
	s_waitcnt lgkmcnt(0)
	v_mul_f64 v[5:6], v[5:6], v[13:14]
.LBB66_23:
	s_or_b32 exec_lo, exec_lo, s1
	s_barrier
	buffer_gl0_inv
	s_cbranch_execnz .LBB66_15
	s_branch .LBB66_16
.LBB66_24:
	v_lshl_add_u32 v13, v0, 3, 32
	s_mov_b32 s0, exec_lo
	v_cmpx_eq_u32_e32 2, v0
	s_cbranch_execz .LBB66_26
; %bb.25:
	s_mov_b32 s1, 0
	s_waitcnt lgkmcnt(0)
	v_mov_b32_e32 v19, v6
	v_mov_b32_e32 v17, v4
	v_mov_b32_e32 v16, v3
	v_mov_b32_e32 v14, v1
	v_mov_b32_e32 v18, v5
	v_mov_b32_e32 v15, v2
	v_mov_b32_e32 v16, s1
	v_mov_b32_e32 v17, s1
	ds_write_b64 v13, v[3:4]
	v_mov_b32_e32 v1, v14
	v_mov_b32_e32 v2, v15
	;; [unrolled: 1-line block ×6, first 2 shown]
.LBB66_26:
	s_or_b32 exec_lo, exec_lo, s0
	v_mov_b32_e32 v14, 0
	s_waitcnt lgkmcnt(0)
	s_waitcnt_vscnt null, 0x0
	s_barrier
	buffer_gl0_inv
	s_mov_b32 s1, 0
	ds_read_b64 v[15:16], v14 offset:48
	s_mov_b32 s0, exec_lo
	s_waitcnt lgkmcnt(0)
	v_fma_f64 v[15:16], v[5:6], v[15:16], 0
	v_add_f64 v[3:4], v[3:4], -v[15:16]
	v_cmpx_ne_u32_e32 0, v0
	s_cbranch_execz .LBB66_28
; %bb.27:
	v_mov_b32_e32 v20, v6
	v_mov_b32_e32 v15, v1
	;; [unrolled: 1-line block ×8, first 2 shown]
	ds_write_b64 v13, v[1:2]
	v_mov_b32_e32 v1, v15
	v_mov_b32_e32 v4, v18
	;; [unrolled: 1-line block ×6, first 2 shown]
.LBB66_28:
	s_or_b32 exec_lo, exec_lo, s0
	s_waitcnt lgkmcnt(0)
	s_barrier
	buffer_gl0_inv
	ds_read2_b64 v[13:16], v14 offset0:5 offset1:6
	s_and_b32 vcc_lo, exec_lo, s3
	s_waitcnt lgkmcnt(0)
	v_fma_f64 v[13:14], v[3:4], v[13:14], 0
	v_fma_f64 v[13:14], v[5:6], v[15:16], v[13:14]
	v_add_f64 v[1:2], v[1:2], -v[13:14]
	s_cbranch_vccz .LBB66_33
; %bb.29:
	v_mov_b32_e32 v0, 0
	global_load_dword v13, v0, s[12:13] offset:4
	s_waitcnt vmcnt(0)
	v_readfirstlane_b32 s1, v13
	s_add_i32 s1, s1, -1
	s_cmp_lg_u32 s1, 1
	s_cbranch_scc0 .LBB66_31
; %bb.30:
	s_cmp_eq_u32 s1, 1
	s_cselect_b32 vcc_lo, -1, 0
	s_cmp_eq_u32 s1, 2
	v_cndmask_b32_e32 v13, v1, v3, vcc_lo
	v_cndmask_b32_e32 v14, v2, v4, vcc_lo
	s_cselect_b32 s0, -1, 0
	s_cmp_eq_u32 s1, 0
	v_cndmask_b32_e64 v18, v6, v4, s0
	v_cndmask_b32_e64 v13, v13, v5, s0
	;; [unrolled: 1-line block ×3, first 2 shown]
	s_cselect_b32 s1, -1, 0
	v_cndmask_b32_e64 v17, v5, v3, s0
	v_cndmask_b32_e64 v14, v2, v4, s1
	v_cndmask_b32_e32 v15, v13, v3, vcc_lo
	v_cndmask_b32_e64 v13, v1, v3, s1
	v_cndmask_b32_e32 v16, v16, v4, vcc_lo
	v_mov_b32_e32 v1, v13
	v_mov_b32_e32 v2, v14
	;; [unrolled: 1-line block ×6, first 2 shown]
.LBB66_31:
	global_load_dword v0, v0, s[12:13]
	s_waitcnt vmcnt(0)
	v_readfirstlane_b32 s1, v0
	s_add_i32 s1, s1, -1
	s_cmp_eq_u32 s1, 0
	s_cbranch_scc1 .LBB66_33
; %bb.32:
	s_cmp_eq_u32 s1, 1
	s_cselect_b32 vcc_lo, -1, 0
	s_cmp_eq_u32 s1, 2
	v_cndmask_b32_e32 v0, v1, v3, vcc_lo
	v_cndmask_b32_e32 v13, v2, v4, vcc_lo
	s_cselect_b32 s0, -1, 0
	s_cmp_eq_u32 s1, 0
	v_cndmask_b32_e64 v18, v6, v2, s0
	v_cndmask_b32_e64 v0, v0, v5, s0
	;; [unrolled: 1-line block ×4, first 2 shown]
	s_cselect_b32 s0, -1, 0
	v_cndmask_b32_e32 v16, v4, v2, vcc_lo
	v_cndmask_b32_e32 v15, v3, v1, vcc_lo
	v_cndmask_b32_e64 v14, v13, v2, s0
	v_cndmask_b32_e64 v13, v0, v1, s0
	v_mov_b32_e32 v1, v13
	v_mov_b32_e32 v2, v14
	;; [unrolled: 1-line block ×6, first 2 shown]
.LBB66_33:
	flat_store_dwordx2 v[7:8], v[1:2]
	flat_store_dwordx2 v[11:12], v[3:4]
	;; [unrolled: 1-line block ×3, first 2 shown]
	s_endpgm
	.section	.rodata,"a",@progbits
	.p2align	6, 0x0
	.amdhsa_kernel _ZN9rocsolver6v33100L18getri_kernel_smallILi3EdPKPdEEvT1_iilPiilS6_bb
		.amdhsa_group_segment_fixed_size 56
		.amdhsa_private_segment_fixed_size 0
		.amdhsa_kernarg_size 60
		.amdhsa_user_sgpr_count 6
		.amdhsa_user_sgpr_private_segment_buffer 1
		.amdhsa_user_sgpr_dispatch_ptr 0
		.amdhsa_user_sgpr_queue_ptr 0
		.amdhsa_user_sgpr_kernarg_segment_ptr 1
		.amdhsa_user_sgpr_dispatch_id 0
		.amdhsa_user_sgpr_flat_scratch_init 0
		.amdhsa_user_sgpr_private_segment_size 0
		.amdhsa_wavefront_size32 1
		.amdhsa_uses_dynamic_stack 0
		.amdhsa_system_sgpr_private_segment_wavefront_offset 0
		.amdhsa_system_sgpr_workgroup_id_x 1
		.amdhsa_system_sgpr_workgroup_id_y 0
		.amdhsa_system_sgpr_workgroup_id_z 0
		.amdhsa_system_sgpr_workgroup_info 0
		.amdhsa_system_vgpr_workitem_id 0
		.amdhsa_next_free_vgpr 24
		.amdhsa_next_free_sgpr 16
		.amdhsa_reserve_vcc 1
		.amdhsa_reserve_flat_scratch 1
		.amdhsa_float_round_mode_32 0
		.amdhsa_float_round_mode_16_64 0
		.amdhsa_float_denorm_mode_32 3
		.amdhsa_float_denorm_mode_16_64 3
		.amdhsa_dx10_clamp 1
		.amdhsa_ieee_mode 1
		.amdhsa_fp16_overflow 0
		.amdhsa_workgroup_processor_mode 1
		.amdhsa_memory_ordered 1
		.amdhsa_forward_progress 1
		.amdhsa_shared_vgpr_count 0
		.amdhsa_exception_fp_ieee_invalid_op 0
		.amdhsa_exception_fp_denorm_src 0
		.amdhsa_exception_fp_ieee_div_zero 0
		.amdhsa_exception_fp_ieee_overflow 0
		.amdhsa_exception_fp_ieee_underflow 0
		.amdhsa_exception_fp_ieee_inexact 0
		.amdhsa_exception_int_div_zero 0
	.end_amdhsa_kernel
	.section	.text._ZN9rocsolver6v33100L18getri_kernel_smallILi3EdPKPdEEvT1_iilPiilS6_bb,"axG",@progbits,_ZN9rocsolver6v33100L18getri_kernel_smallILi3EdPKPdEEvT1_iilPiilS6_bb,comdat
.Lfunc_end66:
	.size	_ZN9rocsolver6v33100L18getri_kernel_smallILi3EdPKPdEEvT1_iilPiilS6_bb, .Lfunc_end66-_ZN9rocsolver6v33100L18getri_kernel_smallILi3EdPKPdEEvT1_iilPiilS6_bb
                                        ; -- End function
	.set _ZN9rocsolver6v33100L18getri_kernel_smallILi3EdPKPdEEvT1_iilPiilS6_bb.num_vgpr, 24
	.set _ZN9rocsolver6v33100L18getri_kernel_smallILi3EdPKPdEEvT1_iilPiilS6_bb.num_agpr, 0
	.set _ZN9rocsolver6v33100L18getri_kernel_smallILi3EdPKPdEEvT1_iilPiilS6_bb.numbered_sgpr, 16
	.set _ZN9rocsolver6v33100L18getri_kernel_smallILi3EdPKPdEEvT1_iilPiilS6_bb.num_named_barrier, 0
	.set _ZN9rocsolver6v33100L18getri_kernel_smallILi3EdPKPdEEvT1_iilPiilS6_bb.private_seg_size, 0
	.set _ZN9rocsolver6v33100L18getri_kernel_smallILi3EdPKPdEEvT1_iilPiilS6_bb.uses_vcc, 1
	.set _ZN9rocsolver6v33100L18getri_kernel_smallILi3EdPKPdEEvT1_iilPiilS6_bb.uses_flat_scratch, 1
	.set _ZN9rocsolver6v33100L18getri_kernel_smallILi3EdPKPdEEvT1_iilPiilS6_bb.has_dyn_sized_stack, 0
	.set _ZN9rocsolver6v33100L18getri_kernel_smallILi3EdPKPdEEvT1_iilPiilS6_bb.has_recursion, 0
	.set _ZN9rocsolver6v33100L18getri_kernel_smallILi3EdPKPdEEvT1_iilPiilS6_bb.has_indirect_call, 0
	.section	.AMDGPU.csdata,"",@progbits
; Kernel info:
; codeLenInByte = 1668
; TotalNumSgprs: 18
; NumVgprs: 24
; ScratchSize: 0
; MemoryBound: 0
; FloatMode: 240
; IeeeMode: 1
; LDSByteSize: 56 bytes/workgroup (compile time only)
; SGPRBlocks: 0
; VGPRBlocks: 2
; NumSGPRsForWavesPerEU: 18
; NumVGPRsForWavesPerEU: 24
; Occupancy: 16
; WaveLimiterHint : 1
; COMPUTE_PGM_RSRC2:SCRATCH_EN: 0
; COMPUTE_PGM_RSRC2:USER_SGPR: 6
; COMPUTE_PGM_RSRC2:TRAP_HANDLER: 0
; COMPUTE_PGM_RSRC2:TGID_X_EN: 1
; COMPUTE_PGM_RSRC2:TGID_Y_EN: 0
; COMPUTE_PGM_RSRC2:TGID_Z_EN: 0
; COMPUTE_PGM_RSRC2:TIDIG_COMP_CNT: 0
	.section	.text._ZN9rocsolver6v33100L18getri_kernel_smallILi4EdPKPdEEvT1_iilPiilS6_bb,"axG",@progbits,_ZN9rocsolver6v33100L18getri_kernel_smallILi4EdPKPdEEvT1_iilPiilS6_bb,comdat
	.globl	_ZN9rocsolver6v33100L18getri_kernel_smallILi4EdPKPdEEvT1_iilPiilS6_bb ; -- Begin function _ZN9rocsolver6v33100L18getri_kernel_smallILi4EdPKPdEEvT1_iilPiilS6_bb
	.p2align	8
	.type	_ZN9rocsolver6v33100L18getri_kernel_smallILi4EdPKPdEEvT1_iilPiilS6_bb,@function
_ZN9rocsolver6v33100L18getri_kernel_smallILi4EdPKPdEEvT1_iilPiilS6_bb: ; @_ZN9rocsolver6v33100L18getri_kernel_smallILi4EdPKPdEEvT1_iilPiilS6_bb
; %bb.0:
	s_mov_b32 s0, exec_lo
	v_cmpx_gt_u32_e32 4, v0
	s_cbranch_execz .LBB67_16
; %bb.1:
	s_clause 0x2
	s_load_dword s12, s[4:5], 0x38
	s_load_dwordx2 s[0:1], s[4:5], 0x0
	s_load_dwordx4 s[8:11], s[4:5], 0x28
	s_waitcnt lgkmcnt(0)
	s_bitcmp1_b32 s12, 8
	s_cselect_b32 s14, -1, 0
	s_ashr_i32 s7, s6, 31
	s_lshl_b64 s[2:3], s[6:7], 3
	s_add_u32 s0, s0, s2
	s_addc_u32 s1, s1, s3
	s_bfe_u32 s2, s12, 0x10008
	s_load_dwordx2 s[0:1], s[0:1], 0x0
	s_cmp_eq_u32 s2, 0
                                        ; implicit-def: $sgpr12_sgpr13
	s_cbranch_scc1 .LBB67_3
; %bb.2:
	s_clause 0x1
	s_load_dword s2, s[4:5], 0x20
	s_load_dwordx2 s[12:13], s[4:5], 0x18
	s_mul_i32 s3, s8, s7
	s_mul_hi_u32 s15, s8, s6
	s_mul_i32 s9, s9, s6
	s_add_i32 s3, s15, s3
	s_mul_i32 s8, s8, s6
	s_add_i32 s9, s3, s9
	s_lshl_b64 s[8:9], s[8:9], 2
	s_waitcnt lgkmcnt(0)
	s_ashr_i32 s3, s2, 31
	s_add_u32 s8, s12, s8
	s_addc_u32 s9, s13, s9
	s_lshl_b64 s[2:3], s[2:3], 2
	s_add_u32 s12, s8, s2
	s_addc_u32 s13, s9, s3
.LBB67_3:
	s_clause 0x1
	s_load_dwordx2 s[2:3], s[4:5], 0x8
	s_load_dword s15, s[4:5], 0x38
	v_lshlrev_b32_e32 v20, 3, v0
	s_waitcnt lgkmcnt(0)
	v_add3_u32 v1, s3, s3, v0
	s_ashr_i32 s5, s2, 31
	s_mov_b32 s4, s2
	s_mov_b32 s8, s3
	s_lshl_b64 s[4:5], s[4:5], 3
	v_add_nc_u32_e32 v3, s3, v1
	v_ashrrev_i32_e32 v2, 31, v1
	s_add_u32 s2, s0, s4
	s_addc_u32 s4, s1, s5
	v_add_co_u32 v10, s0, s2, v20
	v_ashrrev_i32_e32 v4, 31, v3
	s_ashr_i32 s9, s3, 31
	v_lshlrev_b64 v[1:2], 3, v[1:2]
	v_add_co_ci_u32_e64 v11, null, s4, 0, s0
	s_lshl_b64 s[0:1], s[8:9], 3
	v_lshlrev_b64 v[3:4], 3, v[3:4]
	v_add_co_u32 v12, vcc_lo, v10, s0
	v_add_co_ci_u32_e64 v13, null, s1, v11, vcc_lo
	v_add_co_u32 v16, vcc_lo, s2, v1
	v_add_co_ci_u32_e64 v17, null, s4, v2, vcc_lo
	;; [unrolled: 2-line block ×3, first 2 shown]
	s_clause 0x3
	flat_load_dwordx2 v[2:3], v[10:11]
	flat_load_dwordx2 v[4:5], v[12:13]
	;; [unrolled: 1-line block ×4, first 2 shown]
	v_mov_b32_e32 v1, 0
	s_bitcmp0_b32 s15, 0
	s_mov_b32 s0, -1
	s_cbranch_scc1 .LBB67_14
; %bb.4:
	v_cmp_eq_u32_e64 s0, 0, v0
	s_and_saveexec_b32 s1, s0
; %bb.5:
	v_mov_b32_e32 v18, 0
	ds_write_b32 v18, v18 offset:64
; %bb.6:
	s_or_b32 exec_lo, exec_lo, s1
	v_cmp_eq_u32_e32 vcc_lo, 1, v0
	s_mov_b32 s2, exec_lo
	s_waitcnt vmcnt(0) lgkmcnt(0)
	s_barrier
	buffer_gl0_inv
	v_cndmask_b32_e32 v18, v3, v5, vcc_lo
	v_cndmask_b32_e32 v19, v2, v4, vcc_lo
	v_cmp_eq_u32_e32 vcc_lo, 2, v0
	v_cndmask_b32_e32 v18, v18, v7, vcc_lo
	v_cndmask_b32_e32 v21, v19, v6, vcc_lo
	v_cmp_eq_u32_e32 vcc_lo, 3, v0
	v_cndmask_b32_e32 v19, v18, v9, vcc_lo
	v_cndmask_b32_e32 v18, v21, v8, vcc_lo
	v_cmpx_eq_f64_e32 0, v[18:19]
	s_cbranch_execz .LBB67_10
; %bb.7:
	v_mov_b32_e32 v21, 0
	s_mov_b32 s3, 0
	ds_read_b32 v22, v21 offset:64
	s_waitcnt lgkmcnt(0)
	v_readfirstlane_b32 s1, v22
	v_add_nc_u32_e32 v22, 1, v0
	s_cmp_eq_u32 s1, 0
	v_cmp_gt_i32_e32 vcc_lo, s1, v22
	s_cselect_b32 s4, -1, 0
	s_or_b32 s4, s4, vcc_lo
	s_and_b32 exec_lo, exec_lo, s4
	s_cbranch_execz .LBB67_10
; %bb.8:
	v_mov_b32_e32 v23, s1
.LBB67_9:                               ; =>This Inner Loop Header: Depth=1
	ds_cmpst_rtn_b32 v23, v21, v23, v22 offset:64
	s_waitcnt lgkmcnt(0)
	v_cmp_ne_u32_e32 vcc_lo, 0, v23
	v_cmp_le_i32_e64 s1, v23, v22
	s_and_b32 s1, vcc_lo, s1
	s_and_b32 s1, exec_lo, s1
	s_or_b32 s3, s1, s3
	s_andn2_b32 exec_lo, exec_lo, s3
	s_cbranch_execnz .LBB67_9
.LBB67_10:
	s_or_b32 exec_lo, exec_lo, s2
	v_mov_b32_e32 v21, 0
	s_barrier
	buffer_gl0_inv
	ds_read_b32 v22, v21 offset:64
	s_and_saveexec_b32 s1, s0
	s_cbranch_execz .LBB67_12
; %bb.11:
	s_lshl_b64 s[2:3], s[6:7], 2
	s_add_u32 s2, s10, s2
	s_addc_u32 s3, s11, s3
	s_waitcnt lgkmcnt(0)
	global_store_dword v21, v22, s[2:3]
.LBB67_12:
	s_or_b32 exec_lo, exec_lo, s1
	s_waitcnt lgkmcnt(0)
	v_cmp_ne_u32_e32 vcc_lo, 0, v22
	s_cbranch_vccz .LBB67_17
; %bb.13:
	s_mov_b32 s0, 0
                                        ; implicit-def: $vgpr2_vgpr3_vgpr4_vgpr5_vgpr6_vgpr7_vgpr8_vgpr9
.LBB67_14:
	s_and_b32 vcc_lo, exec_lo, s0
	s_cbranch_vccz .LBB67_16
.LBB67_15:
	s_lshl_b64 s[0:1], s[6:7], 2
	v_mov_b32_e32 v1, 0
	s_add_u32 s0, s10, s0
	s_addc_u32 s1, s11, s1
	global_load_dword v1, v1, s[0:1]
	s_waitcnt vmcnt(0)
	v_cmp_ne_u32_e32 vcc_lo, 0, v1
	s_cbranch_vccz .LBB67_28
.LBB67_16:
	s_endpgm
.LBB67_17:
	v_div_scale_f64 v[21:22], null, v[18:19], v[18:19], 1.0
	v_div_scale_f64 v[27:28], vcc_lo, 1.0, v[18:19], 1.0
	v_cmp_eq_u32_e64 s1, 2, v0
	v_cmp_eq_u32_e64 s2, 1, v0
	;; [unrolled: 1-line block ×3, first 2 shown]
	v_rcp_f64_e32 v[23:24], v[21:22]
	v_fma_f64 v[25:26], -v[21:22], v[23:24], 1.0
	v_fma_f64 v[23:24], v[23:24], v[25:26], v[23:24]
	v_fma_f64 v[25:26], -v[21:22], v[23:24], 1.0
	v_fma_f64 v[23:24], v[23:24], v[25:26], v[23:24]
	v_mul_f64 v[25:26], v[27:28], v[23:24]
	v_fma_f64 v[21:22], -v[21:22], v[25:26], v[27:28]
	v_div_fmas_f64 v[21:22], v[21:22], v[23:24], v[25:26]
	v_cmp_eq_u32_e32 vcc_lo, 3, v0
	v_div_fixup_f64 v[18:19], v[21:22], v[18:19], 1.0
	v_add_nc_u32_e32 v21, 32, v20
	v_cndmask_b32_e32 v9, v9, v19, vcc_lo
	v_cndmask_b32_e32 v8, v8, v18, vcc_lo
	v_cndmask_b32_e64 v5, v5, v19, s2
	v_cndmask_b32_e64 v4, v4, v18, s2
	v_xor_b32_e32 v23, 0x80000000, v19
	v_mov_b32_e32 v22, v18
	v_cndmask_b32_e64 v7, v7, v19, s1
	v_cndmask_b32_e64 v6, v6, v18, s1
	;; [unrolled: 1-line block ×4, first 2 shown]
	ds_write2_b64 v20, v[22:23], v[4:5] offset1:4
	s_waitcnt lgkmcnt(0)
	s_waitcnt_vscnt null, 0x0
	s_barrier
	buffer_gl0_inv
	s_and_saveexec_b32 s1, s0
	s_cbranch_execz .LBB67_19
; %bb.18:
	ds_read_b64 v[4:5], v21
	v_mov_b32_e32 v20, 0
	ds_read_b64 v[22:23], v20 offset:8
	s_waitcnt lgkmcnt(1)
	v_fma_f64 v[4:5], v[18:19], v[4:5], 0
	s_waitcnt lgkmcnt(0)
	v_mul_f64 v[4:5], v[4:5], v[22:23]
.LBB67_19:
	s_or_b32 exec_lo, exec_lo, s1
	s_mov_b32 s1, exec_lo
	s_barrier
	buffer_gl0_inv
	ds_write_b64 v21, v[6:7]
	s_waitcnt lgkmcnt(0)
	s_barrier
	buffer_gl0_inv
	v_cmpx_gt_u32_e32 2, v0
	s_cbranch_execz .LBB67_23
; %bb.20:
	v_cmp_eq_u32_e32 vcc_lo, 1, v0
	ds_read_b64 v[18:19], v21
	v_cndmask_b32_e32 v20, v3, v5, vcc_lo
	v_cndmask_b32_e32 v22, v2, v4, vcc_lo
	v_cmp_eq_u32_e32 vcc_lo, 2, v0
	v_cndmask_b32_e32 v7, v20, v7, vcc_lo
	v_cndmask_b32_e32 v6, v22, v6, vcc_lo
	v_cmp_eq_u32_e32 vcc_lo, 3, v0
	v_cndmask_b32_e32 v7, v7, v9, vcc_lo
	v_cndmask_b32_e32 v6, v6, v8, vcc_lo
	s_waitcnt lgkmcnt(0)
	v_fma_f64 v[6:7], v[6:7], v[18:19], 0
	s_and_saveexec_b32 s2, s0
	s_cbranch_execz .LBB67_22
; %bb.21:
	v_mov_b32_e32 v18, 0
	ds_read_b64 v[18:19], v18 offset:40
	s_waitcnt lgkmcnt(0)
	v_fma_f64 v[6:7], v[4:5], v[18:19], v[6:7]
.LBB67_22:
	s_or_b32 exec_lo, exec_lo, s2
	v_mov_b32_e32 v18, 0
	ds_read_b64 v[18:19], v18 offset:16
	s_waitcnt lgkmcnt(0)
	v_mul_f64 v[6:7], v[6:7], v[18:19]
.LBB67_23:
	s_or_b32 exec_lo, exec_lo, s1
	s_mov_b32 s1, exec_lo
	s_barrier
	buffer_gl0_inv
	ds_write_b64 v21, v[8:9]
	s_waitcnt lgkmcnt(0)
	s_barrier
	buffer_gl0_inv
	v_cmpx_ne_u32_e32 3, v0
	s_cbranch_execz .LBB67_27
; %bb.24:
	v_mov_b32_e32 v18, 0
	v_mov_b32_e32 v21, v1
	v_lshl_add_u32 v22, v0, 3, 32
	v_mov_b32_e32 v19, 0
	v_mov_b32_e32 v20, v0
	s_mov_b32 s2, 0
	.p2align	6
.LBB67_25:                              ; =>This Inner Loop Header: Depth=1
	ds_read_b64 v[23:24], v22
	v_cmp_eq_u32_e32 vcc_lo, 1, v20
	v_cmp_eq_u32_e64 s0, 2, v20
	v_add_nc_u32_e32 v22, 8, v22
	v_cndmask_b32_e32 v1, v3, v5, vcc_lo
	v_cndmask_b32_e32 v25, v2, v4, vcc_lo
	v_cmp_eq_u32_e32 vcc_lo, 3, v20
	v_cndmask_b32_e64 v1, v1, v7, s0
	v_cndmask_b32_e64 v25, v25, v6, s0
	v_cndmask_b32_e32 v26, v1, v9, vcc_lo
	v_cndmask_b32_e32 v25, v25, v8, vcc_lo
	v_add_co_u32 v20, vcc_lo, v20, 1
	v_add_co_ci_u32_e64 v21, null, 0, v21, vcc_lo
	s_waitcnt lgkmcnt(0)
	v_fma_f64 v[18:19], v[25:26], v[23:24], v[18:19]
	v_add_nc_u32_e32 v1, -1, v20
	v_cmp_lt_u32_e32 vcc_lo, 1, v1
	s_or_b32 s2, vcc_lo, s2
	s_andn2_b32 exec_lo, exec_lo, s2
	s_cbranch_execnz .LBB67_25
; %bb.26:
	s_or_b32 exec_lo, exec_lo, s2
	v_mov_b32_e32 v1, 0
	ds_read_b64 v[8:9], v1 offset:24
	s_waitcnt lgkmcnt(0)
	v_mul_f64 v[8:9], v[18:19], v[8:9]
.LBB67_27:
	s_or_b32 exec_lo, exec_lo, s1
	s_barrier
	buffer_gl0_inv
	s_cbranch_execnz .LBB67_15
	s_branch .LBB67_16
.LBB67_28:
	v_lshl_add_u32 v1, v0, 3, 32
	s_mov_b32 s0, exec_lo
	v_cmpx_eq_u32_e32 3, v0
	s_cbranch_execz .LBB67_30
; %bb.29:
	s_mov_b32 s1, 0
	s_waitcnt lgkmcnt(0)
	v_mov_b32_e32 v25, v9
	v_mov_b32_e32 v23, v7
	;; [unrolled: 1-line block ×10, first 2 shown]
	ds_write_b64 v1, v[6:7]
	v_mov_b32_e32 v2, v18
	v_mov_b32_e32 v3, v19
	;; [unrolled: 1-line block ×8, first 2 shown]
.LBB67_30:
	s_or_b32 exec_lo, exec_lo, s0
	v_mov_b32_e32 v18, 0
	s_waitcnt lgkmcnt(0)
	s_waitcnt_vscnt null, 0x0
	s_barrier
	buffer_gl0_inv
	s_mov_b32 s0, exec_lo
	ds_read_b64 v[19:20], v18 offset:56
	s_waitcnt lgkmcnt(0)
	v_fma_f64 v[19:20], v[8:9], v[19:20], 0
	v_add_f64 v[6:7], v[6:7], -v[19:20]
	v_cmpx_lt_u32_e32 1, v0
	s_cbranch_execz .LBB67_32
; %bb.31:
	s_mov_b32 s1, 0
	v_mov_b32_e32 v26, v9
	v_mov_b32_e32 v22, v5
	;; [unrolled: 1-line block ×10, first 2 shown]
	ds_write_b64 v1, v[4:5]
	v_mov_b32_e32 v2, v19
	v_mov_b32_e32 v3, v20
	;; [unrolled: 1-line block ×8, first 2 shown]
.LBB67_32:
	s_or_b32 exec_lo, exec_lo, s0
	s_waitcnt lgkmcnt(0)
	s_barrier
	buffer_gl0_inv
	ds_read_b128 v[18:21], v18 offset:48
	s_mov_b32 s1, 0
	s_mov_b32 s0, exec_lo
	s_waitcnt lgkmcnt(0)
	v_fma_f64 v[18:19], v[6:7], v[18:19], 0
	v_fma_f64 v[18:19], v[8:9], v[20:21], v[18:19]
	v_add_f64 v[4:5], v[4:5], -v[18:19]
	v_cmpx_ne_u32_e32 0, v0
	s_cbranch_execz .LBB67_34
; %bb.33:
	v_mov_b32_e32 v25, v9
	v_mov_b32_e32 v18, v2
	;; [unrolled: 1-line block ×10, first 2 shown]
	ds_write_b64 v1, v[2:3]
	v_mov_b32_e32 v2, v18
	v_mov_b32_e32 v5, v21
	v_mov_b32_e32 v4, v20
	v_mov_b32_e32 v3, v19
	v_mov_b32_e32 v6, v22
	v_mov_b32_e32 v7, v23
	v_mov_b32_e32 v8, v24
	v_mov_b32_e32 v9, v25
.LBB67_34:
	s_or_b32 exec_lo, exec_lo, s0
	v_mov_b32_e32 v0, 0
	s_waitcnt lgkmcnt(0)
	s_barrier
	buffer_gl0_inv
	s_and_b32 vcc_lo, exec_lo, s14
	ds_read2_b64 v[18:21], v0 offset0:5 offset1:6
	ds_read_b64 v[22:23], v0 offset:56
	s_waitcnt lgkmcnt(1)
	v_fma_f64 v[18:19], v[4:5], v[18:19], 0
	v_fma_f64 v[18:19], v[6:7], v[20:21], v[18:19]
	s_waitcnt lgkmcnt(0)
	v_fma_f64 v[18:19], v[8:9], v[22:23], v[18:19]
	v_add_f64 v[2:3], v[2:3], -v[18:19]
	s_cbranch_vccz .LBB67_41
; %bb.35:
	global_load_dword v0, v0, s[12:13] offset:8
	s_waitcnt vmcnt(0)
	v_readfirstlane_b32 s1, v0
	s_add_i32 s1, s1, -1
	s_cmp_lg_u32 s1, 2
	s_cbranch_scc0 .LBB67_37
; %bb.36:
	s_cmp_eq_u32 s1, 1
	s_cselect_b32 vcc_lo, -1, 0
	s_cmp_eq_u32 s1, 2
	v_cndmask_b32_e32 v0, v2, v4, vcc_lo
	v_cndmask_b32_e32 v1, v3, v5, vcc_lo
	s_cselect_b32 s0, -1, 0
	s_cmp_eq_u32 s1, 3
	v_cndmask_b32_e32 v21, v5, v7, vcc_lo
	v_cndmask_b32_e64 v0, v0, v6, s0
	v_cndmask_b32_e64 v1, v1, v7, s0
	v_cndmask_b32_e32 v20, v4, v6, vcc_lo
	s_cselect_b32 vcc_lo, -1, 0
	s_cmp_eq_u32 s1, 0
	v_cndmask_b32_e32 v0, v0, v8, vcc_lo
	v_cndmask_b32_e32 v1, v1, v9, vcc_lo
	;; [unrolled: 1-line block ×4, first 2 shown]
	s_cselect_b32 vcc_lo, -1, 0
	v_cndmask_b32_e64 v22, v0, v6, s0
	v_cndmask_b32_e32 v18, v2, v6, vcc_lo
	v_cndmask_b32_e64 v23, v1, v7, s0
	v_cndmask_b32_e32 v19, v3, v7, vcc_lo
	v_mov_b32_e32 v2, v18
	v_mov_b32_e32 v4, v20
	v_mov_b32_e32 v3, v19
	v_mov_b32_e32 v5, v21
	v_mov_b32_e32 v6, v22
	v_mov_b32_e32 v7, v23
	v_mov_b32_e32 v8, v24
	v_mov_b32_e32 v9, v25
.LBB67_37:
	v_mov_b32_e32 v0, 0
	global_load_dword v1, v0, s[12:13] offset:4
	s_waitcnt vmcnt(0)
	v_readfirstlane_b32 s1, v1
	s_add_i32 s1, s1, -1
	s_cmp_eq_u32 s1, 1
	s_cbranch_scc1 .LBB67_39
; %bb.38:
	s_cselect_b32 vcc_lo, -1, 0
	s_cmp_eq_u32 s1, 2
	v_cndmask_b32_e32 v1, v2, v4, vcc_lo
	v_cndmask_b32_e32 v18, v3, v5, vcc_lo
	s_cselect_b32 s0, -1, 0
	s_cmp_eq_u32 s1, 3
	v_cndmask_b32_e64 v23, v7, v5, s0
	v_cndmask_b32_e64 v1, v1, v6, s0
	;; [unrolled: 1-line block ×4, first 2 shown]
	s_cselect_b32 s0, -1, 0
	s_cmp_eq_u32 s1, 0
	v_cndmask_b32_e64 v1, v1, v8, s0
	v_cndmask_b32_e64 v6, v18, v9, s0
	;; [unrolled: 1-line block ×4, first 2 shown]
	v_cndmask_b32_e32 v20, v1, v4, vcc_lo
	v_cndmask_b32_e32 v21, v6, v5, vcc_lo
	s_cselect_b32 vcc_lo, -1, 0
	v_cndmask_b32_e32 v18, v2, v4, vcc_lo
	v_cndmask_b32_e32 v19, v3, v5, vcc_lo
	v_mov_b32_e32 v2, v18
	v_mov_b32_e32 v3, v19
	;; [unrolled: 1-line block ×8, first 2 shown]
.LBB67_39:
	global_load_dword v0, v0, s[12:13]
	s_waitcnt vmcnt(0)
	v_readfirstlane_b32 s2, v0
	s_add_i32 s2, s2, -1
	s_cmp_eq_u32 s2, 0
	s_cbranch_scc1 .LBB67_41
; %bb.40:
	s_cmp_eq_u32 s2, 1
	s_cselect_b32 vcc_lo, -1, 0
	s_cmp_eq_u32 s2, 2
	v_cndmask_b32_e32 v0, v2, v4, vcc_lo
	v_cndmask_b32_e32 v1, v3, v5, vcc_lo
	s_cselect_b32 s0, -1, 0
	s_cmp_eq_u32 s2, 3
	v_cndmask_b32_e64 v23, v7, v3, s0
	v_cndmask_b32_e64 v0, v0, v6, s0
	;; [unrolled: 1-line block ×3, first 2 shown]
	s_cselect_b32 s1, -1, 0
	s_cmp_eq_u32 s2, 0
	v_cndmask_b32_e64 v22, v6, v2, s0
	v_cndmask_b32_e64 v0, v0, v8, s1
	;; [unrolled: 1-line block ×3, first 2 shown]
	s_cselect_b32 s0, -1, 0
	v_cndmask_b32_e64 v25, v9, v3, s1
	v_cndmask_b32_e64 v24, v8, v2, s1
	;; [unrolled: 1-line block ×4, first 2 shown]
	v_cndmask_b32_e32 v21, v5, v3, vcc_lo
	v_cndmask_b32_e32 v20, v4, v2, vcc_lo
	v_mov_b32_e32 v2, v18
	v_mov_b32_e32 v3, v19
	;; [unrolled: 1-line block ×8, first 2 shown]
.LBB67_41:
	flat_store_dwordx2 v[10:11], v[2:3]
	flat_store_dwordx2 v[12:13], v[4:5]
	flat_store_dwordx2 v[16:17], v[6:7]
	flat_store_dwordx2 v[14:15], v[8:9]
	s_endpgm
	.section	.rodata,"a",@progbits
	.p2align	6, 0x0
	.amdhsa_kernel _ZN9rocsolver6v33100L18getri_kernel_smallILi4EdPKPdEEvT1_iilPiilS6_bb
		.amdhsa_group_segment_fixed_size 72
		.amdhsa_private_segment_fixed_size 0
		.amdhsa_kernarg_size 60
		.amdhsa_user_sgpr_count 6
		.amdhsa_user_sgpr_private_segment_buffer 1
		.amdhsa_user_sgpr_dispatch_ptr 0
		.amdhsa_user_sgpr_queue_ptr 0
		.amdhsa_user_sgpr_kernarg_segment_ptr 1
		.amdhsa_user_sgpr_dispatch_id 0
		.amdhsa_user_sgpr_flat_scratch_init 0
		.amdhsa_user_sgpr_private_segment_size 0
		.amdhsa_wavefront_size32 1
		.amdhsa_uses_dynamic_stack 0
		.amdhsa_system_sgpr_private_segment_wavefront_offset 0
		.amdhsa_system_sgpr_workgroup_id_x 1
		.amdhsa_system_sgpr_workgroup_id_y 0
		.amdhsa_system_sgpr_workgroup_id_z 0
		.amdhsa_system_sgpr_workgroup_info 0
		.amdhsa_system_vgpr_workitem_id 0
		.amdhsa_next_free_vgpr 29
		.amdhsa_next_free_sgpr 16
		.amdhsa_reserve_vcc 1
		.amdhsa_reserve_flat_scratch 1
		.amdhsa_float_round_mode_32 0
		.amdhsa_float_round_mode_16_64 0
		.amdhsa_float_denorm_mode_32 3
		.amdhsa_float_denorm_mode_16_64 3
		.amdhsa_dx10_clamp 1
		.amdhsa_ieee_mode 1
		.amdhsa_fp16_overflow 0
		.amdhsa_workgroup_processor_mode 1
		.amdhsa_memory_ordered 1
		.amdhsa_forward_progress 1
		.amdhsa_shared_vgpr_count 0
		.amdhsa_exception_fp_ieee_invalid_op 0
		.amdhsa_exception_fp_denorm_src 0
		.amdhsa_exception_fp_ieee_div_zero 0
		.amdhsa_exception_fp_ieee_overflow 0
		.amdhsa_exception_fp_ieee_underflow 0
		.amdhsa_exception_fp_ieee_inexact 0
		.amdhsa_exception_int_div_zero 0
	.end_amdhsa_kernel
	.section	.text._ZN9rocsolver6v33100L18getri_kernel_smallILi4EdPKPdEEvT1_iilPiilS6_bb,"axG",@progbits,_ZN9rocsolver6v33100L18getri_kernel_smallILi4EdPKPdEEvT1_iilPiilS6_bb,comdat
.Lfunc_end67:
	.size	_ZN9rocsolver6v33100L18getri_kernel_smallILi4EdPKPdEEvT1_iilPiilS6_bb, .Lfunc_end67-_ZN9rocsolver6v33100L18getri_kernel_smallILi4EdPKPdEEvT1_iilPiilS6_bb
                                        ; -- End function
	.set _ZN9rocsolver6v33100L18getri_kernel_smallILi4EdPKPdEEvT1_iilPiilS6_bb.num_vgpr, 29
	.set _ZN9rocsolver6v33100L18getri_kernel_smallILi4EdPKPdEEvT1_iilPiilS6_bb.num_agpr, 0
	.set _ZN9rocsolver6v33100L18getri_kernel_smallILi4EdPKPdEEvT1_iilPiilS6_bb.numbered_sgpr, 16
	.set _ZN9rocsolver6v33100L18getri_kernel_smallILi4EdPKPdEEvT1_iilPiilS6_bb.num_named_barrier, 0
	.set _ZN9rocsolver6v33100L18getri_kernel_smallILi4EdPKPdEEvT1_iilPiilS6_bb.private_seg_size, 0
	.set _ZN9rocsolver6v33100L18getri_kernel_smallILi4EdPKPdEEvT1_iilPiilS6_bb.uses_vcc, 1
	.set _ZN9rocsolver6v33100L18getri_kernel_smallILi4EdPKPdEEvT1_iilPiilS6_bb.uses_flat_scratch, 1
	.set _ZN9rocsolver6v33100L18getri_kernel_smallILi4EdPKPdEEvT1_iilPiilS6_bb.has_dyn_sized_stack, 0
	.set _ZN9rocsolver6v33100L18getri_kernel_smallILi4EdPKPdEEvT1_iilPiilS6_bb.has_recursion, 0
	.set _ZN9rocsolver6v33100L18getri_kernel_smallILi4EdPKPdEEvT1_iilPiilS6_bb.has_indirect_call, 0
	.section	.AMDGPU.csdata,"",@progbits
; Kernel info:
; codeLenInByte = 2444
; TotalNumSgprs: 18
; NumVgprs: 29
; ScratchSize: 0
; MemoryBound: 0
; FloatMode: 240
; IeeeMode: 1
; LDSByteSize: 72 bytes/workgroup (compile time only)
; SGPRBlocks: 0
; VGPRBlocks: 3
; NumSGPRsForWavesPerEU: 18
; NumVGPRsForWavesPerEU: 29
; Occupancy: 16
; WaveLimiterHint : 1
; COMPUTE_PGM_RSRC2:SCRATCH_EN: 0
; COMPUTE_PGM_RSRC2:USER_SGPR: 6
; COMPUTE_PGM_RSRC2:TRAP_HANDLER: 0
; COMPUTE_PGM_RSRC2:TGID_X_EN: 1
; COMPUTE_PGM_RSRC2:TGID_Y_EN: 0
; COMPUTE_PGM_RSRC2:TGID_Z_EN: 0
; COMPUTE_PGM_RSRC2:TIDIG_COMP_CNT: 0
	.section	.text._ZN9rocsolver6v33100L18getri_kernel_smallILi5EdPKPdEEvT1_iilPiilS6_bb,"axG",@progbits,_ZN9rocsolver6v33100L18getri_kernel_smallILi5EdPKPdEEvT1_iilPiilS6_bb,comdat
	.globl	_ZN9rocsolver6v33100L18getri_kernel_smallILi5EdPKPdEEvT1_iilPiilS6_bb ; -- Begin function _ZN9rocsolver6v33100L18getri_kernel_smallILi5EdPKPdEEvT1_iilPiilS6_bb
	.p2align	8
	.type	_ZN9rocsolver6v33100L18getri_kernel_smallILi5EdPKPdEEvT1_iilPiilS6_bb,@function
_ZN9rocsolver6v33100L18getri_kernel_smallILi5EdPKPdEEvT1_iilPiilS6_bb: ; @_ZN9rocsolver6v33100L18getri_kernel_smallILi5EdPKPdEEvT1_iilPiilS6_bb
; %bb.0:
	s_mov_b32 s0, exec_lo
	v_cmpx_gt_u32_e32 5, v0
	s_cbranch_execz .LBB68_16
; %bb.1:
	s_clause 0x2
	s_load_dword s12, s[4:5], 0x38
	s_load_dwordx2 s[0:1], s[4:5], 0x0
	s_load_dwordx4 s[8:11], s[4:5], 0x28
	s_waitcnt lgkmcnt(0)
	s_bitcmp1_b32 s12, 8
	s_cselect_b32 s14, -1, 0
	s_ashr_i32 s7, s6, 31
	s_lshl_b64 s[2:3], s[6:7], 3
	s_add_u32 s0, s0, s2
	s_addc_u32 s1, s1, s3
	s_bfe_u32 s2, s12, 0x10008
	s_load_dwordx2 s[0:1], s[0:1], 0x0
	s_cmp_eq_u32 s2, 0
                                        ; implicit-def: $sgpr12_sgpr13
	s_cbranch_scc1 .LBB68_3
; %bb.2:
	s_clause 0x1
	s_load_dword s2, s[4:5], 0x20
	s_load_dwordx2 s[12:13], s[4:5], 0x18
	s_mul_i32 s3, s8, s7
	s_mul_hi_u32 s15, s8, s6
	s_mul_i32 s9, s9, s6
	s_add_i32 s3, s15, s3
	s_mul_i32 s8, s8, s6
	s_add_i32 s9, s3, s9
	s_lshl_b64 s[8:9], s[8:9], 2
	s_waitcnt lgkmcnt(0)
	s_ashr_i32 s3, s2, 31
	s_add_u32 s8, s12, s8
	s_addc_u32 s9, s13, s9
	s_lshl_b64 s[2:3], s[2:3], 2
	s_add_u32 s12, s8, s2
	s_addc_u32 s13, s9, s3
.LBB68_3:
	s_clause 0x1
	s_load_dwordx2 s[2:3], s[4:5], 0x8
	s_load_dword s15, s[4:5], 0x38
	v_lshlrev_b32_e32 v14, 3, v0
	s_waitcnt lgkmcnt(0)
	v_add3_u32 v1, s3, s3, v0
	s_ashr_i32 s5, s2, 31
	s_mov_b32 s4, s2
	s_mov_b32 s8, s3
	s_lshl_b64 s[4:5], s[4:5], 3
	v_add_nc_u32_e32 v3, s3, v1
	v_ashrrev_i32_e32 v2, 31, v1
	s_add_u32 s2, s0, s4
	s_addc_u32 s4, s1, s5
	v_add_co_u32 v28, s0, s2, v14
	v_add_nc_u32_e32 v5, s3, v3
	s_ashr_i32 s9, s3, 31
	v_lshlrev_b64 v[1:2], 3, v[1:2]
	v_add_co_ci_u32_e64 v29, null, s4, 0, s0
	v_ashrrev_i32_e32 v4, 31, v3
	s_lshl_b64 s[0:1], s[8:9], 3
	v_ashrrev_i32_e32 v6, 31, v5
	v_add_co_u32 v30, vcc_lo, v28, s0
	v_add_co_ci_u32_e64 v31, null, s1, v29, vcc_lo
	v_lshlrev_b64 v[3:4], 3, v[3:4]
	v_add_co_u32 v32, vcc_lo, s2, v1
	v_add_co_ci_u32_e64 v33, null, s4, v2, vcc_lo
	v_lshlrev_b64 v[1:2], 3, v[5:6]
	v_add_co_u32 v36, vcc_lo, s2, v3
	v_add_co_ci_u32_e64 v37, null, s4, v4, vcc_lo
	s_bitcmp0_b32 s15, 0
	v_add_co_u32 v34, vcc_lo, s2, v1
	v_add_co_ci_u32_e64 v35, null, s4, v2, vcc_lo
	s_clause 0x4
	flat_load_dwordx2 v[2:3], v[28:29]
	flat_load_dwordx2 v[4:5], v[30:31]
	;; [unrolled: 1-line block ×5, first 2 shown]
	v_mov_b32_e32 v1, 0
	s_mov_b32 s0, -1
	s_cbranch_scc1 .LBB68_14
; %bb.4:
	v_cmp_eq_u32_e64 s0, 0, v0
	s_and_saveexec_b32 s1, s0
; %bb.5:
	v_mov_b32_e32 v12, 0
	ds_write_b32 v12, v12 offset:40
; %bb.6:
	s_or_b32 exec_lo, exec_lo, s1
	v_cmp_eq_u32_e32 vcc_lo, 1, v0
	s_mov_b32 s2, exec_lo
	s_waitcnt vmcnt(0) lgkmcnt(0)
	s_barrier
	buffer_gl0_inv
	v_cndmask_b32_e32 v12, v3, v5, vcc_lo
	v_cndmask_b32_e32 v13, v2, v4, vcc_lo
	v_cmp_eq_u32_e32 vcc_lo, 2, v0
	v_cndmask_b32_e32 v12, v12, v7, vcc_lo
	v_cndmask_b32_e32 v13, v13, v6, vcc_lo
	v_cmp_eq_u32_e32 vcc_lo, 3, v0
	;; [unrolled: 3-line block ×3, first 2 shown]
	v_cndmask_b32_e32 v13, v12, v11, vcc_lo
	v_cndmask_b32_e32 v12, v15, v10, vcc_lo
	v_cmpx_eq_f64_e32 0, v[12:13]
	s_cbranch_execz .LBB68_10
; %bb.7:
	v_mov_b32_e32 v15, 0
	s_mov_b32 s3, 0
	ds_read_b32 v16, v15 offset:40
	s_waitcnt lgkmcnt(0)
	v_readfirstlane_b32 s1, v16
	v_add_nc_u32_e32 v16, 1, v0
	s_cmp_eq_u32 s1, 0
	v_cmp_gt_i32_e32 vcc_lo, s1, v16
	s_cselect_b32 s4, -1, 0
	s_or_b32 s4, s4, vcc_lo
	s_and_b32 exec_lo, exec_lo, s4
	s_cbranch_execz .LBB68_10
; %bb.8:
	v_mov_b32_e32 v17, s1
.LBB68_9:                               ; =>This Inner Loop Header: Depth=1
	ds_cmpst_rtn_b32 v17, v15, v17, v16 offset:40
	s_waitcnt lgkmcnt(0)
	v_cmp_ne_u32_e32 vcc_lo, 0, v17
	v_cmp_le_i32_e64 s1, v17, v16
	s_and_b32 s1, vcc_lo, s1
	s_and_b32 s1, exec_lo, s1
	s_or_b32 s3, s1, s3
	s_andn2_b32 exec_lo, exec_lo, s3
	s_cbranch_execnz .LBB68_9
.LBB68_10:
	s_or_b32 exec_lo, exec_lo, s2
	v_mov_b32_e32 v15, 0
	s_barrier
	buffer_gl0_inv
	ds_read_b32 v16, v15 offset:40
	s_and_saveexec_b32 s1, s0
	s_cbranch_execz .LBB68_12
; %bb.11:
	s_lshl_b64 s[2:3], s[6:7], 2
	s_add_u32 s2, s10, s2
	s_addc_u32 s3, s11, s3
	s_waitcnt lgkmcnt(0)
	global_store_dword v15, v16, s[2:3]
.LBB68_12:
	s_or_b32 exec_lo, exec_lo, s1
	s_waitcnt lgkmcnt(0)
	v_cmp_ne_u32_e32 vcc_lo, 0, v16
	s_cbranch_vccz .LBB68_17
; %bb.13:
	s_mov_b32 s0, 0
                                        ; implicit-def: $vgpr2_vgpr3_vgpr4_vgpr5_vgpr6_vgpr7_vgpr8_vgpr9_vgpr10_vgpr11_vgpr12_vgpr13_vgpr14_vgpr15_vgpr16_vgpr17
.LBB68_14:
	s_and_b32 vcc_lo, exec_lo, s0
	s_cbranch_vccz .LBB68_16
.LBB68_15:
	s_lshl_b64 s[0:1], s[6:7], 2
	v_mov_b32_e32 v1, 0
	s_add_u32 s0, s10, s0
	s_addc_u32 s1, s11, s1
	global_load_dword v1, v1, s[0:1]
	s_waitcnt vmcnt(0)
	v_cmp_ne_u32_e32 vcc_lo, 0, v1
	s_cbranch_vccz .LBB68_32
.LBB68_16:
	s_endpgm
.LBB68_17:
	v_div_scale_f64 v[15:16], null, v[12:13], v[12:13], 1.0
	v_div_scale_f64 v[21:22], vcc_lo, 1.0, v[12:13], 1.0
	v_cmp_eq_u32_e64 s1, 3, v0
	v_cmp_eq_u32_e64 s2, 2, v0
	;; [unrolled: 1-line block ×4, first 2 shown]
	v_rcp_f64_e32 v[17:18], v[15:16]
	v_fma_f64 v[19:20], -v[15:16], v[17:18], 1.0
	v_fma_f64 v[17:18], v[17:18], v[19:20], v[17:18]
	v_fma_f64 v[19:20], -v[15:16], v[17:18], 1.0
	v_fma_f64 v[17:18], v[17:18], v[19:20], v[17:18]
	v_mul_f64 v[19:20], v[21:22], v[17:18]
	v_fma_f64 v[15:16], -v[15:16], v[19:20], v[21:22]
	v_div_fmas_f64 v[15:16], v[15:16], v[17:18], v[19:20]
	v_cmp_eq_u32_e32 vcc_lo, 4, v0
	v_div_fixup_f64 v[12:13], v[15:16], v[12:13], 1.0
	v_add_nc_u32_e32 v16, 48, v14
	v_cndmask_b32_e32 v11, v11, v13, vcc_lo
	v_cndmask_b32_e32 v10, v10, v12, vcc_lo
	v_cndmask_b32_e64 v9, v9, v13, s1
	v_cndmask_b32_e64 v8, v8, v12, s1
	;; [unrolled: 1-line block ×4, first 2 shown]
	v_xor_b32_e32 v18, 0x80000000, v13
	v_mov_b32_e32 v17, v12
	v_cndmask_b32_e64 v7, v7, v13, s2
	v_cndmask_b32_e64 v6, v6, v12, s2
	;; [unrolled: 1-line block ×4, first 2 shown]
	ds_write2_b64 v14, v[17:18], v[4:5] offset1:6
	s_waitcnt lgkmcnt(0)
	s_waitcnt_vscnt null, 0x0
	s_barrier
	buffer_gl0_inv
	s_and_saveexec_b32 s1, s0
	s_cbranch_execz .LBB68_19
; %bb.18:
	ds_read_b64 v[4:5], v16
	v_mov_b32_e32 v14, 0
	ds_read_b64 v[14:15], v14 offset:8
	s_waitcnt lgkmcnt(1)
	v_fma_f64 v[4:5], v[12:13], v[4:5], 0
	s_waitcnt lgkmcnt(0)
	v_mul_f64 v[4:5], v[4:5], v[14:15]
.LBB68_19:
	s_or_b32 exec_lo, exec_lo, s1
	s_mov_b32 s2, exec_lo
	s_barrier
	buffer_gl0_inv
	ds_write_b64 v16, v[6:7]
	s_waitcnt lgkmcnt(0)
	s_barrier
	buffer_gl0_inv
	v_cmpx_gt_u32_e32 2, v0
	s_cbranch_execz .LBB68_23
; %bb.20:
	v_cmp_eq_u32_e32 vcc_lo, 1, v0
	v_cmp_eq_u32_e64 s1, 2, v0
	ds_read_b64 v[12:13], v16
	v_cndmask_b32_e32 v14, v3, v5, vcc_lo
	v_cndmask_b32_e32 v15, v2, v4, vcc_lo
	v_cmp_eq_u32_e32 vcc_lo, 3, v0
	v_cndmask_b32_e64 v7, v14, v7, s1
	v_cndmask_b32_e64 v6, v15, v6, s1
	v_cndmask_b32_e32 v7, v7, v9, vcc_lo
	v_cndmask_b32_e32 v6, v6, v8, vcc_lo
	v_cmp_eq_u32_e32 vcc_lo, 4, v0
	v_cndmask_b32_e32 v7, v7, v11, vcc_lo
	v_cndmask_b32_e32 v6, v6, v10, vcc_lo
	s_waitcnt lgkmcnt(0)
	v_fma_f64 v[6:7], v[6:7], v[12:13], 0
	s_and_saveexec_b32 s1, s0
	s_cbranch_execz .LBB68_22
; %bb.21:
	v_mov_b32_e32 v12, 0
	ds_read_b64 v[12:13], v12 offset:56
	s_waitcnt lgkmcnt(0)
	v_fma_f64 v[6:7], v[4:5], v[12:13], v[6:7]
.LBB68_22:
	s_or_b32 exec_lo, exec_lo, s1
	v_mov_b32_e32 v12, 0
	ds_read_b64 v[12:13], v12 offset:16
	s_waitcnt lgkmcnt(0)
	v_mul_f64 v[6:7], v[6:7], v[12:13]
.LBB68_23:
	s_or_b32 exec_lo, exec_lo, s2
	s_mov_b32 s1, exec_lo
	s_barrier
	buffer_gl0_inv
	ds_write_b64 v16, v[8:9]
	s_waitcnt lgkmcnt(0)
	s_barrier
	buffer_gl0_inv
	v_cmpx_gt_u32_e32 3, v0
	s_cbranch_execz .LBB68_27
; %bb.24:
	v_mov_b32_e32 v12, 0
	v_mov_b32_e32 v15, v1
	v_lshl_add_u32 v17, v0, 3, 48
	v_mov_b32_e32 v13, 0
	v_mov_b32_e32 v14, v0
	s_mov_b32 s2, 0
	.p2align	6
.LBB68_25:                              ; =>This Inner Loop Header: Depth=1
	v_cmp_eq_u32_e32 vcc_lo, 1, v14
	v_cmp_eq_u32_e64 s0, 2, v14
	ds_read_b64 v[18:19], v17
	v_add_nc_u32_e32 v17, 8, v17
	v_cndmask_b32_e32 v20, v3, v5, vcc_lo
	v_cndmask_b32_e32 v21, v2, v4, vcc_lo
	v_cmp_eq_u32_e32 vcc_lo, 3, v14
	v_cndmask_b32_e64 v20, v20, v7, s0
	v_cndmask_b32_e64 v21, v21, v6, s0
	v_cmp_eq_u32_e64 s0, 4, v14
	v_cndmask_b32_e32 v20, v20, v9, vcc_lo
	v_cndmask_b32_e32 v22, v21, v8, vcc_lo
	v_add_co_u32 v14, vcc_lo, v14, 1
	v_add_co_ci_u32_e64 v15, null, 0, v15, vcc_lo
	v_cndmask_b32_e64 v21, v20, v11, s0
	v_cndmask_b32_e64 v20, v22, v10, s0
	s_waitcnt lgkmcnt(0)
	v_fma_f64 v[12:13], v[20:21], v[18:19], v[12:13]
	v_add_nc_u32_e32 v18, -1, v14
	v_cmp_lt_u32_e32 vcc_lo, 1, v18
	s_or_b32 s2, vcc_lo, s2
	s_andn2_b32 exec_lo, exec_lo, s2
	s_cbranch_execnz .LBB68_25
; %bb.26:
	s_or_b32 exec_lo, exec_lo, s2
	v_mov_b32_e32 v8, 0
	ds_read_b64 v[8:9], v8 offset:24
	s_waitcnt lgkmcnt(0)
	v_mul_f64 v[8:9], v[12:13], v[8:9]
.LBB68_27:
	s_or_b32 exec_lo, exec_lo, s1
	s_mov_b32 s1, exec_lo
	s_barrier
	buffer_gl0_inv
	ds_write_b64 v16, v[10:11]
	s_waitcnt lgkmcnt(0)
	s_barrier
	buffer_gl0_inv
	v_cmpx_ne_u32_e32 4, v0
	s_cbranch_execz .LBB68_31
; %bb.28:
	v_mov_b32_e32 v12, 0
	v_mov_b32_e32 v15, v1
	v_lshl_add_u32 v16, v0, 3, 48
	v_mov_b32_e32 v13, 0
	v_mov_b32_e32 v14, v0
	s_mov_b32 s2, 0
	.p2align	6
.LBB68_29:                              ; =>This Inner Loop Header: Depth=1
	v_cmp_eq_u32_e32 vcc_lo, 1, v14
	v_cmp_eq_u32_e64 s0, 2, v14
	ds_read_b64 v[17:18], v16
	v_add_nc_u32_e32 v16, 8, v16
	v_cndmask_b32_e32 v1, v3, v5, vcc_lo
	v_cndmask_b32_e32 v19, v2, v4, vcc_lo
	v_cmp_eq_u32_e32 vcc_lo, 3, v14
	v_cndmask_b32_e64 v1, v1, v7, s0
	v_cndmask_b32_e64 v19, v19, v6, s0
	v_cmp_eq_u32_e64 s0, 4, v14
	v_cndmask_b32_e32 v1, v1, v9, vcc_lo
	v_cndmask_b32_e32 v19, v19, v8, vcc_lo
	v_add_co_u32 v14, vcc_lo, v14, 1
	v_add_co_ci_u32_e64 v15, null, 0, v15, vcc_lo
	v_cndmask_b32_e64 v20, v1, v11, s0
	v_cndmask_b32_e64 v19, v19, v10, s0
	v_add_nc_u32_e32 v1, -1, v14
	s_waitcnt lgkmcnt(0)
	v_fma_f64 v[12:13], v[19:20], v[17:18], v[12:13]
	v_cmp_lt_u32_e32 vcc_lo, 2, v1
	s_or_b32 s2, vcc_lo, s2
	s_andn2_b32 exec_lo, exec_lo, s2
	s_cbranch_execnz .LBB68_29
; %bb.30:
	s_or_b32 exec_lo, exec_lo, s2
	v_mov_b32_e32 v1, 0
	ds_read_b64 v[10:11], v1 offset:32
	s_waitcnt lgkmcnt(0)
	v_mul_f64 v[10:11], v[12:13], v[10:11]
.LBB68_31:
	s_or_b32 exec_lo, exec_lo, s1
	s_barrier
	buffer_gl0_inv
	s_cbranch_execnz .LBB68_15
	s_branch .LBB68_16
.LBB68_32:
	v_lshl_add_u32 v1, v0, 3, 48
	s_mov_b32 s0, exec_lo
	v_cmpx_eq_u32_e32 4, v0
	s_cbranch_execz .LBB68_34
; %bb.33:
	v_mov_b32_e32 v18, 0
	s_waitcnt lgkmcnt(4)
	v_mov_b32_e32 v12, v2
	s_waitcnt lgkmcnt(0)
	v_mov_b32_e32 v20, v10
	v_mov_b32_e32 v21, v11
	;; [unrolled: 1-line block ×8, first 2 shown]
	ds_write_b64 v1, v[8:9]
	v_mov_b32_e32 v2, v12
	v_mov_b32_e32 v3, v13
	;; [unrolled: 1-line block ×16, first 2 shown]
.LBB68_34:
	s_or_b32 exec_lo, exec_lo, s0
	v_mov_b32_e32 v18, 0
	s_waitcnt lgkmcnt(0)
	s_waitcnt_vscnt null, 0x0
	s_barrier
	buffer_gl0_inv
	s_mov_b32 s0, exec_lo
	ds_read_b64 v[12:13], v18 offset:80
	s_waitcnt lgkmcnt(0)
	v_fma_f64 v[12:13], v[10:11], v[12:13], 0
	v_add_f64 v[8:9], v[8:9], -v[12:13]
	v_cmpx_lt_u32_e32 2, v0
	s_cbranch_execz .LBB68_36
; %bb.35:
	v_mov_b32_e32 v14, v2
	v_mov_b32_e32 v19, v18
	;; [unrolled: 1-line block ×9, first 2 shown]
	ds_write_b64 v1, v[6:7]
	v_mov_b32_e32 v2, v14
	v_mov_b32_e32 v3, v15
	;; [unrolled: 1-line block ×16, first 2 shown]
.LBB68_36:
	s_or_b32 exec_lo, exec_lo, s0
	s_waitcnt lgkmcnt(0)
	s_barrier
	buffer_gl0_inv
	ds_read2_b64 v[12:15], v18 offset0:9 offset1:10
	s_mov_b32 s0, exec_lo
	s_waitcnt lgkmcnt(0)
	v_fma_f64 v[12:13], v[8:9], v[12:13], 0
	v_fma_f64 v[12:13], v[10:11], v[14:15], v[12:13]
	v_add_f64 v[6:7], v[6:7], -v[12:13]
	v_cmpx_lt_u32_e32 1, v0
	s_cbranch_execz .LBB68_38
; %bb.37:
	v_mov_b32_e32 v14, 0
	v_mov_b32_e32 v12, v2
	;; [unrolled: 1-line block ×10, first 2 shown]
	ds_write_b64 v1, v[4:5]
	v_mov_b32_e32 v2, v12
	v_mov_b32_e32 v3, v13
	;; [unrolled: 1-line block ×16, first 2 shown]
.LBB68_38:
	s_or_b32 exec_lo, exec_lo, s0
	v_mov_b32_e32 v18, 0
	s_waitcnt lgkmcnt(0)
	s_barrier
	buffer_gl0_inv
	s_mov_b32 s0, exec_lo
	ds_read_b128 v[12:15], v18 offset:64
	ds_read_b64 v[16:17], v18 offset:80
	s_waitcnt lgkmcnt(1)
	v_fma_f64 v[12:13], v[6:7], v[12:13], 0
	v_fma_f64 v[12:13], v[8:9], v[14:15], v[12:13]
	s_waitcnt lgkmcnt(0)
	v_fma_f64 v[12:13], v[10:11], v[16:17], v[12:13]
	v_add_f64 v[4:5], v[4:5], -v[12:13]
	v_cmpx_ne_u32_e32 0, v0
	s_cbranch_execz .LBB68_40
; %bb.39:
	v_mov_b32_e32 v19, v18
	v_mov_b32_e32 v20, v4
	;; [unrolled: 1-line block ×9, first 2 shown]
	ds_write_b64 v1, v[2:3]
	v_mov_b32_e32 v2, v18
	v_mov_b32_e32 v3, v19
	;; [unrolled: 1-line block ×16, first 2 shown]
.LBB68_40:
	s_or_b32 exec_lo, exec_lo, s0
	s_waitcnt lgkmcnt(0)
	s_barrier
	buffer_gl0_inv
	ds_read2_b64 v[12:15], v18 offset0:7 offset1:8
	ds_read2_b64 v[16:19], v18 offset0:9 offset1:10
	s_and_b32 vcc_lo, exec_lo, s14
	s_waitcnt lgkmcnt(1)
	v_fma_f64 v[0:1], v[4:5], v[12:13], 0
	v_fma_f64 v[0:1], v[6:7], v[14:15], v[0:1]
	s_waitcnt lgkmcnt(0)
	v_fma_f64 v[0:1], v[8:9], v[16:17], v[0:1]
	v_fma_f64 v[0:1], v[10:11], v[18:19], v[0:1]
	v_add_f64 v[2:3], v[2:3], -v[0:1]
	s_cbranch_vccz .LBB68_49
; %bb.41:
	v_mov_b32_e32 v0, 0
	global_load_dword v1, v0, s[12:13] offset:12
	s_waitcnt vmcnt(0)
	v_readfirstlane_b32 s1, v1
	s_add_i32 s1, s1, -1
	s_cmp_lg_u32 s1, 3
	s_cbranch_scc0 .LBB68_43
; %bb.42:
	s_cmp_eq_u32 s1, 1
	s_cselect_b32 vcc_lo, -1, 0
	s_cmp_eq_u32 s1, 2
	v_cndmask_b32_e32 v1, v2, v4, vcc_lo
	v_cndmask_b32_e32 v12, v3, v5, vcc_lo
	s_cselect_b32 s0, -1, 0
	v_cndmask_b32_e32 v13, v5, v9, vcc_lo
	s_cmp_eq_u32 s1, 3
	v_cndmask_b32_e64 v1, v1, v6, s0
	v_cndmask_b32_e64 v5, v12, v7, s0
	v_cndmask_b32_e32 v12, v4, v8, vcc_lo
	s_cselect_b32 vcc_lo, -1, 0
	s_cmp_eq_u32 s1, 4
	v_cndmask_b32_e32 v1, v1, v8, vcc_lo
	v_cndmask_b32_e32 v4, v5, v9, vcc_lo
	v_cndmask_b32_e64 v15, v7, v9, s0
	v_cndmask_b32_e64 v14, v6, v8, s0
	s_cselect_b32 s0, -1, 0
	s_cmp_eq_u32 s1, 0
	v_cndmask_b32_e64 v1, v1, v10, s0
	v_cndmask_b32_e64 v4, v4, v11, s0
	v_cndmask_b32_e64 v18, v10, v8, s0
	v_cndmask_b32_e64 v19, v11, v9, s0
	v_cndmask_b32_e32 v16, v1, v8, vcc_lo
	v_cndmask_b32_e32 v17, v4, v9, vcc_lo
	s_cselect_b32 vcc_lo, -1, 0
	v_cndmask_b32_e32 v10, v2, v8, vcc_lo
	v_cndmask_b32_e32 v11, v3, v9, vcc_lo
	v_mov_b32_e32 v2, v10
	v_mov_b32_e32 v3, v11
	;; [unrolled: 1-line block ×16, first 2 shown]
.LBB68_43:
	global_load_dword v0, v0, s[12:13] offset:8
	s_waitcnt vmcnt(0)
	v_readfirstlane_b32 s1, v0
	s_add_i32 s1, s1, -1
	s_cmp_eq_u32 s1, 2
	s_cbranch_scc1 .LBB68_45
; %bb.44:
	s_cmp_eq_u32 s1, 1
	s_cselect_b32 vcc_lo, -1, 0
	s_cmp_eq_u32 s1, 2
	v_cndmask_b32_e32 v0, v2, v4, vcc_lo
	v_cndmask_b32_e32 v1, v3, v5, vcc_lo
	s_cselect_b32 s0, -1, 0
	s_cmp_eq_u32 s1, 3
	v_cndmask_b32_e32 v13, v5, v7, vcc_lo
	v_cndmask_b32_e64 v0, v0, v6, s0
	v_cndmask_b32_e64 v1, v1, v7, s0
	v_cndmask_b32_e32 v12, v4, v6, vcc_lo
	s_cselect_b32 vcc_lo, -1, 0
	s_cmp_eq_u32 s1, 4
	v_cndmask_b32_e32 v0, v0, v8, vcc_lo
	v_cndmask_b32_e32 v1, v1, v9, vcc_lo
	;; [unrolled: 1-line block ×4, first 2 shown]
	s_cselect_b32 vcc_lo, -1, 0
	s_cmp_eq_u32 s1, 0
	v_cndmask_b32_e32 v0, v0, v10, vcc_lo
	v_cndmask_b32_e32 v1, v1, v11, vcc_lo
	;; [unrolled: 1-line block ×4, first 2 shown]
	s_cselect_b32 vcc_lo, -1, 0
	v_cndmask_b32_e64 v14, v0, v6, s0
	v_cndmask_b32_e32 v10, v2, v6, vcc_lo
	v_cndmask_b32_e64 v15, v1, v7, s0
	v_cndmask_b32_e32 v11, v3, v7, vcc_lo
	v_mov_b32_e32 v2, v10
	v_mov_b32_e32 v3, v11
	;; [unrolled: 1-line block ×16, first 2 shown]
.LBB68_45:
	v_mov_b32_e32 v0, 0
	global_load_dword v1, v0, s[12:13] offset:4
	s_waitcnt vmcnt(0)
	v_readfirstlane_b32 s2, v1
	s_add_i32 s2, s2, -1
	s_cmp_eq_u32 s2, 1
	s_cbranch_scc1 .LBB68_47
; %bb.46:
	s_cselect_b32 vcc_lo, -1, 0
	s_cmp_eq_u32 s2, 2
	v_cndmask_b32_e32 v1, v2, v4, vcc_lo
	v_cndmask_b32_e32 v12, v3, v5, vcc_lo
	s_cselect_b32 s0, -1, 0
	s_cmp_eq_u32 s2, 3
	s_cselect_b32 s1, -1, 0
	v_cndmask_b32_e64 v1, v1, v6, s0
	v_cndmask_b32_e64 v13, v12, v7, s0
	v_cndmask_b32_e64 v12, v7, v5, s0
	s_cmp_eq_u32 s2, 4
	v_cndmask_b32_e64 v14, v9, v5, s1
	v_cndmask_b32_e64 v1, v1, v8, s1
	;; [unrolled: 1-line block ×4, first 2 shown]
	s_cselect_b32 s1, -1, 0
	s_cmp_eq_u32 s2, 0
	v_cndmask_b32_e64 v1, v1, v10, s1
	v_cndmask_b32_e64 v7, v7, v11, s1
	v_cndmask_b32_e64 v15, v10, v4, s1
	v_cndmask_b32_e64 v16, v11, v5, s1
	v_cndmask_b32_e64 v11, v6, v4, s0
	v_cndmask_b32_e32 v9, v1, v4, vcc_lo
	v_cndmask_b32_e32 v10, v7, v5, vcc_lo
	s_cselect_b32 vcc_lo, -1, 0
	v_cndmask_b32_e32 v7, v2, v4, vcc_lo
	v_cndmask_b32_e32 v8, v3, v5, vcc_lo
	v_mov_b32_e32 v2, v7
	v_mov_b32_e32 v3, v8
	;; [unrolled: 1-line block ×16, first 2 shown]
.LBB68_47:
	global_load_dword v0, v0, s[12:13]
	s_waitcnt vmcnt(0)
	v_readfirstlane_b32 s3, v0
	s_add_i32 s3, s3, -1
	s_cmp_eq_u32 s3, 0
	s_cbranch_scc1 .LBB68_49
; %bb.48:
	s_cmp_eq_u32 s3, 1
	s_cselect_b32 vcc_lo, -1, 0
	s_cmp_eq_u32 s3, 2
	v_cndmask_b32_e32 v0, v2, v4, vcc_lo
	s_cselect_b32 s0, -1, 0
	v_cndmask_b32_e32 v1, v3, v5, vcc_lo
	s_cmp_eq_u32 s3, 3
	v_cndmask_b32_e64 v12, v7, v3, s0
	v_cndmask_b32_e64 v0, v0, v6, s0
	s_cselect_b32 s1, -1, 0
	v_cndmask_b32_e64 v1, v1, v7, s0
	s_cmp_eq_u32 s3, 4
	v_cndmask_b32_e64 v14, v9, v3, s1
	v_cndmask_b32_e64 v0, v0, v8, s1
	s_cselect_b32 s2, -1, 0
	v_cndmask_b32_e64 v1, v1, v9, s1
	;; [unrolled: 5-line block ×3, first 2 shown]
	v_cndmask_b32_e64 v16, v11, v3, s2
	v_cndmask_b32_e64 v15, v10, v2, s2
	;; [unrolled: 1-line block ×5, first 2 shown]
	v_cndmask_b32_e32 v10, v5, v3, vcc_lo
	v_cndmask_b32_e32 v9, v4, v2, vcc_lo
	v_mov_b32_e32 v2, v7
	v_mov_b32_e32 v3, v8
	;; [unrolled: 1-line block ×16, first 2 shown]
.LBB68_49:
	flat_store_dwordx2 v[28:29], v[2:3]
	flat_store_dwordx2 v[30:31], v[4:5]
	;; [unrolled: 1-line block ×5, first 2 shown]
	s_endpgm
	.section	.rodata,"a",@progbits
	.p2align	6, 0x0
	.amdhsa_kernel _ZN9rocsolver6v33100L18getri_kernel_smallILi5EdPKPdEEvT1_iilPiilS6_bb
		.amdhsa_group_segment_fixed_size 88
		.amdhsa_private_segment_fixed_size 0
		.amdhsa_kernarg_size 60
		.amdhsa_user_sgpr_count 6
		.amdhsa_user_sgpr_private_segment_buffer 1
		.amdhsa_user_sgpr_dispatch_ptr 0
		.amdhsa_user_sgpr_queue_ptr 0
		.amdhsa_user_sgpr_kernarg_segment_ptr 1
		.amdhsa_user_sgpr_dispatch_id 0
		.amdhsa_user_sgpr_flat_scratch_init 0
		.amdhsa_user_sgpr_private_segment_size 0
		.amdhsa_wavefront_size32 1
		.amdhsa_uses_dynamic_stack 0
		.amdhsa_system_sgpr_private_segment_wavefront_offset 0
		.amdhsa_system_sgpr_workgroup_id_x 1
		.amdhsa_system_sgpr_workgroup_id_y 0
		.amdhsa_system_sgpr_workgroup_id_z 0
		.amdhsa_system_sgpr_workgroup_info 0
		.amdhsa_system_vgpr_workitem_id 0
		.amdhsa_next_free_vgpr 38
		.amdhsa_next_free_sgpr 16
		.amdhsa_reserve_vcc 1
		.amdhsa_reserve_flat_scratch 1
		.amdhsa_float_round_mode_32 0
		.amdhsa_float_round_mode_16_64 0
		.amdhsa_float_denorm_mode_32 3
		.amdhsa_float_denorm_mode_16_64 3
		.amdhsa_dx10_clamp 1
		.amdhsa_ieee_mode 1
		.amdhsa_fp16_overflow 0
		.amdhsa_workgroup_processor_mode 1
		.amdhsa_memory_ordered 1
		.amdhsa_forward_progress 1
		.amdhsa_shared_vgpr_count 0
		.amdhsa_exception_fp_ieee_invalid_op 0
		.amdhsa_exception_fp_denorm_src 0
		.amdhsa_exception_fp_ieee_div_zero 0
		.amdhsa_exception_fp_ieee_overflow 0
		.amdhsa_exception_fp_ieee_underflow 0
		.amdhsa_exception_fp_ieee_inexact 0
		.amdhsa_exception_int_div_zero 0
	.end_amdhsa_kernel
	.section	.text._ZN9rocsolver6v33100L18getri_kernel_smallILi5EdPKPdEEvT1_iilPiilS6_bb,"axG",@progbits,_ZN9rocsolver6v33100L18getri_kernel_smallILi5EdPKPdEEvT1_iilPiilS6_bb,comdat
.Lfunc_end68:
	.size	_ZN9rocsolver6v33100L18getri_kernel_smallILi5EdPKPdEEvT1_iilPiilS6_bb, .Lfunc_end68-_ZN9rocsolver6v33100L18getri_kernel_smallILi5EdPKPdEEvT1_iilPiilS6_bb
                                        ; -- End function
	.set _ZN9rocsolver6v33100L18getri_kernel_smallILi5EdPKPdEEvT1_iilPiilS6_bb.num_vgpr, 38
	.set _ZN9rocsolver6v33100L18getri_kernel_smallILi5EdPKPdEEvT1_iilPiilS6_bb.num_agpr, 0
	.set _ZN9rocsolver6v33100L18getri_kernel_smallILi5EdPKPdEEvT1_iilPiilS6_bb.numbered_sgpr, 16
	.set _ZN9rocsolver6v33100L18getri_kernel_smallILi5EdPKPdEEvT1_iilPiilS6_bb.num_named_barrier, 0
	.set _ZN9rocsolver6v33100L18getri_kernel_smallILi5EdPKPdEEvT1_iilPiilS6_bb.private_seg_size, 0
	.set _ZN9rocsolver6v33100L18getri_kernel_smallILi5EdPKPdEEvT1_iilPiilS6_bb.uses_vcc, 1
	.set _ZN9rocsolver6v33100L18getri_kernel_smallILi5EdPKPdEEvT1_iilPiilS6_bb.uses_flat_scratch, 1
	.set _ZN9rocsolver6v33100L18getri_kernel_smallILi5EdPKPdEEvT1_iilPiilS6_bb.has_dyn_sized_stack, 0
	.set _ZN9rocsolver6v33100L18getri_kernel_smallILi5EdPKPdEEvT1_iilPiilS6_bb.has_recursion, 0
	.set _ZN9rocsolver6v33100L18getri_kernel_smallILi5EdPKPdEEvT1_iilPiilS6_bb.has_indirect_call, 0
	.section	.AMDGPU.csdata,"",@progbits
; Kernel info:
; codeLenInByte = 3588
; TotalNumSgprs: 18
; NumVgprs: 38
; ScratchSize: 0
; MemoryBound: 0
; FloatMode: 240
; IeeeMode: 1
; LDSByteSize: 88 bytes/workgroup (compile time only)
; SGPRBlocks: 0
; VGPRBlocks: 4
; NumSGPRsForWavesPerEU: 18
; NumVGPRsForWavesPerEU: 38
; Occupancy: 16
; WaveLimiterHint : 1
; COMPUTE_PGM_RSRC2:SCRATCH_EN: 0
; COMPUTE_PGM_RSRC2:USER_SGPR: 6
; COMPUTE_PGM_RSRC2:TRAP_HANDLER: 0
; COMPUTE_PGM_RSRC2:TGID_X_EN: 1
; COMPUTE_PGM_RSRC2:TGID_Y_EN: 0
; COMPUTE_PGM_RSRC2:TGID_Z_EN: 0
; COMPUTE_PGM_RSRC2:TIDIG_COMP_CNT: 0
	.section	.text._ZN9rocsolver6v33100L18getri_kernel_smallILi6EdPKPdEEvT1_iilPiilS6_bb,"axG",@progbits,_ZN9rocsolver6v33100L18getri_kernel_smallILi6EdPKPdEEvT1_iilPiilS6_bb,comdat
	.globl	_ZN9rocsolver6v33100L18getri_kernel_smallILi6EdPKPdEEvT1_iilPiilS6_bb ; -- Begin function _ZN9rocsolver6v33100L18getri_kernel_smallILi6EdPKPdEEvT1_iilPiilS6_bb
	.p2align	8
	.type	_ZN9rocsolver6v33100L18getri_kernel_smallILi6EdPKPdEEvT1_iilPiilS6_bb,@function
_ZN9rocsolver6v33100L18getri_kernel_smallILi6EdPKPdEEvT1_iilPiilS6_bb: ; @_ZN9rocsolver6v33100L18getri_kernel_smallILi6EdPKPdEEvT1_iilPiilS6_bb
; %bb.0:
	s_mov_b32 s0, exec_lo
	v_cmpx_gt_u32_e32 6, v0
	s_cbranch_execz .LBB69_16
; %bb.1:
	s_clause 0x2
	s_load_dword s12, s[4:5], 0x38
	s_load_dwordx2 s[0:1], s[4:5], 0x0
	s_load_dwordx4 s[8:11], s[4:5], 0x28
	s_waitcnt lgkmcnt(0)
	s_bitcmp1_b32 s12, 8
	s_cselect_b32 s14, -1, 0
	s_ashr_i32 s7, s6, 31
	s_lshl_b64 s[2:3], s[6:7], 3
	s_add_u32 s0, s0, s2
	s_addc_u32 s1, s1, s3
	s_bfe_u32 s2, s12, 0x10008
	s_load_dwordx2 s[0:1], s[0:1], 0x0
	s_cmp_eq_u32 s2, 0
                                        ; implicit-def: $sgpr12_sgpr13
	s_cbranch_scc1 .LBB69_3
; %bb.2:
	s_clause 0x1
	s_load_dword s2, s[4:5], 0x20
	s_load_dwordx2 s[12:13], s[4:5], 0x18
	s_mul_i32 s3, s8, s7
	s_mul_hi_u32 s15, s8, s6
	s_mul_i32 s9, s9, s6
	s_add_i32 s3, s15, s3
	s_mul_i32 s8, s8, s6
	s_add_i32 s9, s3, s9
	s_lshl_b64 s[8:9], s[8:9], 2
	s_waitcnt lgkmcnt(0)
	s_ashr_i32 s3, s2, 31
	s_add_u32 s8, s12, s8
	s_addc_u32 s9, s13, s9
	s_lshl_b64 s[2:3], s[2:3], 2
	s_add_u32 s12, s8, s2
	s_addc_u32 s13, s9, s3
.LBB69_3:
	s_clause 0x1
	s_load_dwordx2 s[2:3], s[4:5], 0x8
	s_load_dword s15, s[4:5], 0x38
	v_lshlrev_b32_e32 v16, 3, v0
	s_waitcnt lgkmcnt(0)
	v_add3_u32 v1, s3, s3, v0
	s_ashr_i32 s5, s2, 31
	s_mov_b32 s4, s2
	s_mov_b32 s8, s3
	s_lshl_b64 s[4:5], s[4:5], 3
	v_add_nc_u32_e32 v3, s3, v1
	v_ashrrev_i32_e32 v2, 31, v1
	s_add_u32 s2, s0, s4
	s_addc_u32 s4, s1, s5
	v_add_co_u32 v28, s0, s2, v16
	v_add_nc_u32_e32 v5, s3, v3
	v_ashrrev_i32_e32 v4, 31, v3
	s_ashr_i32 s9, s3, 31
	v_lshlrev_b64 v[1:2], 3, v[1:2]
	v_add_co_ci_u32_e64 v29, null, s4, 0, s0
	v_add_nc_u32_e32 v7, s3, v5
	s_lshl_b64 s[0:1], s[8:9], 3
	v_lshlrev_b64 v[3:4], 3, v[3:4]
	v_ashrrev_i32_e32 v6, 31, v5
	v_add_co_u32 v30, vcc_lo, v28, s0
	v_ashrrev_i32_e32 v8, 31, v7
	v_add_co_ci_u32_e64 v31, null, s1, v29, vcc_lo
	v_add_co_u32 v32, vcc_lo, s2, v1
	v_add_co_ci_u32_e64 v33, null, s4, v2, vcc_lo
	v_lshlrev_b64 v[1:2], 3, v[5:6]
	v_add_co_u32 v34, vcc_lo, s2, v3
	v_add_co_ci_u32_e64 v35, null, s4, v4, vcc_lo
	v_lshlrev_b64 v[3:4], 3, v[7:8]
	v_add_co_u32 v38, vcc_lo, s2, v1
	v_add_co_ci_u32_e64 v39, null, s4, v2, vcc_lo
	v_mov_b32_e32 v1, 0
	v_add_co_u32 v36, vcc_lo, s2, v3
	v_add_co_ci_u32_e64 v37, null, s4, v4, vcc_lo
	s_clause 0x5
	flat_load_dwordx2 v[2:3], v[28:29]
	flat_load_dwordx2 v[4:5], v[30:31]
	;; [unrolled: 1-line block ×6, first 2 shown]
	s_bitcmp0_b32 s15, 0
	s_mov_b32 s0, -1
	s_cbranch_scc1 .LBB69_14
; %bb.4:
	v_cmp_eq_u32_e64 s0, 0, v0
	s_and_saveexec_b32 s1, s0
; %bb.5:
	v_mov_b32_e32 v14, 0
	ds_write_b32 v14, v14 offset:96
; %bb.6:
	s_or_b32 exec_lo, exec_lo, s1
	v_cmp_eq_u32_e32 vcc_lo, 1, v0
	s_mov_b32 s2, exec_lo
	s_waitcnt vmcnt(0) lgkmcnt(0)
	s_barrier
	buffer_gl0_inv
	v_cndmask_b32_e32 v14, v3, v5, vcc_lo
	v_cndmask_b32_e32 v15, v2, v4, vcc_lo
	v_cmp_eq_u32_e32 vcc_lo, 2, v0
	v_cndmask_b32_e32 v14, v14, v7, vcc_lo
	v_cndmask_b32_e32 v15, v15, v6, vcc_lo
	v_cmp_eq_u32_e32 vcc_lo, 3, v0
	;; [unrolled: 3-line block ×4, first 2 shown]
	v_cndmask_b32_e32 v15, v14, v13, vcc_lo
	v_cndmask_b32_e32 v14, v17, v12, vcc_lo
	v_cmpx_eq_f64_e32 0, v[14:15]
	s_cbranch_execz .LBB69_10
; %bb.7:
	v_mov_b32_e32 v17, 0
	s_mov_b32 s3, 0
	ds_read_b32 v18, v17 offset:96
	s_waitcnt lgkmcnt(0)
	v_readfirstlane_b32 s1, v18
	v_add_nc_u32_e32 v18, 1, v0
	s_cmp_eq_u32 s1, 0
	v_cmp_gt_i32_e32 vcc_lo, s1, v18
	s_cselect_b32 s4, -1, 0
	s_or_b32 s4, s4, vcc_lo
	s_and_b32 exec_lo, exec_lo, s4
	s_cbranch_execz .LBB69_10
; %bb.8:
	v_mov_b32_e32 v19, s1
.LBB69_9:                               ; =>This Inner Loop Header: Depth=1
	ds_cmpst_rtn_b32 v19, v17, v19, v18 offset:96
	s_waitcnt lgkmcnt(0)
	v_cmp_ne_u32_e32 vcc_lo, 0, v19
	v_cmp_le_i32_e64 s1, v19, v18
	s_and_b32 s1, vcc_lo, s1
	s_and_b32 s1, exec_lo, s1
	s_or_b32 s3, s1, s3
	s_andn2_b32 exec_lo, exec_lo, s3
	s_cbranch_execnz .LBB69_9
.LBB69_10:
	s_or_b32 exec_lo, exec_lo, s2
	v_mov_b32_e32 v17, 0
	s_barrier
	buffer_gl0_inv
	ds_read_b32 v18, v17 offset:96
	s_and_saveexec_b32 s1, s0
	s_cbranch_execz .LBB69_12
; %bb.11:
	s_lshl_b64 s[2:3], s[6:7], 2
	s_add_u32 s2, s10, s2
	s_addc_u32 s3, s11, s3
	s_waitcnt lgkmcnt(0)
	global_store_dword v17, v18, s[2:3]
.LBB69_12:
	s_or_b32 exec_lo, exec_lo, s1
	s_waitcnt lgkmcnt(0)
	v_cmp_ne_u32_e32 vcc_lo, 0, v18
	s_cbranch_vccz .LBB69_17
; %bb.13:
	s_mov_b32 s0, 0
                                        ; implicit-def: $vgpr2_vgpr3_vgpr4_vgpr5_vgpr6_vgpr7_vgpr8_vgpr9_vgpr10_vgpr11_vgpr12_vgpr13_vgpr14_vgpr15_vgpr16_vgpr17
.LBB69_14:
	s_and_b32 vcc_lo, exec_lo, s0
	s_cbranch_vccz .LBB69_16
.LBB69_15:
	s_lshl_b64 s[0:1], s[6:7], 2
	v_mov_b32_e32 v1, 0
	s_add_u32 s0, s10, s0
	s_addc_u32 s1, s11, s1
	global_load_dword v1, v1, s[0:1]
	s_waitcnt vmcnt(0)
	v_cmp_ne_u32_e32 vcc_lo, 0, v1
	s_cbranch_vccz .LBB69_36
.LBB69_16:
	s_endpgm
.LBB69_17:
	v_div_scale_f64 v[17:18], null, v[14:15], v[14:15], 1.0
	v_div_scale_f64 v[23:24], vcc_lo, 1.0, v[14:15], 1.0
	v_cmp_eq_u32_e64 s1, 4, v0
	v_cmp_eq_u32_e64 s2, 3, v0
	;; [unrolled: 1-line block ×5, first 2 shown]
	v_rcp_f64_e32 v[19:20], v[17:18]
	v_fma_f64 v[21:22], -v[17:18], v[19:20], 1.0
	v_fma_f64 v[19:20], v[19:20], v[21:22], v[19:20]
	v_fma_f64 v[21:22], -v[17:18], v[19:20], 1.0
	v_fma_f64 v[19:20], v[19:20], v[21:22], v[19:20]
	v_mul_f64 v[21:22], v[23:24], v[19:20]
	v_fma_f64 v[17:18], -v[17:18], v[21:22], v[23:24]
	v_div_fmas_f64 v[17:18], v[17:18], v[19:20], v[21:22]
	v_cmp_eq_u32_e32 vcc_lo, 5, v0
	v_div_fixup_f64 v[14:15], v[17:18], v[14:15], 1.0
	v_add_nc_u32_e32 v18, 48, v16
	v_cndmask_b32_e32 v13, v13, v15, vcc_lo
	v_cndmask_b32_e32 v12, v12, v14, vcc_lo
	v_cndmask_b32_e64 v11, v11, v15, s1
	v_cndmask_b32_e64 v10, v10, v14, s1
	;; [unrolled: 1-line block ×6, first 2 shown]
	v_xor_b32_e32 v20, 0x80000000, v15
	v_mov_b32_e32 v19, v14
	v_cndmask_b32_e64 v7, v7, v15, s3
	v_cndmask_b32_e64 v6, v6, v14, s3
	;; [unrolled: 1-line block ×4, first 2 shown]
	ds_write2_b64 v16, v[19:20], v[4:5] offset1:6
	s_waitcnt lgkmcnt(0)
	s_waitcnt_vscnt null, 0x0
	s_barrier
	buffer_gl0_inv
	s_and_saveexec_b32 s1, s0
	s_cbranch_execz .LBB69_19
; %bb.18:
	ds_read_b64 v[4:5], v18
	v_mov_b32_e32 v16, 0
	ds_read_b64 v[16:17], v16 offset:8
	s_waitcnt lgkmcnt(1)
	v_fma_f64 v[4:5], v[14:15], v[4:5], 0
	s_waitcnt lgkmcnt(0)
	v_mul_f64 v[4:5], v[4:5], v[16:17]
.LBB69_19:
	s_or_b32 exec_lo, exec_lo, s1
	s_mov_b32 s2, exec_lo
	s_barrier
	buffer_gl0_inv
	ds_write_b64 v18, v[6:7]
	s_waitcnt lgkmcnt(0)
	s_barrier
	buffer_gl0_inv
	v_cmpx_gt_u32_e32 2, v0
	s_cbranch_execz .LBB69_23
; %bb.20:
	v_cmp_eq_u32_e32 vcc_lo, 1, v0
	v_cmp_eq_u32_e64 s1, 3, v0
	v_cndmask_b32_e32 v14, v3, v5, vcc_lo
	v_cndmask_b32_e32 v15, v2, v4, vcc_lo
	v_cmp_eq_u32_e32 vcc_lo, 2, v0
	v_cndmask_b32_e32 v14, v14, v7, vcc_lo
	v_cndmask_b32_e32 v15, v15, v6, vcc_lo
	ds_read_b64 v[6:7], v18
	v_cmp_eq_u32_e32 vcc_lo, 4, v0
	v_cndmask_b32_e64 v14, v14, v9, s1
	v_cndmask_b32_e64 v15, v15, v8, s1
	v_cndmask_b32_e32 v14, v14, v11, vcc_lo
	v_cndmask_b32_e32 v16, v15, v10, vcc_lo
	v_cmp_eq_u32_e32 vcc_lo, 5, v0
	v_cndmask_b32_e32 v15, v14, v13, vcc_lo
	v_cndmask_b32_e32 v14, v16, v12, vcc_lo
	s_waitcnt lgkmcnt(0)
	v_fma_f64 v[6:7], v[14:15], v[6:7], 0
	s_and_saveexec_b32 s1, s0
	s_cbranch_execz .LBB69_22
; %bb.21:
	v_mov_b32_e32 v14, 0
	ds_read_b64 v[14:15], v14 offset:56
	s_waitcnt lgkmcnt(0)
	v_fma_f64 v[6:7], v[4:5], v[14:15], v[6:7]
.LBB69_22:
	s_or_b32 exec_lo, exec_lo, s1
	v_mov_b32_e32 v14, 0
	ds_read_b64 v[14:15], v14 offset:16
	s_waitcnt lgkmcnt(0)
	v_mul_f64 v[6:7], v[6:7], v[14:15]
.LBB69_23:
	s_or_b32 exec_lo, exec_lo, s2
	s_mov_b32 s1, exec_lo
	s_barrier
	buffer_gl0_inv
	ds_write_b64 v18, v[8:9]
	s_waitcnt lgkmcnt(0)
	s_barrier
	buffer_gl0_inv
	v_cmpx_gt_u32_e32 3, v0
	s_cbranch_execz .LBB69_27
; %bb.24:
	v_mov_b32_e32 v14, 0
	v_mov_b32_e32 v17, v1
	v_lshl_add_u32 v19, v0, 3, 48
	v_mov_b32_e32 v15, 0
	v_mov_b32_e32 v16, v0
	s_mov_b32 s2, 0
	s_inst_prefetch 0x1
	.p2align	6
.LBB69_25:                              ; =>This Inner Loop Header: Depth=1
	v_cmp_eq_u32_e32 vcc_lo, 1, v16
	v_cmp_eq_u32_e64 s0, 2, v16
	ds_read_b64 v[20:21], v19
	v_add_nc_u32_e32 v19, 8, v19
	v_cndmask_b32_e32 v22, v3, v5, vcc_lo
	v_cndmask_b32_e32 v23, v2, v4, vcc_lo
	v_cmp_eq_u32_e32 vcc_lo, 3, v16
	v_cndmask_b32_e64 v22, v22, v7, s0
	v_cndmask_b32_e64 v23, v23, v6, s0
	v_cmp_eq_u32_e64 s0, 4, v16
	v_cndmask_b32_e32 v22, v22, v9, vcc_lo
	v_cndmask_b32_e32 v23, v23, v8, vcc_lo
	v_cmp_eq_u32_e32 vcc_lo, 5, v16
	v_cndmask_b32_e64 v22, v22, v11, s0
	v_cndmask_b32_e64 v24, v23, v10, s0
	v_cndmask_b32_e32 v23, v22, v13, vcc_lo
	v_cndmask_b32_e32 v22, v24, v12, vcc_lo
	v_add_co_u32 v16, vcc_lo, v16, 1
	v_add_co_ci_u32_e64 v17, null, 0, v17, vcc_lo
	s_waitcnt lgkmcnt(0)
	v_fma_f64 v[14:15], v[22:23], v[20:21], v[14:15]
	v_add_nc_u32_e32 v20, -1, v16
	v_cmp_lt_u32_e32 vcc_lo, 1, v20
	s_or_b32 s2, vcc_lo, s2
	s_andn2_b32 exec_lo, exec_lo, s2
	s_cbranch_execnz .LBB69_25
; %bb.26:
	s_inst_prefetch 0x2
	s_or_b32 exec_lo, exec_lo, s2
	v_mov_b32_e32 v8, 0
	ds_read_b64 v[8:9], v8 offset:24
	s_waitcnt lgkmcnt(0)
	v_mul_f64 v[8:9], v[14:15], v[8:9]
.LBB69_27:
	s_or_b32 exec_lo, exec_lo, s1
	s_mov_b32 s1, exec_lo
	s_barrier
	buffer_gl0_inv
	ds_write_b64 v18, v[10:11]
	s_waitcnt lgkmcnt(0)
	s_barrier
	buffer_gl0_inv
	v_cmpx_gt_u32_e32 4, v0
	s_cbranch_execz .LBB69_31
; %bb.28:
	v_mov_b32_e32 v14, 0
	v_mov_b32_e32 v17, v1
	v_lshl_add_u32 v19, v0, 3, 48
	v_mov_b32_e32 v15, 0
	v_mov_b32_e32 v16, v0
	s_mov_b32 s2, 0
	s_inst_prefetch 0x1
	.p2align	6
.LBB69_29:                              ; =>This Inner Loop Header: Depth=1
	v_cmp_eq_u32_e32 vcc_lo, 1, v16
	v_cmp_eq_u32_e64 s0, 2, v16
	ds_read_b64 v[20:21], v19
	v_add_nc_u32_e32 v19, 8, v19
	v_cndmask_b32_e32 v22, v3, v5, vcc_lo
	v_cndmask_b32_e32 v23, v2, v4, vcc_lo
	v_cmp_eq_u32_e32 vcc_lo, 3, v16
	v_cndmask_b32_e64 v22, v22, v7, s0
	v_cndmask_b32_e64 v23, v23, v6, s0
	v_cmp_eq_u32_e64 s0, 4, v16
	v_cndmask_b32_e32 v22, v22, v9, vcc_lo
	v_cndmask_b32_e32 v23, v23, v8, vcc_lo
	v_cmp_eq_u32_e32 vcc_lo, 5, v16
	v_cndmask_b32_e64 v22, v22, v11, s0
	v_cndmask_b32_e64 v24, v23, v10, s0
	v_cndmask_b32_e32 v23, v22, v13, vcc_lo
	v_cndmask_b32_e32 v22, v24, v12, vcc_lo
	v_add_co_u32 v16, vcc_lo, v16, 1
	v_add_co_ci_u32_e64 v17, null, 0, v17, vcc_lo
	s_waitcnt lgkmcnt(0)
	v_fma_f64 v[14:15], v[22:23], v[20:21], v[14:15]
	v_add_nc_u32_e32 v20, -1, v16
	v_cmp_lt_u32_e32 vcc_lo, 2, v20
	s_or_b32 s2, vcc_lo, s2
	s_andn2_b32 exec_lo, exec_lo, s2
	s_cbranch_execnz .LBB69_29
; %bb.30:
	s_inst_prefetch 0x2
	s_or_b32 exec_lo, exec_lo, s2
	v_mov_b32_e32 v10, 0
	ds_read_b64 v[10:11], v10 offset:32
	s_waitcnt lgkmcnt(0)
	v_mul_f64 v[10:11], v[14:15], v[10:11]
.LBB69_31:
	s_or_b32 exec_lo, exec_lo, s1
	s_mov_b32 s1, exec_lo
	s_barrier
	buffer_gl0_inv
	ds_write_b64 v18, v[12:13]
	s_waitcnt lgkmcnt(0)
	s_barrier
	buffer_gl0_inv
	v_cmpx_ne_u32_e32 5, v0
	s_cbranch_execz .LBB69_35
; %bb.32:
	v_mov_b32_e32 v14, 0
	v_mov_b32_e32 v17, v1
	v_lshl_add_u32 v18, v0, 3, 48
	v_mov_b32_e32 v15, 0
	v_mov_b32_e32 v16, v0
	s_mov_b32 s2, 0
	s_inst_prefetch 0x1
	.p2align	6
.LBB69_33:                              ; =>This Inner Loop Header: Depth=1
	v_cmp_eq_u32_e32 vcc_lo, 1, v16
	v_cmp_eq_u32_e64 s0, 2, v16
	ds_read_b64 v[19:20], v18
	v_add_nc_u32_e32 v18, 8, v18
	v_cndmask_b32_e32 v1, v3, v5, vcc_lo
	v_cndmask_b32_e32 v21, v2, v4, vcc_lo
	v_cmp_eq_u32_e32 vcc_lo, 3, v16
	v_cndmask_b32_e64 v1, v1, v7, s0
	v_cndmask_b32_e64 v21, v21, v6, s0
	v_cmp_eq_u32_e64 s0, 4, v16
	v_cndmask_b32_e32 v1, v1, v9, vcc_lo
	v_cndmask_b32_e32 v21, v21, v8, vcc_lo
	v_cmp_eq_u32_e32 vcc_lo, 5, v16
	v_cndmask_b32_e64 v1, v1, v11, s0
	v_cndmask_b32_e64 v21, v21, v10, s0
	v_cndmask_b32_e32 v22, v1, v13, vcc_lo
	v_cndmask_b32_e32 v21, v21, v12, vcc_lo
	v_add_co_u32 v16, vcc_lo, v16, 1
	v_add_co_ci_u32_e64 v17, null, 0, v17, vcc_lo
	s_waitcnt lgkmcnt(0)
	v_fma_f64 v[14:15], v[21:22], v[19:20], v[14:15]
	v_add_nc_u32_e32 v1, -1, v16
	v_cmp_lt_u32_e32 vcc_lo, 3, v1
	s_or_b32 s2, vcc_lo, s2
	s_andn2_b32 exec_lo, exec_lo, s2
	s_cbranch_execnz .LBB69_33
; %bb.34:
	s_inst_prefetch 0x2
	s_or_b32 exec_lo, exec_lo, s2
	v_mov_b32_e32 v1, 0
	ds_read_b64 v[12:13], v1 offset:40
	s_waitcnt lgkmcnt(0)
	v_mul_f64 v[12:13], v[14:15], v[12:13]
.LBB69_35:
	s_or_b32 exec_lo, exec_lo, s1
	s_barrier
	buffer_gl0_inv
	s_cbranch_execnz .LBB69_15
	s_branch .LBB69_16
.LBB69_36:
	v_lshl_add_u32 v1, v0, 3, 48
	s_mov_b32 s0, exec_lo
	v_cmpx_eq_u32_e32 5, v0
	s_cbranch_execz .LBB69_38
; %bb.37:
	v_mov_b32_e32 v22, 0
	s_waitcnt lgkmcnt(5)
	v_mov_b32_e32 v14, v2
	s_waitcnt lgkmcnt(3)
	v_mov_b32_e32 v18, v6
	v_mov_b32_e32 v19, v7
	s_waitcnt lgkmcnt(2)
	v_mov_b32_e32 v20, v8
	v_mov_b32_e32 v21, v9
	;; [unrolled: 1-line block ×3, first 2 shown]
	s_waitcnt lgkmcnt(0)
	v_mov_b32_e32 v24, v12
	v_mov_b32_e32 v25, v13
	;; [unrolled: 1-line block ×5, first 2 shown]
	ds_write_b64 v1, v[10:11]
	v_mov_b32_e32 v2, v14
	v_mov_b32_e32 v3, v15
	;; [unrolled: 1-line block ×16, first 2 shown]
.LBB69_38:
	s_or_b32 exec_lo, exec_lo, s0
	v_mov_b32_e32 v20, 0
	s_waitcnt lgkmcnt(0)
	s_waitcnt_vscnt null, 0x0
	s_barrier
	buffer_gl0_inv
	s_mov_b32 s0, exec_lo
	ds_read_b64 v[14:15], v20 offset:88
	s_waitcnt lgkmcnt(0)
	v_fma_f64 v[14:15], v[12:13], v[14:15], 0
	v_add_f64 v[10:11], v[10:11], -v[14:15]
	v_cmpx_lt_u32_e32 3, v0
	s_cbranch_execz .LBB69_40
; %bb.39:
	v_mov_b32_e32 v14, v2
	v_mov_b32_e32 v18, v6
	;; [unrolled: 1-line block ×11, first 2 shown]
	ds_write_b64 v1, v[8:9]
	v_mov_b32_e32 v2, v14
	v_mov_b32_e32 v3, v15
	;; [unrolled: 1-line block ×16, first 2 shown]
.LBB69_40:
	s_or_b32 exec_lo, exec_lo, s0
	s_waitcnt lgkmcnt(0)
	s_barrier
	buffer_gl0_inv
	ds_read_b128 v[14:17], v20 offset:80
	s_mov_b32 s0, exec_lo
	s_waitcnt lgkmcnt(0)
	v_fma_f64 v[14:15], v[10:11], v[14:15], 0
	v_fma_f64 v[14:15], v[12:13], v[16:17], v[14:15]
	v_add_f64 v[8:9], v[8:9], -v[14:15]
	v_cmpx_lt_u32_e32 2, v0
	s_cbranch_execz .LBB69_42
; %bb.41:
	v_mov_b32_e32 v18, 0
	v_mov_b32_e32 v14, v2
	;; [unrolled: 1-line block ×12, first 2 shown]
	ds_write_b64 v1, v[6:7]
	v_mov_b32_e32 v2, v14
	v_mov_b32_e32 v3, v15
	;; [unrolled: 1-line block ×16, first 2 shown]
.LBB69_42:
	s_or_b32 exec_lo, exec_lo, s0
	v_mov_b32_e32 v18, 0
	s_waitcnt lgkmcnt(0)
	s_barrier
	buffer_gl0_inv
	s_mov_b32 s0, exec_lo
	ds_read2_b64 v[14:17], v18 offset0:9 offset1:10
	ds_read_b64 v[19:20], v18 offset:88
	s_waitcnt lgkmcnt(1)
	v_fma_f64 v[14:15], v[8:9], v[14:15], 0
	v_fma_f64 v[14:15], v[10:11], v[16:17], v[14:15]
	s_waitcnt lgkmcnt(0)
	v_fma_f64 v[14:15], v[12:13], v[19:20], v[14:15]
	v_add_f64 v[6:7], v[6:7], -v[14:15]
	v_cmpx_lt_u32_e32 1, v0
	s_cbranch_execz .LBB69_44
; %bb.43:
	v_mov_b32_e32 v16, v2
	v_mov_b32_e32 v19, v18
	;; [unrolled: 1-line block ×11, first 2 shown]
	ds_write_b64 v1, v[4:5]
	v_mov_b32_e32 v2, v16
	v_mov_b32_e32 v3, v17
	;; [unrolled: 1-line block ×16, first 2 shown]
.LBB69_44:
	s_or_b32 exec_lo, exec_lo, s0
	s_waitcnt lgkmcnt(0)
	s_barrier
	buffer_gl0_inv
	ds_read_b128 v[14:17], v18 offset:64
	ds_read_b128 v[18:21], v18 offset:80
	s_mov_b32 s0, exec_lo
	s_waitcnt lgkmcnt(1)
	v_fma_f64 v[14:15], v[6:7], v[14:15], 0
	v_fma_f64 v[14:15], v[8:9], v[16:17], v[14:15]
	s_waitcnt lgkmcnt(0)
	v_fma_f64 v[14:15], v[10:11], v[18:19], v[14:15]
	v_fma_f64 v[14:15], v[12:13], v[20:21], v[14:15]
	v_add_f64 v[4:5], v[4:5], -v[14:15]
	v_cmpx_ne_u32_e32 0, v0
	s_cbranch_execz .LBB69_46
; %bb.45:
	v_mov_b32_e32 v14, 0
	v_mov_b32_e32 v18, v6
	;; [unrolled: 1-line block ×12, first 2 shown]
	ds_write_b64 v1, v[2:3]
	v_mov_b32_e32 v2, v14
	v_mov_b32_e32 v3, v15
	;; [unrolled: 1-line block ×16, first 2 shown]
.LBB69_46:
	s_or_b32 exec_lo, exec_lo, s0
	v_mov_b32_e32 v0, 0
	s_waitcnt lgkmcnt(0)
	s_barrier
	buffer_gl0_inv
	s_and_b32 vcc_lo, exec_lo, s14
	ds_read2_b64 v[14:17], v0 offset0:7 offset1:8
	ds_read2_b64 v[18:21], v0 offset0:9 offset1:10
	s_waitcnt lgkmcnt(1)
	v_fma_f64 v[14:15], v[4:5], v[14:15], 0
	v_fma_f64 v[14:15], v[6:7], v[16:17], v[14:15]
	ds_read_b64 v[16:17], v0 offset:88
	s_waitcnt lgkmcnt(1)
	v_fma_f64 v[14:15], v[8:9], v[18:19], v[14:15]
	v_fma_f64 v[14:15], v[10:11], v[20:21], v[14:15]
	s_waitcnt lgkmcnt(0)
	v_fma_f64 v[14:15], v[12:13], v[16:17], v[14:15]
	v_add_f64 v[2:3], v[2:3], -v[14:15]
	s_cbranch_vccz .LBB69_57
; %bb.47:
	global_load_dword v0, v0, s[12:13] offset:16
	s_waitcnt vmcnt(0)
	v_readfirstlane_b32 s0, v0
	s_add_i32 s0, s0, -1
	s_cmp_lg_u32 s0, 4
	s_cbranch_scc0 .LBB69_49
; %bb.48:
	s_lshl_b32 m0, s0, 1
	v_movrels_b32_e32 v0, v2
	v_movrels_b32_e32 v1, v3
	v_mov_b32_e32 v27, v17
	v_mov_b32_e32 v26, v16
	;; [unrolled: 1-line block ×18, first 2 shown]
	v_movreld_b32_e32 v12, v10
	v_movreld_b32_e32 v13, v11
	v_mov_b32_e32 v2, v12
	v_mov_b32_e32 v3, v13
	;; [unrolled: 1-line block ×16, first 2 shown]
.LBB69_49:
	v_mov_b32_e32 v0, 0
	global_load_dword v1, v0, s[12:13] offset:12
	s_waitcnt vmcnt(0)
	v_readfirstlane_b32 s0, v1
	s_add_i32 s0, s0, -1
	s_cmp_eq_u32 s0, 3
	s_cbranch_scc1 .LBB69_51
; %bb.50:
	s_lshl_b32 m0, s0, 1
	v_movrels_b32_e32 v1, v2
	v_movrels_b32_e32 v26, v3
	v_mov_b32_e32 v25, v17
	v_mov_b32_e32 v24, v16
	;; [unrolled: 1-line block ×18, first 2 shown]
	v_movreld_b32_e32 v10, v8
	v_movreld_b32_e32 v11, v9
	v_mov_b32_e32 v2, v10
	v_mov_b32_e32 v3, v11
	;; [unrolled: 1-line block ×16, first 2 shown]
.LBB69_51:
	global_load_dword v0, v0, s[12:13] offset:8
	s_waitcnt vmcnt(0)
	v_readfirstlane_b32 s0, v0
	s_add_i32 s0, s0, -1
	s_cmp_eq_u32 s0, 2
	s_cbranch_scc1 .LBB69_53
; %bb.52:
	s_lshl_b32 m0, s0, 1
	v_movrels_b32_e32 v0, v2
	v_movrels_b32_e32 v1, v3
	v_mov_b32_e32 v23, v17
	v_mov_b32_e32 v22, v16
	;; [unrolled: 1-line block ×18, first 2 shown]
	v_movreld_b32_e32 v8, v6
	v_movreld_b32_e32 v9, v7
	v_mov_b32_e32 v2, v8
	v_mov_b32_e32 v3, v9
	;; [unrolled: 1-line block ×16, first 2 shown]
.LBB69_53:
	v_mov_b32_e32 v0, 0
	global_load_dword v1, v0, s[12:13] offset:4
	s_waitcnt vmcnt(0)
	v_readfirstlane_b32 s0, v1
	s_add_i32 s0, s0, -1
	s_cmp_eq_u32 s0, 1
	s_cbranch_scc1 .LBB69_55
; %bb.54:
	s_lshl_b32 m0, s0, 1
	v_movrels_b32_e32 v1, v2
	v_movrels_b32_e32 v22, v3
	v_mov_b32_e32 v21, v17
	v_mov_b32_e32 v20, v16
	;; [unrolled: 1-line block ×18, first 2 shown]
	v_movreld_b32_e32 v6, v4
	v_movreld_b32_e32 v7, v5
	v_mov_b32_e32 v2, v6
	v_mov_b32_e32 v3, v7
	;; [unrolled: 1-line block ×16, first 2 shown]
.LBB69_55:
	global_load_dword v0, v0, s[12:13]
	s_waitcnt vmcnt(0)
	v_readfirstlane_b32 s0, v0
	s_add_i32 s0, s0, -1
	s_cmp_eq_u32 s0, 0
	s_cbranch_scc1 .LBB69_57
; %bb.56:
	s_lshl_b32 m0, s0, 1
	v_movrels_b32_e32 v0, v2
	v_movrels_b32_e32 v1, v3
	v_mov_b32_e32 v19, v17
	v_mov_b32_e32 v18, v16
	;; [unrolled: 1-line block ×18, first 2 shown]
	v_movreld_b32_e32 v4, v2
	v_movreld_b32_e32 v5, v3
	v_mov_b32_e32 v2, v4
	v_mov_b32_e32 v3, v5
	;; [unrolled: 1-line block ×16, first 2 shown]
.LBB69_57:
	flat_store_dwordx2 v[28:29], v[2:3]
	flat_store_dwordx2 v[30:31], v[4:5]
	;; [unrolled: 1-line block ×6, first 2 shown]
	s_endpgm
	.section	.rodata,"a",@progbits
	.p2align	6, 0x0
	.amdhsa_kernel _ZN9rocsolver6v33100L18getri_kernel_smallILi6EdPKPdEEvT1_iilPiilS6_bb
		.amdhsa_group_segment_fixed_size 104
		.amdhsa_private_segment_fixed_size 0
		.amdhsa_kernarg_size 60
		.amdhsa_user_sgpr_count 6
		.amdhsa_user_sgpr_private_segment_buffer 1
		.amdhsa_user_sgpr_dispatch_ptr 0
		.amdhsa_user_sgpr_queue_ptr 0
		.amdhsa_user_sgpr_kernarg_segment_ptr 1
		.amdhsa_user_sgpr_dispatch_id 0
		.amdhsa_user_sgpr_flat_scratch_init 0
		.amdhsa_user_sgpr_private_segment_size 0
		.amdhsa_wavefront_size32 1
		.amdhsa_uses_dynamic_stack 0
		.amdhsa_system_sgpr_private_segment_wavefront_offset 0
		.amdhsa_system_sgpr_workgroup_id_x 1
		.amdhsa_system_sgpr_workgroup_id_y 0
		.amdhsa_system_sgpr_workgroup_id_z 0
		.amdhsa_system_sgpr_workgroup_info 0
		.amdhsa_system_vgpr_workitem_id 0
		.amdhsa_next_free_vgpr 40
		.amdhsa_next_free_sgpr 16
		.amdhsa_reserve_vcc 1
		.amdhsa_reserve_flat_scratch 1
		.amdhsa_float_round_mode_32 0
		.amdhsa_float_round_mode_16_64 0
		.amdhsa_float_denorm_mode_32 3
		.amdhsa_float_denorm_mode_16_64 3
		.amdhsa_dx10_clamp 1
		.amdhsa_ieee_mode 1
		.amdhsa_fp16_overflow 0
		.amdhsa_workgroup_processor_mode 1
		.amdhsa_memory_ordered 1
		.amdhsa_forward_progress 1
		.amdhsa_shared_vgpr_count 0
		.amdhsa_exception_fp_ieee_invalid_op 0
		.amdhsa_exception_fp_denorm_src 0
		.amdhsa_exception_fp_ieee_div_zero 0
		.amdhsa_exception_fp_ieee_overflow 0
		.amdhsa_exception_fp_ieee_underflow 0
		.amdhsa_exception_fp_ieee_inexact 0
		.amdhsa_exception_int_div_zero 0
	.end_amdhsa_kernel
	.section	.text._ZN9rocsolver6v33100L18getri_kernel_smallILi6EdPKPdEEvT1_iilPiilS6_bb,"axG",@progbits,_ZN9rocsolver6v33100L18getri_kernel_smallILi6EdPKPdEEvT1_iilPiilS6_bb,comdat
.Lfunc_end69:
	.size	_ZN9rocsolver6v33100L18getri_kernel_smallILi6EdPKPdEEvT1_iilPiilS6_bb, .Lfunc_end69-_ZN9rocsolver6v33100L18getri_kernel_smallILi6EdPKPdEEvT1_iilPiilS6_bb
                                        ; -- End function
	.set _ZN9rocsolver6v33100L18getri_kernel_smallILi6EdPKPdEEvT1_iilPiilS6_bb.num_vgpr, 40
	.set _ZN9rocsolver6v33100L18getri_kernel_smallILi6EdPKPdEEvT1_iilPiilS6_bb.num_agpr, 0
	.set _ZN9rocsolver6v33100L18getri_kernel_smallILi6EdPKPdEEvT1_iilPiilS6_bb.numbered_sgpr, 16
	.set _ZN9rocsolver6v33100L18getri_kernel_smallILi6EdPKPdEEvT1_iilPiilS6_bb.num_named_barrier, 0
	.set _ZN9rocsolver6v33100L18getri_kernel_smallILi6EdPKPdEEvT1_iilPiilS6_bb.private_seg_size, 0
	.set _ZN9rocsolver6v33100L18getri_kernel_smallILi6EdPKPdEEvT1_iilPiilS6_bb.uses_vcc, 1
	.set _ZN9rocsolver6v33100L18getri_kernel_smallILi6EdPKPdEEvT1_iilPiilS6_bb.uses_flat_scratch, 1
	.set _ZN9rocsolver6v33100L18getri_kernel_smallILi6EdPKPdEEvT1_iilPiilS6_bb.has_dyn_sized_stack, 0
	.set _ZN9rocsolver6v33100L18getri_kernel_smallILi6EdPKPdEEvT1_iilPiilS6_bb.has_recursion, 0
	.set _ZN9rocsolver6v33100L18getri_kernel_smallILi6EdPKPdEEvT1_iilPiilS6_bb.has_indirect_call, 0
	.section	.AMDGPU.csdata,"",@progbits
; Kernel info:
; codeLenInByte = 4296
; TotalNumSgprs: 18
; NumVgprs: 40
; ScratchSize: 0
; MemoryBound: 0
; FloatMode: 240
; IeeeMode: 1
; LDSByteSize: 104 bytes/workgroup (compile time only)
; SGPRBlocks: 0
; VGPRBlocks: 4
; NumSGPRsForWavesPerEU: 18
; NumVGPRsForWavesPerEU: 40
; Occupancy: 16
; WaveLimiterHint : 1
; COMPUTE_PGM_RSRC2:SCRATCH_EN: 0
; COMPUTE_PGM_RSRC2:USER_SGPR: 6
; COMPUTE_PGM_RSRC2:TRAP_HANDLER: 0
; COMPUTE_PGM_RSRC2:TGID_X_EN: 1
; COMPUTE_PGM_RSRC2:TGID_Y_EN: 0
; COMPUTE_PGM_RSRC2:TGID_Z_EN: 0
; COMPUTE_PGM_RSRC2:TIDIG_COMP_CNT: 0
	.section	.text._ZN9rocsolver6v33100L18getri_kernel_smallILi7EdPKPdEEvT1_iilPiilS6_bb,"axG",@progbits,_ZN9rocsolver6v33100L18getri_kernel_smallILi7EdPKPdEEvT1_iilPiilS6_bb,comdat
	.globl	_ZN9rocsolver6v33100L18getri_kernel_smallILi7EdPKPdEEvT1_iilPiilS6_bb ; -- Begin function _ZN9rocsolver6v33100L18getri_kernel_smallILi7EdPKPdEEvT1_iilPiilS6_bb
	.p2align	8
	.type	_ZN9rocsolver6v33100L18getri_kernel_smallILi7EdPKPdEEvT1_iilPiilS6_bb,@function
_ZN9rocsolver6v33100L18getri_kernel_smallILi7EdPKPdEEvT1_iilPiilS6_bb: ; @_ZN9rocsolver6v33100L18getri_kernel_smallILi7EdPKPdEEvT1_iilPiilS6_bb
; %bb.0:
	s_mov_b32 s0, exec_lo
	v_cmpx_gt_u32_e32 7, v0
	s_cbranch_execz .LBB70_16
; %bb.1:
	s_clause 0x2
	s_load_dword s12, s[4:5], 0x38
	s_load_dwordx2 s[0:1], s[4:5], 0x0
	s_load_dwordx4 s[8:11], s[4:5], 0x28
	s_waitcnt lgkmcnt(0)
	s_bitcmp1_b32 s12, 8
	s_cselect_b32 s14, -1, 0
	s_ashr_i32 s7, s6, 31
	s_lshl_b64 s[2:3], s[6:7], 3
	s_add_u32 s0, s0, s2
	s_addc_u32 s1, s1, s3
	s_bfe_u32 s2, s12, 0x10008
	s_load_dwordx2 s[0:1], s[0:1], 0x0
	s_cmp_eq_u32 s2, 0
                                        ; implicit-def: $sgpr12_sgpr13
	s_cbranch_scc1 .LBB70_3
; %bb.2:
	s_clause 0x1
	s_load_dword s2, s[4:5], 0x20
	s_load_dwordx2 s[12:13], s[4:5], 0x18
	s_mul_i32 s3, s8, s7
	s_mul_hi_u32 s15, s8, s6
	s_mul_i32 s9, s9, s6
	s_add_i32 s3, s15, s3
	s_mul_i32 s8, s8, s6
	s_add_i32 s9, s3, s9
	s_lshl_b64 s[8:9], s[8:9], 2
	s_waitcnt lgkmcnt(0)
	s_ashr_i32 s3, s2, 31
	s_add_u32 s8, s12, s8
	s_addc_u32 s9, s13, s9
	s_lshl_b64 s[2:3], s[2:3], 2
	s_add_u32 s12, s8, s2
	s_addc_u32 s13, s9, s3
.LBB70_3:
	s_clause 0x1
	s_load_dwordx2 s[2:3], s[4:5], 0x8
	s_load_dword s15, s[4:5], 0x38
	v_lshlrev_b32_e32 v18, 3, v0
	s_waitcnt lgkmcnt(0)
	v_add3_u32 v1, s3, s3, v0
	s_ashr_i32 s5, s2, 31
	s_mov_b32 s4, s2
	s_mov_b32 s8, s3
	s_lshl_b64 s[4:5], s[4:5], 3
	v_add_nc_u32_e32 v3, s3, v1
	v_ashrrev_i32_e32 v2, 31, v1
	s_add_u32 s2, s0, s4
	s_addc_u32 s4, s1, s5
	v_add_co_u32 v32, s0, s2, v18
	v_add_nc_u32_e32 v5, s3, v3
	s_ashr_i32 s9, s3, 31
	v_lshlrev_b64 v[1:2], 3, v[1:2]
	v_add_co_ci_u32_e64 v33, null, s4, 0, s0
	s_lshl_b64 s[0:1], s[8:9], 3
	v_ashrrev_i32_e32 v4, 31, v3
	v_ashrrev_i32_e32 v6, 31, v5
	v_add_nc_u32_e32 v7, s3, v5
	v_add_co_u32 v34, vcc_lo, v32, s0
	v_add_co_ci_u32_e64 v35, null, s1, v33, vcc_lo
	v_add_co_u32 v36, vcc_lo, s2, v1
	v_lshlrev_b64 v[3:4], 3, v[3:4]
	v_add_co_ci_u32_e64 v37, null, s4, v2, vcc_lo
	v_lshlrev_b64 v[1:2], 3, v[5:6]
	v_add_nc_u32_e32 v5, s3, v7
	v_ashrrev_i32_e32 v8, 31, v7
	v_add_co_u32 v38, vcc_lo, s2, v3
	v_add_co_ci_u32_e64 v39, null, s4, v4, vcc_lo
	v_ashrrev_i32_e32 v6, 31, v5
	v_lshlrev_b64 v[3:4], 3, v[7:8]
	v_add_co_u32 v40, vcc_lo, s2, v1
	v_add_co_ci_u32_e64 v41, null, s4, v2, vcc_lo
	v_lshlrev_b64 v[1:2], 3, v[5:6]
	v_add_co_u32 v44, vcc_lo, s2, v3
	v_add_co_ci_u32_e64 v45, null, s4, v4, vcc_lo
	s_bitcmp0_b32 s15, 0
	v_add_co_u32 v42, vcc_lo, s2, v1
	v_add_co_ci_u32_e64 v43, null, s4, v2, vcc_lo
	s_clause 0x6
	flat_load_dwordx2 v[2:3], v[32:33]
	flat_load_dwordx2 v[4:5], v[34:35]
	;; [unrolled: 1-line block ×7, first 2 shown]
	v_mov_b32_e32 v1, 0
	s_mov_b32 s0, -1
	s_cbranch_scc1 .LBB70_14
; %bb.4:
	v_cmp_eq_u32_e64 s0, 0, v0
	s_and_saveexec_b32 s1, s0
; %bb.5:
	v_mov_b32_e32 v16, 0
	ds_write_b32 v16, v16 offset:56
; %bb.6:
	s_or_b32 exec_lo, exec_lo, s1
	v_cmp_eq_u32_e32 vcc_lo, 1, v0
	s_mov_b32 s2, exec_lo
	s_waitcnt vmcnt(0) lgkmcnt(0)
	s_barrier
	buffer_gl0_inv
	v_cndmask_b32_e32 v16, v3, v5, vcc_lo
	v_cndmask_b32_e32 v17, v2, v4, vcc_lo
	v_cmp_eq_u32_e32 vcc_lo, 2, v0
	v_cndmask_b32_e32 v16, v16, v7, vcc_lo
	v_cndmask_b32_e32 v17, v17, v6, vcc_lo
	v_cmp_eq_u32_e32 vcc_lo, 3, v0
	;; [unrolled: 3-line block ×5, first 2 shown]
	v_cndmask_b32_e32 v17, v16, v15, vcc_lo
	v_cndmask_b32_e32 v16, v19, v14, vcc_lo
	v_cmpx_eq_f64_e32 0, v[16:17]
	s_cbranch_execz .LBB70_10
; %bb.7:
	v_mov_b32_e32 v19, 0
	s_mov_b32 s3, 0
	ds_read_b32 v20, v19 offset:56
	s_waitcnt lgkmcnt(0)
	v_readfirstlane_b32 s1, v20
	v_add_nc_u32_e32 v20, 1, v0
	s_cmp_eq_u32 s1, 0
	v_cmp_gt_i32_e32 vcc_lo, s1, v20
	s_cselect_b32 s4, -1, 0
	s_or_b32 s4, s4, vcc_lo
	s_and_b32 exec_lo, exec_lo, s4
	s_cbranch_execz .LBB70_10
; %bb.8:
	v_mov_b32_e32 v21, s1
.LBB70_9:                               ; =>This Inner Loop Header: Depth=1
	ds_cmpst_rtn_b32 v21, v19, v21, v20 offset:56
	s_waitcnt lgkmcnt(0)
	v_cmp_ne_u32_e32 vcc_lo, 0, v21
	v_cmp_le_i32_e64 s1, v21, v20
	s_and_b32 s1, vcc_lo, s1
	s_and_b32 s1, exec_lo, s1
	s_or_b32 s3, s1, s3
	s_andn2_b32 exec_lo, exec_lo, s3
	s_cbranch_execnz .LBB70_9
.LBB70_10:
	s_or_b32 exec_lo, exec_lo, s2
	v_mov_b32_e32 v19, 0
	s_barrier
	buffer_gl0_inv
	ds_read_b32 v20, v19 offset:56
	s_and_saveexec_b32 s1, s0
	s_cbranch_execz .LBB70_12
; %bb.11:
	s_lshl_b64 s[2:3], s[6:7], 2
	s_add_u32 s2, s10, s2
	s_addc_u32 s3, s11, s3
	s_waitcnt lgkmcnt(0)
	global_store_dword v19, v20, s[2:3]
.LBB70_12:
	s_or_b32 exec_lo, exec_lo, s1
	s_waitcnt lgkmcnt(0)
	v_cmp_ne_u32_e32 vcc_lo, 0, v20
	s_cbranch_vccz .LBB70_17
; %bb.13:
	s_mov_b32 s0, 0
                                        ; implicit-def: $vgpr2_vgpr3_vgpr4_vgpr5_vgpr6_vgpr7_vgpr8_vgpr9_vgpr10_vgpr11_vgpr12_vgpr13_vgpr14_vgpr15_vgpr16_vgpr17
.LBB70_14:
	s_and_b32 vcc_lo, exec_lo, s0
	s_cbranch_vccz .LBB70_16
.LBB70_15:
	s_lshl_b64 s[0:1], s[6:7], 2
	v_mov_b32_e32 v1, 0
	s_add_u32 s0, s10, s0
	s_addc_u32 s1, s11, s1
	global_load_dword v1, v1, s[0:1]
	s_waitcnt vmcnt(0)
	v_cmp_ne_u32_e32 vcc_lo, 0, v1
	s_cbranch_vccz .LBB70_40
.LBB70_16:
	s_endpgm
.LBB70_17:
	v_div_scale_f64 v[19:20], null, v[16:17], v[16:17], 1.0
	v_div_scale_f64 v[25:26], vcc_lo, 1.0, v[16:17], 1.0
	v_cmp_eq_u32_e64 s1, 5, v0
	v_cmp_eq_u32_e64 s2, 4, v0
	;; [unrolled: 1-line block ×6, first 2 shown]
	v_rcp_f64_e32 v[21:22], v[19:20]
	v_fma_f64 v[23:24], -v[19:20], v[21:22], 1.0
	v_fma_f64 v[21:22], v[21:22], v[23:24], v[21:22]
	v_fma_f64 v[23:24], -v[19:20], v[21:22], 1.0
	v_fma_f64 v[21:22], v[21:22], v[23:24], v[21:22]
	v_mul_f64 v[23:24], v[25:26], v[21:22]
	v_fma_f64 v[19:20], -v[19:20], v[23:24], v[25:26]
	v_div_fmas_f64 v[19:20], v[19:20], v[21:22], v[23:24]
	v_cmp_eq_u32_e32 vcc_lo, 6, v0
	v_div_fixup_f64 v[16:17], v[19:20], v[16:17], 1.0
	v_add_nc_u32_e32 v20, 64, v18
	v_cndmask_b32_e32 v15, v15, v17, vcc_lo
	v_cndmask_b32_e32 v14, v14, v16, vcc_lo
	v_cndmask_b32_e64 v13, v13, v17, s1
	v_cndmask_b32_e64 v12, v12, v16, s1
	;; [unrolled: 1-line block ×8, first 2 shown]
	v_xor_b32_e32 v22, 0x80000000, v17
	v_mov_b32_e32 v21, v16
	v_cndmask_b32_e64 v7, v7, v17, s4
	v_cndmask_b32_e64 v6, v6, v16, s4
	;; [unrolled: 1-line block ×4, first 2 shown]
	ds_write2_b64 v18, v[21:22], v[4:5] offset1:8
	s_waitcnt lgkmcnt(0)
	s_waitcnt_vscnt null, 0x0
	s_barrier
	buffer_gl0_inv
	s_and_saveexec_b32 s1, s0
	s_cbranch_execz .LBB70_19
; %bb.18:
	ds_read_b64 v[4:5], v20
	v_mov_b32_e32 v18, 0
	ds_read_b64 v[18:19], v18 offset:8
	s_waitcnt lgkmcnt(1)
	v_fma_f64 v[4:5], v[16:17], v[4:5], 0
	s_waitcnt lgkmcnt(0)
	v_mul_f64 v[4:5], v[4:5], v[18:19]
.LBB70_19:
	s_or_b32 exec_lo, exec_lo, s1
	s_mov_b32 s2, exec_lo
	s_barrier
	buffer_gl0_inv
	ds_write_b64 v20, v[6:7]
	s_waitcnt lgkmcnt(0)
	s_barrier
	buffer_gl0_inv
	v_cmpx_gt_u32_e32 2, v0
	s_cbranch_execz .LBB70_23
; %bb.20:
	v_cmp_eq_u32_e32 vcc_lo, 1, v0
	v_cmp_eq_u32_e64 s1, 4, v0
	v_cndmask_b32_e32 v16, v3, v5, vcc_lo
	v_cndmask_b32_e32 v17, v2, v4, vcc_lo
	v_cmp_eq_u32_e32 vcc_lo, 2, v0
	v_cndmask_b32_e32 v7, v16, v7, vcc_lo
	v_cndmask_b32_e32 v6, v17, v6, vcc_lo
	v_cmp_eq_u32_e32 vcc_lo, 3, v0
	v_cndmask_b32_e32 v16, v7, v9, vcc_lo
	v_cndmask_b32_e32 v17, v6, v8, vcc_lo
	ds_read_b64 v[6:7], v20
	v_cmp_eq_u32_e32 vcc_lo, 5, v0
	v_cndmask_b32_e64 v16, v16, v11, s1
	v_cndmask_b32_e64 v17, v17, v10, s1
	v_cndmask_b32_e32 v16, v16, v13, vcc_lo
	v_cndmask_b32_e32 v18, v17, v12, vcc_lo
	v_cmp_eq_u32_e32 vcc_lo, 6, v0
	v_cndmask_b32_e32 v17, v16, v15, vcc_lo
	v_cndmask_b32_e32 v16, v18, v14, vcc_lo
	s_waitcnt lgkmcnt(0)
	v_fma_f64 v[6:7], v[16:17], v[6:7], 0
	s_and_saveexec_b32 s1, s0
	s_cbranch_execz .LBB70_22
; %bb.21:
	v_mov_b32_e32 v16, 0
	ds_read_b64 v[16:17], v16 offset:72
	s_waitcnt lgkmcnt(0)
	v_fma_f64 v[6:7], v[4:5], v[16:17], v[6:7]
.LBB70_22:
	s_or_b32 exec_lo, exec_lo, s1
	v_mov_b32_e32 v16, 0
	ds_read_b64 v[16:17], v16 offset:16
	s_waitcnt lgkmcnt(0)
	v_mul_f64 v[6:7], v[6:7], v[16:17]
.LBB70_23:
	s_or_b32 exec_lo, exec_lo, s2
	s_mov_b32 s1, exec_lo
	s_barrier
	buffer_gl0_inv
	ds_write_b64 v20, v[8:9]
	s_waitcnt lgkmcnt(0)
	s_barrier
	buffer_gl0_inv
	v_cmpx_gt_u32_e32 3, v0
	s_cbranch_execz .LBB70_27
; %bb.24:
	v_mov_b32_e32 v16, 0
	v_mov_b32_e32 v19, v1
	v_lshl_add_u32 v21, v0, 3, 64
	v_mov_b32_e32 v17, 0
	v_mov_b32_e32 v18, v0
	s_mov_b32 s2, 0
	s_inst_prefetch 0x1
	.p2align	6
.LBB70_25:                              ; =>This Inner Loop Header: Depth=1
	v_cmp_eq_u32_e32 vcc_lo, 1, v18
	v_cmp_eq_u32_e64 s0, 2, v18
	v_cndmask_b32_e32 v22, v3, v5, vcc_lo
	v_cndmask_b32_e32 v23, v2, v4, vcc_lo
	v_cmp_eq_u32_e32 vcc_lo, 3, v18
	v_cndmask_b32_e64 v24, v22, v7, s0
	v_cndmask_b32_e64 v25, v23, v6, s0
	ds_read_b64 v[22:23], v21
	v_cmp_eq_u32_e64 s0, 4, v18
	v_add_nc_u32_e32 v21, 8, v21
	v_cndmask_b32_e32 v24, v24, v9, vcc_lo
	v_cndmask_b32_e32 v25, v25, v8, vcc_lo
	v_cmp_eq_u32_e32 vcc_lo, 5, v18
	v_cndmask_b32_e64 v24, v24, v11, s0
	v_cndmask_b32_e64 v25, v25, v10, s0
	v_cmp_eq_u32_e64 s0, 6, v18
	v_cndmask_b32_e32 v24, v24, v13, vcc_lo
	v_cndmask_b32_e32 v26, v25, v12, vcc_lo
	v_add_co_u32 v18, vcc_lo, v18, 1
	v_add_co_ci_u32_e64 v19, null, 0, v19, vcc_lo
	v_cndmask_b32_e64 v25, v24, v15, s0
	v_cndmask_b32_e64 v24, v26, v14, s0
	s_waitcnt lgkmcnt(0)
	v_fma_f64 v[16:17], v[24:25], v[22:23], v[16:17]
	v_add_nc_u32_e32 v22, -1, v18
	v_cmp_lt_u32_e32 vcc_lo, 1, v22
	s_or_b32 s2, vcc_lo, s2
	s_andn2_b32 exec_lo, exec_lo, s2
	s_cbranch_execnz .LBB70_25
; %bb.26:
	s_inst_prefetch 0x2
	s_or_b32 exec_lo, exec_lo, s2
	v_mov_b32_e32 v8, 0
	ds_read_b64 v[8:9], v8 offset:24
	s_waitcnt lgkmcnt(0)
	v_mul_f64 v[8:9], v[16:17], v[8:9]
.LBB70_27:
	s_or_b32 exec_lo, exec_lo, s1
	s_mov_b32 s1, exec_lo
	s_barrier
	buffer_gl0_inv
	ds_write_b64 v20, v[10:11]
	s_waitcnt lgkmcnt(0)
	s_barrier
	buffer_gl0_inv
	v_cmpx_gt_u32_e32 4, v0
	s_cbranch_execz .LBB70_31
; %bb.28:
	v_mov_b32_e32 v16, 0
	v_mov_b32_e32 v19, v1
	v_lshl_add_u32 v21, v0, 3, 64
	v_mov_b32_e32 v17, 0
	v_mov_b32_e32 v18, v0
	s_mov_b32 s2, 0
	s_inst_prefetch 0x1
	.p2align	6
.LBB70_29:                              ; =>This Inner Loop Header: Depth=1
	v_cmp_eq_u32_e32 vcc_lo, 1, v18
	v_cmp_eq_u32_e64 s0, 2, v18
	v_cndmask_b32_e32 v22, v3, v5, vcc_lo
	v_cndmask_b32_e32 v23, v2, v4, vcc_lo
	v_cmp_eq_u32_e32 vcc_lo, 3, v18
	v_cndmask_b32_e64 v24, v22, v7, s0
	v_cndmask_b32_e64 v25, v23, v6, s0
	ds_read_b64 v[22:23], v21
	v_cmp_eq_u32_e64 s0, 4, v18
	v_add_nc_u32_e32 v21, 8, v21
	v_cndmask_b32_e32 v24, v24, v9, vcc_lo
	v_cndmask_b32_e32 v25, v25, v8, vcc_lo
	v_cmp_eq_u32_e32 vcc_lo, 5, v18
	v_cndmask_b32_e64 v24, v24, v11, s0
	v_cndmask_b32_e64 v25, v25, v10, s0
	v_cmp_eq_u32_e64 s0, 6, v18
	v_cndmask_b32_e32 v24, v24, v13, vcc_lo
	v_cndmask_b32_e32 v26, v25, v12, vcc_lo
	v_add_co_u32 v18, vcc_lo, v18, 1
	v_add_co_ci_u32_e64 v19, null, 0, v19, vcc_lo
	v_cndmask_b32_e64 v25, v24, v15, s0
	v_cndmask_b32_e64 v24, v26, v14, s0
	s_waitcnt lgkmcnt(0)
	v_fma_f64 v[16:17], v[24:25], v[22:23], v[16:17]
	v_add_nc_u32_e32 v22, -1, v18
	v_cmp_lt_u32_e32 vcc_lo, 2, v22
	s_or_b32 s2, vcc_lo, s2
	s_andn2_b32 exec_lo, exec_lo, s2
	s_cbranch_execnz .LBB70_29
; %bb.30:
	s_inst_prefetch 0x2
	s_or_b32 exec_lo, exec_lo, s2
	v_mov_b32_e32 v10, 0
	ds_read_b64 v[10:11], v10 offset:32
	s_waitcnt lgkmcnt(0)
	v_mul_f64 v[10:11], v[16:17], v[10:11]
.LBB70_31:
	s_or_b32 exec_lo, exec_lo, s1
	s_mov_b32 s1, exec_lo
	s_barrier
	buffer_gl0_inv
	ds_write_b64 v20, v[12:13]
	s_waitcnt lgkmcnt(0)
	s_barrier
	buffer_gl0_inv
	v_cmpx_gt_u32_e32 5, v0
	s_cbranch_execz .LBB70_35
; %bb.32:
	v_mov_b32_e32 v16, 0
	v_mov_b32_e32 v19, v1
	v_lshl_add_u32 v21, v0, 3, 64
	v_mov_b32_e32 v17, 0
	v_mov_b32_e32 v18, v0
	s_mov_b32 s2, 0
	s_inst_prefetch 0x1
	.p2align	6
.LBB70_33:                              ; =>This Inner Loop Header: Depth=1
	v_cmp_eq_u32_e32 vcc_lo, 1, v18
	v_cmp_eq_u32_e64 s0, 2, v18
	v_cndmask_b32_e32 v22, v3, v5, vcc_lo
	v_cndmask_b32_e32 v23, v2, v4, vcc_lo
	v_cmp_eq_u32_e32 vcc_lo, 3, v18
	v_cndmask_b32_e64 v24, v22, v7, s0
	v_cndmask_b32_e64 v25, v23, v6, s0
	ds_read_b64 v[22:23], v21
	v_cmp_eq_u32_e64 s0, 4, v18
	v_add_nc_u32_e32 v21, 8, v21
	v_cndmask_b32_e32 v24, v24, v9, vcc_lo
	v_cndmask_b32_e32 v25, v25, v8, vcc_lo
	v_cmp_eq_u32_e32 vcc_lo, 5, v18
	v_cndmask_b32_e64 v24, v24, v11, s0
	v_cndmask_b32_e64 v25, v25, v10, s0
	v_cmp_eq_u32_e64 s0, 6, v18
	v_cndmask_b32_e32 v24, v24, v13, vcc_lo
	v_cndmask_b32_e32 v26, v25, v12, vcc_lo
	v_add_co_u32 v18, vcc_lo, v18, 1
	v_add_co_ci_u32_e64 v19, null, 0, v19, vcc_lo
	v_cndmask_b32_e64 v25, v24, v15, s0
	v_cndmask_b32_e64 v24, v26, v14, s0
	s_waitcnt lgkmcnt(0)
	v_fma_f64 v[16:17], v[24:25], v[22:23], v[16:17]
	v_add_nc_u32_e32 v22, -1, v18
	v_cmp_lt_u32_e32 vcc_lo, 3, v22
	s_or_b32 s2, vcc_lo, s2
	s_andn2_b32 exec_lo, exec_lo, s2
	s_cbranch_execnz .LBB70_33
; %bb.34:
	s_inst_prefetch 0x2
	s_or_b32 exec_lo, exec_lo, s2
	v_mov_b32_e32 v12, 0
	ds_read_b64 v[12:13], v12 offset:40
	s_waitcnt lgkmcnt(0)
	v_mul_f64 v[12:13], v[16:17], v[12:13]
.LBB70_35:
	s_or_b32 exec_lo, exec_lo, s1
	s_mov_b32 s1, exec_lo
	s_barrier
	buffer_gl0_inv
	ds_write_b64 v20, v[14:15]
	s_waitcnt lgkmcnt(0)
	s_barrier
	buffer_gl0_inv
	v_cmpx_ne_u32_e32 6, v0
	s_cbranch_execz .LBB70_39
; %bb.36:
	v_mov_b32_e32 v16, 0
	v_mov_b32_e32 v19, v1
	v_lshl_add_u32 v20, v0, 3, 64
	v_mov_b32_e32 v17, 0
	v_mov_b32_e32 v18, v0
	s_mov_b32 s2, 0
	s_inst_prefetch 0x1
	.p2align	6
.LBB70_37:                              ; =>This Inner Loop Header: Depth=1
	v_cmp_eq_u32_e32 vcc_lo, 1, v18
	v_cmp_eq_u32_e64 s0, 2, v18
	v_cndmask_b32_e32 v1, v3, v5, vcc_lo
	v_cndmask_b32_e32 v21, v2, v4, vcc_lo
	v_cmp_eq_u32_e32 vcc_lo, 3, v18
	v_cndmask_b32_e64 v1, v1, v7, s0
	v_cndmask_b32_e64 v23, v21, v6, s0
	ds_read_b64 v[21:22], v20
	v_cmp_eq_u32_e64 s0, 4, v18
	v_add_nc_u32_e32 v20, 8, v20
	v_cndmask_b32_e32 v1, v1, v9, vcc_lo
	v_cndmask_b32_e32 v23, v23, v8, vcc_lo
	v_cmp_eq_u32_e32 vcc_lo, 5, v18
	v_cndmask_b32_e64 v1, v1, v11, s0
	v_cndmask_b32_e64 v23, v23, v10, s0
	v_cmp_eq_u32_e64 s0, 6, v18
	v_cndmask_b32_e32 v1, v1, v13, vcc_lo
	v_cndmask_b32_e32 v23, v23, v12, vcc_lo
	v_add_co_u32 v18, vcc_lo, v18, 1
	v_add_co_ci_u32_e64 v19, null, 0, v19, vcc_lo
	v_cndmask_b32_e64 v24, v1, v15, s0
	v_cndmask_b32_e64 v23, v23, v14, s0
	v_add_nc_u32_e32 v1, -1, v18
	s_waitcnt lgkmcnt(0)
	v_fma_f64 v[16:17], v[23:24], v[21:22], v[16:17]
	v_cmp_lt_u32_e32 vcc_lo, 4, v1
	s_or_b32 s2, vcc_lo, s2
	s_andn2_b32 exec_lo, exec_lo, s2
	s_cbranch_execnz .LBB70_37
; %bb.38:
	s_inst_prefetch 0x2
	s_or_b32 exec_lo, exec_lo, s2
	v_mov_b32_e32 v1, 0
	ds_read_b64 v[14:15], v1 offset:48
	s_waitcnt lgkmcnt(0)
	v_mul_f64 v[14:15], v[16:17], v[14:15]
.LBB70_39:
	s_or_b32 exec_lo, exec_lo, s1
	s_barrier
	buffer_gl0_inv
	s_cbranch_execnz .LBB70_15
	s_branch .LBB70_16
.LBB70_40:
	v_lshl_add_u32 v1, v0, 3, 64
	s_mov_b32 s0, exec_lo
	v_cmpx_eq_u32_e32 6, v0
	s_cbranch_execz .LBB70_42
; %bb.41:
	v_mov_b32_e32 v26, 0
	s_waitcnt lgkmcnt(6)
	v_mov_b32_e32 v16, v2
	s_waitcnt lgkmcnt(5)
	v_mov_b32_e32 v18, v4
	v_mov_b32_e32 v19, v5
	s_waitcnt lgkmcnt(4)
	v_mov_b32_e32 v20, v6
	;; [unrolled: 3-line block ×4, first 2 shown]
	v_mov_b32_e32 v25, v11
	v_mov_b32_e32 v27, v26
	s_waitcnt lgkmcnt(0)
	v_mov_b32_e32 v28, v14
	v_mov_b32_e32 v29, v15
	;; [unrolled: 1-line block ×3, first 2 shown]
	ds_write_b64 v1, v[12:13]
	v_mov_b32_e32 v2, v16
	v_mov_b32_e32 v3, v17
	v_mov_b32_e32 v4, v18
	v_mov_b32_e32 v5, v19
	v_mov_b32_e32 v6, v20
	v_mov_b32_e32 v7, v21
	v_mov_b32_e32 v8, v22
	v_mov_b32_e32 v9, v23
	v_mov_b32_e32 v10, v24
	v_mov_b32_e32 v11, v25
	v_mov_b32_e32 v12, v26
	v_mov_b32_e32 v13, v27
	v_mov_b32_e32 v14, v28
	v_mov_b32_e32 v15, v29
	v_mov_b32_e32 v16, v30
	v_mov_b32_e32 v17, v31
.LBB70_42:
	s_or_b32 exec_lo, exec_lo, s0
	v_mov_b32_e32 v24, 0
	s_waitcnt lgkmcnt(0)
	s_waitcnt_vscnt null, 0x0
	s_barrier
	buffer_gl0_inv
	s_mov_b32 s0, exec_lo
	ds_read_b64 v[16:17], v24 offset:112
	s_waitcnt lgkmcnt(0)
	v_fma_f64 v[16:17], v[14:15], v[16:17], 0
	v_add_f64 v[12:13], v[12:13], -v[16:17]
	v_cmpx_lt_u32_e32 4, v0
	s_cbranch_execz .LBB70_44
; %bb.43:
	v_mov_b32_e32 v16, v2
	v_mov_b32_e32 v18, v4
	;; [unrolled: 1-line block ×13, first 2 shown]
	ds_write_b64 v1, v[10:11]
	v_mov_b32_e32 v2, v16
	v_mov_b32_e32 v3, v17
	;; [unrolled: 1-line block ×16, first 2 shown]
.LBB70_44:
	s_or_b32 exec_lo, exec_lo, s0
	s_waitcnt lgkmcnt(0)
	s_barrier
	buffer_gl0_inv
	ds_read2_b64 v[16:19], v24 offset0:13 offset1:14
	s_mov_b32 s0, exec_lo
	s_waitcnt lgkmcnt(0)
	v_fma_f64 v[16:17], v[12:13], v[16:17], 0
	v_fma_f64 v[16:17], v[14:15], v[18:19], v[16:17]
	v_add_f64 v[10:11], v[10:11], -v[16:17]
	v_cmpx_lt_u32_e32 3, v0
	s_cbranch_execz .LBB70_46
; %bb.45:
	v_mov_b32_e32 v22, 0
	v_mov_b32_e32 v16, v2
	;; [unrolled: 1-line block ×14, first 2 shown]
	ds_write_b64 v1, v[8:9]
	v_mov_b32_e32 v2, v16
	v_mov_b32_e32 v3, v17
	;; [unrolled: 1-line block ×16, first 2 shown]
.LBB70_46:
	s_or_b32 exec_lo, exec_lo, s0
	v_mov_b32_e32 v20, 0
	s_waitcnt lgkmcnt(0)
	s_barrier
	buffer_gl0_inv
	s_mov_b32 s0, exec_lo
	ds_read_b128 v[16:19], v20 offset:96
	ds_read_b64 v[21:22], v20 offset:112
	s_waitcnt lgkmcnt(1)
	v_fma_f64 v[16:17], v[10:11], v[16:17], 0
	v_fma_f64 v[16:17], v[12:13], v[18:19], v[16:17]
	s_waitcnt lgkmcnt(0)
	v_fma_f64 v[16:17], v[14:15], v[21:22], v[16:17]
	v_add_f64 v[8:9], v[8:9], -v[16:17]
	v_cmpx_lt_u32_e32 2, v0
	s_cbranch_execz .LBB70_48
; %bb.47:
	v_mov_b32_e32 v16, v2
	v_mov_b32_e32 v18, v4
	;; [unrolled: 1-line block ×13, first 2 shown]
	ds_write_b64 v1, v[6:7]
	v_mov_b32_e32 v2, v16
	v_mov_b32_e32 v3, v17
	;; [unrolled: 1-line block ×16, first 2 shown]
.LBB70_48:
	s_or_b32 exec_lo, exec_lo, s0
	s_waitcnt lgkmcnt(0)
	s_barrier
	buffer_gl0_inv
	ds_read2_b64 v[16:19], v20 offset0:11 offset1:12
	ds_read2_b64 v[20:23], v20 offset0:13 offset1:14
	s_mov_b32 s0, exec_lo
	s_waitcnt lgkmcnt(1)
	v_fma_f64 v[16:17], v[8:9], v[16:17], 0
	v_fma_f64 v[16:17], v[10:11], v[18:19], v[16:17]
	s_waitcnt lgkmcnt(0)
	v_fma_f64 v[16:17], v[12:13], v[20:21], v[16:17]
	v_fma_f64 v[16:17], v[14:15], v[22:23], v[16:17]
	v_add_f64 v[6:7], v[6:7], -v[16:17]
	v_cmpx_lt_u32_e32 1, v0
	s_cbranch_execz .LBB70_50
; %bb.49:
	v_mov_b32_e32 v18, 0
	v_mov_b32_e32 v16, v2
	;; [unrolled: 1-line block ×14, first 2 shown]
	ds_write_b64 v1, v[4:5]
	v_mov_b32_e32 v2, v16
	v_mov_b32_e32 v3, v17
	;; [unrolled: 1-line block ×16, first 2 shown]
.LBB70_50:
	s_or_b32 exec_lo, exec_lo, s0
	v_mov_b32_e32 v18, 0
	s_waitcnt lgkmcnt(0)
	s_barrier
	buffer_gl0_inv
	s_mov_b32 s0, exec_lo
	ds_read_b128 v[19:22], v18 offset:80
	ds_read_b128 v[23:26], v18 offset:96
	s_waitcnt lgkmcnt(1)
	v_fma_f64 v[16:17], v[6:7], v[19:20], 0
	ds_read_b64 v[19:20], v18 offset:112
	v_fma_f64 v[16:17], v[8:9], v[21:22], v[16:17]
	s_waitcnt lgkmcnt(1)
	v_fma_f64 v[16:17], v[10:11], v[23:24], v[16:17]
	v_fma_f64 v[16:17], v[12:13], v[25:26], v[16:17]
	s_waitcnt lgkmcnt(0)
	v_fma_f64 v[16:17], v[14:15], v[19:20], v[16:17]
	v_add_f64 v[4:5], v[4:5], -v[16:17]
	v_cmpx_ne_u32_e32 0, v0
	s_cbranch_execz .LBB70_52
; %bb.51:
	v_mov_b32_e32 v19, v18
	v_mov_b32_e32 v20, v4
	;; [unrolled: 1-line block ×13, first 2 shown]
	ds_write_b64 v1, v[2:3]
	v_mov_b32_e32 v2, v18
	v_mov_b32_e32 v3, v19
	;; [unrolled: 1-line block ×16, first 2 shown]
.LBB70_52:
	s_or_b32 exec_lo, exec_lo, s0
	s_waitcnt lgkmcnt(0)
	s_barrier
	buffer_gl0_inv
	ds_read2_b64 v[19:22], v18 offset0:9 offset1:10
	ds_read2_b64 v[23:26], v18 offset0:11 offset1:12
	s_and_b32 vcc_lo, exec_lo, s14
	s_waitcnt lgkmcnt(1)
	v_fma_f64 v[0:1], v[4:5], v[19:20], 0
	ds_read2_b64 v[16:19], v18 offset0:13 offset1:14
	v_fma_f64 v[0:1], v[6:7], v[21:22], v[0:1]
	s_waitcnt lgkmcnt(1)
	v_fma_f64 v[0:1], v[8:9], v[23:24], v[0:1]
	v_fma_f64 v[0:1], v[10:11], v[25:26], v[0:1]
	s_waitcnt lgkmcnt(0)
	v_fma_f64 v[0:1], v[12:13], v[16:17], v[0:1]
	v_fma_f64 v[0:1], v[14:15], v[18:19], v[0:1]
	v_add_f64 v[2:3], v[2:3], -v[0:1]
	s_cbranch_vccz .LBB70_65
; %bb.53:
	v_mov_b32_e32 v0, 0
	global_load_dword v1, v0, s[12:13] offset:20
	s_waitcnt vmcnt(0)
	v_readfirstlane_b32 s0, v1
	s_add_i32 s0, s0, -1
	s_cmp_lg_u32 s0, 5
	s_cbranch_scc0 .LBB70_55
; %bb.54:
	s_lshl_b32 m0, s0, 1
	v_movrels_b32_e32 v1, v2
	v_movrels_b32_e32 v30, v3
	v_mov_b32_e32 v29, v17
	v_mov_b32_e32 v28, v16
	;; [unrolled: 1-line block ×18, first 2 shown]
	v_movreld_b32_e32 v14, v12
	v_movreld_b32_e32 v15, v13
	v_mov_b32_e32 v2, v14
	v_mov_b32_e32 v3, v15
	;; [unrolled: 1-line block ×16, first 2 shown]
.LBB70_55:
	global_load_dword v0, v0, s[12:13] offset:16
	s_waitcnt vmcnt(0)
	v_readfirstlane_b32 s0, v0
	s_add_i32 s0, s0, -1
	s_cmp_eq_u32 s0, 4
	s_cbranch_scc1 .LBB70_57
; %bb.56:
	s_lshl_b32 m0, s0, 1
	v_movrels_b32_e32 v0, v2
	v_movrels_b32_e32 v1, v3
	v_mov_b32_e32 v27, v17
	v_mov_b32_e32 v26, v16
	;; [unrolled: 1-line block ×18, first 2 shown]
	v_movreld_b32_e32 v12, v10
	v_movreld_b32_e32 v13, v11
	v_mov_b32_e32 v2, v12
	v_mov_b32_e32 v3, v13
	;; [unrolled: 1-line block ×16, first 2 shown]
.LBB70_57:
	v_mov_b32_e32 v0, 0
	global_load_dword v1, v0, s[12:13] offset:12
	s_waitcnt vmcnt(0)
	v_readfirstlane_b32 s0, v1
	s_add_i32 s0, s0, -1
	s_cmp_eq_u32 s0, 3
	s_cbranch_scc1 .LBB70_59
; %bb.58:
	s_lshl_b32 m0, s0, 1
	v_movrels_b32_e32 v1, v2
	v_movrels_b32_e32 v26, v3
	v_mov_b32_e32 v25, v17
	v_mov_b32_e32 v24, v16
	;; [unrolled: 1-line block ×18, first 2 shown]
	v_movreld_b32_e32 v10, v8
	v_movreld_b32_e32 v11, v9
	v_mov_b32_e32 v2, v10
	v_mov_b32_e32 v3, v11
	v_mov_b32_e32 v4, v12
	v_mov_b32_e32 v5, v13
	v_mov_b32_e32 v6, v14
	v_mov_b32_e32 v7, v15
	v_mov_b32_e32 v8, v16
	v_mov_b32_e32 v9, v17
	v_mov_b32_e32 v10, v18
	v_mov_b32_e32 v11, v19
	v_mov_b32_e32 v12, v20
	v_mov_b32_e32 v13, v21
	v_mov_b32_e32 v14, v22
	v_mov_b32_e32 v15, v23
	v_mov_b32_e32 v16, v24
	v_mov_b32_e32 v17, v25
.LBB70_59:
	global_load_dword v0, v0, s[12:13] offset:8
	s_waitcnt vmcnt(0)
	v_readfirstlane_b32 s0, v0
	s_add_i32 s0, s0, -1
	s_cmp_eq_u32 s0, 2
	s_cbranch_scc1 .LBB70_61
; %bb.60:
	s_lshl_b32 m0, s0, 1
	v_movrels_b32_e32 v0, v2
	v_movrels_b32_e32 v1, v3
	v_mov_b32_e32 v23, v17
	v_mov_b32_e32 v22, v16
	v_mov_b32_e32 v21, v15
	v_mov_b32_e32 v20, v14
	v_mov_b32_e32 v19, v13
	v_mov_b32_e32 v18, v12
	v_mov_b32_e32 v17, v11
	v_mov_b32_e32 v16, v10
	v_mov_b32_e32 v15, v9
	v_mov_b32_e32 v14, v8
	v_mov_b32_e32 v13, v7
	v_mov_b32_e32 v12, v6
	v_mov_b32_e32 v11, v5
	v_mov_b32_e32 v10, v4
	v_mov_b32_e32 v9, v3
	v_mov_b32_e32 v8, v2
	v_mov_b32_e32 v12, v0
	v_mov_b32_e32 v13, v1
	v_movreld_b32_e32 v8, v6
	v_movreld_b32_e32 v9, v7
	v_mov_b32_e32 v2, v8
	v_mov_b32_e32 v3, v9
	;; [unrolled: 1-line block ×16, first 2 shown]
.LBB70_61:
	v_mov_b32_e32 v0, 0
	global_load_dword v1, v0, s[12:13] offset:4
	s_waitcnt vmcnt(0)
	v_readfirstlane_b32 s0, v1
	s_add_i32 s0, s0, -1
	s_cmp_eq_u32 s0, 1
	s_cbranch_scc1 .LBB70_63
; %bb.62:
	s_lshl_b32 m0, s0, 1
	v_movrels_b32_e32 v1, v2
	v_movrels_b32_e32 v22, v3
	v_mov_b32_e32 v21, v17
	v_mov_b32_e32 v20, v16
	;; [unrolled: 1-line block ×18, first 2 shown]
	v_movreld_b32_e32 v6, v4
	v_movreld_b32_e32 v7, v5
	v_mov_b32_e32 v2, v6
	v_mov_b32_e32 v3, v7
	;; [unrolled: 1-line block ×16, first 2 shown]
.LBB70_63:
	global_load_dword v0, v0, s[12:13]
	s_waitcnt vmcnt(0)
	v_readfirstlane_b32 s0, v0
	s_add_i32 s0, s0, -1
	s_cmp_eq_u32 s0, 0
	s_cbranch_scc1 .LBB70_65
; %bb.64:
	s_lshl_b32 m0, s0, 1
	v_movrels_b32_e32 v0, v2
	v_movrels_b32_e32 v1, v3
	v_mov_b32_e32 v19, v17
	v_mov_b32_e32 v18, v16
	;; [unrolled: 1-line block ×18, first 2 shown]
	v_movreld_b32_e32 v4, v2
	v_movreld_b32_e32 v5, v3
	v_mov_b32_e32 v2, v4
	v_mov_b32_e32 v3, v5
	;; [unrolled: 1-line block ×16, first 2 shown]
.LBB70_65:
	flat_store_dwordx2 v[32:33], v[2:3]
	flat_store_dwordx2 v[34:35], v[4:5]
	;; [unrolled: 1-line block ×7, first 2 shown]
	s_endpgm
	.section	.rodata,"a",@progbits
	.p2align	6, 0x0
	.amdhsa_kernel _ZN9rocsolver6v33100L18getri_kernel_smallILi7EdPKPdEEvT1_iilPiilS6_bb
		.amdhsa_group_segment_fixed_size 120
		.amdhsa_private_segment_fixed_size 0
		.amdhsa_kernarg_size 60
		.amdhsa_user_sgpr_count 6
		.amdhsa_user_sgpr_private_segment_buffer 1
		.amdhsa_user_sgpr_dispatch_ptr 0
		.amdhsa_user_sgpr_queue_ptr 0
		.amdhsa_user_sgpr_kernarg_segment_ptr 1
		.amdhsa_user_sgpr_dispatch_id 0
		.amdhsa_user_sgpr_flat_scratch_init 0
		.amdhsa_user_sgpr_private_segment_size 0
		.amdhsa_wavefront_size32 1
		.amdhsa_uses_dynamic_stack 0
		.amdhsa_system_sgpr_private_segment_wavefront_offset 0
		.amdhsa_system_sgpr_workgroup_id_x 1
		.amdhsa_system_sgpr_workgroup_id_y 0
		.amdhsa_system_sgpr_workgroup_id_z 0
		.amdhsa_system_sgpr_workgroup_info 0
		.amdhsa_system_vgpr_workitem_id 0
		.amdhsa_next_free_vgpr 46
		.amdhsa_next_free_sgpr 16
		.amdhsa_reserve_vcc 1
		.amdhsa_reserve_flat_scratch 1
		.amdhsa_float_round_mode_32 0
		.amdhsa_float_round_mode_16_64 0
		.amdhsa_float_denorm_mode_32 3
		.amdhsa_float_denorm_mode_16_64 3
		.amdhsa_dx10_clamp 1
		.amdhsa_ieee_mode 1
		.amdhsa_fp16_overflow 0
		.amdhsa_workgroup_processor_mode 1
		.amdhsa_memory_ordered 1
		.amdhsa_forward_progress 1
		.amdhsa_shared_vgpr_count 0
		.amdhsa_exception_fp_ieee_invalid_op 0
		.amdhsa_exception_fp_denorm_src 0
		.amdhsa_exception_fp_ieee_div_zero 0
		.amdhsa_exception_fp_ieee_overflow 0
		.amdhsa_exception_fp_ieee_underflow 0
		.amdhsa_exception_fp_ieee_inexact 0
		.amdhsa_exception_int_div_zero 0
	.end_amdhsa_kernel
	.section	.text._ZN9rocsolver6v33100L18getri_kernel_smallILi7EdPKPdEEvT1_iilPiilS6_bb,"axG",@progbits,_ZN9rocsolver6v33100L18getri_kernel_smallILi7EdPKPdEEvT1_iilPiilS6_bb,comdat
.Lfunc_end70:
	.size	_ZN9rocsolver6v33100L18getri_kernel_smallILi7EdPKPdEEvT1_iilPiilS6_bb, .Lfunc_end70-_ZN9rocsolver6v33100L18getri_kernel_smallILi7EdPKPdEEvT1_iilPiilS6_bb
                                        ; -- End function
	.set _ZN9rocsolver6v33100L18getri_kernel_smallILi7EdPKPdEEvT1_iilPiilS6_bb.num_vgpr, 46
	.set _ZN9rocsolver6v33100L18getri_kernel_smallILi7EdPKPdEEvT1_iilPiilS6_bb.num_agpr, 0
	.set _ZN9rocsolver6v33100L18getri_kernel_smallILi7EdPKPdEEvT1_iilPiilS6_bb.numbered_sgpr, 16
	.set _ZN9rocsolver6v33100L18getri_kernel_smallILi7EdPKPdEEvT1_iilPiilS6_bb.num_named_barrier, 0
	.set _ZN9rocsolver6v33100L18getri_kernel_smallILi7EdPKPdEEvT1_iilPiilS6_bb.private_seg_size, 0
	.set _ZN9rocsolver6v33100L18getri_kernel_smallILi7EdPKPdEEvT1_iilPiilS6_bb.uses_vcc, 1
	.set _ZN9rocsolver6v33100L18getri_kernel_smallILi7EdPKPdEEvT1_iilPiilS6_bb.uses_flat_scratch, 1
	.set _ZN9rocsolver6v33100L18getri_kernel_smallILi7EdPKPdEEvT1_iilPiilS6_bb.has_dyn_sized_stack, 0
	.set _ZN9rocsolver6v33100L18getri_kernel_smallILi7EdPKPdEEvT1_iilPiilS6_bb.has_recursion, 0
	.set _ZN9rocsolver6v33100L18getri_kernel_smallILi7EdPKPdEEvT1_iilPiilS6_bb.has_indirect_call, 0
	.section	.AMDGPU.csdata,"",@progbits
; Kernel info:
; codeLenInByte = 5260
; TotalNumSgprs: 18
; NumVgprs: 46
; ScratchSize: 0
; MemoryBound: 0
; FloatMode: 240
; IeeeMode: 1
; LDSByteSize: 120 bytes/workgroup (compile time only)
; SGPRBlocks: 0
; VGPRBlocks: 5
; NumSGPRsForWavesPerEU: 18
; NumVGPRsForWavesPerEU: 46
; Occupancy: 16
; WaveLimiterHint : 1
; COMPUTE_PGM_RSRC2:SCRATCH_EN: 0
; COMPUTE_PGM_RSRC2:USER_SGPR: 6
; COMPUTE_PGM_RSRC2:TRAP_HANDLER: 0
; COMPUTE_PGM_RSRC2:TGID_X_EN: 1
; COMPUTE_PGM_RSRC2:TGID_Y_EN: 0
; COMPUTE_PGM_RSRC2:TGID_Z_EN: 0
; COMPUTE_PGM_RSRC2:TIDIG_COMP_CNT: 0
	.section	.text._ZN9rocsolver6v33100L18getri_kernel_smallILi8EdPKPdEEvT1_iilPiilS6_bb,"axG",@progbits,_ZN9rocsolver6v33100L18getri_kernel_smallILi8EdPKPdEEvT1_iilPiilS6_bb,comdat
	.globl	_ZN9rocsolver6v33100L18getri_kernel_smallILi8EdPKPdEEvT1_iilPiilS6_bb ; -- Begin function _ZN9rocsolver6v33100L18getri_kernel_smallILi8EdPKPdEEvT1_iilPiilS6_bb
	.p2align	8
	.type	_ZN9rocsolver6v33100L18getri_kernel_smallILi8EdPKPdEEvT1_iilPiilS6_bb,@function
_ZN9rocsolver6v33100L18getri_kernel_smallILi8EdPKPdEEvT1_iilPiilS6_bb: ; @_ZN9rocsolver6v33100L18getri_kernel_smallILi8EdPKPdEEvT1_iilPiilS6_bb
; %bb.0:
	s_mov_b32 s0, exec_lo
	v_cmpx_gt_u32_e32 8, v0
	s_cbranch_execz .LBB71_16
; %bb.1:
	s_clause 0x2
	s_load_dword s12, s[4:5], 0x38
	s_load_dwordx2 s[0:1], s[4:5], 0x0
	s_load_dwordx4 s[8:11], s[4:5], 0x28
	s_waitcnt lgkmcnt(0)
	s_bitcmp1_b32 s12, 8
	s_cselect_b32 s14, -1, 0
	s_ashr_i32 s7, s6, 31
	s_lshl_b64 s[2:3], s[6:7], 3
	s_add_u32 s0, s0, s2
	s_addc_u32 s1, s1, s3
	s_bfe_u32 s2, s12, 0x10008
	s_load_dwordx2 s[0:1], s[0:1], 0x0
	s_cmp_eq_u32 s2, 0
                                        ; implicit-def: $sgpr12_sgpr13
	s_cbranch_scc1 .LBB71_3
; %bb.2:
	s_clause 0x1
	s_load_dword s2, s[4:5], 0x20
	s_load_dwordx2 s[12:13], s[4:5], 0x18
	s_mul_i32 s3, s8, s7
	s_mul_hi_u32 s15, s8, s6
	s_mul_i32 s9, s9, s6
	s_add_i32 s3, s15, s3
	s_mul_i32 s8, s8, s6
	s_add_i32 s9, s3, s9
	s_lshl_b64 s[8:9], s[8:9], 2
	s_waitcnt lgkmcnt(0)
	s_ashr_i32 s3, s2, 31
	s_add_u32 s8, s12, s8
	s_addc_u32 s9, s13, s9
	s_lshl_b64 s[2:3], s[2:3], 2
	s_add_u32 s12, s8, s2
	s_addc_u32 s13, s9, s3
.LBB71_3:
	s_clause 0x1
	s_load_dwordx2 s[2:3], s[4:5], 0x8
	s_load_dword s15, s[4:5], 0x38
	v_lshlrev_b32_e32 v20, 3, v0
	s_waitcnt lgkmcnt(0)
	v_add3_u32 v1, s3, s3, v0
	s_ashr_i32 s5, s2, 31
	s_mov_b32 s4, s2
	s_mov_b32 s8, s3
	s_lshl_b64 s[4:5], s[4:5], 3
	v_add_nc_u32_e32 v3, s3, v1
	v_ashrrev_i32_e32 v2, 31, v1
	s_add_u32 s2, s0, s4
	s_addc_u32 s4, s1, s5
	v_add_co_u32 v32, s0, s2, v20
	v_add_nc_u32_e32 v5, s3, v3
	s_ashr_i32 s9, s3, 31
	v_lshlrev_b64 v[1:2], 3, v[1:2]
	v_ashrrev_i32_e32 v4, 31, v3
	v_add_co_ci_u32_e64 v33, null, s4, 0, s0
	s_lshl_b64 s[0:1], s[8:9], 3
	v_ashrrev_i32_e32 v6, 31, v5
	v_add_nc_u32_e32 v7, s3, v5
	v_add_co_u32 v34, vcc_lo, v32, s0
	v_lshlrev_b64 v[3:4], 3, v[3:4]
	v_add_co_ci_u32_e64 v35, null, s1, v33, vcc_lo
	v_add_co_u32 v36, vcc_lo, s2, v1
	v_add_co_ci_u32_e64 v37, null, s4, v2, vcc_lo
	v_lshlrev_b64 v[1:2], 3, v[5:6]
	v_ashrrev_i32_e32 v8, 31, v7
	v_add_nc_u32_e32 v5, s3, v7
	v_add_co_u32 v38, vcc_lo, s2, v3
	v_add_co_ci_u32_e64 v39, null, s4, v4, vcc_lo
	v_lshlrev_b64 v[3:4], 3, v[7:8]
	v_add_nc_u32_e32 v7, s3, v5
	v_ashrrev_i32_e32 v6, 31, v5
	v_add_co_u32 v40, vcc_lo, s2, v1
	v_add_co_ci_u32_e64 v41, null, s4, v2, vcc_lo
	v_ashrrev_i32_e32 v8, 31, v7
	v_lshlrev_b64 v[1:2], 3, v[5:6]
	v_add_co_u32 v42, vcc_lo, s2, v3
	v_add_co_ci_u32_e64 v43, null, s4, v4, vcc_lo
	v_lshlrev_b64 v[3:4], 3, v[7:8]
	v_add_co_u32 v46, vcc_lo, s2, v1
	v_add_co_ci_u32_e64 v47, null, s4, v2, vcc_lo
	v_mov_b32_e32 v1, 0
	v_add_co_u32 v44, vcc_lo, s2, v3
	v_add_co_ci_u32_e64 v45, null, s4, v4, vcc_lo
	s_clause 0x7
	flat_load_dwordx2 v[2:3], v[32:33]
	flat_load_dwordx2 v[4:5], v[34:35]
	;; [unrolled: 1-line block ×8, first 2 shown]
	s_bitcmp0_b32 s15, 0
	s_mov_b32 s0, -1
	s_cbranch_scc1 .LBB71_14
; %bb.4:
	v_cmp_eq_u32_e64 s0, 0, v0
	s_and_saveexec_b32 s1, s0
; %bb.5:
	v_mov_b32_e32 v18, 0
	ds_write_b32 v18, v18 offset:128
; %bb.6:
	s_or_b32 exec_lo, exec_lo, s1
	v_cmp_eq_u32_e32 vcc_lo, 1, v0
	s_mov_b32 s2, exec_lo
	s_waitcnt vmcnt(0) lgkmcnt(0)
	s_barrier
	buffer_gl0_inv
	v_cndmask_b32_e32 v18, v3, v5, vcc_lo
	v_cndmask_b32_e32 v19, v2, v4, vcc_lo
	v_cmp_eq_u32_e32 vcc_lo, 2, v0
	v_cndmask_b32_e32 v18, v18, v7, vcc_lo
	v_cndmask_b32_e32 v19, v19, v6, vcc_lo
	v_cmp_eq_u32_e32 vcc_lo, 3, v0
	;; [unrolled: 3-line block ×6, first 2 shown]
	v_cndmask_b32_e32 v19, v18, v17, vcc_lo
	v_cndmask_b32_e32 v18, v21, v16, vcc_lo
	v_cmpx_eq_f64_e32 0, v[18:19]
	s_cbranch_execz .LBB71_10
; %bb.7:
	v_mov_b32_e32 v21, 0
	s_mov_b32 s3, 0
	ds_read_b32 v22, v21 offset:128
	s_waitcnt lgkmcnt(0)
	v_readfirstlane_b32 s1, v22
	v_add_nc_u32_e32 v22, 1, v0
	s_cmp_eq_u32 s1, 0
	v_cmp_gt_i32_e32 vcc_lo, s1, v22
	s_cselect_b32 s4, -1, 0
	s_or_b32 s4, s4, vcc_lo
	s_and_b32 exec_lo, exec_lo, s4
	s_cbranch_execz .LBB71_10
; %bb.8:
	v_mov_b32_e32 v23, s1
.LBB71_9:                               ; =>This Inner Loop Header: Depth=1
	ds_cmpst_rtn_b32 v23, v21, v23, v22 offset:128
	s_waitcnt lgkmcnt(0)
	v_cmp_ne_u32_e32 vcc_lo, 0, v23
	v_cmp_le_i32_e64 s1, v23, v22
	s_and_b32 s1, vcc_lo, s1
	s_and_b32 s1, exec_lo, s1
	s_or_b32 s3, s1, s3
	s_andn2_b32 exec_lo, exec_lo, s3
	s_cbranch_execnz .LBB71_9
.LBB71_10:
	s_or_b32 exec_lo, exec_lo, s2
	v_mov_b32_e32 v21, 0
	s_barrier
	buffer_gl0_inv
	ds_read_b32 v22, v21 offset:128
	s_and_saveexec_b32 s1, s0
	s_cbranch_execz .LBB71_12
; %bb.11:
	s_lshl_b64 s[2:3], s[6:7], 2
	s_add_u32 s2, s10, s2
	s_addc_u32 s3, s11, s3
	s_waitcnt lgkmcnt(0)
	global_store_dword v21, v22, s[2:3]
.LBB71_12:
	s_or_b32 exec_lo, exec_lo, s1
	s_waitcnt lgkmcnt(0)
	v_cmp_ne_u32_e32 vcc_lo, 0, v22
	s_cbranch_vccz .LBB71_17
; %bb.13:
	s_mov_b32 s0, 0
                                        ; implicit-def: $vgpr2_vgpr3_vgpr4_vgpr5_vgpr6_vgpr7_vgpr8_vgpr9_vgpr10_vgpr11_vgpr12_vgpr13_vgpr14_vgpr15_vgpr16_vgpr17
.LBB71_14:
	s_and_b32 vcc_lo, exec_lo, s0
	s_cbranch_vccz .LBB71_16
.LBB71_15:
	s_lshl_b64 s[0:1], s[6:7], 2
	v_mov_b32_e32 v1, 0
	s_add_u32 s0, s10, s0
	s_addc_u32 s1, s11, s1
	global_load_dword v1, v1, s[0:1]
	s_waitcnt vmcnt(0)
	v_cmp_ne_u32_e32 vcc_lo, 0, v1
	s_cbranch_vccz .LBB71_44
.LBB71_16:
	s_endpgm
.LBB71_17:
	v_div_scale_f64 v[21:22], null, v[18:19], v[18:19], 1.0
	v_div_scale_f64 v[27:28], vcc_lo, 1.0, v[18:19], 1.0
	v_cmp_eq_u32_e64 s1, 6, v0
	v_cmp_eq_u32_e64 s2, 5, v0
	;; [unrolled: 1-line block ×7, first 2 shown]
	v_rcp_f64_e32 v[23:24], v[21:22]
	v_fma_f64 v[25:26], -v[21:22], v[23:24], 1.0
	v_fma_f64 v[23:24], v[23:24], v[25:26], v[23:24]
	v_fma_f64 v[25:26], -v[21:22], v[23:24], 1.0
	v_fma_f64 v[23:24], v[23:24], v[25:26], v[23:24]
	v_mul_f64 v[25:26], v[27:28], v[23:24]
	v_fma_f64 v[21:22], -v[21:22], v[25:26], v[27:28]
	v_div_fmas_f64 v[21:22], v[21:22], v[23:24], v[25:26]
	v_cmp_eq_u32_e32 vcc_lo, 7, v0
	v_div_fixup_f64 v[18:19], v[21:22], v[18:19], 1.0
	v_add_nc_u32_e32 v22, 64, v20
	v_cndmask_b32_e32 v17, v17, v19, vcc_lo
	v_cndmask_b32_e32 v16, v16, v18, vcc_lo
	v_cndmask_b32_e64 v15, v15, v19, s1
	v_cndmask_b32_e64 v14, v14, v18, s1
	;; [unrolled: 1-line block ×10, first 2 shown]
	v_xor_b32_e32 v24, 0x80000000, v19
	v_mov_b32_e32 v23, v18
	v_cndmask_b32_e64 v7, v7, v19, s5
	v_cndmask_b32_e64 v6, v6, v18, s5
	v_cndmask_b32_e64 v3, v3, v19, s9
	v_cndmask_b32_e64 v2, v2, v18, s9
	ds_write2_b64 v20, v[23:24], v[4:5] offset1:8
	s_waitcnt lgkmcnt(0)
	s_waitcnt_vscnt null, 0x0
	s_barrier
	buffer_gl0_inv
	s_and_saveexec_b32 s1, s0
	s_cbranch_execz .LBB71_19
; %bb.18:
	ds_read_b64 v[4:5], v22
	v_mov_b32_e32 v20, 0
	ds_read_b64 v[20:21], v20 offset:8
	s_waitcnt lgkmcnt(1)
	v_fma_f64 v[4:5], v[18:19], v[4:5], 0
	s_waitcnt lgkmcnt(0)
	v_mul_f64 v[4:5], v[4:5], v[20:21]
.LBB71_19:
	s_or_b32 exec_lo, exec_lo, s1
	s_mov_b32 s2, exec_lo
	s_barrier
	buffer_gl0_inv
	ds_write_b64 v22, v[6:7]
	s_waitcnt lgkmcnt(0)
	s_barrier
	buffer_gl0_inv
	v_cmpx_gt_u32_e32 2, v0
	s_cbranch_execz .LBB71_23
; %bb.20:
	v_cmp_eq_u32_e32 vcc_lo, 1, v0
	v_cmp_eq_u32_e64 s1, 5, v0
	v_cndmask_b32_e32 v18, v3, v5, vcc_lo
	v_cndmask_b32_e32 v19, v2, v4, vcc_lo
	v_cmp_eq_u32_e32 vcc_lo, 2, v0
	v_cndmask_b32_e32 v7, v18, v7, vcc_lo
	v_cndmask_b32_e32 v6, v19, v6, vcc_lo
	v_cmp_eq_u32_e32 vcc_lo, 3, v0
	;; [unrolled: 3-line block ×3, first 2 shown]
	v_cndmask_b32_e32 v18, v7, v11, vcc_lo
	v_cndmask_b32_e32 v19, v6, v10, vcc_lo
	ds_read_b64 v[6:7], v22
	v_cmp_eq_u32_e32 vcc_lo, 6, v0
	v_cndmask_b32_e64 v18, v18, v13, s1
	v_cndmask_b32_e64 v19, v19, v12, s1
	v_cndmask_b32_e32 v18, v18, v15, vcc_lo
	v_cndmask_b32_e32 v20, v19, v14, vcc_lo
	v_cmp_eq_u32_e32 vcc_lo, 7, v0
	v_cndmask_b32_e32 v19, v18, v17, vcc_lo
	v_cndmask_b32_e32 v18, v20, v16, vcc_lo
	s_waitcnt lgkmcnt(0)
	v_fma_f64 v[6:7], v[18:19], v[6:7], 0
	s_and_saveexec_b32 s1, s0
	s_cbranch_execz .LBB71_22
; %bb.21:
	v_mov_b32_e32 v18, 0
	ds_read_b64 v[18:19], v18 offset:72
	s_waitcnt lgkmcnt(0)
	v_fma_f64 v[6:7], v[4:5], v[18:19], v[6:7]
.LBB71_22:
	s_or_b32 exec_lo, exec_lo, s1
	v_mov_b32_e32 v18, 0
	ds_read_b64 v[18:19], v18 offset:16
	s_waitcnt lgkmcnt(0)
	v_mul_f64 v[6:7], v[6:7], v[18:19]
.LBB71_23:
	s_or_b32 exec_lo, exec_lo, s2
	s_mov_b32 s1, exec_lo
	s_barrier
	buffer_gl0_inv
	ds_write_b64 v22, v[8:9]
	s_waitcnt lgkmcnt(0)
	s_barrier
	buffer_gl0_inv
	v_cmpx_gt_u32_e32 3, v0
	s_cbranch_execz .LBB71_27
; %bb.24:
	v_mov_b32_e32 v18, 0
	v_mov_b32_e32 v21, v1
	v_lshl_add_u32 v23, v0, 3, 64
	v_mov_b32_e32 v19, 0
	v_mov_b32_e32 v20, v0
	s_mov_b32 s2, 0
	s_inst_prefetch 0x1
	.p2align	6
.LBB71_25:                              ; =>This Inner Loop Header: Depth=1
	v_cmp_eq_u32_e32 vcc_lo, 1, v20
	v_cmp_eq_u32_e64 s0, 2, v20
	v_cndmask_b32_e32 v24, v3, v5, vcc_lo
	v_cndmask_b32_e32 v25, v2, v4, vcc_lo
	v_cmp_eq_u32_e32 vcc_lo, 3, v20
	v_cndmask_b32_e64 v24, v24, v7, s0
	v_cndmask_b32_e64 v25, v25, v6, s0
	v_cmp_eq_u32_e64 s0, 4, v20
	v_cndmask_b32_e32 v26, v24, v9, vcc_lo
	v_cndmask_b32_e32 v27, v25, v8, vcc_lo
	ds_read_b64 v[24:25], v23
	v_cmp_eq_u32_e32 vcc_lo, 5, v20
	v_add_nc_u32_e32 v23, 8, v23
	v_cndmask_b32_e64 v26, v26, v11, s0
	v_cndmask_b32_e64 v27, v27, v10, s0
	v_cmp_eq_u32_e64 s0, 6, v20
	v_cndmask_b32_e32 v26, v26, v13, vcc_lo
	v_cndmask_b32_e32 v27, v27, v12, vcc_lo
	v_cmp_eq_u32_e32 vcc_lo, 7, v20
	v_cndmask_b32_e64 v26, v26, v15, s0
	v_cndmask_b32_e64 v28, v27, v14, s0
	v_cndmask_b32_e32 v27, v26, v17, vcc_lo
	v_cndmask_b32_e32 v26, v28, v16, vcc_lo
	v_add_co_u32 v20, vcc_lo, v20, 1
	v_add_co_ci_u32_e64 v21, null, 0, v21, vcc_lo
	s_waitcnt lgkmcnt(0)
	v_fma_f64 v[18:19], v[26:27], v[24:25], v[18:19]
	v_add_nc_u32_e32 v24, -1, v20
	v_cmp_lt_u32_e32 vcc_lo, 1, v24
	s_or_b32 s2, vcc_lo, s2
	s_andn2_b32 exec_lo, exec_lo, s2
	s_cbranch_execnz .LBB71_25
; %bb.26:
	s_inst_prefetch 0x2
	s_or_b32 exec_lo, exec_lo, s2
	v_mov_b32_e32 v8, 0
	ds_read_b64 v[8:9], v8 offset:24
	s_waitcnt lgkmcnt(0)
	v_mul_f64 v[8:9], v[18:19], v[8:9]
.LBB71_27:
	s_or_b32 exec_lo, exec_lo, s1
	s_mov_b32 s1, exec_lo
	s_barrier
	buffer_gl0_inv
	ds_write_b64 v22, v[10:11]
	s_waitcnt lgkmcnt(0)
	s_barrier
	buffer_gl0_inv
	v_cmpx_gt_u32_e32 4, v0
	s_cbranch_execz .LBB71_31
; %bb.28:
	v_mov_b32_e32 v18, 0
	v_mov_b32_e32 v21, v1
	v_lshl_add_u32 v23, v0, 3, 64
	v_mov_b32_e32 v19, 0
	v_mov_b32_e32 v20, v0
	s_mov_b32 s2, 0
	s_inst_prefetch 0x1
	.p2align	6
.LBB71_29:                              ; =>This Inner Loop Header: Depth=1
	v_cmp_eq_u32_e32 vcc_lo, 1, v20
	v_cmp_eq_u32_e64 s0, 2, v20
	v_cndmask_b32_e32 v24, v3, v5, vcc_lo
	v_cndmask_b32_e32 v25, v2, v4, vcc_lo
	v_cmp_eq_u32_e32 vcc_lo, 3, v20
	v_cndmask_b32_e64 v24, v24, v7, s0
	v_cndmask_b32_e64 v25, v25, v6, s0
	v_cmp_eq_u32_e64 s0, 4, v20
	v_cndmask_b32_e32 v26, v24, v9, vcc_lo
	v_cndmask_b32_e32 v27, v25, v8, vcc_lo
	ds_read_b64 v[24:25], v23
	v_cmp_eq_u32_e32 vcc_lo, 5, v20
	v_add_nc_u32_e32 v23, 8, v23
	v_cndmask_b32_e64 v26, v26, v11, s0
	v_cndmask_b32_e64 v27, v27, v10, s0
	v_cmp_eq_u32_e64 s0, 6, v20
	v_cndmask_b32_e32 v26, v26, v13, vcc_lo
	v_cndmask_b32_e32 v27, v27, v12, vcc_lo
	v_cmp_eq_u32_e32 vcc_lo, 7, v20
	v_cndmask_b32_e64 v26, v26, v15, s0
	v_cndmask_b32_e64 v28, v27, v14, s0
	v_cndmask_b32_e32 v27, v26, v17, vcc_lo
	v_cndmask_b32_e32 v26, v28, v16, vcc_lo
	v_add_co_u32 v20, vcc_lo, v20, 1
	v_add_co_ci_u32_e64 v21, null, 0, v21, vcc_lo
	s_waitcnt lgkmcnt(0)
	v_fma_f64 v[18:19], v[26:27], v[24:25], v[18:19]
	v_add_nc_u32_e32 v24, -1, v20
	v_cmp_lt_u32_e32 vcc_lo, 2, v24
	s_or_b32 s2, vcc_lo, s2
	s_andn2_b32 exec_lo, exec_lo, s2
	s_cbranch_execnz .LBB71_29
; %bb.30:
	s_inst_prefetch 0x2
	s_or_b32 exec_lo, exec_lo, s2
	v_mov_b32_e32 v10, 0
	ds_read_b64 v[10:11], v10 offset:32
	s_waitcnt lgkmcnt(0)
	v_mul_f64 v[10:11], v[18:19], v[10:11]
.LBB71_31:
	s_or_b32 exec_lo, exec_lo, s1
	s_mov_b32 s1, exec_lo
	s_barrier
	buffer_gl0_inv
	ds_write_b64 v22, v[12:13]
	s_waitcnt lgkmcnt(0)
	s_barrier
	buffer_gl0_inv
	v_cmpx_gt_u32_e32 5, v0
	s_cbranch_execz .LBB71_35
; %bb.32:
	v_mov_b32_e32 v18, 0
	v_mov_b32_e32 v21, v1
	v_lshl_add_u32 v23, v0, 3, 64
	v_mov_b32_e32 v19, 0
	v_mov_b32_e32 v20, v0
	s_mov_b32 s2, 0
	s_inst_prefetch 0x1
	.p2align	6
.LBB71_33:                              ; =>This Inner Loop Header: Depth=1
	v_cmp_eq_u32_e32 vcc_lo, 1, v20
	v_cmp_eq_u32_e64 s0, 2, v20
	v_cndmask_b32_e32 v24, v3, v5, vcc_lo
	v_cndmask_b32_e32 v25, v2, v4, vcc_lo
	v_cmp_eq_u32_e32 vcc_lo, 3, v20
	v_cndmask_b32_e64 v24, v24, v7, s0
	v_cndmask_b32_e64 v25, v25, v6, s0
	v_cmp_eq_u32_e64 s0, 4, v20
	v_cndmask_b32_e32 v26, v24, v9, vcc_lo
	v_cndmask_b32_e32 v27, v25, v8, vcc_lo
	ds_read_b64 v[24:25], v23
	v_cmp_eq_u32_e32 vcc_lo, 5, v20
	v_add_nc_u32_e32 v23, 8, v23
	v_cndmask_b32_e64 v26, v26, v11, s0
	v_cndmask_b32_e64 v27, v27, v10, s0
	v_cmp_eq_u32_e64 s0, 6, v20
	v_cndmask_b32_e32 v26, v26, v13, vcc_lo
	v_cndmask_b32_e32 v27, v27, v12, vcc_lo
	v_cmp_eq_u32_e32 vcc_lo, 7, v20
	v_cndmask_b32_e64 v26, v26, v15, s0
	v_cndmask_b32_e64 v28, v27, v14, s0
	v_cndmask_b32_e32 v27, v26, v17, vcc_lo
	v_cndmask_b32_e32 v26, v28, v16, vcc_lo
	v_add_co_u32 v20, vcc_lo, v20, 1
	v_add_co_ci_u32_e64 v21, null, 0, v21, vcc_lo
	s_waitcnt lgkmcnt(0)
	v_fma_f64 v[18:19], v[26:27], v[24:25], v[18:19]
	v_add_nc_u32_e32 v24, -1, v20
	v_cmp_lt_u32_e32 vcc_lo, 3, v24
	s_or_b32 s2, vcc_lo, s2
	s_andn2_b32 exec_lo, exec_lo, s2
	s_cbranch_execnz .LBB71_33
; %bb.34:
	s_inst_prefetch 0x2
	s_or_b32 exec_lo, exec_lo, s2
	v_mov_b32_e32 v12, 0
	ds_read_b64 v[12:13], v12 offset:40
	s_waitcnt lgkmcnt(0)
	v_mul_f64 v[12:13], v[18:19], v[12:13]
.LBB71_35:
	s_or_b32 exec_lo, exec_lo, s1
	s_mov_b32 s1, exec_lo
	s_barrier
	buffer_gl0_inv
	ds_write_b64 v22, v[14:15]
	s_waitcnt lgkmcnt(0)
	s_barrier
	buffer_gl0_inv
	v_cmpx_gt_u32_e32 6, v0
	s_cbranch_execz .LBB71_39
; %bb.36:
	v_mov_b32_e32 v18, 0
	v_mov_b32_e32 v21, v1
	v_lshl_add_u32 v23, v0, 3, 64
	v_mov_b32_e32 v19, 0
	v_mov_b32_e32 v20, v0
	s_mov_b32 s2, 0
	s_inst_prefetch 0x1
	.p2align	6
.LBB71_37:                              ; =>This Inner Loop Header: Depth=1
	v_cmp_eq_u32_e32 vcc_lo, 1, v20
	v_cmp_eq_u32_e64 s0, 2, v20
	v_cndmask_b32_e32 v24, v3, v5, vcc_lo
	v_cndmask_b32_e32 v25, v2, v4, vcc_lo
	v_cmp_eq_u32_e32 vcc_lo, 3, v20
	v_cndmask_b32_e64 v24, v24, v7, s0
	v_cndmask_b32_e64 v25, v25, v6, s0
	v_cmp_eq_u32_e64 s0, 4, v20
	v_cndmask_b32_e32 v26, v24, v9, vcc_lo
	v_cndmask_b32_e32 v27, v25, v8, vcc_lo
	ds_read_b64 v[24:25], v23
	v_cmp_eq_u32_e32 vcc_lo, 5, v20
	v_add_nc_u32_e32 v23, 8, v23
	v_cndmask_b32_e64 v26, v26, v11, s0
	v_cndmask_b32_e64 v27, v27, v10, s0
	v_cmp_eq_u32_e64 s0, 6, v20
	v_cndmask_b32_e32 v26, v26, v13, vcc_lo
	v_cndmask_b32_e32 v27, v27, v12, vcc_lo
	v_cmp_eq_u32_e32 vcc_lo, 7, v20
	v_cndmask_b32_e64 v26, v26, v15, s0
	v_cndmask_b32_e64 v28, v27, v14, s0
	v_cndmask_b32_e32 v27, v26, v17, vcc_lo
	v_cndmask_b32_e32 v26, v28, v16, vcc_lo
	v_add_co_u32 v20, vcc_lo, v20, 1
	v_add_co_ci_u32_e64 v21, null, 0, v21, vcc_lo
	s_waitcnt lgkmcnt(0)
	v_fma_f64 v[18:19], v[26:27], v[24:25], v[18:19]
	v_add_nc_u32_e32 v24, -1, v20
	v_cmp_lt_u32_e32 vcc_lo, 4, v24
	s_or_b32 s2, vcc_lo, s2
	s_andn2_b32 exec_lo, exec_lo, s2
	s_cbranch_execnz .LBB71_37
; %bb.38:
	s_inst_prefetch 0x2
	s_or_b32 exec_lo, exec_lo, s2
	v_mov_b32_e32 v14, 0
	ds_read_b64 v[14:15], v14 offset:48
	s_waitcnt lgkmcnt(0)
	v_mul_f64 v[14:15], v[18:19], v[14:15]
.LBB71_39:
	s_or_b32 exec_lo, exec_lo, s1
	s_mov_b32 s1, exec_lo
	s_barrier
	buffer_gl0_inv
	ds_write_b64 v22, v[16:17]
	s_waitcnt lgkmcnt(0)
	s_barrier
	buffer_gl0_inv
	v_cmpx_ne_u32_e32 7, v0
	s_cbranch_execz .LBB71_43
; %bb.40:
	v_mov_b32_e32 v18, 0
	v_mov_b32_e32 v21, v1
	v_lshl_add_u32 v22, v0, 3, 64
	v_mov_b32_e32 v19, 0
	v_mov_b32_e32 v20, v0
	s_mov_b32 s2, 0
	s_inst_prefetch 0x1
	.p2align	6
.LBB71_41:                              ; =>This Inner Loop Header: Depth=1
	v_cmp_eq_u32_e32 vcc_lo, 1, v20
	v_cmp_eq_u32_e64 s0, 2, v20
	v_cndmask_b32_e32 v1, v3, v5, vcc_lo
	v_cndmask_b32_e32 v23, v2, v4, vcc_lo
	v_cmp_eq_u32_e32 vcc_lo, 3, v20
	v_cndmask_b32_e64 v1, v1, v7, s0
	v_cndmask_b32_e64 v23, v23, v6, s0
	v_cmp_eq_u32_e64 s0, 4, v20
	v_cndmask_b32_e32 v1, v1, v9, vcc_lo
	v_cndmask_b32_e32 v25, v23, v8, vcc_lo
	ds_read_b64 v[23:24], v22
	v_cmp_eq_u32_e32 vcc_lo, 5, v20
	v_add_nc_u32_e32 v22, 8, v22
	v_cndmask_b32_e64 v1, v1, v11, s0
	v_cndmask_b32_e64 v25, v25, v10, s0
	v_cmp_eq_u32_e64 s0, 6, v20
	v_cndmask_b32_e32 v1, v1, v13, vcc_lo
	v_cndmask_b32_e32 v25, v25, v12, vcc_lo
	v_cmp_eq_u32_e32 vcc_lo, 7, v20
	v_cndmask_b32_e64 v1, v1, v15, s0
	v_cndmask_b32_e64 v25, v25, v14, s0
	v_cndmask_b32_e32 v26, v1, v17, vcc_lo
	v_cndmask_b32_e32 v25, v25, v16, vcc_lo
	v_add_co_u32 v20, vcc_lo, v20, 1
	v_add_co_ci_u32_e64 v21, null, 0, v21, vcc_lo
	s_waitcnt lgkmcnt(0)
	v_fma_f64 v[18:19], v[25:26], v[23:24], v[18:19]
	v_add_nc_u32_e32 v1, -1, v20
	v_cmp_lt_u32_e32 vcc_lo, 5, v1
	s_or_b32 s2, vcc_lo, s2
	s_andn2_b32 exec_lo, exec_lo, s2
	s_cbranch_execnz .LBB71_41
; %bb.42:
	s_inst_prefetch 0x2
	s_or_b32 exec_lo, exec_lo, s2
	v_mov_b32_e32 v1, 0
	ds_read_b64 v[16:17], v1 offset:56
	s_waitcnt lgkmcnt(0)
	v_mul_f64 v[16:17], v[18:19], v[16:17]
.LBB71_43:
	s_or_b32 exec_lo, exec_lo, s1
	s_barrier
	buffer_gl0_inv
	s_cbranch_execnz .LBB71_15
	s_branch .LBB71_16
.LBB71_44:
	v_lshl_add_u32 v1, v0, 3, 64
	s_mov_b32 s0, exec_lo
	v_cmpx_eq_u32_e32 7, v0
	s_cbranch_execz .LBB71_46
; %bb.45:
	s_mov_b32 s1, 0
	s_waitcnt lgkmcnt(0)
	v_mov_b32_e32 v31, v17
	v_mov_b32_e32 v30, v16
	;; [unrolled: 1-line block ×18, first 2 shown]
	ds_write_b64 v1, v[14:15]
	v_mov_b32_e32 v2, v16
	v_mov_b32_e32 v3, v17
	;; [unrolled: 1-line block ×16, first 2 shown]
.LBB71_46:
	s_or_b32 exec_lo, exec_lo, s0
	v_mov_b32_e32 v30, 0
	s_waitcnt lgkmcnt(0)
	s_waitcnt_vscnt null, 0x0
	s_barrier
	buffer_gl0_inv
	s_mov_b32 s0, exec_lo
	ds_read_b64 v[18:19], v30 offset:120
	s_waitcnt lgkmcnt(0)
	v_fma_f64 v[18:19], v[16:17], v[18:19], 0
	v_add_f64 v[14:15], v[14:15], -v[18:19]
	v_cmpx_lt_u32_e32 5, v0
	s_cbranch_execz .LBB71_48
; %bb.47:
	s_mov_b32 s1, 0
	v_mov_b32_e32 v29, v17
	v_mov_b32_e32 v28, v16
	;; [unrolled: 1-line block ×18, first 2 shown]
	ds_write_b64 v1, v[12:13]
	v_mov_b32_e32 v2, v14
	v_mov_b32_e32 v3, v15
	;; [unrolled: 1-line block ×16, first 2 shown]
.LBB71_48:
	s_or_b32 exec_lo, exec_lo, s0
	s_waitcnt lgkmcnt(0)
	s_barrier
	buffer_gl0_inv
	ds_read_b128 v[18:21], v30 offset:112
	s_mov_b32 s0, exec_lo
	s_waitcnt lgkmcnt(0)
	v_fma_f64 v[18:19], v[14:15], v[18:19], 0
	v_fma_f64 v[18:19], v[16:17], v[20:21], v[18:19]
	v_add_f64 v[12:13], v[12:13], -v[18:19]
	v_cmpx_lt_u32_e32 4, v0
	s_cbranch_execz .LBB71_50
; %bb.49:
	s_mov_b32 s1, 0
	v_mov_b32_e32 v27, v17
	v_mov_b32_e32 v26, v16
	;; [unrolled: 1-line block ×18, first 2 shown]
	ds_write_b64 v1, v[10:11]
	v_mov_b32_e32 v2, v12
	v_mov_b32_e32 v3, v13
	;; [unrolled: 1-line block ×16, first 2 shown]
.LBB71_50:
	s_or_b32 exec_lo, exec_lo, s0
	v_mov_b32_e32 v26, 0
	s_waitcnt lgkmcnt(0)
	s_barrier
	buffer_gl0_inv
	s_mov_b32 s0, exec_lo
	ds_read2_b64 v[18:21], v26 offset0:13 offset1:14
	ds_read_b64 v[22:23], v26 offset:120
	s_waitcnt lgkmcnt(1)
	v_fma_f64 v[18:19], v[12:13], v[18:19], 0
	v_fma_f64 v[18:19], v[14:15], v[20:21], v[18:19]
	s_waitcnt lgkmcnt(0)
	v_fma_f64 v[18:19], v[16:17], v[22:23], v[18:19]
	v_add_f64 v[10:11], v[10:11], -v[18:19]
	v_cmpx_lt_u32_e32 3, v0
	s_cbranch_execz .LBB71_52
; %bb.51:
	v_mov_b32_e32 v25, v17
	v_mov_b32_e32 v24, v16
	;; [unrolled: 1-line block ×16, first 2 shown]
	s_mov_b32 s1, 0
	ds_write_b64 v1, v[8:9]
	v_mov_b32_e32 v16, s1
	v_mov_b32_e32 v17, s1
	;; [unrolled: 1-line block ×18, first 2 shown]
.LBB71_52:
	s_or_b32 exec_lo, exec_lo, s0
	s_waitcnt lgkmcnt(0)
	s_barrier
	buffer_gl0_inv
	ds_read_b128 v[18:21], v26 offset:96
	ds_read_b128 v[22:25], v26 offset:112
	s_mov_b32 s0, exec_lo
	s_waitcnt lgkmcnt(1)
	v_fma_f64 v[18:19], v[10:11], v[18:19], 0
	v_fma_f64 v[18:19], v[12:13], v[20:21], v[18:19]
	s_waitcnt lgkmcnt(0)
	v_fma_f64 v[18:19], v[14:15], v[22:23], v[18:19]
	v_fma_f64 v[18:19], v[16:17], v[24:25], v[18:19]
	v_add_f64 v[8:9], v[8:9], -v[18:19]
	v_cmpx_lt_u32_e32 2, v0
	s_cbranch_execz .LBB71_54
; %bb.53:
	v_mov_b32_e32 v23, v17
	v_mov_b32_e32 v22, v16
	v_mov_b32_e32 v21, v15
	v_mov_b32_e32 v20, v14
	v_mov_b32_e32 v19, v13
	v_mov_b32_e32 v18, v12
	v_mov_b32_e32 v17, v11
	v_mov_b32_e32 v16, v10
	v_mov_b32_e32 v15, v9
	v_mov_b32_e32 v14, v8
	v_mov_b32_e32 v13, v7
	v_mov_b32_e32 v12, v6
	v_mov_b32_e32 v11, v5
	v_mov_b32_e32 v10, v4
	v_mov_b32_e32 v9, v3
	v_mov_b32_e32 v8, v2
	s_mov_b32 s1, 0
	ds_write_b64 v1, v[6:7]
	v_mov_b32_e32 v12, s1
	v_mov_b32_e32 v13, s1
	;; [unrolled: 1-line block ×18, first 2 shown]
.LBB71_54:
	s_or_b32 exec_lo, exec_lo, s0
	v_mov_b32_e32 v22, 0
	s_waitcnt lgkmcnt(0)
	s_barrier
	buffer_gl0_inv
	s_mov_b32 s0, exec_lo
	ds_read2_b64 v[18:21], v22 offset0:11 offset1:12
	ds_read2_b64 v[23:26], v22 offset0:13 offset1:14
	s_waitcnt lgkmcnt(1)
	v_fma_f64 v[18:19], v[8:9], v[18:19], 0
	v_fma_f64 v[18:19], v[10:11], v[20:21], v[18:19]
	ds_read_b64 v[20:21], v22 offset:120
	s_waitcnt lgkmcnt(1)
	v_fma_f64 v[18:19], v[12:13], v[23:24], v[18:19]
	v_fma_f64 v[18:19], v[14:15], v[25:26], v[18:19]
	s_waitcnt lgkmcnt(0)
	v_fma_f64 v[18:19], v[16:17], v[20:21], v[18:19]
	v_add_f64 v[6:7], v[6:7], -v[18:19]
	v_cmpx_lt_u32_e32 1, v0
	s_cbranch_execz .LBB71_56
; %bb.55:
	v_mov_b32_e32 v21, v17
	v_mov_b32_e32 v20, v16
	;; [unrolled: 1-line block ×16, first 2 shown]
	s_mov_b32 s1, 0
	ds_write_b64 v1, v[4:5]
	v_mov_b32_e32 v8, s1
	v_mov_b32_e32 v9, s1
	;; [unrolled: 1-line block ×18, first 2 shown]
.LBB71_56:
	s_or_b32 exec_lo, exec_lo, s0
	s_waitcnt lgkmcnt(0)
	s_barrier
	buffer_gl0_inv
	ds_read_b128 v[18:21], v22 offset:80
	ds_read_b128 v[23:26], v22 offset:96
	s_mov_b32 s1, 0
	s_mov_b32 s0, exec_lo
	s_waitcnt lgkmcnt(1)
	v_fma_f64 v[18:19], v[6:7], v[18:19], 0
	v_fma_f64 v[18:19], v[8:9], v[20:21], v[18:19]
	s_waitcnt lgkmcnt(0)
	v_fma_f64 v[18:19], v[10:11], v[23:24], v[18:19]
	v_fma_f64 v[23:24], v[12:13], v[25:26], v[18:19]
	ds_read_b128 v[18:21], v22 offset:112
	s_waitcnt lgkmcnt(0)
	v_fma_f64 v[18:19], v[14:15], v[18:19], v[23:24]
	v_fma_f64 v[18:19], v[16:17], v[20:21], v[18:19]
	v_add_f64 v[4:5], v[4:5], -v[18:19]
	v_cmpx_ne_u32_e32 0, v0
	s_cbranch_execz .LBB71_58
; %bb.57:
	v_mov_b32_e32 v19, v17
	v_mov_b32_e32 v18, v16
	v_mov_b32_e32 v17, v15
	v_mov_b32_e32 v16, v14
	v_mov_b32_e32 v15, v13
	v_mov_b32_e32 v14, v12
	v_mov_b32_e32 v13, v11
	v_mov_b32_e32 v12, v10
	v_mov_b32_e32 v11, v9
	v_mov_b32_e32 v10, v8
	v_mov_b32_e32 v9, v7
	v_mov_b32_e32 v8, v6
	v_mov_b32_e32 v7, v5
	v_mov_b32_e32 v6, v4
	v_mov_b32_e32 v5, v3
	v_mov_b32_e32 v4, v2
	v_mov_b32_e32 v4, s1
	v_mov_b32_e32 v5, s1
	ds_write_b64 v1, v[2:3]
	v_mov_b32_e32 v2, v4
	v_mov_b32_e32 v3, v5
	;; [unrolled: 1-line block ×16, first 2 shown]
.LBB71_58:
	s_or_b32 exec_lo, exec_lo, s0
	v_mov_b32_e32 v0, 0
	s_waitcnt lgkmcnt(0)
	s_barrier
	buffer_gl0_inv
	s_and_b32 vcc_lo, exec_lo, s14
	ds_read2_b64 v[18:21], v0 offset0:9 offset1:10
	ds_read2_b64 v[22:25], v0 offset0:11 offset1:12
	s_waitcnt lgkmcnt(1)
	v_fma_f64 v[18:19], v[4:5], v[18:19], 0
	v_fma_f64 v[18:19], v[6:7], v[20:21], v[18:19]
	s_waitcnt lgkmcnt(0)
	v_fma_f64 v[18:19], v[8:9], v[22:23], v[18:19]
	v_fma_f64 v[22:23], v[10:11], v[24:25], v[18:19]
	ds_read2_b64 v[18:21], v0 offset0:13 offset1:14
	ds_read_b64 v[24:25], v0 offset:120
	s_waitcnt lgkmcnt(1)
	v_fma_f64 v[18:19], v[12:13], v[18:19], v[22:23]
	v_fma_f64 v[18:19], v[14:15], v[20:21], v[18:19]
	s_waitcnt lgkmcnt(0)
	v_fma_f64 v[18:19], v[16:17], v[24:25], v[18:19]
	v_add_f64 v[2:3], v[2:3], -v[18:19]
	s_cbranch_vccz .LBB71_73
; %bb.59:
	global_load_dword v0, v0, s[12:13] offset:24
	s_waitcnt vmcnt(0)
	v_readfirstlane_b32 s0, v0
	s_add_i32 s0, s0, -1
	s_cmp_lg_u32 s0, 6
	s_cbranch_scc0 .LBB71_61
; %bb.60:
	s_lshl_b32 m0, s0, 1
	v_movrels_b32_e32 v0, v2
	v_movrels_b32_e32 v1, v3
	v_mov_b32_e32 v31, v17
	v_mov_b32_e32 v30, v16
	;; [unrolled: 1-line block ×18, first 2 shown]
	v_movreld_b32_e32 v16, v14
	v_movreld_b32_e32 v17, v15
	v_mov_b32_e32 v2, v16
	v_mov_b32_e32 v3, v17
	;; [unrolled: 1-line block ×16, first 2 shown]
.LBB71_61:
	v_mov_b32_e32 v0, 0
	global_load_dword v1, v0, s[12:13] offset:20
	s_waitcnt vmcnt(0)
	v_readfirstlane_b32 s0, v1
	s_add_i32 s0, s0, -1
	s_cmp_eq_u32 s0, 5
	s_cbranch_scc1 .LBB71_63
; %bb.62:
	s_lshl_b32 m0, s0, 1
	v_movrels_b32_e32 v1, v2
	v_movrels_b32_e32 v30, v3
	v_mov_b32_e32 v29, v17
	v_mov_b32_e32 v28, v16
	;; [unrolled: 1-line block ×18, first 2 shown]
	v_movreld_b32_e32 v14, v12
	v_movreld_b32_e32 v15, v13
	v_mov_b32_e32 v2, v14
	v_mov_b32_e32 v3, v15
	;; [unrolled: 1-line block ×16, first 2 shown]
.LBB71_63:
	global_load_dword v0, v0, s[12:13] offset:16
	s_waitcnt vmcnt(0)
	v_readfirstlane_b32 s0, v0
	s_add_i32 s0, s0, -1
	s_cmp_eq_u32 s0, 4
	s_cbranch_scc1 .LBB71_65
; %bb.64:
	s_lshl_b32 m0, s0, 1
	v_movrels_b32_e32 v0, v2
	v_movrels_b32_e32 v1, v3
	v_mov_b32_e32 v27, v17
	v_mov_b32_e32 v26, v16
	;; [unrolled: 1-line block ×18, first 2 shown]
	v_movreld_b32_e32 v12, v10
	v_movreld_b32_e32 v13, v11
	v_mov_b32_e32 v2, v12
	v_mov_b32_e32 v3, v13
	;; [unrolled: 1-line block ×16, first 2 shown]
.LBB71_65:
	v_mov_b32_e32 v0, 0
	global_load_dword v1, v0, s[12:13] offset:12
	s_waitcnt vmcnt(0)
	v_readfirstlane_b32 s0, v1
	s_add_i32 s0, s0, -1
	s_cmp_eq_u32 s0, 3
	s_cbranch_scc1 .LBB71_67
; %bb.66:
	s_lshl_b32 m0, s0, 1
	v_movrels_b32_e32 v1, v2
	v_movrels_b32_e32 v26, v3
	v_mov_b32_e32 v25, v17
	v_mov_b32_e32 v24, v16
	;; [unrolled: 1-line block ×18, first 2 shown]
	v_movreld_b32_e32 v10, v8
	v_movreld_b32_e32 v11, v9
	v_mov_b32_e32 v2, v10
	v_mov_b32_e32 v3, v11
	;; [unrolled: 1-line block ×16, first 2 shown]
.LBB71_67:
	global_load_dword v0, v0, s[12:13] offset:8
	s_waitcnt vmcnt(0)
	v_readfirstlane_b32 s0, v0
	s_add_i32 s0, s0, -1
	s_cmp_eq_u32 s0, 2
	s_cbranch_scc1 .LBB71_69
; %bb.68:
	s_lshl_b32 m0, s0, 1
	v_movrels_b32_e32 v0, v2
	v_movrels_b32_e32 v1, v3
	v_mov_b32_e32 v23, v17
	v_mov_b32_e32 v22, v16
	;; [unrolled: 1-line block ×18, first 2 shown]
	v_movreld_b32_e32 v8, v6
	v_movreld_b32_e32 v9, v7
	v_mov_b32_e32 v2, v8
	v_mov_b32_e32 v3, v9
	;; [unrolled: 1-line block ×16, first 2 shown]
.LBB71_69:
	v_mov_b32_e32 v0, 0
	global_load_dword v1, v0, s[12:13] offset:4
	s_waitcnt vmcnt(0)
	v_readfirstlane_b32 s0, v1
	s_add_i32 s0, s0, -1
	s_cmp_eq_u32 s0, 1
	s_cbranch_scc1 .LBB71_71
; %bb.70:
	s_lshl_b32 m0, s0, 1
	v_movrels_b32_e32 v1, v2
	v_movrels_b32_e32 v22, v3
	v_mov_b32_e32 v21, v17
	v_mov_b32_e32 v20, v16
	;; [unrolled: 1-line block ×18, first 2 shown]
	v_movreld_b32_e32 v6, v4
	v_movreld_b32_e32 v7, v5
	v_mov_b32_e32 v2, v6
	v_mov_b32_e32 v3, v7
	;; [unrolled: 1-line block ×16, first 2 shown]
.LBB71_71:
	global_load_dword v0, v0, s[12:13]
	s_waitcnt vmcnt(0)
	v_readfirstlane_b32 s0, v0
	s_add_i32 s0, s0, -1
	s_cmp_eq_u32 s0, 0
	s_cbranch_scc1 .LBB71_73
; %bb.72:
	s_lshl_b32 m0, s0, 1
	v_movrels_b32_e32 v0, v2
	v_movrels_b32_e32 v1, v3
	v_mov_b32_e32 v19, v17
	v_mov_b32_e32 v18, v16
	;; [unrolled: 1-line block ×18, first 2 shown]
	v_movreld_b32_e32 v4, v2
	v_movreld_b32_e32 v5, v3
	v_mov_b32_e32 v2, v4
	v_mov_b32_e32 v3, v5
	;; [unrolled: 1-line block ×16, first 2 shown]
.LBB71_73:
	flat_store_dwordx2 v[32:33], v[2:3]
	flat_store_dwordx2 v[34:35], v[4:5]
	;; [unrolled: 1-line block ×8, first 2 shown]
	s_endpgm
	.section	.rodata,"a",@progbits
	.p2align	6, 0x0
	.amdhsa_kernel _ZN9rocsolver6v33100L18getri_kernel_smallILi8EdPKPdEEvT1_iilPiilS6_bb
		.amdhsa_group_segment_fixed_size 136
		.amdhsa_private_segment_fixed_size 0
		.amdhsa_kernarg_size 60
		.amdhsa_user_sgpr_count 6
		.amdhsa_user_sgpr_private_segment_buffer 1
		.amdhsa_user_sgpr_dispatch_ptr 0
		.amdhsa_user_sgpr_queue_ptr 0
		.amdhsa_user_sgpr_kernarg_segment_ptr 1
		.amdhsa_user_sgpr_dispatch_id 0
		.amdhsa_user_sgpr_flat_scratch_init 0
		.amdhsa_user_sgpr_private_segment_size 0
		.amdhsa_wavefront_size32 1
		.amdhsa_uses_dynamic_stack 0
		.amdhsa_system_sgpr_private_segment_wavefront_offset 0
		.amdhsa_system_sgpr_workgroup_id_x 1
		.amdhsa_system_sgpr_workgroup_id_y 0
		.amdhsa_system_sgpr_workgroup_id_z 0
		.amdhsa_system_sgpr_workgroup_info 0
		.amdhsa_system_vgpr_workitem_id 0
		.amdhsa_next_free_vgpr 48
		.amdhsa_next_free_sgpr 16
		.amdhsa_reserve_vcc 1
		.amdhsa_reserve_flat_scratch 1
		.amdhsa_float_round_mode_32 0
		.amdhsa_float_round_mode_16_64 0
		.amdhsa_float_denorm_mode_32 3
		.amdhsa_float_denorm_mode_16_64 3
		.amdhsa_dx10_clamp 1
		.amdhsa_ieee_mode 1
		.amdhsa_fp16_overflow 0
		.amdhsa_workgroup_processor_mode 1
		.amdhsa_memory_ordered 1
		.amdhsa_forward_progress 1
		.amdhsa_shared_vgpr_count 0
		.amdhsa_exception_fp_ieee_invalid_op 0
		.amdhsa_exception_fp_denorm_src 0
		.amdhsa_exception_fp_ieee_div_zero 0
		.amdhsa_exception_fp_ieee_overflow 0
		.amdhsa_exception_fp_ieee_underflow 0
		.amdhsa_exception_fp_ieee_inexact 0
		.amdhsa_exception_int_div_zero 0
	.end_amdhsa_kernel
	.section	.text._ZN9rocsolver6v33100L18getri_kernel_smallILi8EdPKPdEEvT1_iilPiilS6_bb,"axG",@progbits,_ZN9rocsolver6v33100L18getri_kernel_smallILi8EdPKPdEEvT1_iilPiilS6_bb,comdat
.Lfunc_end71:
	.size	_ZN9rocsolver6v33100L18getri_kernel_smallILi8EdPKPdEEvT1_iilPiilS6_bb, .Lfunc_end71-_ZN9rocsolver6v33100L18getri_kernel_smallILi8EdPKPdEEvT1_iilPiilS6_bb
                                        ; -- End function
	.set _ZN9rocsolver6v33100L18getri_kernel_smallILi8EdPKPdEEvT1_iilPiilS6_bb.num_vgpr, 48
	.set _ZN9rocsolver6v33100L18getri_kernel_smallILi8EdPKPdEEvT1_iilPiilS6_bb.num_agpr, 0
	.set _ZN9rocsolver6v33100L18getri_kernel_smallILi8EdPKPdEEvT1_iilPiilS6_bb.numbered_sgpr, 16
	.set _ZN9rocsolver6v33100L18getri_kernel_smallILi8EdPKPdEEvT1_iilPiilS6_bb.num_named_barrier, 0
	.set _ZN9rocsolver6v33100L18getri_kernel_smallILi8EdPKPdEEvT1_iilPiilS6_bb.private_seg_size, 0
	.set _ZN9rocsolver6v33100L18getri_kernel_smallILi8EdPKPdEEvT1_iilPiilS6_bb.uses_vcc, 1
	.set _ZN9rocsolver6v33100L18getri_kernel_smallILi8EdPKPdEEvT1_iilPiilS6_bb.uses_flat_scratch, 1
	.set _ZN9rocsolver6v33100L18getri_kernel_smallILi8EdPKPdEEvT1_iilPiilS6_bb.has_dyn_sized_stack, 0
	.set _ZN9rocsolver6v33100L18getri_kernel_smallILi8EdPKPdEEvT1_iilPiilS6_bb.has_recursion, 0
	.set _ZN9rocsolver6v33100L18getri_kernel_smallILi8EdPKPdEEvT1_iilPiilS6_bb.has_indirect_call, 0
	.section	.AMDGPU.csdata,"",@progbits
; Kernel info:
; codeLenInByte = 6256
; TotalNumSgprs: 18
; NumVgprs: 48
; ScratchSize: 0
; MemoryBound: 0
; FloatMode: 240
; IeeeMode: 1
; LDSByteSize: 136 bytes/workgroup (compile time only)
; SGPRBlocks: 0
; VGPRBlocks: 5
; NumSGPRsForWavesPerEU: 18
; NumVGPRsForWavesPerEU: 48
; Occupancy: 16
; WaveLimiterHint : 1
; COMPUTE_PGM_RSRC2:SCRATCH_EN: 0
; COMPUTE_PGM_RSRC2:USER_SGPR: 6
; COMPUTE_PGM_RSRC2:TRAP_HANDLER: 0
; COMPUTE_PGM_RSRC2:TGID_X_EN: 1
; COMPUTE_PGM_RSRC2:TGID_Y_EN: 0
; COMPUTE_PGM_RSRC2:TGID_Z_EN: 0
; COMPUTE_PGM_RSRC2:TIDIG_COMP_CNT: 0
	.section	.text._ZN9rocsolver6v33100L18getri_kernel_smallILi9EdPKPdEEvT1_iilPiilS6_bb,"axG",@progbits,_ZN9rocsolver6v33100L18getri_kernel_smallILi9EdPKPdEEvT1_iilPiilS6_bb,comdat
	.globl	_ZN9rocsolver6v33100L18getri_kernel_smallILi9EdPKPdEEvT1_iilPiilS6_bb ; -- Begin function _ZN9rocsolver6v33100L18getri_kernel_smallILi9EdPKPdEEvT1_iilPiilS6_bb
	.p2align	8
	.type	_ZN9rocsolver6v33100L18getri_kernel_smallILi9EdPKPdEEvT1_iilPiilS6_bb,@function
_ZN9rocsolver6v33100L18getri_kernel_smallILi9EdPKPdEEvT1_iilPiilS6_bb: ; @_ZN9rocsolver6v33100L18getri_kernel_smallILi9EdPKPdEEvT1_iilPiilS6_bb
; %bb.0:
	s_mov_b32 s0, exec_lo
	v_cmpx_gt_u32_e32 9, v0
	s_cbranch_execz .LBB72_16
; %bb.1:
	s_clause 0x2
	s_load_dword s8, s[4:5], 0x38
	s_load_dwordx2 s[0:1], s[4:5], 0x0
	s_load_dwordx4 s[12:15], s[4:5], 0x28
                                        ; implicit-def: $sgpr16_sgpr17
	s_waitcnt lgkmcnt(0)
	s_bitcmp1_b32 s8, 8
	s_cselect_b32 s11, -1, 0
	s_ashr_i32 s7, s6, 31
	s_lshl_b64 s[2:3], s[6:7], 3
	s_add_u32 s0, s0, s2
	s_addc_u32 s1, s1, s3
	s_load_dwordx2 s[2:3], s[0:1], 0x0
	s_bfe_u32 s0, s8, 0x10008
	s_cmp_eq_u32 s0, 0
	s_cbranch_scc1 .LBB72_3
; %bb.2:
	s_clause 0x1
	s_load_dword s0, s[4:5], 0x20
	s_load_dwordx2 s[8:9], s[4:5], 0x18
	s_mul_i32 s1, s12, s7
	s_mul_hi_u32 s10, s12, s6
	s_mul_i32 s13, s13, s6
	s_add_i32 s1, s10, s1
	s_mul_i32 s12, s12, s6
	s_add_i32 s13, s1, s13
	s_lshl_b64 s[12:13], s[12:13], 2
	s_waitcnt lgkmcnt(0)
	s_ashr_i32 s1, s0, 31
	s_add_u32 s8, s8, s12
	s_addc_u32 s9, s9, s13
	s_lshl_b64 s[0:1], s[0:1], 2
	s_add_u32 s16, s8, s0
	s_addc_u32 s17, s9, s1
.LBB72_3:
	s_clause 0x1
	s_load_dwordx2 s[0:1], s[4:5], 0x8
	s_load_dword s10, s[4:5], 0x38
	v_lshlrev_b32_e32 v22, 3, v0
	s_waitcnt lgkmcnt(0)
	v_add3_u32 v1, s1, s1, v0
	s_ashr_i32 s5, s0, 31
	s_mov_b32 s4, s0
	s_mov_b32 s8, s1
	s_lshl_b64 s[4:5], s[4:5], 3
	v_add_nc_u32_e32 v3, s1, v1
	v_ashrrev_i32_e32 v2, 31, v1
	s_add_u32 s0, s2, s4
	s_addc_u32 s4, s3, s5
	v_add_co_u32 v52, s2, s0, v22
	v_add_nc_u32_e32 v5, s1, v3
	v_ashrrev_i32_e32 v4, 31, v3
	s_ashr_i32 s9, s1, 31
	v_lshlrev_b64 v[1:2], 3, v[1:2]
	v_add_co_ci_u32_e64 v53, null, s4, 0, s2
	v_add_nc_u32_e32 v7, s1, v5
	v_ashrrev_i32_e32 v6, 31, v5
	s_lshl_b64 s[2:3], s[8:9], 3
	v_lshlrev_b64 v[3:4], 3, v[3:4]
	v_add_co_u32 v54, vcc_lo, v52, s2
	v_add_nc_u32_e32 v12, s1, v7
	v_lshlrev_b64 v[10:11], 3, v[5:6]
	v_add_co_ci_u32_e64 v55, null, s3, v53, vcc_lo
	v_add_co_u32 v56, vcc_lo, s0, v1
	v_ashrrev_i32_e32 v8, 31, v7
	v_ashrrev_i32_e32 v13, 31, v12
	v_add_nc_u32_e32 v16, s1, v12
	v_add_co_ci_u32_e64 v57, null, s4, v2, vcc_lo
	v_add_co_u32 v58, vcc_lo, s0, v3
	v_add_co_ci_u32_e64 v59, null, s4, v4, vcc_lo
	v_add_co_u32 v60, vcc_lo, s0, v10
	v_lshlrev_b64 v[14:15], 3, v[7:8]
	v_add_co_ci_u32_e64 v61, null, s4, v11, vcc_lo
	v_lshlrev_b64 v[10:11], 3, v[12:13]
	v_add_nc_u32_e32 v12, s1, v16
	v_ashrrev_i32_e32 v17, 31, v16
	v_add_co_u32 v62, vcc_lo, s0, v14
	v_add_co_ci_u32_e64 v63, null, s4, v15, vcc_lo
	v_ashrrev_i32_e32 v13, 31, v12
	v_lshlrev_b64 v[14:15], 3, v[16:17]
	v_add_co_u32 v64, vcc_lo, s0, v10
	v_add_co_ci_u32_e64 v65, null, s4, v11, vcc_lo
	v_lshlrev_b64 v[10:11], 3, v[12:13]
	v_add_co_u32 v68, vcc_lo, s0, v14
	v_add_co_ci_u32_e64 v69, null, s4, v15, vcc_lo
	s_clause 0x3
	flat_load_dwordx2 v[2:3], v[52:53]
	flat_load_dwordx2 v[4:5], v[54:55]
	;; [unrolled: 1-line block ×4, first 2 shown]
	v_add_co_u32 v66, vcc_lo, s0, v10
	v_add_co_ci_u32_e64 v67, null, s4, v11, vcc_lo
	s_clause 0x4
	flat_load_dwordx2 v[10:11], v[60:61]
	flat_load_dwordx2 v[12:13], v[62:63]
	;; [unrolled: 1-line block ×5, first 2 shown]
	v_mov_b32_e32 v1, 0
	s_bitcmp0_b32 s10, 0
	s_mov_b32 s0, -1
	s_cbranch_scc1 .LBB72_14
; %bb.4:
	v_cmp_eq_u32_e64 s0, 0, v0
	s_and_saveexec_b32 s1, s0
; %bb.5:
	v_mov_b32_e32 v20, 0
	ds_write_b32 v20, v20 offset:72
; %bb.6:
	s_or_b32 exec_lo, exec_lo, s1
	v_cmp_eq_u32_e32 vcc_lo, 1, v0
	s_mov_b32 s2, exec_lo
	s_waitcnt vmcnt(0) lgkmcnt(0)
	s_barrier
	buffer_gl0_inv
	v_cndmask_b32_e32 v20, v3, v5, vcc_lo
	v_cndmask_b32_e32 v21, v2, v4, vcc_lo
	v_cmp_eq_u32_e32 vcc_lo, 2, v0
	v_cndmask_b32_e32 v20, v20, v7, vcc_lo
	v_cndmask_b32_e32 v21, v21, v6, vcc_lo
	v_cmp_eq_u32_e32 vcc_lo, 3, v0
	;; [unrolled: 3-line block ×7, first 2 shown]
	v_cndmask_b32_e32 v21, v20, v19, vcc_lo
	v_cndmask_b32_e32 v20, v23, v18, vcc_lo
	v_cmpx_eq_f64_e32 0, v[20:21]
	s_cbranch_execz .LBB72_10
; %bb.7:
	v_mov_b32_e32 v23, 0
	s_mov_b32 s3, 0
	ds_read_b32 v24, v23 offset:72
	s_waitcnt lgkmcnt(0)
	v_readfirstlane_b32 s1, v24
	v_add_nc_u32_e32 v24, 1, v0
	s_cmp_eq_u32 s1, 0
	v_cmp_gt_i32_e32 vcc_lo, s1, v24
	s_cselect_b32 s4, -1, 0
	s_or_b32 s4, s4, vcc_lo
	s_and_b32 exec_lo, exec_lo, s4
	s_cbranch_execz .LBB72_10
; %bb.8:
	v_mov_b32_e32 v25, s1
.LBB72_9:                               ; =>This Inner Loop Header: Depth=1
	ds_cmpst_rtn_b32 v25, v23, v25, v24 offset:72
	s_waitcnt lgkmcnt(0)
	v_cmp_ne_u32_e32 vcc_lo, 0, v25
	v_cmp_le_i32_e64 s1, v25, v24
	s_and_b32 s1, vcc_lo, s1
	s_and_b32 s1, exec_lo, s1
	s_or_b32 s3, s1, s3
	s_andn2_b32 exec_lo, exec_lo, s3
	s_cbranch_execnz .LBB72_9
.LBB72_10:
	s_or_b32 exec_lo, exec_lo, s2
	v_mov_b32_e32 v23, 0
	s_barrier
	buffer_gl0_inv
	ds_read_b32 v24, v23 offset:72
	s_and_saveexec_b32 s1, s0
	s_cbranch_execz .LBB72_12
; %bb.11:
	s_lshl_b64 s[2:3], s[6:7], 2
	s_add_u32 s2, s14, s2
	s_addc_u32 s3, s15, s3
	s_waitcnt lgkmcnt(0)
	global_store_dword v23, v24, s[2:3]
.LBB72_12:
	s_or_b32 exec_lo, exec_lo, s1
	s_waitcnt lgkmcnt(0)
	v_cmp_ne_u32_e32 vcc_lo, 0, v24
	s_cbranch_vccz .LBB72_17
; %bb.13:
	s_mov_b32 s0, 0
                                        ; implicit-def: $vgpr2_vgpr3_vgpr4_vgpr5_vgpr6_vgpr7_vgpr8_vgpr9_vgpr10_vgpr11_vgpr12_vgpr13_vgpr14_vgpr15_vgpr16_vgpr17_vgpr18_vgpr19_vgpr20_vgpr21_vgpr22_vgpr23_vgpr24_vgpr25_vgpr26_vgpr27_vgpr28_vgpr29_vgpr30_vgpr31_vgpr32_vgpr33
.LBB72_14:
	s_and_b32 vcc_lo, exec_lo, s0
	s_cbranch_vccz .LBB72_16
.LBB72_15:
	s_lshl_b64 s[0:1], s[6:7], 2
	v_mov_b32_e32 v1, 0
	s_add_u32 s0, s14, s0
	s_addc_u32 s1, s15, s1
	global_load_dword v1, v1, s[0:1]
	s_waitcnt vmcnt(0)
	v_cmp_ne_u32_e32 vcc_lo, 0, v1
	s_cbranch_vccz .LBB72_60
.LBB72_16:
	s_endpgm
.LBB72_17:
	v_div_scale_f64 v[23:24], null, v[20:21], v[20:21], 1.0
	v_div_scale_f64 v[29:30], vcc_lo, 1.0, v[20:21], 1.0
	v_cmp_eq_u32_e64 s1, 7, v0
	v_cmp_eq_u32_e64 s2, 6, v0
	;; [unrolled: 1-line block ×8, first 2 shown]
	v_rcp_f64_e32 v[25:26], v[23:24]
	v_fma_f64 v[27:28], -v[23:24], v[25:26], 1.0
	v_fma_f64 v[25:26], v[25:26], v[27:28], v[25:26]
	v_fma_f64 v[27:28], -v[23:24], v[25:26], 1.0
	v_fma_f64 v[25:26], v[25:26], v[27:28], v[25:26]
	v_mul_f64 v[27:28], v[29:30], v[25:26]
	v_fma_f64 v[23:24], -v[23:24], v[27:28], v[29:30]
	v_div_fmas_f64 v[23:24], v[23:24], v[25:26], v[27:28]
	v_cmp_eq_u32_e32 vcc_lo, 8, v0
	v_div_fixup_f64 v[20:21], v[23:24], v[20:21], 1.0
	v_add_nc_u32_e32 v24, 0x50, v22
	v_cndmask_b32_e32 v19, v19, v21, vcc_lo
	v_cndmask_b32_e32 v18, v18, v20, vcc_lo
	v_cndmask_b32_e64 v17, v17, v21, s1
	v_cndmask_b32_e64 v16, v16, v20, s1
	;; [unrolled: 1-line block ×12, first 2 shown]
	v_xor_b32_e32 v26, 0x80000000, v21
	v_mov_b32_e32 v25, v20
	v_cndmask_b32_e64 v7, v7, v21, s8
	v_cndmask_b32_e64 v6, v6, v20, s8
	;; [unrolled: 1-line block ×4, first 2 shown]
	ds_write2_b64 v22, v[25:26], v[4:5] offset1:10
	s_waitcnt lgkmcnt(0)
	s_waitcnt_vscnt null, 0x0
	s_barrier
	buffer_gl0_inv
	s_and_saveexec_b32 s1, s0
	s_cbranch_execz .LBB72_19
; %bb.18:
	ds_read_b64 v[4:5], v24
	v_mov_b32_e32 v22, 0
	ds_read_b64 v[22:23], v22 offset:8
	s_waitcnt lgkmcnt(1)
	v_fma_f64 v[4:5], v[20:21], v[4:5], 0
	s_waitcnt lgkmcnt(0)
	v_mul_f64 v[4:5], v[4:5], v[22:23]
.LBB72_19:
	s_or_b32 exec_lo, exec_lo, s1
	s_mov_b32 s2, exec_lo
	s_barrier
	buffer_gl0_inv
	ds_write_b64 v24, v[6:7]
	s_waitcnt lgkmcnt(0)
	s_barrier
	buffer_gl0_inv
	v_cmpx_gt_u32_e32 2, v0
	s_cbranch_execz .LBB72_23
; %bb.20:
	v_cmp_eq_u32_e32 vcc_lo, 1, v0
	v_cmp_eq_u32_e64 s1, 6, v0
	v_cndmask_b32_e32 v20, v3, v5, vcc_lo
	v_cndmask_b32_e32 v21, v2, v4, vcc_lo
	v_cmp_eq_u32_e32 vcc_lo, 2, v0
	v_cndmask_b32_e32 v7, v20, v7, vcc_lo
	v_cndmask_b32_e32 v6, v21, v6, vcc_lo
	v_cmp_eq_u32_e32 vcc_lo, 3, v0
	;; [unrolled: 3-line block ×4, first 2 shown]
	v_cndmask_b32_e32 v20, v7, v13, vcc_lo
	v_cndmask_b32_e32 v21, v6, v12, vcc_lo
	ds_read_b64 v[6:7], v24
	v_cmp_eq_u32_e32 vcc_lo, 7, v0
	v_cndmask_b32_e64 v20, v20, v15, s1
	v_cndmask_b32_e64 v21, v21, v14, s1
	v_cndmask_b32_e32 v20, v20, v17, vcc_lo
	v_cndmask_b32_e32 v22, v21, v16, vcc_lo
	v_cmp_eq_u32_e32 vcc_lo, 8, v0
	v_cndmask_b32_e32 v21, v20, v19, vcc_lo
	v_cndmask_b32_e32 v20, v22, v18, vcc_lo
	s_waitcnt lgkmcnt(0)
	v_fma_f64 v[6:7], v[20:21], v[6:7], 0
	s_and_saveexec_b32 s1, s0
	s_cbranch_execz .LBB72_22
; %bb.21:
	v_mov_b32_e32 v20, 0
	ds_read_b64 v[20:21], v20 offset:88
	s_waitcnt lgkmcnt(0)
	v_fma_f64 v[6:7], v[4:5], v[20:21], v[6:7]
.LBB72_22:
	s_or_b32 exec_lo, exec_lo, s1
	v_mov_b32_e32 v20, 0
	ds_read_b64 v[20:21], v20 offset:16
	s_waitcnt lgkmcnt(0)
	v_mul_f64 v[6:7], v[6:7], v[20:21]
.LBB72_23:
	s_or_b32 exec_lo, exec_lo, s2
	v_cmp_gt_u32_e32 vcc_lo, 3, v0
	s_barrier
	buffer_gl0_inv
	ds_write_b64 v24, v[8:9]
	s_waitcnt lgkmcnt(0)
	s_barrier
	buffer_gl0_inv
	s_and_saveexec_b32 s3, vcc_lo
	s_cbranch_execz .LBB72_27
; %bb.24:
	v_mov_b32_e32 v20, 0
	v_mov_b32_e32 v23, v1
	v_lshl_add_u32 v25, v0, 3, 0x50
	v_mov_b32_e32 v21, 0
	v_mov_b32_e32 v22, v0
	s_mov_b32 s4, 0
.LBB72_25:                              ; =>This Inner Loop Header: Depth=1
	v_cmp_eq_u32_e64 s1, 1, v22
	v_cmp_eq_u32_e64 s2, 2, v22
	v_cndmask_b32_e64 v26, v3, v5, s1
	v_cndmask_b32_e64 v27, v2, v4, s1
	v_cmp_eq_u32_e64 s1, 3, v22
	v_cndmask_b32_e64 v26, v26, v7, s2
	v_cndmask_b32_e64 v27, v27, v6, s2
	;; [unrolled: 3-line block ×4, first 2 shown]
	ds_read_b64 v[26:27], v25
	v_cmp_eq_u32_e64 s2, 6, v22
	v_add_nc_u32_e32 v25, 8, v25
	v_cndmask_b32_e64 v28, v28, v13, s1
	v_cndmask_b32_e64 v29, v29, v12, s1
	v_cmp_eq_u32_e64 s1, 7, v22
	v_cndmask_b32_e64 v28, v28, v15, s2
	v_cndmask_b32_e64 v29, v29, v14, s2
	v_cmp_eq_u32_e64 s2, 8, v22
	v_cndmask_b32_e64 v28, v28, v17, s1
	v_cndmask_b32_e64 v30, v29, v16, s1
	v_add_co_u32 v22, s1, v22, 1
	v_add_co_ci_u32_e64 v23, null, 0, v23, s1
	v_cndmask_b32_e64 v29, v28, v19, s2
	v_cndmask_b32_e64 v28, v30, v18, s2
	s_waitcnt lgkmcnt(0)
	v_fma_f64 v[20:21], v[28:29], v[26:27], v[20:21]
	v_add_nc_u32_e32 v26, -1, v22
	v_cmp_lt_u32_e64 s1, 1, v26
	s_or_b32 s4, s1, s4
	s_andn2_b32 exec_lo, exec_lo, s4
	s_cbranch_execnz .LBB72_25
; %bb.26:
	s_or_b32 exec_lo, exec_lo, s4
	v_mov_b32_e32 v8, 0
	ds_read_b64 v[8:9], v8 offset:24
	s_waitcnt lgkmcnt(0)
	v_mul_f64 v[8:9], v[20:21], v[8:9]
.LBB72_27:
	s_or_b32 exec_lo, exec_lo, s3
	s_mov_b32 s3, exec_lo
	s_barrier
	buffer_gl0_inv
	ds_write_b64 v24, v[10:11]
	s_waitcnt lgkmcnt(0)
	s_barrier
	buffer_gl0_inv
	v_cmpx_gt_u32_e32 4, v0
	s_cbranch_execz .LBB72_31
; %bb.28:
	v_mov_b32_e32 v20, 0
	v_mov_b32_e32 v23, v1
	v_lshl_add_u32 v25, v0, 3, 0x50
	v_mov_b32_e32 v21, 0
	v_mov_b32_e32 v22, v0
	s_mov_b32 s4, 0
.LBB72_29:                              ; =>This Inner Loop Header: Depth=1
	v_cmp_eq_u32_e64 s1, 1, v22
	v_cmp_eq_u32_e64 s2, 2, v22
	v_cndmask_b32_e64 v26, v3, v5, s1
	v_cndmask_b32_e64 v27, v2, v4, s1
	v_cmp_eq_u32_e64 s1, 3, v22
	v_cndmask_b32_e64 v26, v26, v7, s2
	v_cndmask_b32_e64 v27, v27, v6, s2
	;; [unrolled: 3-line block ×4, first 2 shown]
	ds_read_b64 v[26:27], v25
	v_cmp_eq_u32_e64 s2, 6, v22
	v_add_nc_u32_e32 v25, 8, v25
	v_cndmask_b32_e64 v28, v28, v13, s1
	v_cndmask_b32_e64 v29, v29, v12, s1
	v_cmp_eq_u32_e64 s1, 7, v22
	v_cndmask_b32_e64 v28, v28, v15, s2
	v_cndmask_b32_e64 v29, v29, v14, s2
	v_cmp_eq_u32_e64 s2, 8, v22
	v_cndmask_b32_e64 v28, v28, v17, s1
	v_cndmask_b32_e64 v30, v29, v16, s1
	v_add_co_u32 v22, s1, v22, 1
	v_add_co_ci_u32_e64 v23, null, 0, v23, s1
	v_cndmask_b32_e64 v29, v28, v19, s2
	v_cndmask_b32_e64 v28, v30, v18, s2
	s_waitcnt lgkmcnt(0)
	v_fma_f64 v[20:21], v[28:29], v[26:27], v[20:21]
	v_add_nc_u32_e32 v26, -1, v22
	v_cmp_lt_u32_e64 s1, 2, v26
	s_or_b32 s4, s1, s4
	s_andn2_b32 exec_lo, exec_lo, s4
	s_cbranch_execnz .LBB72_29
; %bb.30:
	s_or_b32 exec_lo, exec_lo, s4
	v_mov_b32_e32 v10, 0
	ds_read_b64 v[10:11], v10 offset:32
	s_waitcnt lgkmcnt(0)
	v_mul_f64 v[10:11], v[20:21], v[10:11]
.LBB72_31:
	s_or_b32 exec_lo, exec_lo, s3
	v_cmp_gt_u32_e64 s1, 5, v0
	s_barrier
	buffer_gl0_inv
	ds_write_b64 v24, v[12:13]
	s_waitcnt lgkmcnt(0)
	s_barrier
	buffer_gl0_inv
	s_and_saveexec_b32 s4, s1
	s_cbranch_execz .LBB72_35
; %bb.32:
	v_mov_b32_e32 v20, 0
	v_mov_b32_e32 v23, v1
	v_lshl_add_u32 v25, v0, 3, 0x50
	v_mov_b32_e32 v21, 0
	v_mov_b32_e32 v22, v0
	s_mov_b32 s5, 0
.LBB72_33:                              ; =>This Inner Loop Header: Depth=1
	v_cmp_eq_u32_e64 s2, 1, v22
	v_cmp_eq_u32_e64 s3, 2, v22
	v_cndmask_b32_e64 v26, v3, v5, s2
	v_cndmask_b32_e64 v27, v2, v4, s2
	v_cmp_eq_u32_e64 s2, 3, v22
	v_cndmask_b32_e64 v26, v26, v7, s3
	v_cndmask_b32_e64 v27, v27, v6, s3
	;; [unrolled: 3-line block ×4, first 2 shown]
	ds_read_b64 v[26:27], v25
	v_cmp_eq_u32_e64 s3, 6, v22
	v_add_nc_u32_e32 v25, 8, v25
	v_cndmask_b32_e64 v28, v28, v13, s2
	v_cndmask_b32_e64 v29, v29, v12, s2
	v_cmp_eq_u32_e64 s2, 7, v22
	v_cndmask_b32_e64 v28, v28, v15, s3
	v_cndmask_b32_e64 v29, v29, v14, s3
	v_cmp_eq_u32_e64 s3, 8, v22
	v_cndmask_b32_e64 v28, v28, v17, s2
	v_cndmask_b32_e64 v30, v29, v16, s2
	v_add_co_u32 v22, s2, v22, 1
	v_add_co_ci_u32_e64 v23, null, 0, v23, s2
	v_cndmask_b32_e64 v29, v28, v19, s3
	v_cndmask_b32_e64 v28, v30, v18, s3
	s_waitcnt lgkmcnt(0)
	v_fma_f64 v[20:21], v[28:29], v[26:27], v[20:21]
	v_add_nc_u32_e32 v26, -1, v22
	v_cmp_lt_u32_e64 s2, 3, v26
	s_or_b32 s5, s2, s5
	s_andn2_b32 exec_lo, exec_lo, s5
	s_cbranch_execnz .LBB72_33
; %bb.34:
	s_or_b32 exec_lo, exec_lo, s5
	v_mov_b32_e32 v12, 0
	ds_read_b64 v[12:13], v12 offset:40
	s_waitcnt lgkmcnt(0)
	v_mul_f64 v[12:13], v[20:21], v[12:13]
.LBB72_35:
	s_or_b32 exec_lo, exec_lo, s4
	s_mov_b32 s4, exec_lo
	s_barrier
	buffer_gl0_inv
	ds_write_b64 v24, v[14:15]
	s_waitcnt lgkmcnt(0)
	s_barrier
	buffer_gl0_inv
	v_cmpx_gt_u32_e32 6, v0
	s_cbranch_execz .LBB72_39
; %bb.36:
	v_mov_b32_e32 v20, 0
	v_mov_b32_e32 v23, v1
	v_lshl_add_u32 v25, v0, 3, 0x50
	v_mov_b32_e32 v21, 0
	v_mov_b32_e32 v22, v0
	s_mov_b32 s5, 0
.LBB72_37:                              ; =>This Inner Loop Header: Depth=1
	v_cmp_eq_u32_e64 s2, 1, v22
	v_cmp_eq_u32_e64 s3, 2, v22
	v_cndmask_b32_e64 v26, v3, v5, s2
	v_cndmask_b32_e64 v27, v2, v4, s2
	v_cmp_eq_u32_e64 s2, 3, v22
	v_cndmask_b32_e64 v26, v26, v7, s3
	v_cndmask_b32_e64 v27, v27, v6, s3
	;; [unrolled: 3-line block ×4, first 2 shown]
	ds_read_b64 v[26:27], v25
	v_cmp_eq_u32_e64 s3, 6, v22
	v_add_nc_u32_e32 v25, 8, v25
	v_cndmask_b32_e64 v28, v28, v13, s2
	v_cndmask_b32_e64 v29, v29, v12, s2
	v_cmp_eq_u32_e64 s2, 7, v22
	v_cndmask_b32_e64 v28, v28, v15, s3
	v_cndmask_b32_e64 v29, v29, v14, s3
	v_cmp_eq_u32_e64 s3, 8, v22
	v_cndmask_b32_e64 v28, v28, v17, s2
	v_cndmask_b32_e64 v30, v29, v16, s2
	v_add_co_u32 v22, s2, v22, 1
	v_add_co_ci_u32_e64 v23, null, 0, v23, s2
	v_cndmask_b32_e64 v29, v28, v19, s3
	v_cndmask_b32_e64 v28, v30, v18, s3
	s_waitcnt lgkmcnt(0)
	v_fma_f64 v[20:21], v[28:29], v[26:27], v[20:21]
	v_add_nc_u32_e32 v26, -1, v22
	v_cmp_lt_u32_e64 s2, 4, v26
	s_or_b32 s5, s2, s5
	s_andn2_b32 exec_lo, exec_lo, s5
	s_cbranch_execnz .LBB72_37
; %bb.38:
	s_or_b32 exec_lo, exec_lo, s5
	v_mov_b32_e32 v14, 0
	ds_read_b64 v[14:15], v14 offset:48
	s_waitcnt lgkmcnt(0)
	v_mul_f64 v[14:15], v[20:21], v[14:15]
.LBB72_39:
	s_or_b32 exec_lo, exec_lo, s4
	v_cmp_gt_u32_e64 s2, 7, v0
	s_barrier
	buffer_gl0_inv
	ds_write_b64 v24, v[16:17]
	s_waitcnt lgkmcnt(0)
	s_barrier
	buffer_gl0_inv
	s_and_saveexec_b32 s5, s2
	s_cbranch_execz .LBB72_43
; %bb.40:
	v_mov_b32_e32 v20, 0
	v_mov_b32_e32 v23, v1
	v_lshl_add_u32 v25, v0, 3, 0x50
	v_mov_b32_e32 v21, 0
	v_mov_b32_e32 v22, v0
	s_mov_b32 s8, 0
.LBB72_41:                              ; =>This Inner Loop Header: Depth=1
	v_cmp_eq_u32_e64 s3, 1, v22
	v_cmp_eq_u32_e64 s4, 2, v22
	v_cndmask_b32_e64 v1, v3, v5, s3
	v_cndmask_b32_e64 v26, v2, v4, s3
	v_cmp_eq_u32_e64 s3, 3, v22
	v_cndmask_b32_e64 v1, v1, v7, s4
	v_cndmask_b32_e64 v26, v26, v6, s4
	;; [unrolled: 3-line block ×4, first 2 shown]
	ds_read_b64 v[26:27], v25
	v_cmp_eq_u32_e64 s4, 6, v22
	v_add_nc_u32_e32 v25, 8, v25
	v_cndmask_b32_e64 v1, v1, v13, s3
	v_cndmask_b32_e64 v28, v28, v12, s3
	v_cmp_eq_u32_e64 s3, 7, v22
	v_cndmask_b32_e64 v1, v1, v15, s4
	v_cndmask_b32_e64 v28, v28, v14, s4
	v_cmp_eq_u32_e64 s4, 8, v22
	v_cndmask_b32_e64 v1, v1, v17, s3
	v_cndmask_b32_e64 v28, v28, v16, s3
	v_add_co_u32 v22, s3, v22, 1
	v_add_co_ci_u32_e64 v23, null, 0, v23, s3
	v_cndmask_b32_e64 v29, v1, v19, s4
	v_cndmask_b32_e64 v28, v28, v18, s4
	v_add_nc_u32_e32 v1, -1, v22
	s_waitcnt lgkmcnt(0)
	v_fma_f64 v[20:21], v[28:29], v[26:27], v[20:21]
	v_cmp_lt_u32_e64 s3, 5, v1
	s_or_b32 s8, s3, s8
	s_andn2_b32 exec_lo, exec_lo, s8
	s_cbranch_execnz .LBB72_41
; %bb.42:
	s_or_b32 exec_lo, exec_lo, s8
	v_mov_b32_e32 v1, 0
	ds_read_b64 v[16:17], v1 offset:56
	s_waitcnt lgkmcnt(0)
	v_mul_f64 v[16:17], v[20:21], v[16:17]
.LBB72_43:
	s_or_b32 exec_lo, exec_lo, s5
	s_mov_b32 s5, exec_lo
	s_barrier
	buffer_gl0_inv
	ds_write_b64 v24, v[18:19]
	s_waitcnt lgkmcnt(0)
	s_barrier
	buffer_gl0_inv
	v_cmpx_ne_u32_e32 8, v0
	s_cbranch_execz .LBB72_59
; %bb.44:
	v_cmp_eq_u32_e64 s3, 1, v0
	v_cmp_eq_u32_e64 s4, 6, v0
	v_cndmask_b32_e64 v1, v3, v5, s3
	v_cndmask_b32_e64 v20, v2, v4, s3
	v_cmp_eq_u32_e64 s3, 2, v0
	v_cndmask_b32_e64 v1, v1, v7, s3
	v_cndmask_b32_e64 v20, v20, v6, s3
	;; [unrolled: 3-line block ×5, first 2 shown]
	ds_read_b64 v[20:21], v24
	v_cmp_eq_u32_e64 s3, 7, v0
	v_cndmask_b32_e64 v1, v1, v15, s4
	v_cndmask_b32_e64 v22, v22, v14, s4
	;; [unrolled: 1-line block ×4, first 2 shown]
	v_cmp_eq_u32_e64 s3, 8, v0
	v_cndmask_b32_e64 v23, v1, v19, s3
	v_cndmask_b32_e64 v22, v22, v18, s3
	s_waitcnt lgkmcnt(0)
	v_fma_f64 v[20:21], v[22:23], v[20:21], 0
	s_and_saveexec_b32 s4, s2
	s_cbranch_execz .LBB72_58
; %bb.45:
	v_add_nc_u32_e32 v1, 1, v0
	s_mov_b32 s8, exec_lo
	v_cmp_eq_u32_e64 s2, 1, v1
	v_cmp_eq_u32_e64 s3, 6, v1
	v_cndmask_b32_e64 v22, v3, v5, s2
	v_cndmask_b32_e64 v23, v2, v4, s2
	v_cmp_eq_u32_e64 s2, 2, v1
	v_cndmask_b32_e64 v22, v22, v7, s2
	v_cndmask_b32_e64 v23, v23, v6, s2
	;; [unrolled: 3-line block ×5, first 2 shown]
	ds_read_b64 v[22:23], v24 offset:8
	v_cmp_eq_u32_e64 s2, 7, v1
	v_cndmask_b32_e64 v25, v25, v15, s3
	v_cndmask_b32_e64 v26, v26, v14, s3
	;; [unrolled: 1-line block ×4, first 2 shown]
	v_cmp_eq_u32_e64 s2, 8, v1
	v_cndmask_b32_e64 v26, v25, v19, s2
	v_cndmask_b32_e64 v25, v27, v18, s2
	s_waitcnt lgkmcnt(0)
	v_fma_f64 v[20:21], v[25:26], v[22:23], v[20:21]
	v_cmpx_ne_u32_e32 6, v0
	s_cbranch_execz .LBB72_57
; %bb.46:
	v_add_nc_u32_e32 v1, 2, v0
	v_cmp_eq_u32_e64 s2, 1, v1
	v_cmp_eq_u32_e64 s3, 6, v1
	v_cndmask_b32_e64 v22, v3, v5, s2
	v_cndmask_b32_e64 v23, v2, v4, s2
	v_cmp_eq_u32_e64 s2, 2, v1
	v_cndmask_b32_e64 v22, v22, v7, s2
	v_cndmask_b32_e64 v23, v23, v6, s2
	;; [unrolled: 3-line block ×5, first 2 shown]
	ds_read_b64 v[22:23], v24 offset:16
	v_cmp_eq_u32_e64 s2, 7, v1
	v_cndmask_b32_e64 v25, v25, v15, s3
	v_cndmask_b32_e64 v26, v26, v14, s3
	;; [unrolled: 1-line block ×4, first 2 shown]
	v_cmp_eq_u32_e64 s2, 8, v1
	v_cndmask_b32_e64 v26, v25, v19, s2
	v_cndmask_b32_e64 v25, v27, v18, s2
	s_waitcnt lgkmcnt(0)
	v_fma_f64 v[20:21], v[25:26], v[22:23], v[20:21]
	s_and_saveexec_b32 s3, s1
	s_cbranch_execz .LBB72_56
; %bb.47:
	v_add_nc_u32_e32 v1, 3, v0
	s_mov_b32 s9, exec_lo
	v_cmp_eq_u32_e64 s1, 1, v1
	v_cmp_eq_u32_e64 s2, 6, v1
	v_cndmask_b32_e64 v22, v3, v5, s1
	v_cndmask_b32_e64 v23, v2, v4, s1
	v_cmp_eq_u32_e64 s1, 2, v1
	v_cndmask_b32_e64 v22, v22, v7, s1
	v_cndmask_b32_e64 v23, v23, v6, s1
	;; [unrolled: 3-line block ×5, first 2 shown]
	ds_read_b64 v[22:23], v24 offset:24
	v_cmp_eq_u32_e64 s1, 7, v1
	v_cndmask_b32_e64 v25, v25, v15, s2
	v_cndmask_b32_e64 v26, v26, v14, s2
	;; [unrolled: 1-line block ×4, first 2 shown]
	v_cmp_eq_u32_e64 s1, 8, v1
	v_cndmask_b32_e64 v26, v25, v19, s1
	v_cndmask_b32_e64 v25, v27, v18, s1
	s_waitcnt lgkmcnt(0)
	v_fma_f64 v[20:21], v[25:26], v[22:23], v[20:21]
	v_cmpx_ne_u32_e32 4, v0
	s_cbranch_execz .LBB72_55
; %bb.48:
	v_add_nc_u32_e32 v1, 4, v0
	v_cmp_eq_u32_e64 s1, 1, v1
	v_cmp_eq_u32_e64 s2, 6, v1
	v_cndmask_b32_e64 v22, v3, v5, s1
	v_cndmask_b32_e64 v23, v2, v4, s1
	v_cmp_eq_u32_e64 s1, 2, v1
	v_cndmask_b32_e64 v22, v22, v7, s1
	v_cndmask_b32_e64 v23, v23, v6, s1
	;; [unrolled: 3-line block ×5, first 2 shown]
	ds_read_b64 v[22:23], v24 offset:32
	v_cmp_eq_u32_e64 s1, 7, v1
	v_cndmask_b32_e64 v25, v25, v15, s2
	v_cndmask_b32_e64 v26, v26, v14, s2
	;; [unrolled: 1-line block ×4, first 2 shown]
	v_cmp_eq_u32_e64 s1, 8, v1
	v_cndmask_b32_e64 v26, v25, v19, s1
	v_cndmask_b32_e64 v25, v27, v18, s1
	s_waitcnt lgkmcnt(0)
	v_fma_f64 v[20:21], v[25:26], v[22:23], v[20:21]
	s_and_saveexec_b32 s2, vcc_lo
	s_cbranch_execz .LBB72_54
; %bb.49:
	v_add_nc_u32_e32 v1, 5, v0
	s_mov_b32 s10, exec_lo
	v_cmp_eq_u32_e32 vcc_lo, 1, v1
	v_cmp_eq_u32_e64 s1, 6, v1
	v_cndmask_b32_e32 v22, v3, v5, vcc_lo
	v_cndmask_b32_e32 v23, v2, v4, vcc_lo
	v_cmp_eq_u32_e32 vcc_lo, 2, v1
	v_cndmask_b32_e32 v22, v22, v7, vcc_lo
	v_cndmask_b32_e32 v23, v23, v6, vcc_lo
	v_cmp_eq_u32_e32 vcc_lo, 3, v1
	;; [unrolled: 3-line block ×4, first 2 shown]
	v_cndmask_b32_e32 v25, v22, v13, vcc_lo
	v_cndmask_b32_e32 v26, v23, v12, vcc_lo
	ds_read_b64 v[22:23], v24 offset:40
	v_cmp_eq_u32_e32 vcc_lo, 7, v1
	v_cndmask_b32_e64 v25, v25, v15, s1
	v_cndmask_b32_e64 v26, v26, v14, s1
	v_cndmask_b32_e32 v25, v25, v17, vcc_lo
	v_cndmask_b32_e32 v27, v26, v16, vcc_lo
	v_cmp_eq_u32_e32 vcc_lo, 8, v1
	v_cndmask_b32_e32 v26, v25, v19, vcc_lo
	v_cndmask_b32_e32 v25, v27, v18, vcc_lo
	s_waitcnt lgkmcnt(0)
	v_fma_f64 v[20:21], v[25:26], v[22:23], v[20:21]
	v_cmpx_ne_u32_e32 2, v0
	s_cbranch_execz .LBB72_53
; %bb.50:
	v_add_nc_u32_e32 v1, 6, v0
	v_cmp_eq_u32_e32 vcc_lo, 1, v1
	v_cmp_eq_u32_e64 s1, 6, v1
	v_cndmask_b32_e32 v22, v3, v5, vcc_lo
	v_cndmask_b32_e32 v23, v2, v4, vcc_lo
	v_cmp_eq_u32_e32 vcc_lo, 2, v1
	v_cndmask_b32_e32 v22, v22, v7, vcc_lo
	v_cndmask_b32_e32 v23, v23, v6, vcc_lo
	v_cmp_eq_u32_e32 vcc_lo, 3, v1
	v_cndmask_b32_e32 v22, v22, v9, vcc_lo
	v_cndmask_b32_e32 v23, v23, v8, vcc_lo
	v_cmp_eq_u32_e32 vcc_lo, 4, v1
	v_cndmask_b32_e32 v22, v22, v11, vcc_lo
	v_cndmask_b32_e32 v23, v23, v10, vcc_lo
	v_cmp_eq_u32_e32 vcc_lo, 5, v1
	v_cndmask_b32_e32 v25, v22, v13, vcc_lo
	v_cndmask_b32_e32 v26, v23, v12, vcc_lo
	ds_read_b64 v[22:23], v24 offset:48
	v_cmp_eq_u32_e32 vcc_lo, 7, v1
	v_cndmask_b32_e64 v25, v25, v15, s1
	v_cndmask_b32_e64 v26, v26, v14, s1
	v_cndmask_b32_e32 v25, v25, v17, vcc_lo
	v_cndmask_b32_e32 v26, v26, v16, vcc_lo
	v_cmp_eq_u32_e32 vcc_lo, 8, v1
	v_cndmask_b32_e32 v19, v25, v19, vcc_lo
	v_cndmask_b32_e32 v18, v26, v18, vcc_lo
	s_waitcnt lgkmcnt(0)
	v_fma_f64 v[20:21], v[18:19], v[22:23], v[20:21]
	s_and_saveexec_b32 s1, s0
	s_cbranch_execz .LBB72_52
; %bb.51:
	ds_read_b64 v[18:19], v24 offset:56
	s_waitcnt lgkmcnt(0)
	v_fma_f64 v[20:21], v[16:17], v[18:19], v[20:21]
.LBB72_52:
	s_or_b32 exec_lo, exec_lo, s1
.LBB72_53:
	s_or_b32 exec_lo, exec_lo, s10
.LBB72_54:
	s_or_b32 exec_lo, exec_lo, s2
.LBB72_55:
	s_or_b32 exec_lo, exec_lo, s9
.LBB72_56:
	s_or_b32 exec_lo, exec_lo, s3
.LBB72_57:
	s_or_b32 exec_lo, exec_lo, s8
.LBB72_58:
	s_or_b32 exec_lo, exec_lo, s4
	v_mov_b32_e32 v1, 0
	ds_read_b64 v[18:19], v1 offset:64
	s_waitcnt lgkmcnt(0)
	v_mul_f64 v[18:19], v[20:21], v[18:19]
.LBB72_59:
	s_or_b32 exec_lo, exec_lo, s5
	s_barrier
	buffer_gl0_inv
	s_cbranch_execnz .LBB72_15
	s_branch .LBB72_16
.LBB72_60:
	v_lshl_add_u32 v1, v0, 3, 0x50
	s_mov_b32 s0, exec_lo
	v_cmpx_eq_u32_e32 8, v0
	s_cbranch_execz .LBB72_62
; %bb.61:
	v_mov_b32_e32 v34, 0
	s_waitcnt lgkmcnt(8)
	v_mov_b32_e32 v20, v2
	s_waitcnt lgkmcnt(0)
	v_mov_b32_e32 v36, v18
	v_mov_b32_e32 v37, v19
	;; [unrolled: 1-line block ×16, first 2 shown]
	ds_write_b64 v1, v[16:17]
	v_mov_b32_e32 v2, v20
	v_mov_b32_e32 v3, v21
	v_mov_b32_e32 v4, v22
	v_mov_b32_e32 v5, v23
	v_mov_b32_e32 v6, v24
	v_mov_b32_e32 v7, v25
	v_mov_b32_e32 v8, v26
	v_mov_b32_e32 v9, v27
	v_mov_b32_e32 v10, v28
	v_mov_b32_e32 v11, v29
	v_mov_b32_e32 v12, v30
	v_mov_b32_e32 v13, v31
	v_mov_b32_e32 v14, v32
	v_mov_b32_e32 v15, v33
	v_mov_b32_e32 v16, v34
	v_mov_b32_e32 v17, v35
	v_mov_b32_e32 v18, v36
	v_mov_b32_e32 v19, v37
	v_mov_b32_e32 v20, v38
	v_mov_b32_e32 v21, v39
	v_mov_b32_e32 v22, v40
	v_mov_b32_e32 v23, v41
	v_mov_b32_e32 v24, v42
	v_mov_b32_e32 v25, v43
	v_mov_b32_e32 v26, v44
	v_mov_b32_e32 v27, v45
	v_mov_b32_e32 v28, v46
	v_mov_b32_e32 v29, v47
	v_mov_b32_e32 v30, v48
	v_mov_b32_e32 v31, v49
	v_mov_b32_e32 v32, v50
	v_mov_b32_e32 v33, v51
.LBB72_62:
	s_or_b32 exec_lo, exec_lo, s0
	v_mov_b32_e32 v34, 0
	s_waitcnt lgkmcnt(0)
	s_waitcnt_vscnt null, 0x0
	s_barrier
	buffer_gl0_inv
	s_mov_b32 s0, exec_lo
	ds_read_b64 v[20:21], v34 offset:144
	s_waitcnt lgkmcnt(0)
	v_fma_f64 v[20:21], v[18:19], v[20:21], 0
	v_add_f64 v[16:17], v[16:17], -v[20:21]
	v_cmpx_lt_u32_e32 6, v0
	s_cbranch_execz .LBB72_64
; %bb.63:
	v_mov_b32_e32 v22, v2
	v_mov_b32_e32 v35, v34
	;; [unrolled: 1-line block ×17, first 2 shown]
	ds_write_b64 v1, v[14:15]
	v_mov_b32_e32 v2, v22
	v_mov_b32_e32 v3, v23
	;; [unrolled: 1-line block ×32, first 2 shown]
.LBB72_64:
	s_or_b32 exec_lo, exec_lo, s0
	s_waitcnt lgkmcnt(0)
	s_barrier
	buffer_gl0_inv
	ds_read2_b64 v[20:23], v34 offset0:17 offset1:18
	s_mov_b32 s0, exec_lo
	s_waitcnt lgkmcnt(0)
	v_fma_f64 v[20:21], v[16:17], v[20:21], 0
	v_fma_f64 v[20:21], v[18:19], v[22:23], v[20:21]
	v_add_f64 v[14:15], v[14:15], -v[20:21]
	v_cmpx_lt_u32_e32 5, v0
	s_cbranch_execz .LBB72_66
; %bb.65:
	v_mov_b32_e32 v30, 0
	v_mov_b32_e32 v20, v2
	;; [unrolled: 1-line block ×18, first 2 shown]
	ds_write_b64 v1, v[12:13]
	v_mov_b32_e32 v2, v20
	v_mov_b32_e32 v3, v21
	;; [unrolled: 1-line block ×32, first 2 shown]
.LBB72_66:
	s_or_b32 exec_lo, exec_lo, s0
	v_mov_b32_e32 v34, 0
	s_waitcnt lgkmcnt(0)
	s_barrier
	buffer_gl0_inv
	s_mov_b32 s0, exec_lo
	ds_read_b128 v[20:23], v34 offset:128
	ds_read_b64 v[24:25], v34 offset:144
	s_waitcnt lgkmcnt(1)
	v_fma_f64 v[20:21], v[14:15], v[20:21], 0
	v_fma_f64 v[20:21], v[16:17], v[22:23], v[20:21]
	s_waitcnt lgkmcnt(0)
	v_fma_f64 v[20:21], v[18:19], v[24:25], v[20:21]
	v_add_f64 v[12:13], v[12:13], -v[20:21]
	v_cmpx_lt_u32_e32 4, v0
	s_cbranch_execz .LBB72_68
; %bb.67:
	v_mov_b32_e32 v26, v2
	v_mov_b32_e32 v35, v34
	;; [unrolled: 1-line block ×17, first 2 shown]
	ds_write_b64 v1, v[10:11]
	v_mov_b32_e32 v2, v26
	v_mov_b32_e32 v3, v27
	;; [unrolled: 1-line block ×32, first 2 shown]
.LBB72_68:
	s_or_b32 exec_lo, exec_lo, s0
	s_waitcnt lgkmcnt(0)
	s_barrier
	buffer_gl0_inv
	ds_read2_b64 v[20:23], v34 offset0:15 offset1:16
	ds_read2_b64 v[24:27], v34 offset0:17 offset1:18
	s_mov_b32 s0, exec_lo
	s_waitcnt lgkmcnt(1)
	v_fma_f64 v[20:21], v[12:13], v[20:21], 0
	v_fma_f64 v[20:21], v[14:15], v[22:23], v[20:21]
	s_waitcnt lgkmcnt(0)
	v_fma_f64 v[20:21], v[16:17], v[24:25], v[20:21]
	v_fma_f64 v[20:21], v[18:19], v[26:27], v[20:21]
	v_add_f64 v[10:11], v[10:11], -v[20:21]
	v_cmpx_lt_u32_e32 3, v0
	s_cbranch_execz .LBB72_70
; %bb.69:
	v_mov_b32_e32 v26, 0
	v_mov_b32_e32 v20, v2
	;; [unrolled: 1-line block ×18, first 2 shown]
	ds_write_b64 v1, v[8:9]
	v_mov_b32_e32 v2, v20
	v_mov_b32_e32 v3, v21
	;; [unrolled: 1-line block ×32, first 2 shown]
.LBB72_70:
	s_or_b32 exec_lo, exec_lo, s0
	v_mov_b32_e32 v34, 0
	s_waitcnt lgkmcnt(0)
	s_barrier
	buffer_gl0_inv
	s_mov_b32 s0, exec_lo
	ds_read_b128 v[20:23], v34 offset:112
	ds_read_b128 v[24:27], v34 offset:128
	s_waitcnt lgkmcnt(1)
	v_fma_f64 v[20:21], v[10:11], v[20:21], 0
	v_fma_f64 v[20:21], v[12:13], v[22:23], v[20:21]
	ds_read_b64 v[22:23], v34 offset:144
	s_waitcnt lgkmcnt(1)
	v_fma_f64 v[20:21], v[14:15], v[24:25], v[20:21]
	v_fma_f64 v[20:21], v[16:17], v[26:27], v[20:21]
	s_waitcnt lgkmcnt(0)
	v_fma_f64 v[20:21], v[18:19], v[22:23], v[20:21]
	v_add_f64 v[8:9], v[8:9], -v[20:21]
	v_cmpx_lt_u32_e32 2, v0
	s_cbranch_execz .LBB72_72
; %bb.71:
	v_mov_b32_e32 v30, v2
	v_mov_b32_e32 v35, v34
	;; [unrolled: 1-line block ×17, first 2 shown]
	ds_write_b64 v1, v[6:7]
	v_mov_b32_e32 v2, v30
	v_mov_b32_e32 v3, v31
	;; [unrolled: 1-line block ×32, first 2 shown]
.LBB72_72:
	s_or_b32 exec_lo, exec_lo, s0
	s_waitcnt lgkmcnt(0)
	s_barrier
	buffer_gl0_inv
	ds_read2_b64 v[20:23], v34 offset0:13 offset1:14
	ds_read2_b64 v[24:27], v34 offset0:15 offset1:16
	s_mov_b32 s0, exec_lo
	s_waitcnt lgkmcnt(1)
	v_fma_f64 v[20:21], v[8:9], v[20:21], 0
	v_fma_f64 v[20:21], v[10:11], v[22:23], v[20:21]
	s_waitcnt lgkmcnt(0)
	v_fma_f64 v[20:21], v[12:13], v[24:25], v[20:21]
	v_fma_f64 v[24:25], v[14:15], v[26:27], v[20:21]
	ds_read2_b64 v[20:23], v34 offset0:17 offset1:18
	s_waitcnt lgkmcnt(0)
	v_fma_f64 v[20:21], v[16:17], v[20:21], v[24:25]
	v_fma_f64 v[20:21], v[18:19], v[22:23], v[20:21]
	v_add_f64 v[6:7], v[6:7], -v[20:21]
	v_cmpx_lt_u32_e32 1, v0
	s_cbranch_execz .LBB72_74
; %bb.73:
	v_mov_b32_e32 v22, 0
	v_mov_b32_e32 v20, v2
	;; [unrolled: 1-line block ×18, first 2 shown]
	ds_write_b64 v1, v[4:5]
	v_mov_b32_e32 v2, v20
	v_mov_b32_e32 v3, v21
	;; [unrolled: 1-line block ×32, first 2 shown]
.LBB72_74:
	s_or_b32 exec_lo, exec_lo, s0
	v_mov_b32_e32 v34, 0
	s_waitcnt lgkmcnt(0)
	s_barrier
	buffer_gl0_inv
	s_mov_b32 s0, exec_lo
	ds_read_b128 v[20:23], v34 offset:96
	ds_read_b128 v[24:27], v34 offset:112
	s_waitcnt lgkmcnt(1)
	v_fma_f64 v[20:21], v[6:7], v[20:21], 0
	v_fma_f64 v[20:21], v[8:9], v[22:23], v[20:21]
	s_waitcnt lgkmcnt(0)
	v_fma_f64 v[20:21], v[10:11], v[24:25], v[20:21]
	v_fma_f64 v[24:25], v[12:13], v[26:27], v[20:21]
	ds_read_b128 v[20:23], v34 offset:128
	ds_read_b64 v[26:27], v34 offset:144
	s_waitcnt lgkmcnt(1)
	v_fma_f64 v[20:21], v[14:15], v[20:21], v[24:25]
	v_fma_f64 v[20:21], v[16:17], v[22:23], v[20:21]
	s_waitcnt lgkmcnt(0)
	v_fma_f64 v[20:21], v[18:19], v[26:27], v[20:21]
	v_add_f64 v[4:5], v[4:5], -v[20:21]
	v_cmpx_ne_u32_e32 0, v0
	s_cbranch_execz .LBB72_76
; %bb.75:
	v_mov_b32_e32 v35, v34
	v_mov_b32_e32 v36, v4
	;; [unrolled: 1-line block ×17, first 2 shown]
	ds_write_b64 v1, v[2:3]
	v_mov_b32_e32 v2, v34
	v_mov_b32_e32 v3, v35
	;; [unrolled: 1-line block ×32, first 2 shown]
.LBB72_76:
	s_or_b32 exec_lo, exec_lo, s0
	s_waitcnt lgkmcnt(0)
	s_barrier
	buffer_gl0_inv
	ds_read2_b64 v[20:23], v34 offset0:11 offset1:12
	ds_read2_b64 v[24:27], v34 offset0:13 offset1:14
	s_and_b32 vcc_lo, exec_lo, s11
	s_waitcnt lgkmcnt(1)
	v_fma_f64 v[0:1], v[4:5], v[20:21], 0
	v_fma_f64 v[0:1], v[6:7], v[22:23], v[0:1]
	s_waitcnt lgkmcnt(0)
	v_fma_f64 v[0:1], v[8:9], v[24:25], v[0:1]
	v_fma_f64 v[0:1], v[10:11], v[26:27], v[0:1]
	ds_read2_b64 v[20:23], v34 offset0:15 offset1:16
	ds_read2_b64 v[24:27], v34 offset0:17 offset1:18
	s_waitcnt lgkmcnt(1)
	v_fma_f64 v[0:1], v[12:13], v[20:21], v[0:1]
	v_fma_f64 v[0:1], v[14:15], v[22:23], v[0:1]
	s_waitcnt lgkmcnt(0)
	v_fma_f64 v[0:1], v[16:17], v[24:25], v[0:1]
	v_fma_f64 v[0:1], v[18:19], v[26:27], v[0:1]
	v_add_f64 v[2:3], v[2:3], -v[0:1]
	s_cbranch_vccz .LBB72_93
; %bb.77:
	v_mov_b32_e32 v0, 0
	global_load_dword v1, v0, s[16:17] offset:28
	s_waitcnt vmcnt(0)
	v_readfirstlane_b32 s0, v1
	s_add_i32 s0, s0, -1
	s_cmp_lg_u32 s0, 7
	s_cbranch_scc0 .LBB72_79
; %bb.78:
	s_lshl_b32 m0, s0, 1
	v_movrels_b32_e32 v1, v2
	v_movrels_b32_e32 v50, v3
	v_mov_b32_e32 v49, v33
	v_mov_b32_e32 v48, v32
	;; [unrolled: 1-line block ×34, first 2 shown]
	v_movreld_b32_e32 v18, v16
	v_movreld_b32_e32 v19, v17
	v_mov_b32_e32 v2, v18
	v_mov_b32_e32 v3, v19
	;; [unrolled: 1-line block ×32, first 2 shown]
.LBB72_79:
	global_load_dword v0, v0, s[16:17] offset:24
	s_waitcnt vmcnt(0)
	v_readfirstlane_b32 s0, v0
	s_add_i32 s0, s0, -1
	s_cmp_eq_u32 s0, 6
	s_cbranch_scc1 .LBB72_81
; %bb.80:
	s_lshl_b32 m0, s0, 1
	v_movrels_b32_e32 v0, v2
	v_movrels_b32_e32 v1, v3
	v_mov_b32_e32 v47, v33
	v_mov_b32_e32 v46, v32
	;; [unrolled: 1-line block ×34, first 2 shown]
	v_movreld_b32_e32 v16, v14
	v_movreld_b32_e32 v17, v15
	v_mov_b32_e32 v2, v16
	v_mov_b32_e32 v3, v17
	;; [unrolled: 1-line block ×32, first 2 shown]
.LBB72_81:
	v_mov_b32_e32 v0, 0
	global_load_dword v1, v0, s[16:17] offset:20
	s_waitcnt vmcnt(0)
	v_readfirstlane_b32 s0, v1
	s_add_i32 s0, s0, -1
	s_cmp_eq_u32 s0, 5
	s_cbranch_scc1 .LBB72_83
; %bb.82:
	s_lshl_b32 m0, s0, 1
	v_movrels_b32_e32 v1, v2
	v_movrels_b32_e32 v46, v3
	v_mov_b32_e32 v45, v33
	v_mov_b32_e32 v44, v32
	;; [unrolled: 1-line block ×34, first 2 shown]
	v_movreld_b32_e32 v14, v12
	v_movreld_b32_e32 v15, v13
	v_mov_b32_e32 v2, v14
	v_mov_b32_e32 v3, v15
	;; [unrolled: 1-line block ×32, first 2 shown]
.LBB72_83:
	global_load_dword v0, v0, s[16:17] offset:16
	s_waitcnt vmcnt(0)
	v_readfirstlane_b32 s0, v0
	s_add_i32 s0, s0, -1
	s_cmp_eq_u32 s0, 4
	s_cbranch_scc1 .LBB72_85
; %bb.84:
	s_lshl_b32 m0, s0, 1
	v_movrels_b32_e32 v0, v2
	v_movrels_b32_e32 v1, v3
	v_mov_b32_e32 v43, v33
	v_mov_b32_e32 v42, v32
	;; [unrolled: 1-line block ×34, first 2 shown]
	v_movreld_b32_e32 v12, v10
	v_movreld_b32_e32 v13, v11
	v_mov_b32_e32 v2, v12
	v_mov_b32_e32 v3, v13
	;; [unrolled: 1-line block ×32, first 2 shown]
.LBB72_85:
	v_mov_b32_e32 v0, 0
	global_load_dword v1, v0, s[16:17] offset:12
	s_waitcnt vmcnt(0)
	v_readfirstlane_b32 s0, v1
	s_add_i32 s0, s0, -1
	s_cmp_eq_u32 s0, 3
	s_cbranch_scc1 .LBB72_87
; %bb.86:
	s_lshl_b32 m0, s0, 1
	v_movrels_b32_e32 v1, v2
	v_movrels_b32_e32 v42, v3
	v_mov_b32_e32 v41, v33
	v_mov_b32_e32 v40, v32
	;; [unrolled: 1-line block ×34, first 2 shown]
	v_movreld_b32_e32 v10, v8
	v_movreld_b32_e32 v11, v9
	v_mov_b32_e32 v2, v10
	v_mov_b32_e32 v3, v11
	;; [unrolled: 1-line block ×32, first 2 shown]
.LBB72_87:
	global_load_dword v0, v0, s[16:17] offset:8
	s_waitcnt vmcnt(0)
	v_readfirstlane_b32 s0, v0
	s_add_i32 s0, s0, -1
	s_cmp_eq_u32 s0, 2
	s_cbranch_scc1 .LBB72_89
; %bb.88:
	s_lshl_b32 m0, s0, 1
	v_movrels_b32_e32 v0, v2
	v_movrels_b32_e32 v1, v3
	v_mov_b32_e32 v39, v33
	v_mov_b32_e32 v38, v32
	;; [unrolled: 1-line block ×34, first 2 shown]
	v_movreld_b32_e32 v8, v6
	v_movreld_b32_e32 v9, v7
	v_mov_b32_e32 v2, v8
	v_mov_b32_e32 v3, v9
	;; [unrolled: 1-line block ×32, first 2 shown]
.LBB72_89:
	v_mov_b32_e32 v0, 0
	global_load_dword v1, v0, s[16:17] offset:4
	s_waitcnt vmcnt(0)
	v_readfirstlane_b32 s0, v1
	s_add_i32 s0, s0, -1
	s_cmp_eq_u32 s0, 1
	s_cbranch_scc1 .LBB72_91
; %bb.90:
	s_lshl_b32 m0, s0, 1
	v_movrels_b32_e32 v1, v2
	v_movrels_b32_e32 v38, v3
	v_mov_b32_e32 v37, v33
	v_mov_b32_e32 v36, v32
	;; [unrolled: 1-line block ×34, first 2 shown]
	v_movreld_b32_e32 v6, v4
	v_movreld_b32_e32 v7, v5
	v_mov_b32_e32 v2, v6
	v_mov_b32_e32 v3, v7
	;; [unrolled: 1-line block ×32, first 2 shown]
.LBB72_91:
	global_load_dword v0, v0, s[16:17]
	s_waitcnt vmcnt(0)
	v_readfirstlane_b32 s0, v0
	s_add_i32 s0, s0, -1
	s_cmp_eq_u32 s0, 0
	s_cbranch_scc1 .LBB72_93
; %bb.92:
	s_lshl_b32 m0, s0, 1
	v_movrels_b32_e32 v0, v2
	v_movrels_b32_e32 v1, v3
	v_mov_b32_e32 v35, v33
	v_mov_b32_e32 v34, v32
	;; [unrolled: 1-line block ×34, first 2 shown]
	v_movreld_b32_e32 v4, v2
	v_movreld_b32_e32 v5, v3
	v_mov_b32_e32 v2, v4
	v_mov_b32_e32 v3, v5
	v_mov_b32_e32 v4, v6
	v_mov_b32_e32 v5, v7
	v_mov_b32_e32 v6, v8
	v_mov_b32_e32 v7, v9
	v_mov_b32_e32 v8, v10
	v_mov_b32_e32 v9, v11
	v_mov_b32_e32 v10, v12
	v_mov_b32_e32 v11, v13
	v_mov_b32_e32 v12, v14
	v_mov_b32_e32 v13, v15
	v_mov_b32_e32 v14, v16
	v_mov_b32_e32 v15, v17
	v_mov_b32_e32 v16, v18
	v_mov_b32_e32 v17, v19
	v_mov_b32_e32 v18, v20
	v_mov_b32_e32 v19, v21
	v_mov_b32_e32 v20, v22
	v_mov_b32_e32 v21, v23
	v_mov_b32_e32 v22, v24
	v_mov_b32_e32 v23, v25
	v_mov_b32_e32 v24, v26
	v_mov_b32_e32 v25, v27
	v_mov_b32_e32 v26, v28
	v_mov_b32_e32 v27, v29
	v_mov_b32_e32 v28, v30
	v_mov_b32_e32 v29, v31
	v_mov_b32_e32 v30, v32
	v_mov_b32_e32 v31, v33
	v_mov_b32_e32 v32, v34
	v_mov_b32_e32 v33, v35
.LBB72_93:
	flat_store_dwordx2 v[52:53], v[2:3]
	flat_store_dwordx2 v[54:55], v[4:5]
	;; [unrolled: 1-line block ×9, first 2 shown]
	s_endpgm
	.section	.rodata,"a",@progbits
	.p2align	6, 0x0
	.amdhsa_kernel _ZN9rocsolver6v33100L18getri_kernel_smallILi9EdPKPdEEvT1_iilPiilS6_bb
		.amdhsa_group_segment_fixed_size 152
		.amdhsa_private_segment_fixed_size 0
		.amdhsa_kernarg_size 60
		.amdhsa_user_sgpr_count 6
		.amdhsa_user_sgpr_private_segment_buffer 1
		.amdhsa_user_sgpr_dispatch_ptr 0
		.amdhsa_user_sgpr_queue_ptr 0
		.amdhsa_user_sgpr_kernarg_segment_ptr 1
		.amdhsa_user_sgpr_dispatch_id 0
		.amdhsa_user_sgpr_flat_scratch_init 0
		.amdhsa_user_sgpr_private_segment_size 0
		.amdhsa_wavefront_size32 1
		.amdhsa_uses_dynamic_stack 0
		.amdhsa_system_sgpr_private_segment_wavefront_offset 0
		.amdhsa_system_sgpr_workgroup_id_x 1
		.amdhsa_system_sgpr_workgroup_id_y 0
		.amdhsa_system_sgpr_workgroup_id_z 0
		.amdhsa_system_sgpr_workgroup_info 0
		.amdhsa_system_vgpr_workitem_id 0
		.amdhsa_next_free_vgpr 70
		.amdhsa_next_free_sgpr 18
		.amdhsa_reserve_vcc 1
		.amdhsa_reserve_flat_scratch 1
		.amdhsa_float_round_mode_32 0
		.amdhsa_float_round_mode_16_64 0
		.amdhsa_float_denorm_mode_32 3
		.amdhsa_float_denorm_mode_16_64 3
		.amdhsa_dx10_clamp 1
		.amdhsa_ieee_mode 1
		.amdhsa_fp16_overflow 0
		.amdhsa_workgroup_processor_mode 1
		.amdhsa_memory_ordered 1
		.amdhsa_forward_progress 1
		.amdhsa_shared_vgpr_count 0
		.amdhsa_exception_fp_ieee_invalid_op 0
		.amdhsa_exception_fp_denorm_src 0
		.amdhsa_exception_fp_ieee_div_zero 0
		.amdhsa_exception_fp_ieee_overflow 0
		.amdhsa_exception_fp_ieee_underflow 0
		.amdhsa_exception_fp_ieee_inexact 0
		.amdhsa_exception_int_div_zero 0
	.end_amdhsa_kernel
	.section	.text._ZN9rocsolver6v33100L18getri_kernel_smallILi9EdPKPdEEvT1_iilPiilS6_bb,"axG",@progbits,_ZN9rocsolver6v33100L18getri_kernel_smallILi9EdPKPdEEvT1_iilPiilS6_bb,comdat
.Lfunc_end72:
	.size	_ZN9rocsolver6v33100L18getri_kernel_smallILi9EdPKPdEEvT1_iilPiilS6_bb, .Lfunc_end72-_ZN9rocsolver6v33100L18getri_kernel_smallILi9EdPKPdEEvT1_iilPiilS6_bb
                                        ; -- End function
	.set _ZN9rocsolver6v33100L18getri_kernel_smallILi9EdPKPdEEvT1_iilPiilS6_bb.num_vgpr, 70
	.set _ZN9rocsolver6v33100L18getri_kernel_smallILi9EdPKPdEEvT1_iilPiilS6_bb.num_agpr, 0
	.set _ZN9rocsolver6v33100L18getri_kernel_smallILi9EdPKPdEEvT1_iilPiilS6_bb.numbered_sgpr, 18
	.set _ZN9rocsolver6v33100L18getri_kernel_smallILi9EdPKPdEEvT1_iilPiilS6_bb.num_named_barrier, 0
	.set _ZN9rocsolver6v33100L18getri_kernel_smallILi9EdPKPdEEvT1_iilPiilS6_bb.private_seg_size, 0
	.set _ZN9rocsolver6v33100L18getri_kernel_smallILi9EdPKPdEEvT1_iilPiilS6_bb.uses_vcc, 1
	.set _ZN9rocsolver6v33100L18getri_kernel_smallILi9EdPKPdEEvT1_iilPiilS6_bb.uses_flat_scratch, 1
	.set _ZN9rocsolver6v33100L18getri_kernel_smallILi9EdPKPdEEvT1_iilPiilS6_bb.has_dyn_sized_stack, 0
	.set _ZN9rocsolver6v33100L18getri_kernel_smallILi9EdPKPdEEvT1_iilPiilS6_bb.has_recursion, 0
	.set _ZN9rocsolver6v33100L18getri_kernel_smallILi9EdPKPdEEvT1_iilPiilS6_bb.has_indirect_call, 0
	.section	.AMDGPU.csdata,"",@progbits
; Kernel info:
; codeLenInByte = 10128
; TotalNumSgprs: 20
; NumVgprs: 70
; ScratchSize: 0
; MemoryBound: 0
; FloatMode: 240
; IeeeMode: 1
; LDSByteSize: 152 bytes/workgroup (compile time only)
; SGPRBlocks: 0
; VGPRBlocks: 8
; NumSGPRsForWavesPerEU: 20
; NumVGPRsForWavesPerEU: 70
; Occupancy: 12
; WaveLimiterHint : 1
; COMPUTE_PGM_RSRC2:SCRATCH_EN: 0
; COMPUTE_PGM_RSRC2:USER_SGPR: 6
; COMPUTE_PGM_RSRC2:TRAP_HANDLER: 0
; COMPUTE_PGM_RSRC2:TGID_X_EN: 1
; COMPUTE_PGM_RSRC2:TGID_Y_EN: 0
; COMPUTE_PGM_RSRC2:TGID_Z_EN: 0
; COMPUTE_PGM_RSRC2:TIDIG_COMP_CNT: 0
	.section	.text._ZN9rocsolver6v33100L18getri_kernel_smallILi10EdPKPdEEvT1_iilPiilS6_bb,"axG",@progbits,_ZN9rocsolver6v33100L18getri_kernel_smallILi10EdPKPdEEvT1_iilPiilS6_bb,comdat
	.globl	_ZN9rocsolver6v33100L18getri_kernel_smallILi10EdPKPdEEvT1_iilPiilS6_bb ; -- Begin function _ZN9rocsolver6v33100L18getri_kernel_smallILi10EdPKPdEEvT1_iilPiilS6_bb
	.p2align	8
	.type	_ZN9rocsolver6v33100L18getri_kernel_smallILi10EdPKPdEEvT1_iilPiilS6_bb,@function
_ZN9rocsolver6v33100L18getri_kernel_smallILi10EdPKPdEEvT1_iilPiilS6_bb: ; @_ZN9rocsolver6v33100L18getri_kernel_smallILi10EdPKPdEEvT1_iilPiilS6_bb
; %bb.0:
	s_mov_b32 s0, exec_lo
	v_cmpx_gt_u32_e32 10, v0
	s_cbranch_execz .LBB73_16
; %bb.1:
	s_clause 0x2
	s_load_dword s8, s[4:5], 0x38
	s_load_dwordx2 s[0:1], s[4:5], 0x0
	s_load_dwordx4 s[12:15], s[4:5], 0x28
                                        ; implicit-def: $sgpr16_sgpr17
	s_waitcnt lgkmcnt(0)
	s_bitcmp1_b32 s8, 8
	s_cselect_b32 s18, -1, 0
	s_ashr_i32 s7, s6, 31
	s_lshl_b64 s[2:3], s[6:7], 3
	s_add_u32 s0, s0, s2
	s_addc_u32 s1, s1, s3
	s_load_dwordx2 s[2:3], s[0:1], 0x0
	s_bfe_u32 s0, s8, 0x10008
	s_cmp_eq_u32 s0, 0
	s_cbranch_scc1 .LBB73_3
; %bb.2:
	s_clause 0x1
	s_load_dword s0, s[4:5], 0x20
	s_load_dwordx2 s[8:9], s[4:5], 0x18
	s_mul_i32 s1, s12, s7
	s_mul_hi_u32 s10, s12, s6
	s_mul_i32 s11, s13, s6
	s_add_i32 s1, s10, s1
	s_mul_i32 s10, s12, s6
	s_add_i32 s11, s1, s11
	s_lshl_b64 s[10:11], s[10:11], 2
	s_waitcnt lgkmcnt(0)
	s_ashr_i32 s1, s0, 31
	s_add_u32 s8, s8, s10
	s_addc_u32 s9, s9, s11
	s_lshl_b64 s[0:1], s[0:1], 2
	s_add_u32 s16, s8, s0
	s_addc_u32 s17, s9, s1
.LBB73_3:
	s_clause 0x1
	s_load_dwordx2 s[0:1], s[4:5], 0x8
	s_load_dword s10, s[4:5], 0x38
	v_lshlrev_b32_e32 v24, 3, v0
	s_waitcnt lgkmcnt(0)
	v_add3_u32 v1, s1, s1, v0
	s_ashr_i32 s5, s0, 31
	s_mov_b32 s4, s0
	s_mov_b32 s8, s1
	s_lshl_b64 s[4:5], s[4:5], 3
	v_add_nc_u32_e32 v3, s1, v1
	v_ashrrev_i32_e32 v2, 31, v1
	s_add_u32 s0, s2, s4
	s_addc_u32 s4, s3, s5
	v_add_co_u32 v52, s2, s0, v24
	v_add_nc_u32_e32 v5, s1, v3
	v_ashrrev_i32_e32 v4, 31, v3
	s_ashr_i32 s9, s1, 31
	v_lshlrev_b64 v[1:2], 3, v[1:2]
	v_add_co_ci_u32_e64 v53, null, s4, 0, s2
	v_add_nc_u32_e32 v7, s1, v5
	v_ashrrev_i32_e32 v6, 31, v5
	s_lshl_b64 s[2:3], s[8:9], 3
	v_lshlrev_b64 v[3:4], 3, v[3:4]
	v_add_co_u32 v54, vcc_lo, v52, s2
	v_add_nc_u32_e32 v12, s1, v7
	v_lshlrev_b64 v[10:11], 3, v[5:6]
	v_ashrrev_i32_e32 v8, 31, v7
	v_add_co_ci_u32_e64 v55, null, s3, v53, vcc_lo
	v_add_co_u32 v56, vcc_lo, s0, v1
	v_ashrrev_i32_e32 v13, 31, v12
	v_add_nc_u32_e32 v16, s1, v12
	v_add_co_ci_u32_e64 v57, null, s4, v2, vcc_lo
	v_add_co_u32 v58, vcc_lo, s0, v3
	v_lshlrev_b64 v[14:15], 3, v[7:8]
	v_add_co_ci_u32_e64 v59, null, s4, v4, vcc_lo
	v_add_co_u32 v60, vcc_lo, s0, v10
	v_add_co_ci_u32_e64 v61, null, s4, v11, vcc_lo
	v_lshlrev_b64 v[10:11], 3, v[12:13]
	v_ashrrev_i32_e32 v17, 31, v16
	v_add_nc_u32_e32 v12, s1, v16
	v_add_co_u32 v62, vcc_lo, s0, v14
	v_add_co_ci_u32_e64 v63, null, s4, v15, vcc_lo
	v_lshlrev_b64 v[14:15], 3, v[16:17]
	v_add_nc_u32_e32 v16, s1, v12
	v_ashrrev_i32_e32 v13, 31, v12
	v_add_co_u32 v64, vcc_lo, s0, v10
	v_add_co_ci_u32_e64 v65, null, s4, v11, vcc_lo
	v_ashrrev_i32_e32 v17, 31, v16
	v_lshlrev_b64 v[10:11], 3, v[12:13]
	v_add_co_u32 v66, vcc_lo, s0, v14
	v_add_co_ci_u32_e64 v67, null, s4, v15, vcc_lo
	v_lshlrev_b64 v[12:13], 3, v[16:17]
	v_add_co_u32 v70, vcc_lo, s0, v10
	v_add_co_ci_u32_e64 v71, null, s4, v11, vcc_lo
	s_clause 0x3
	flat_load_dwordx2 v[2:3], v[52:53]
	flat_load_dwordx2 v[4:5], v[54:55]
	;; [unrolled: 1-line block ×4, first 2 shown]
	v_add_co_u32 v68, vcc_lo, s0, v12
	v_add_co_ci_u32_e64 v69, null, s4, v13, vcc_lo
	s_clause 0x5
	flat_load_dwordx2 v[10:11], v[60:61]
	flat_load_dwordx2 v[12:13], v[62:63]
	;; [unrolled: 1-line block ×6, first 2 shown]
	v_mov_b32_e32 v1, 0
	s_bitcmp0_b32 s10, 0
	s_mov_b32 s0, -1
	s_cbranch_scc1 .LBB73_14
; %bb.4:
	v_cmp_eq_u32_e64 s0, 0, v0
	s_and_saveexec_b32 s1, s0
; %bb.5:
	v_mov_b32_e32 v22, 0
	ds_write_b32 v22, v22 offset:160
; %bb.6:
	s_or_b32 exec_lo, exec_lo, s1
	v_cmp_eq_u32_e32 vcc_lo, 1, v0
	s_mov_b32 s2, exec_lo
	s_waitcnt vmcnt(0) lgkmcnt(0)
	s_barrier
	buffer_gl0_inv
	v_cndmask_b32_e32 v22, v3, v5, vcc_lo
	v_cndmask_b32_e32 v23, v2, v4, vcc_lo
	v_cmp_eq_u32_e32 vcc_lo, 2, v0
	v_cndmask_b32_e32 v22, v22, v7, vcc_lo
	v_cndmask_b32_e32 v23, v23, v6, vcc_lo
	v_cmp_eq_u32_e32 vcc_lo, 3, v0
	;; [unrolled: 3-line block ×8, first 2 shown]
	v_cndmask_b32_e32 v23, v22, v21, vcc_lo
	v_cndmask_b32_e32 v22, v25, v20, vcc_lo
	v_cmpx_eq_f64_e32 0, v[22:23]
	s_cbranch_execz .LBB73_10
; %bb.7:
	v_mov_b32_e32 v25, 0
	s_mov_b32 s3, 0
	ds_read_b32 v26, v25 offset:160
	s_waitcnt lgkmcnt(0)
	v_readfirstlane_b32 s1, v26
	v_add_nc_u32_e32 v26, 1, v0
	s_cmp_eq_u32 s1, 0
	v_cmp_gt_i32_e32 vcc_lo, s1, v26
	s_cselect_b32 s4, -1, 0
	s_or_b32 s4, s4, vcc_lo
	s_and_b32 exec_lo, exec_lo, s4
	s_cbranch_execz .LBB73_10
; %bb.8:
	v_mov_b32_e32 v27, s1
.LBB73_9:                               ; =>This Inner Loop Header: Depth=1
	ds_cmpst_rtn_b32 v27, v25, v27, v26 offset:160
	s_waitcnt lgkmcnt(0)
	v_cmp_ne_u32_e32 vcc_lo, 0, v27
	v_cmp_le_i32_e64 s1, v27, v26
	s_and_b32 s1, vcc_lo, s1
	s_and_b32 s1, exec_lo, s1
	s_or_b32 s3, s1, s3
	s_andn2_b32 exec_lo, exec_lo, s3
	s_cbranch_execnz .LBB73_9
.LBB73_10:
	s_or_b32 exec_lo, exec_lo, s2
	v_mov_b32_e32 v25, 0
	s_barrier
	buffer_gl0_inv
	ds_read_b32 v26, v25 offset:160
	s_and_saveexec_b32 s1, s0
	s_cbranch_execz .LBB73_12
; %bb.11:
	s_lshl_b64 s[2:3], s[6:7], 2
	s_add_u32 s2, s14, s2
	s_addc_u32 s3, s15, s3
	s_waitcnt lgkmcnt(0)
	global_store_dword v25, v26, s[2:3]
.LBB73_12:
	s_or_b32 exec_lo, exec_lo, s1
	s_waitcnt lgkmcnt(0)
	v_cmp_ne_u32_e32 vcc_lo, 0, v26
	s_cbranch_vccz .LBB73_17
; %bb.13:
	s_mov_b32 s0, 0
                                        ; implicit-def: $vgpr2_vgpr3_vgpr4_vgpr5_vgpr6_vgpr7_vgpr8_vgpr9_vgpr10_vgpr11_vgpr12_vgpr13_vgpr14_vgpr15_vgpr16_vgpr17_vgpr18_vgpr19_vgpr20_vgpr21_vgpr22_vgpr23_vgpr24_vgpr25_vgpr26_vgpr27_vgpr28_vgpr29_vgpr30_vgpr31_vgpr32_vgpr33
.LBB73_14:
	s_and_b32 vcc_lo, exec_lo, s0
	s_cbranch_vccz .LBB73_16
.LBB73_15:
	s_lshl_b64 s[0:1], s[6:7], 2
	v_mov_b32_e32 v1, 0
	s_add_u32 s0, s14, s0
	s_addc_u32 s1, s15, s1
	global_load_dword v1, v1, s[0:1]
	s_waitcnt vmcnt(0)
	v_cmp_ne_u32_e32 vcc_lo, 0, v1
	s_cbranch_vccz .LBB73_64
.LBB73_16:
	s_endpgm
.LBB73_17:
	v_div_scale_f64 v[25:26], null, v[22:23], v[22:23], 1.0
	v_div_scale_f64 v[31:32], vcc_lo, 1.0, v[22:23], 1.0
	v_cmp_eq_u32_e64 s1, 8, v0
	v_cmp_eq_u32_e64 s2, 7, v0
	;; [unrolled: 1-line block ×9, first 2 shown]
	v_rcp_f64_e32 v[27:28], v[25:26]
	v_fma_f64 v[29:30], -v[25:26], v[27:28], 1.0
	v_fma_f64 v[27:28], v[27:28], v[29:30], v[27:28]
	v_fma_f64 v[29:30], -v[25:26], v[27:28], 1.0
	v_fma_f64 v[27:28], v[27:28], v[29:30], v[27:28]
	v_mul_f64 v[29:30], v[31:32], v[27:28]
	v_fma_f64 v[25:26], -v[25:26], v[29:30], v[31:32]
	v_div_fmas_f64 v[25:26], v[25:26], v[27:28], v[29:30]
	v_cmp_eq_u32_e32 vcc_lo, 9, v0
	v_div_fixup_f64 v[22:23], v[25:26], v[22:23], 1.0
	v_add_nc_u32_e32 v26, 0x50, v24
	v_cndmask_b32_e32 v21, v21, v23, vcc_lo
	v_cndmask_b32_e32 v20, v20, v22, vcc_lo
	v_cndmask_b32_e64 v19, v19, v23, s1
	v_cndmask_b32_e64 v18, v18, v22, s1
	;; [unrolled: 1-line block ×14, first 2 shown]
	v_xor_b32_e32 v28, 0x80000000, v23
	v_mov_b32_e32 v27, v22
	v_cndmask_b32_e64 v7, v7, v23, s9
	v_cndmask_b32_e64 v6, v6, v22, s9
	;; [unrolled: 1-line block ×4, first 2 shown]
	ds_write2_b64 v24, v[27:28], v[4:5] offset1:10
	s_waitcnt lgkmcnt(0)
	s_waitcnt_vscnt null, 0x0
	s_barrier
	buffer_gl0_inv
	s_and_saveexec_b32 s1, s0
	s_cbranch_execz .LBB73_19
; %bb.18:
	ds_read_b64 v[4:5], v26
	v_mov_b32_e32 v24, 0
	ds_read_b64 v[24:25], v24 offset:8
	s_waitcnt lgkmcnt(1)
	v_fma_f64 v[4:5], v[22:23], v[4:5], 0
	s_waitcnt lgkmcnt(0)
	v_mul_f64 v[4:5], v[4:5], v[24:25]
.LBB73_19:
	s_or_b32 exec_lo, exec_lo, s1
	v_cmp_gt_u32_e32 vcc_lo, 2, v0
	s_barrier
	buffer_gl0_inv
	ds_write_b64 v26, v[6:7]
	s_waitcnt lgkmcnt(0)
	s_barrier
	buffer_gl0_inv
	s_and_saveexec_b32 s3, vcc_lo
	s_cbranch_execz .LBB73_23
; %bb.20:
	v_cmp_eq_u32_e64 s1, 1, v0
	v_cmp_eq_u32_e64 s2, 7, v0
	v_cndmask_b32_e64 v22, v3, v5, s1
	v_cndmask_b32_e64 v23, v2, v4, s1
	v_cmp_eq_u32_e64 s1, 2, v0
	v_cndmask_b32_e64 v7, v22, v7, s1
	v_cndmask_b32_e64 v6, v23, v6, s1
	;; [unrolled: 3-line block ×6, first 2 shown]
	ds_read_b64 v[6:7], v26
	v_cmp_eq_u32_e64 s1, 8, v0
	v_cndmask_b32_e64 v22, v22, v17, s2
	v_cndmask_b32_e64 v23, v23, v16, s2
	;; [unrolled: 1-line block ×4, first 2 shown]
	v_cmp_eq_u32_e64 s1, 9, v0
	v_cndmask_b32_e64 v23, v22, v21, s1
	v_cndmask_b32_e64 v22, v24, v20, s1
	s_waitcnt lgkmcnt(0)
	v_fma_f64 v[6:7], v[22:23], v[6:7], 0
	s_and_saveexec_b32 s1, s0
	s_cbranch_execz .LBB73_22
; %bb.21:
	v_mov_b32_e32 v22, 0
	ds_read_b64 v[22:23], v22 offset:88
	s_waitcnt lgkmcnt(0)
	v_fma_f64 v[6:7], v[4:5], v[22:23], v[6:7]
.LBB73_22:
	s_or_b32 exec_lo, exec_lo, s1
	v_mov_b32_e32 v22, 0
	ds_read_b64 v[22:23], v22 offset:16
	s_waitcnt lgkmcnt(0)
	v_mul_f64 v[6:7], v[6:7], v[22:23]
.LBB73_23:
	s_or_b32 exec_lo, exec_lo, s3
	s_mov_b32 s3, exec_lo
	s_barrier
	buffer_gl0_inv
	ds_write_b64 v26, v[8:9]
	s_waitcnt lgkmcnt(0)
	s_barrier
	buffer_gl0_inv
	v_cmpx_gt_u32_e32 3, v0
	s_cbranch_execz .LBB73_27
; %bb.24:
	v_mov_b32_e32 v22, 0
	v_mov_b32_e32 v25, v1
	v_lshl_add_u32 v27, v0, 3, 0x50
	v_mov_b32_e32 v23, 0
	v_mov_b32_e32 v24, v0
	s_mov_b32 s4, 0
.LBB73_25:                              ; =>This Inner Loop Header: Depth=1
	v_cmp_eq_u32_e64 s1, 1, v24
	v_cmp_eq_u32_e64 s2, 2, v24
	v_cndmask_b32_e64 v28, v3, v5, s1
	v_cndmask_b32_e64 v29, v2, v4, s1
	v_cmp_eq_u32_e64 s1, 3, v24
	v_cndmask_b32_e64 v28, v28, v7, s2
	v_cndmask_b32_e64 v29, v29, v6, s2
	;; [unrolled: 3-line block ×5, first 2 shown]
	ds_read_b64 v[28:29], v27
	v_cmp_eq_u32_e64 s1, 7, v24
	v_add_nc_u32_e32 v27, 8, v27
	v_cndmask_b32_e64 v30, v30, v15, s2
	v_cndmask_b32_e64 v31, v31, v14, s2
	v_cmp_eq_u32_e64 s2, 8, v24
	v_cndmask_b32_e64 v30, v30, v17, s1
	v_cndmask_b32_e64 v31, v31, v16, s1
	v_cmp_eq_u32_e64 s1, 9, v24
	v_cndmask_b32_e64 v30, v30, v19, s2
	v_cndmask_b32_e64 v32, v31, v18, s2
	;; [unrolled: 1-line block ×4, first 2 shown]
	v_add_co_u32 v24, s1, v24, 1
	v_add_co_ci_u32_e64 v25, null, 0, v25, s1
	s_waitcnt lgkmcnt(0)
	v_fma_f64 v[22:23], v[30:31], v[28:29], v[22:23]
	v_add_nc_u32_e32 v28, -1, v24
	v_cmp_lt_u32_e64 s1, 1, v28
	s_or_b32 s4, s1, s4
	s_andn2_b32 exec_lo, exec_lo, s4
	s_cbranch_execnz .LBB73_25
; %bb.26:
	s_or_b32 exec_lo, exec_lo, s4
	v_mov_b32_e32 v8, 0
	ds_read_b64 v[8:9], v8 offset:24
	s_waitcnt lgkmcnt(0)
	v_mul_f64 v[8:9], v[22:23], v[8:9]
.LBB73_27:
	s_or_b32 exec_lo, exec_lo, s3
	v_cmp_gt_u32_e64 s1, 4, v0
	s_barrier
	buffer_gl0_inv
	ds_write_b64 v26, v[10:11]
	s_waitcnt lgkmcnt(0)
	s_barrier
	buffer_gl0_inv
	s_and_saveexec_b32 s4, s1
	s_cbranch_execz .LBB73_31
; %bb.28:
	v_mov_b32_e32 v22, 0
	v_mov_b32_e32 v25, v1
	v_lshl_add_u32 v27, v0, 3, 0x50
	v_mov_b32_e32 v23, 0
	v_mov_b32_e32 v24, v0
	s_mov_b32 s5, 0
.LBB73_29:                              ; =>This Inner Loop Header: Depth=1
	v_cmp_eq_u32_e64 s2, 1, v24
	v_cmp_eq_u32_e64 s3, 2, v24
	v_cndmask_b32_e64 v28, v3, v5, s2
	v_cndmask_b32_e64 v29, v2, v4, s2
	v_cmp_eq_u32_e64 s2, 3, v24
	v_cndmask_b32_e64 v28, v28, v7, s3
	v_cndmask_b32_e64 v29, v29, v6, s3
	;; [unrolled: 3-line block ×5, first 2 shown]
	ds_read_b64 v[28:29], v27
	v_cmp_eq_u32_e64 s2, 7, v24
	v_add_nc_u32_e32 v27, 8, v27
	v_cndmask_b32_e64 v30, v30, v15, s3
	v_cndmask_b32_e64 v31, v31, v14, s3
	v_cmp_eq_u32_e64 s3, 8, v24
	v_cndmask_b32_e64 v30, v30, v17, s2
	v_cndmask_b32_e64 v31, v31, v16, s2
	v_cmp_eq_u32_e64 s2, 9, v24
	v_cndmask_b32_e64 v30, v30, v19, s3
	v_cndmask_b32_e64 v32, v31, v18, s3
	;; [unrolled: 1-line block ×4, first 2 shown]
	v_add_co_u32 v24, s2, v24, 1
	v_add_co_ci_u32_e64 v25, null, 0, v25, s2
	s_waitcnt lgkmcnt(0)
	v_fma_f64 v[22:23], v[30:31], v[28:29], v[22:23]
	v_add_nc_u32_e32 v28, -1, v24
	v_cmp_lt_u32_e64 s2, 2, v28
	s_or_b32 s5, s2, s5
	s_andn2_b32 exec_lo, exec_lo, s5
	s_cbranch_execnz .LBB73_29
; %bb.30:
	s_or_b32 exec_lo, exec_lo, s5
	v_mov_b32_e32 v10, 0
	ds_read_b64 v[10:11], v10 offset:32
	s_waitcnt lgkmcnt(0)
	v_mul_f64 v[10:11], v[22:23], v[10:11]
.LBB73_31:
	s_or_b32 exec_lo, exec_lo, s4
	s_mov_b32 s4, exec_lo
	s_barrier
	buffer_gl0_inv
	ds_write_b64 v26, v[12:13]
	s_waitcnt lgkmcnt(0)
	s_barrier
	buffer_gl0_inv
	v_cmpx_gt_u32_e32 5, v0
	s_cbranch_execz .LBB73_35
; %bb.32:
	v_mov_b32_e32 v22, 0
	v_mov_b32_e32 v25, v1
	v_lshl_add_u32 v27, v0, 3, 0x50
	v_mov_b32_e32 v23, 0
	v_mov_b32_e32 v24, v0
	s_mov_b32 s5, 0
.LBB73_33:                              ; =>This Inner Loop Header: Depth=1
	v_cmp_eq_u32_e64 s2, 1, v24
	v_cmp_eq_u32_e64 s3, 2, v24
	v_cndmask_b32_e64 v28, v3, v5, s2
	v_cndmask_b32_e64 v29, v2, v4, s2
	v_cmp_eq_u32_e64 s2, 3, v24
	v_cndmask_b32_e64 v28, v28, v7, s3
	v_cndmask_b32_e64 v29, v29, v6, s3
	;; [unrolled: 3-line block ×5, first 2 shown]
	ds_read_b64 v[28:29], v27
	v_cmp_eq_u32_e64 s2, 7, v24
	v_add_nc_u32_e32 v27, 8, v27
	v_cndmask_b32_e64 v30, v30, v15, s3
	v_cndmask_b32_e64 v31, v31, v14, s3
	v_cmp_eq_u32_e64 s3, 8, v24
	v_cndmask_b32_e64 v30, v30, v17, s2
	v_cndmask_b32_e64 v31, v31, v16, s2
	v_cmp_eq_u32_e64 s2, 9, v24
	v_cndmask_b32_e64 v30, v30, v19, s3
	v_cndmask_b32_e64 v32, v31, v18, s3
	;; [unrolled: 1-line block ×4, first 2 shown]
	v_add_co_u32 v24, s2, v24, 1
	v_add_co_ci_u32_e64 v25, null, 0, v25, s2
	s_waitcnt lgkmcnt(0)
	v_fma_f64 v[22:23], v[30:31], v[28:29], v[22:23]
	v_add_nc_u32_e32 v28, -1, v24
	v_cmp_lt_u32_e64 s2, 3, v28
	s_or_b32 s5, s2, s5
	s_andn2_b32 exec_lo, exec_lo, s5
	s_cbranch_execnz .LBB73_33
; %bb.34:
	s_or_b32 exec_lo, exec_lo, s5
	v_mov_b32_e32 v12, 0
	ds_read_b64 v[12:13], v12 offset:40
	s_waitcnt lgkmcnt(0)
	v_mul_f64 v[12:13], v[22:23], v[12:13]
.LBB73_35:
	s_or_b32 exec_lo, exec_lo, s4
	v_cmp_gt_u32_e64 s2, 6, v0
	s_barrier
	buffer_gl0_inv
	ds_write_b64 v26, v[14:15]
	s_waitcnt lgkmcnt(0)
	s_barrier
	buffer_gl0_inv
	s_and_saveexec_b32 s5, s2
	s_cbranch_execz .LBB73_39
; %bb.36:
	v_mov_b32_e32 v22, 0
	v_mov_b32_e32 v25, v1
	v_lshl_add_u32 v27, v0, 3, 0x50
	v_mov_b32_e32 v23, 0
	v_mov_b32_e32 v24, v0
	s_mov_b32 s8, 0
.LBB73_37:                              ; =>This Inner Loop Header: Depth=1
	v_cmp_eq_u32_e64 s3, 1, v24
	v_cmp_eq_u32_e64 s4, 2, v24
	v_cndmask_b32_e64 v28, v3, v5, s3
	v_cndmask_b32_e64 v29, v2, v4, s3
	v_cmp_eq_u32_e64 s3, 3, v24
	v_cndmask_b32_e64 v28, v28, v7, s4
	v_cndmask_b32_e64 v29, v29, v6, s4
	;; [unrolled: 3-line block ×5, first 2 shown]
	ds_read_b64 v[28:29], v27
	v_cmp_eq_u32_e64 s3, 7, v24
	v_add_nc_u32_e32 v27, 8, v27
	v_cndmask_b32_e64 v30, v30, v15, s4
	v_cndmask_b32_e64 v31, v31, v14, s4
	v_cmp_eq_u32_e64 s4, 8, v24
	v_cndmask_b32_e64 v30, v30, v17, s3
	v_cndmask_b32_e64 v31, v31, v16, s3
	v_cmp_eq_u32_e64 s3, 9, v24
	v_cndmask_b32_e64 v30, v30, v19, s4
	v_cndmask_b32_e64 v32, v31, v18, s4
	;; [unrolled: 1-line block ×4, first 2 shown]
	v_add_co_u32 v24, s3, v24, 1
	v_add_co_ci_u32_e64 v25, null, 0, v25, s3
	s_waitcnt lgkmcnt(0)
	v_fma_f64 v[22:23], v[30:31], v[28:29], v[22:23]
	v_add_nc_u32_e32 v28, -1, v24
	v_cmp_lt_u32_e64 s3, 4, v28
	s_or_b32 s8, s3, s8
	s_andn2_b32 exec_lo, exec_lo, s8
	s_cbranch_execnz .LBB73_37
; %bb.38:
	s_or_b32 exec_lo, exec_lo, s8
	v_mov_b32_e32 v14, 0
	ds_read_b64 v[14:15], v14 offset:48
	s_waitcnt lgkmcnt(0)
	v_mul_f64 v[14:15], v[22:23], v[14:15]
.LBB73_39:
	s_or_b32 exec_lo, exec_lo, s5
	s_mov_b32 s5, exec_lo
	s_barrier
	buffer_gl0_inv
	ds_write_b64 v26, v[16:17]
	s_waitcnt lgkmcnt(0)
	s_barrier
	buffer_gl0_inv
	v_cmpx_gt_u32_e32 7, v0
	s_cbranch_execz .LBB73_43
; %bb.40:
	v_mov_b32_e32 v22, 0
	v_mov_b32_e32 v25, v1
	v_lshl_add_u32 v27, v0, 3, 0x50
	v_mov_b32_e32 v23, 0
	v_mov_b32_e32 v24, v0
	s_mov_b32 s8, 0
.LBB73_41:                              ; =>This Inner Loop Header: Depth=1
	v_cmp_eq_u32_e64 s3, 1, v24
	v_cmp_eq_u32_e64 s4, 2, v24
	v_cndmask_b32_e64 v28, v3, v5, s3
	v_cndmask_b32_e64 v29, v2, v4, s3
	v_cmp_eq_u32_e64 s3, 3, v24
	v_cndmask_b32_e64 v28, v28, v7, s4
	v_cndmask_b32_e64 v29, v29, v6, s4
	;; [unrolled: 3-line block ×5, first 2 shown]
	ds_read_b64 v[28:29], v27
	v_cmp_eq_u32_e64 s3, 7, v24
	v_add_nc_u32_e32 v27, 8, v27
	v_cndmask_b32_e64 v30, v30, v15, s4
	v_cndmask_b32_e64 v31, v31, v14, s4
	v_cmp_eq_u32_e64 s4, 8, v24
	v_cndmask_b32_e64 v30, v30, v17, s3
	v_cndmask_b32_e64 v31, v31, v16, s3
	v_cmp_eq_u32_e64 s3, 9, v24
	v_cndmask_b32_e64 v30, v30, v19, s4
	v_cndmask_b32_e64 v32, v31, v18, s4
	;; [unrolled: 1-line block ×4, first 2 shown]
	v_add_co_u32 v24, s3, v24, 1
	v_add_co_ci_u32_e64 v25, null, 0, v25, s3
	s_waitcnt lgkmcnt(0)
	v_fma_f64 v[22:23], v[30:31], v[28:29], v[22:23]
	v_add_nc_u32_e32 v28, -1, v24
	v_cmp_lt_u32_e64 s3, 5, v28
	s_or_b32 s8, s3, s8
	s_andn2_b32 exec_lo, exec_lo, s8
	s_cbranch_execnz .LBB73_41
; %bb.42:
	s_or_b32 exec_lo, exec_lo, s8
	v_mov_b32_e32 v16, 0
	ds_read_b64 v[16:17], v16 offset:56
	s_waitcnt lgkmcnt(0)
	v_mul_f64 v[16:17], v[22:23], v[16:17]
.LBB73_43:
	s_or_b32 exec_lo, exec_lo, s5
	s_mov_b32 s5, exec_lo
	s_barrier
	buffer_gl0_inv
	ds_write_b64 v26, v[18:19]
	s_waitcnt lgkmcnt(0)
	s_barrier
	buffer_gl0_inv
	v_cmpx_gt_u32_e32 8, v0
	s_cbranch_execz .LBB73_59
; %bb.44:
	v_cmp_eq_u32_e64 s3, 1, v0
	v_cmp_eq_u32_e64 s4, 7, v0
	s_mov_b32 s8, exec_lo
	v_cndmask_b32_e64 v22, v3, v5, s3
	v_cndmask_b32_e64 v23, v2, v4, s3
	v_cmp_eq_u32_e64 s3, 2, v0
	v_cndmask_b32_e64 v22, v22, v7, s3
	v_cndmask_b32_e64 v23, v23, v6, s3
	v_cmp_eq_u32_e64 s3, 3, v0
	v_cndmask_b32_e64 v22, v22, v9, s3
	v_cndmask_b32_e64 v23, v23, v8, s3
	v_cmp_eq_u32_e64 s3, 4, v0
	v_cndmask_b32_e64 v22, v22, v11, s3
	v_cndmask_b32_e64 v23, v23, v10, s3
	v_cmp_eq_u32_e64 s3, 5, v0
	v_cndmask_b32_e64 v22, v22, v13, s3
	v_cndmask_b32_e64 v23, v23, v12, s3
	v_cmp_eq_u32_e64 s3, 6, v0
	v_cndmask_b32_e64 v24, v22, v15, s3
	v_cndmask_b32_e64 v25, v23, v14, s3
	ds_read_b64 v[22:23], v26
	v_cmp_eq_u32_e64 s3, 8, v0
	v_cndmask_b32_e64 v24, v24, v17, s4
	v_cndmask_b32_e64 v25, v25, v16, s4
	v_cndmask_b32_e64 v24, v24, v19, s3
	v_cndmask_b32_e64 v27, v25, v18, s3
	v_cmp_eq_u32_e64 s3, 9, v0
	v_cndmask_b32_e64 v25, v24, v21, s3
	v_cndmask_b32_e64 v24, v27, v20, s3
	s_waitcnt lgkmcnt(0)
	v_fma_f64 v[22:23], v[24:25], v[22:23], 0
	v_cmpx_ne_u32_e32 7, v0
	s_cbranch_execz .LBB73_58
; %bb.45:
	v_add_nc_u32_e32 v27, 1, v0
	v_cmp_eq_u32_e64 s3, 1, v27
	v_cmp_eq_u32_e64 s4, 7, v27
	v_cndmask_b32_e64 v24, v3, v5, s3
	v_cndmask_b32_e64 v25, v2, v4, s3
	v_cmp_eq_u32_e64 s3, 2, v27
	v_cndmask_b32_e64 v24, v24, v7, s3
	v_cndmask_b32_e64 v25, v25, v6, s3
	v_cmp_eq_u32_e64 s3, 3, v27
	v_cndmask_b32_e64 v24, v24, v9, s3
	v_cndmask_b32_e64 v25, v25, v8, s3
	v_cmp_eq_u32_e64 s3, 4, v27
	v_cndmask_b32_e64 v24, v24, v11, s3
	v_cndmask_b32_e64 v25, v25, v10, s3
	v_cmp_eq_u32_e64 s3, 5, v27
	v_cndmask_b32_e64 v24, v24, v13, s3
	v_cndmask_b32_e64 v25, v25, v12, s3
	v_cmp_eq_u32_e64 s3, 6, v27
	v_cndmask_b32_e64 v28, v24, v15, s3
	v_cndmask_b32_e64 v29, v25, v14, s3
	ds_read_b64 v[24:25], v26 offset:8
	v_cmp_eq_u32_e64 s3, 8, v27
	v_cndmask_b32_e64 v28, v28, v17, s4
	v_cndmask_b32_e64 v29, v29, v16, s4
	;; [unrolled: 1-line block ×4, first 2 shown]
	v_cmp_eq_u32_e64 s3, 9, v27
	v_cndmask_b32_e64 v28, v28, v21, s3
	v_cndmask_b32_e64 v27, v29, v20, s3
	s_waitcnt lgkmcnt(0)
	v_fma_f64 v[22:23], v[27:28], v[24:25], v[22:23]
	s_and_saveexec_b32 s4, s2
	s_cbranch_execz .LBB73_57
; %bb.46:
	v_add_nc_u32_e32 v27, 2, v0
	s_mov_b32 s9, exec_lo
	v_cmp_eq_u32_e64 s2, 1, v27
	v_cmp_eq_u32_e64 s3, 7, v27
	v_cndmask_b32_e64 v24, v3, v5, s2
	v_cndmask_b32_e64 v25, v2, v4, s2
	v_cmp_eq_u32_e64 s2, 2, v27
	v_cndmask_b32_e64 v24, v24, v7, s2
	v_cndmask_b32_e64 v25, v25, v6, s2
	v_cmp_eq_u32_e64 s2, 3, v27
	v_cndmask_b32_e64 v24, v24, v9, s2
	v_cndmask_b32_e64 v25, v25, v8, s2
	v_cmp_eq_u32_e64 s2, 4, v27
	v_cndmask_b32_e64 v24, v24, v11, s2
	v_cndmask_b32_e64 v25, v25, v10, s2
	v_cmp_eq_u32_e64 s2, 5, v27
	v_cndmask_b32_e64 v24, v24, v13, s2
	v_cndmask_b32_e64 v25, v25, v12, s2
	v_cmp_eq_u32_e64 s2, 6, v27
	v_cndmask_b32_e64 v28, v24, v15, s2
	v_cndmask_b32_e64 v29, v25, v14, s2
	ds_read_b64 v[24:25], v26 offset:16
	v_cmp_eq_u32_e64 s2, 8, v27
	v_cndmask_b32_e64 v28, v28, v17, s3
	v_cndmask_b32_e64 v29, v29, v16, s3
	;; [unrolled: 1-line block ×4, first 2 shown]
	v_cmp_eq_u32_e64 s2, 9, v27
	v_cndmask_b32_e64 v28, v28, v21, s2
	v_cndmask_b32_e64 v27, v29, v20, s2
	s_waitcnt lgkmcnt(0)
	v_fma_f64 v[22:23], v[27:28], v[24:25], v[22:23]
	v_cmpx_ne_u32_e32 5, v0
	s_cbranch_execz .LBB73_56
; %bb.47:
	v_add_nc_u32_e32 v27, 3, v0
	v_cmp_eq_u32_e64 s2, 1, v27
	v_cmp_eq_u32_e64 s3, 7, v27
	v_cndmask_b32_e64 v24, v3, v5, s2
	v_cndmask_b32_e64 v25, v2, v4, s2
	v_cmp_eq_u32_e64 s2, 2, v27
	v_cndmask_b32_e64 v24, v24, v7, s2
	v_cndmask_b32_e64 v25, v25, v6, s2
	;; [unrolled: 3-line block ×6, first 2 shown]
	ds_read_b64 v[24:25], v26 offset:24
	v_cmp_eq_u32_e64 s2, 8, v27
	v_cndmask_b32_e64 v28, v28, v17, s3
	v_cndmask_b32_e64 v29, v29, v16, s3
	;; [unrolled: 1-line block ×4, first 2 shown]
	v_cmp_eq_u32_e64 s2, 9, v27
	v_cndmask_b32_e64 v28, v28, v21, s2
	v_cndmask_b32_e64 v27, v29, v20, s2
	s_waitcnt lgkmcnt(0)
	v_fma_f64 v[22:23], v[27:28], v[24:25], v[22:23]
	s_and_saveexec_b32 s3, s1
	s_cbranch_execz .LBB73_55
; %bb.48:
	v_or_b32_e32 v27, 4, v0
	s_mov_b32 s10, exec_lo
	v_cmp_eq_u32_e64 s1, 1, v27
	v_cmp_eq_u32_e64 s2, 7, v27
	v_cndmask_b32_e64 v24, v3, v5, s1
	v_cndmask_b32_e64 v25, v2, v4, s1
	v_cmp_eq_u32_e64 s1, 2, v27
	v_cndmask_b32_e64 v24, v24, v7, s1
	v_cndmask_b32_e64 v25, v25, v6, s1
	;; [unrolled: 3-line block ×6, first 2 shown]
	ds_read_b64 v[24:25], v26 offset:32
	v_cmp_eq_u32_e64 s1, 8, v27
	v_cndmask_b32_e64 v28, v28, v17, s2
	v_cndmask_b32_e64 v29, v29, v16, s2
	;; [unrolled: 1-line block ×4, first 2 shown]
	v_cmp_eq_u32_e64 s1, 9, v27
	v_cndmask_b32_e64 v28, v28, v21, s1
	v_cndmask_b32_e64 v27, v29, v20, s1
	s_waitcnt lgkmcnt(0)
	v_fma_f64 v[22:23], v[27:28], v[24:25], v[22:23]
	v_cmpx_ne_u32_e32 3, v0
	s_cbranch_execz .LBB73_54
; %bb.49:
	v_add_nc_u32_e32 v27, 5, v0
	v_cmp_eq_u32_e64 s1, 1, v27
	v_cmp_eq_u32_e64 s2, 7, v27
	v_cndmask_b32_e64 v24, v3, v5, s1
	v_cndmask_b32_e64 v25, v2, v4, s1
	v_cmp_eq_u32_e64 s1, 2, v27
	v_cndmask_b32_e64 v24, v24, v7, s1
	v_cndmask_b32_e64 v25, v25, v6, s1
	;; [unrolled: 3-line block ×6, first 2 shown]
	ds_read_b64 v[24:25], v26 offset:40
	v_cmp_eq_u32_e64 s1, 8, v27
	v_cndmask_b32_e64 v28, v28, v17, s2
	v_cndmask_b32_e64 v29, v29, v16, s2
	;; [unrolled: 1-line block ×4, first 2 shown]
	v_cmp_eq_u32_e64 s1, 9, v27
	v_cndmask_b32_e64 v28, v28, v21, s1
	v_cndmask_b32_e64 v27, v29, v20, s1
	s_waitcnt lgkmcnt(0)
	v_fma_f64 v[22:23], v[27:28], v[24:25], v[22:23]
	s_and_saveexec_b32 s2, vcc_lo
	s_cbranch_execz .LBB73_53
; %bb.50:
	v_or_b32_e32 v27, 6, v0
	v_cmp_eq_u32_e32 vcc_lo, 1, v27
	v_cmp_eq_u32_e64 s1, 7, v27
	v_cndmask_b32_e32 v24, v3, v5, vcc_lo
	v_cndmask_b32_e32 v25, v2, v4, vcc_lo
	v_cmp_eq_u32_e32 vcc_lo, 2, v27
	v_cndmask_b32_e32 v24, v24, v7, vcc_lo
	v_cndmask_b32_e32 v25, v25, v6, vcc_lo
	v_cmp_eq_u32_e32 vcc_lo, 3, v27
	;; [unrolled: 3-line block ×5, first 2 shown]
	v_cndmask_b32_e32 v28, v24, v15, vcc_lo
	v_cndmask_b32_e32 v29, v25, v14, vcc_lo
	ds_read_b64 v[24:25], v26 offset:48
	v_cmp_eq_u32_e32 vcc_lo, 8, v27
	v_cndmask_b32_e64 v28, v28, v17, s1
	v_cndmask_b32_e64 v29, v29, v16, s1
	v_cndmask_b32_e32 v19, v28, v19, vcc_lo
	v_cndmask_b32_e32 v18, v29, v18, vcc_lo
	v_cmp_eq_u32_e32 vcc_lo, 9, v27
	v_cndmask_b32_e32 v19, v19, v21, vcc_lo
	v_cndmask_b32_e32 v18, v18, v20, vcc_lo
	s_waitcnt lgkmcnt(0)
	v_fma_f64 v[22:23], v[18:19], v[24:25], v[22:23]
	s_and_saveexec_b32 s1, s0
	s_cbranch_execz .LBB73_52
; %bb.51:
	ds_read_b64 v[18:19], v26 offset:56
	s_waitcnt lgkmcnt(0)
	v_fma_f64 v[22:23], v[16:17], v[18:19], v[22:23]
.LBB73_52:
	s_or_b32 exec_lo, exec_lo, s1
.LBB73_53:
	s_or_b32 exec_lo, exec_lo, s2
.LBB73_54:
	s_or_b32 exec_lo, exec_lo, s10
.LBB73_55:
	s_or_b32 exec_lo, exec_lo, s3
.LBB73_56:
	s_or_b32 exec_lo, exec_lo, s9
.LBB73_57:
	s_or_b32 exec_lo, exec_lo, s4
.LBB73_58:
	s_or_b32 exec_lo, exec_lo, s8
	v_mov_b32_e32 v18, 0
	ds_read_b64 v[18:19], v18 offset:64
	s_waitcnt lgkmcnt(0)
	v_mul_f64 v[18:19], v[22:23], v[18:19]
.LBB73_59:
	s_or_b32 exec_lo, exec_lo, s5
	s_mov_b32 s1, exec_lo
	s_barrier
	buffer_gl0_inv
	ds_write_b64 v26, v[20:21]
	s_waitcnt lgkmcnt(0)
	s_barrier
	buffer_gl0_inv
	v_cmpx_ne_u32_e32 9, v0
	s_cbranch_execz .LBB73_63
; %bb.60:
	v_mov_b32_e32 v22, 0
	v_mov_b32_e32 v25, v1
	v_lshl_add_u32 v26, v0, 3, 0x50
	v_mov_b32_e32 v23, 0
	v_mov_b32_e32 v24, v0
	s_mov_b32 s2, 0
.LBB73_61:                              ; =>This Inner Loop Header: Depth=1
	v_cmp_eq_u32_e32 vcc_lo, 1, v24
	v_cmp_eq_u32_e64 s0, 2, v24
	v_cndmask_b32_e32 v1, v3, v5, vcc_lo
	v_cndmask_b32_e32 v27, v2, v4, vcc_lo
	v_cmp_eq_u32_e32 vcc_lo, 3, v24
	v_cndmask_b32_e64 v1, v1, v7, s0
	v_cndmask_b32_e64 v27, v27, v6, s0
	v_cmp_eq_u32_e64 s0, 4, v24
	v_cndmask_b32_e32 v1, v1, v9, vcc_lo
	v_cndmask_b32_e32 v27, v27, v8, vcc_lo
	v_cmp_eq_u32_e32 vcc_lo, 5, v24
	v_cndmask_b32_e64 v1, v1, v11, s0
	v_cndmask_b32_e64 v27, v27, v10, s0
	v_cmp_eq_u32_e64 s0, 6, v24
	v_cndmask_b32_e32 v1, v1, v13, vcc_lo
	v_cndmask_b32_e32 v29, v27, v12, vcc_lo
	ds_read_b64 v[27:28], v26
	v_cmp_eq_u32_e32 vcc_lo, 7, v24
	v_add_nc_u32_e32 v26, 8, v26
	v_cndmask_b32_e64 v1, v1, v15, s0
	v_cndmask_b32_e64 v29, v29, v14, s0
	v_cmp_eq_u32_e64 s0, 8, v24
	v_cndmask_b32_e32 v1, v1, v17, vcc_lo
	v_cndmask_b32_e32 v29, v29, v16, vcc_lo
	v_cmp_eq_u32_e32 vcc_lo, 9, v24
	v_cndmask_b32_e64 v1, v1, v19, s0
	v_cndmask_b32_e64 v29, v29, v18, s0
	v_cndmask_b32_e32 v30, v1, v21, vcc_lo
	v_cndmask_b32_e32 v29, v29, v20, vcc_lo
	v_add_co_u32 v24, vcc_lo, v24, 1
	v_add_co_ci_u32_e64 v25, null, 0, v25, vcc_lo
	s_waitcnt lgkmcnt(0)
	v_fma_f64 v[22:23], v[29:30], v[27:28], v[22:23]
	v_add_nc_u32_e32 v1, -1, v24
	v_cmp_lt_u32_e32 vcc_lo, 7, v1
	s_or_b32 s2, vcc_lo, s2
	s_andn2_b32 exec_lo, exec_lo, s2
	s_cbranch_execnz .LBB73_61
; %bb.62:
	s_or_b32 exec_lo, exec_lo, s2
	v_mov_b32_e32 v1, 0
	ds_read_b64 v[20:21], v1 offset:72
	s_waitcnt lgkmcnt(0)
	v_mul_f64 v[20:21], v[22:23], v[20:21]
.LBB73_63:
	s_or_b32 exec_lo, exec_lo, s1
	s_barrier
	buffer_gl0_inv
	s_cbranch_execnz .LBB73_15
	s_branch .LBB73_16
.LBB73_64:
	v_lshl_add_u32 v1, v0, 3, 0x50
	s_mov_b32 s0, exec_lo
	v_cmpx_eq_u32_e32 9, v0
	s_cbranch_execz .LBB73_66
; %bb.65:
	v_mov_b32_e32 v38, 0
	s_waitcnt lgkmcnt(9)
	v_mov_b32_e32 v22, v2
	s_waitcnt lgkmcnt(3)
	v_mov_b32_e32 v34, v14
	v_mov_b32_e32 v35, v15
	s_waitcnt lgkmcnt(2)
	v_mov_b32_e32 v36, v16
	;; [unrolled: 3-line block ×3, first 2 shown]
	v_mov_b32_e32 v41, v21
	v_mov_b32_e32 v39, v38
	;; [unrolled: 1-line block ×13, first 2 shown]
	ds_write_b64 v1, v[18:19]
	v_mov_b32_e32 v2, v22
	v_mov_b32_e32 v3, v23
	;; [unrolled: 1-line block ×32, first 2 shown]
.LBB73_66:
	s_or_b32 exec_lo, exec_lo, s0
	v_mov_b32_e32 v36, 0
	s_waitcnt lgkmcnt(0)
	s_waitcnt_vscnt null, 0x0
	s_barrier
	buffer_gl0_inv
	s_mov_b32 s0, exec_lo
	ds_read_b64 v[22:23], v36 offset:152
	s_waitcnt lgkmcnt(0)
	v_fma_f64 v[22:23], v[20:21], v[22:23], 0
	v_add_f64 v[18:19], v[18:19], -v[22:23]
	v_cmpx_lt_u32_e32 7, v0
	s_cbranch_execz .LBB73_68
; %bb.67:
	v_mov_b32_e32 v22, v2
	v_mov_b32_e32 v34, v14
	;; [unrolled: 1-line block ×19, first 2 shown]
	ds_write_b64 v1, v[16:17]
	v_mov_b32_e32 v2, v22
	v_mov_b32_e32 v3, v23
	;; [unrolled: 1-line block ×32, first 2 shown]
.LBB73_68:
	s_or_b32 exec_lo, exec_lo, s0
	s_waitcnt lgkmcnt(0)
	s_barrier
	buffer_gl0_inv
	ds_read_b128 v[22:25], v36 offset:144
	s_mov_b32 s0, exec_lo
	s_waitcnt lgkmcnt(0)
	v_fma_f64 v[22:23], v[18:19], v[22:23], 0
	v_fma_f64 v[22:23], v[20:21], v[24:25], v[22:23]
	v_add_f64 v[16:17], v[16:17], -v[22:23]
	v_cmpx_lt_u32_e32 6, v0
	s_cbranch_execz .LBB73_70
; %bb.69:
	v_mov_b32_e32 v34, 0
	v_mov_b32_e32 v22, v2
	v_mov_b32_e32 v36, v16
	v_mov_b32_e32 v37, v17
	v_mov_b32_e32 v38, v18
	v_mov_b32_e32 v35, v34
	v_mov_b32_e32 v39, v19
	v_mov_b32_e32 v40, v20
	v_mov_b32_e32 v41, v21
	v_mov_b32_e32 v23, v3
	v_mov_b32_e32 v24, v4
	v_mov_b32_e32 v25, v5
	v_mov_b32_e32 v26, v6
	v_mov_b32_e32 v27, v7
	v_mov_b32_e32 v28, v8
	v_mov_b32_e32 v29, v9
	v_mov_b32_e32 v30, v10
	v_mov_b32_e32 v31, v11
	v_mov_b32_e32 v32, v12
	v_mov_b32_e32 v33, v13
	ds_write_b64 v1, v[14:15]
	v_mov_b32_e32 v2, v22
	v_mov_b32_e32 v3, v23
	;; [unrolled: 1-line block ×32, first 2 shown]
.LBB73_70:
	s_or_b32 exec_lo, exec_lo, s0
	v_mov_b32_e32 v34, 0
	s_waitcnt lgkmcnt(0)
	s_barrier
	buffer_gl0_inv
	s_mov_b32 s0, exec_lo
	ds_read2_b64 v[22:25], v34 offset0:17 offset1:18
	ds_read_b64 v[26:27], v34 offset:152
	s_waitcnt lgkmcnt(1)
	v_fma_f64 v[22:23], v[16:17], v[22:23], 0
	v_fma_f64 v[22:23], v[18:19], v[24:25], v[22:23]
	s_waitcnt lgkmcnt(0)
	v_fma_f64 v[22:23], v[20:21], v[26:27], v[22:23]
	v_add_f64 v[14:15], v[14:15], -v[22:23]
	v_cmpx_lt_u32_e32 5, v0
	s_cbranch_execz .LBB73_72
; %bb.71:
	v_mov_b32_e32 v24, v2
	v_mov_b32_e32 v35, v34
	;; [unrolled: 1-line block ×19, first 2 shown]
	ds_write_b64 v1, v[12:13]
	v_mov_b32_e32 v2, v24
	v_mov_b32_e32 v3, v25
	;; [unrolled: 1-line block ×32, first 2 shown]
.LBB73_72:
	s_or_b32 exec_lo, exec_lo, s0
	s_waitcnt lgkmcnt(0)
	s_barrier
	buffer_gl0_inv
	ds_read_b128 v[22:25], v34 offset:128
	ds_read_b128 v[26:29], v34 offset:144
	s_mov_b32 s0, exec_lo
	s_waitcnt lgkmcnt(1)
	v_fma_f64 v[22:23], v[14:15], v[22:23], 0
	v_fma_f64 v[22:23], v[16:17], v[24:25], v[22:23]
	s_waitcnt lgkmcnt(0)
	v_fma_f64 v[22:23], v[18:19], v[26:27], v[22:23]
	v_fma_f64 v[22:23], v[20:21], v[28:29], v[22:23]
	v_add_f64 v[12:13], v[12:13], -v[22:23]
	v_cmpx_lt_u32_e32 4, v0
	s_cbranch_execz .LBB73_74
; %bb.73:
	v_mov_b32_e32 v30, 0
	v_mov_b32_e32 v22, v2
	;; [unrolled: 1-line block ×20, first 2 shown]
	ds_write_b64 v1, v[10:11]
	v_mov_b32_e32 v2, v22
	v_mov_b32_e32 v3, v23
	;; [unrolled: 1-line block ×32, first 2 shown]
.LBB73_74:
	s_or_b32 exec_lo, exec_lo, s0
	v_mov_b32_e32 v34, 0
	s_waitcnt lgkmcnt(0)
	s_barrier
	buffer_gl0_inv
	s_mov_b32 s0, exec_lo
	ds_read2_b64 v[22:25], v34 offset0:15 offset1:16
	ds_read2_b64 v[26:29], v34 offset0:17 offset1:18
	s_waitcnt lgkmcnt(1)
	v_fma_f64 v[22:23], v[12:13], v[22:23], 0
	v_fma_f64 v[22:23], v[14:15], v[24:25], v[22:23]
	ds_read_b64 v[24:25], v34 offset:152
	s_waitcnt lgkmcnt(1)
	v_fma_f64 v[22:23], v[16:17], v[26:27], v[22:23]
	v_fma_f64 v[22:23], v[18:19], v[28:29], v[22:23]
	s_waitcnt lgkmcnt(0)
	v_fma_f64 v[22:23], v[20:21], v[24:25], v[22:23]
	v_add_f64 v[10:11], v[10:11], -v[22:23]
	v_cmpx_lt_u32_e32 3, v0
	s_cbranch_execz .LBB73_76
; %bb.75:
	v_mov_b32_e32 v28, v2
	v_mov_b32_e32 v35, v34
	;; [unrolled: 1-line block ×19, first 2 shown]
	ds_write_b64 v1, v[8:9]
	v_mov_b32_e32 v2, v28
	v_mov_b32_e32 v3, v29
	;; [unrolled: 1-line block ×32, first 2 shown]
.LBB73_76:
	s_or_b32 exec_lo, exec_lo, s0
	s_waitcnt lgkmcnt(0)
	s_barrier
	buffer_gl0_inv
	ds_read_b128 v[22:25], v34 offset:112
	ds_read_b128 v[26:29], v34 offset:128
	s_mov_b32 s0, exec_lo
	s_waitcnt lgkmcnt(1)
	v_fma_f64 v[22:23], v[10:11], v[22:23], 0
	v_fma_f64 v[22:23], v[12:13], v[24:25], v[22:23]
	s_waitcnt lgkmcnt(0)
	v_fma_f64 v[22:23], v[14:15], v[26:27], v[22:23]
	v_fma_f64 v[26:27], v[16:17], v[28:29], v[22:23]
	ds_read_b128 v[22:25], v34 offset:144
	s_waitcnt lgkmcnt(0)
	v_fma_f64 v[22:23], v[18:19], v[22:23], v[26:27]
	v_fma_f64 v[22:23], v[20:21], v[24:25], v[22:23]
	v_add_f64 v[8:9], v[8:9], -v[22:23]
	v_cmpx_lt_u32_e32 2, v0
	s_cbranch_execz .LBB73_78
; %bb.77:
	v_mov_b32_e32 v26, 0
	v_mov_b32_e32 v22, v2
	;; [unrolled: 1-line block ×20, first 2 shown]
	ds_write_b64 v1, v[6:7]
	v_mov_b32_e32 v2, v22
	v_mov_b32_e32 v3, v23
	;; [unrolled: 1-line block ×32, first 2 shown]
.LBB73_78:
	s_or_b32 exec_lo, exec_lo, s0
	v_mov_b32_e32 v34, 0
	s_waitcnt lgkmcnt(0)
	s_barrier
	buffer_gl0_inv
	s_mov_b32 s0, exec_lo
	ds_read2_b64 v[22:25], v34 offset0:13 offset1:14
	ds_read2_b64 v[26:29], v34 offset0:15 offset1:16
	s_waitcnt lgkmcnt(1)
	v_fma_f64 v[22:23], v[8:9], v[22:23], 0
	v_fma_f64 v[22:23], v[10:11], v[24:25], v[22:23]
	s_waitcnt lgkmcnt(0)
	v_fma_f64 v[22:23], v[12:13], v[26:27], v[22:23]
	v_fma_f64 v[26:27], v[14:15], v[28:29], v[22:23]
	ds_read2_b64 v[22:25], v34 offset0:17 offset1:18
	ds_read_b64 v[28:29], v34 offset:152
	s_waitcnt lgkmcnt(1)
	v_fma_f64 v[22:23], v[16:17], v[22:23], v[26:27]
	v_fma_f64 v[22:23], v[18:19], v[24:25], v[22:23]
	s_waitcnt lgkmcnt(0)
	v_fma_f64 v[22:23], v[20:21], v[28:29], v[22:23]
	v_add_f64 v[6:7], v[6:7], -v[22:23]
	v_cmpx_lt_u32_e32 1, v0
	s_cbranch_execz .LBB73_80
; %bb.79:
	v_mov_b32_e32 v32, v2
	v_mov_b32_e32 v35, v34
	;; [unrolled: 1-line block ×19, first 2 shown]
	ds_write_b64 v1, v[4:5]
	v_mov_b32_e32 v2, v32
	v_mov_b32_e32 v3, v33
	;; [unrolled: 1-line block ×32, first 2 shown]
.LBB73_80:
	s_or_b32 exec_lo, exec_lo, s0
	s_waitcnt lgkmcnt(0)
	s_barrier
	buffer_gl0_inv
	ds_read_b128 v[22:25], v34 offset:96
	ds_read_b128 v[26:29], v34 offset:112
	s_mov_b32 s0, exec_lo
	s_waitcnt lgkmcnt(1)
	v_fma_f64 v[22:23], v[6:7], v[22:23], 0
	v_fma_f64 v[22:23], v[8:9], v[24:25], v[22:23]
	s_waitcnt lgkmcnt(0)
	v_fma_f64 v[22:23], v[10:11], v[26:27], v[22:23]
	v_fma_f64 v[30:31], v[12:13], v[28:29], v[22:23]
	ds_read_b128 v[22:25], v34 offset:128
	ds_read_b128 v[26:29], v34 offset:144
	s_waitcnt lgkmcnt(1)
	v_fma_f64 v[22:23], v[14:15], v[22:23], v[30:31]
	v_fma_f64 v[22:23], v[16:17], v[24:25], v[22:23]
	s_waitcnt lgkmcnt(0)
	v_fma_f64 v[22:23], v[18:19], v[26:27], v[22:23]
	v_fma_f64 v[22:23], v[20:21], v[28:29], v[22:23]
	v_add_f64 v[4:5], v[4:5], -v[22:23]
	v_cmpx_ne_u32_e32 0, v0
	s_cbranch_execz .LBB73_82
; %bb.81:
	v_mov_b32_e32 v22, 0
	v_mov_b32_e32 v34, v14
	;; [unrolled: 1-line block ×20, first 2 shown]
	ds_write_b64 v1, v[2:3]
	v_mov_b32_e32 v2, v22
	v_mov_b32_e32 v3, v23
	;; [unrolled: 1-line block ×32, first 2 shown]
.LBB73_82:
	s_or_b32 exec_lo, exec_lo, s0
	v_mov_b32_e32 v0, 0
	s_waitcnt lgkmcnt(0)
	s_barrier
	buffer_gl0_inv
	s_and_b32 vcc_lo, exec_lo, s18
	ds_read2_b64 v[22:25], v0 offset0:11 offset1:12
	ds_read2_b64 v[26:29], v0 offset0:13 offset1:14
	s_waitcnt lgkmcnt(1)
	v_fma_f64 v[22:23], v[4:5], v[22:23], 0
	v_fma_f64 v[22:23], v[6:7], v[24:25], v[22:23]
	s_waitcnt lgkmcnt(0)
	v_fma_f64 v[22:23], v[8:9], v[26:27], v[22:23]
	v_fma_f64 v[30:31], v[10:11], v[28:29], v[22:23]
	ds_read2_b64 v[22:25], v0 offset0:15 offset1:16
	ds_read2_b64 v[26:29], v0 offset0:17 offset1:18
	s_waitcnt lgkmcnt(1)
	v_fma_f64 v[22:23], v[12:13], v[22:23], v[30:31]
	v_fma_f64 v[22:23], v[14:15], v[24:25], v[22:23]
	ds_read_b64 v[24:25], v0 offset:152
	s_waitcnt lgkmcnt(1)
	v_fma_f64 v[22:23], v[16:17], v[26:27], v[22:23]
	v_fma_f64 v[22:23], v[18:19], v[28:29], v[22:23]
	s_waitcnt lgkmcnt(0)
	v_fma_f64 v[22:23], v[20:21], v[24:25], v[22:23]
	v_add_f64 v[2:3], v[2:3], -v[22:23]
	s_cbranch_vccz .LBB73_101
; %bb.83:
	global_load_dword v0, v0, s[16:17] offset:32
	s_waitcnt vmcnt(0)
	v_readfirstlane_b32 s0, v0
	s_add_i32 s0, s0, -1
	s_cmp_lg_u32 s0, 8
	s_cbranch_scc0 .LBB73_85
; %bb.84:
	s_lshl_b32 m0, s0, 1
	v_movrels_b32_e32 v0, v2
	v_movrels_b32_e32 v1, v3
	v_mov_b32_e32 v51, v33
	v_mov_b32_e32 v50, v32
	;; [unrolled: 1-line block ×34, first 2 shown]
	v_movreld_b32_e32 v20, v18
	v_movreld_b32_e32 v21, v19
	v_mov_b32_e32 v2, v20
	v_mov_b32_e32 v3, v21
	;; [unrolled: 1-line block ×32, first 2 shown]
.LBB73_85:
	v_mov_b32_e32 v0, 0
	global_load_dword v1, v0, s[16:17] offset:28
	s_waitcnt vmcnt(0)
	v_readfirstlane_b32 s0, v1
	s_add_i32 s0, s0, -1
	s_cmp_eq_u32 s0, 7
	s_cbranch_scc1 .LBB73_87
; %bb.86:
	s_lshl_b32 m0, s0, 1
	v_movrels_b32_e32 v1, v2
	v_movrels_b32_e32 v50, v3
	v_mov_b32_e32 v49, v33
	v_mov_b32_e32 v48, v32
	v_mov_b32_e32 v47, v31
	v_mov_b32_e32 v46, v30
	v_mov_b32_e32 v45, v29
	v_mov_b32_e32 v44, v28
	v_mov_b32_e32 v43, v27
	v_mov_b32_e32 v42, v26
	v_mov_b32_e32 v41, v25
	v_mov_b32_e32 v40, v24
	v_mov_b32_e32 v39, v23
	v_mov_b32_e32 v38, v22
	v_mov_b32_e32 v37, v21
	v_mov_b32_e32 v36, v20
	v_mov_b32_e32 v35, v19
	v_mov_b32_e32 v34, v18
	v_mov_b32_e32 v33, v17
	v_mov_b32_e32 v32, v16
	v_mov_b32_e32 v31, v15
	v_mov_b32_e32 v30, v14
	v_mov_b32_e32 v29, v13
	v_mov_b32_e32 v28, v12
	v_mov_b32_e32 v27, v11
	v_mov_b32_e32 v26, v10
	v_mov_b32_e32 v25, v9
	v_mov_b32_e32 v24, v8
	v_mov_b32_e32 v23, v7
	v_mov_b32_e32 v22, v6
	v_mov_b32_e32 v21, v5
	v_mov_b32_e32 v20, v4
	v_mov_b32_e32 v19, v3
	v_mov_b32_e32 v18, v2
	v_mov_b32_e32 v32, v1
	v_mov_b32_e32 v33, v50
	v_movreld_b32_e32 v18, v16
	v_movreld_b32_e32 v19, v17
	v_mov_b32_e32 v2, v18
	v_mov_b32_e32 v3, v19
	;; [unrolled: 1-line block ×32, first 2 shown]
.LBB73_87:
	global_load_dword v0, v0, s[16:17] offset:24
	s_waitcnt vmcnt(0)
	v_readfirstlane_b32 s0, v0
	s_add_i32 s0, s0, -1
	s_cmp_eq_u32 s0, 6
	s_cbranch_scc1 .LBB73_89
; %bb.88:
	s_lshl_b32 m0, s0, 1
	v_movrels_b32_e32 v0, v2
	v_movrels_b32_e32 v1, v3
	v_mov_b32_e32 v47, v33
	v_mov_b32_e32 v46, v32
	v_mov_b32_e32 v45, v31
	v_mov_b32_e32 v44, v30
	v_mov_b32_e32 v43, v29
	v_mov_b32_e32 v42, v28
	v_mov_b32_e32 v41, v27
	v_mov_b32_e32 v40, v26
	v_mov_b32_e32 v39, v25
	v_mov_b32_e32 v38, v24
	v_mov_b32_e32 v37, v23
	v_mov_b32_e32 v36, v22
	v_mov_b32_e32 v35, v21
	v_mov_b32_e32 v34, v20
	v_mov_b32_e32 v33, v19
	v_mov_b32_e32 v32, v18
	v_mov_b32_e32 v31, v17
	v_mov_b32_e32 v30, v16
	v_mov_b32_e32 v29, v15
	v_mov_b32_e32 v28, v14
	v_mov_b32_e32 v27, v13
	v_mov_b32_e32 v26, v12
	v_mov_b32_e32 v25, v11
	v_mov_b32_e32 v24, v10
	v_mov_b32_e32 v23, v9
	v_mov_b32_e32 v22, v8
	v_mov_b32_e32 v21, v7
	v_mov_b32_e32 v20, v6
	v_mov_b32_e32 v19, v5
	v_mov_b32_e32 v18, v4
	v_mov_b32_e32 v17, v3
	v_mov_b32_e32 v16, v2
	v_mov_b32_e32 v28, v0
	v_mov_b32_e32 v29, v1
	v_movreld_b32_e32 v16, v14
	v_movreld_b32_e32 v17, v15
	v_mov_b32_e32 v2, v16
	v_mov_b32_e32 v3, v17
	;; [unrolled: 1-line block ×32, first 2 shown]
.LBB73_89:
	v_mov_b32_e32 v0, 0
	global_load_dword v1, v0, s[16:17] offset:20
	s_waitcnt vmcnt(0)
	v_readfirstlane_b32 s0, v1
	s_add_i32 s0, s0, -1
	s_cmp_eq_u32 s0, 5
	s_cbranch_scc1 .LBB73_91
; %bb.90:
	s_lshl_b32 m0, s0, 1
	v_movrels_b32_e32 v1, v2
	v_movrels_b32_e32 v46, v3
	v_mov_b32_e32 v45, v33
	v_mov_b32_e32 v44, v32
	;; [unrolled: 1-line block ×34, first 2 shown]
	v_movreld_b32_e32 v14, v12
	v_movreld_b32_e32 v15, v13
	v_mov_b32_e32 v2, v14
	v_mov_b32_e32 v3, v15
	v_mov_b32_e32 v4, v16
	v_mov_b32_e32 v5, v17
	v_mov_b32_e32 v6, v18
	v_mov_b32_e32 v7, v19
	v_mov_b32_e32 v8, v20
	v_mov_b32_e32 v9, v21
	v_mov_b32_e32 v10, v22
	v_mov_b32_e32 v11, v23
	v_mov_b32_e32 v12, v24
	v_mov_b32_e32 v13, v25
	v_mov_b32_e32 v14, v26
	v_mov_b32_e32 v15, v27
	v_mov_b32_e32 v16, v28
	v_mov_b32_e32 v17, v29
	v_mov_b32_e32 v18, v30
	v_mov_b32_e32 v19, v31
	v_mov_b32_e32 v20, v32
	v_mov_b32_e32 v21, v33
	v_mov_b32_e32 v22, v34
	v_mov_b32_e32 v23, v35
	v_mov_b32_e32 v24, v36
	v_mov_b32_e32 v25, v37
	v_mov_b32_e32 v26, v38
	v_mov_b32_e32 v27, v39
	v_mov_b32_e32 v28, v40
	v_mov_b32_e32 v29, v41
	v_mov_b32_e32 v30, v42
	v_mov_b32_e32 v31, v43
	v_mov_b32_e32 v32, v44
	v_mov_b32_e32 v33, v45
.LBB73_91:
	global_load_dword v0, v0, s[16:17] offset:16
	s_waitcnt vmcnt(0)
	v_readfirstlane_b32 s0, v0
	s_add_i32 s0, s0, -1
	s_cmp_eq_u32 s0, 4
	s_cbranch_scc1 .LBB73_93
; %bb.92:
	s_lshl_b32 m0, s0, 1
	v_movrels_b32_e32 v0, v2
	v_movrels_b32_e32 v1, v3
	v_mov_b32_e32 v43, v33
	v_mov_b32_e32 v42, v32
	;; [unrolled: 1-line block ×34, first 2 shown]
	v_movreld_b32_e32 v12, v10
	v_movreld_b32_e32 v13, v11
	v_mov_b32_e32 v2, v12
	v_mov_b32_e32 v3, v13
	;; [unrolled: 1-line block ×32, first 2 shown]
.LBB73_93:
	v_mov_b32_e32 v0, 0
	global_load_dword v1, v0, s[16:17] offset:12
	s_waitcnt vmcnt(0)
	v_readfirstlane_b32 s0, v1
	s_add_i32 s0, s0, -1
	s_cmp_eq_u32 s0, 3
	s_cbranch_scc1 .LBB73_95
; %bb.94:
	s_lshl_b32 m0, s0, 1
	v_movrels_b32_e32 v1, v2
	v_movrels_b32_e32 v42, v3
	v_mov_b32_e32 v41, v33
	v_mov_b32_e32 v40, v32
	;; [unrolled: 1-line block ×34, first 2 shown]
	v_movreld_b32_e32 v10, v8
	v_movreld_b32_e32 v11, v9
	v_mov_b32_e32 v2, v10
	v_mov_b32_e32 v3, v11
	;; [unrolled: 1-line block ×32, first 2 shown]
.LBB73_95:
	global_load_dword v0, v0, s[16:17] offset:8
	s_waitcnt vmcnt(0)
	v_readfirstlane_b32 s0, v0
	s_add_i32 s0, s0, -1
	s_cmp_eq_u32 s0, 2
	s_cbranch_scc1 .LBB73_97
; %bb.96:
	s_lshl_b32 m0, s0, 1
	v_movrels_b32_e32 v0, v2
	v_movrels_b32_e32 v1, v3
	v_mov_b32_e32 v39, v33
	v_mov_b32_e32 v38, v32
	;; [unrolled: 1-line block ×34, first 2 shown]
	v_movreld_b32_e32 v8, v6
	v_movreld_b32_e32 v9, v7
	v_mov_b32_e32 v2, v8
	v_mov_b32_e32 v3, v9
	;; [unrolled: 1-line block ×32, first 2 shown]
.LBB73_97:
	v_mov_b32_e32 v0, 0
	global_load_dword v1, v0, s[16:17] offset:4
	s_waitcnt vmcnt(0)
	v_readfirstlane_b32 s0, v1
	s_add_i32 s0, s0, -1
	s_cmp_eq_u32 s0, 1
	s_cbranch_scc1 .LBB73_99
; %bb.98:
	s_lshl_b32 m0, s0, 1
	v_movrels_b32_e32 v1, v2
	v_movrels_b32_e32 v38, v3
	v_mov_b32_e32 v37, v33
	v_mov_b32_e32 v36, v32
	v_mov_b32_e32 v35, v31
	v_mov_b32_e32 v34, v30
	v_mov_b32_e32 v33, v29
	v_mov_b32_e32 v32, v28
	v_mov_b32_e32 v31, v27
	v_mov_b32_e32 v30, v26
	v_mov_b32_e32 v29, v25
	v_mov_b32_e32 v28, v24
	v_mov_b32_e32 v27, v23
	v_mov_b32_e32 v26, v22
	v_mov_b32_e32 v25, v21
	v_mov_b32_e32 v24, v20
	v_mov_b32_e32 v23, v19
	v_mov_b32_e32 v22, v18
	v_mov_b32_e32 v21, v17
	v_mov_b32_e32 v20, v16
	v_mov_b32_e32 v19, v15
	v_mov_b32_e32 v18, v14
	v_mov_b32_e32 v17, v13
	v_mov_b32_e32 v16, v12
	v_mov_b32_e32 v15, v11
	v_mov_b32_e32 v14, v10
	v_mov_b32_e32 v13, v9
	v_mov_b32_e32 v12, v8
	v_mov_b32_e32 v11, v7
	v_mov_b32_e32 v10, v6
	v_mov_b32_e32 v9, v5
	v_mov_b32_e32 v8, v4
	v_mov_b32_e32 v7, v3
	v_mov_b32_e32 v6, v2
	v_mov_b32_e32 v8, v1
	v_mov_b32_e32 v9, v38
	v_movreld_b32_e32 v6, v4
	v_movreld_b32_e32 v7, v5
	v_mov_b32_e32 v2, v6
	v_mov_b32_e32 v3, v7
	v_mov_b32_e32 v4, v8
	v_mov_b32_e32 v5, v9
	v_mov_b32_e32 v6, v10
	v_mov_b32_e32 v7, v11
	v_mov_b32_e32 v8, v12
	v_mov_b32_e32 v9, v13
	v_mov_b32_e32 v10, v14
	v_mov_b32_e32 v11, v15
	v_mov_b32_e32 v12, v16
	v_mov_b32_e32 v13, v17
	v_mov_b32_e32 v14, v18
	v_mov_b32_e32 v15, v19
	v_mov_b32_e32 v16, v20
	v_mov_b32_e32 v17, v21
	v_mov_b32_e32 v18, v22
	v_mov_b32_e32 v19, v23
	v_mov_b32_e32 v20, v24
	v_mov_b32_e32 v21, v25
	v_mov_b32_e32 v22, v26
	v_mov_b32_e32 v23, v27
	v_mov_b32_e32 v24, v28
	v_mov_b32_e32 v25, v29
	v_mov_b32_e32 v26, v30
	v_mov_b32_e32 v27, v31
	v_mov_b32_e32 v28, v32
	v_mov_b32_e32 v29, v33
	v_mov_b32_e32 v30, v34
	v_mov_b32_e32 v31, v35
	v_mov_b32_e32 v32, v36
	v_mov_b32_e32 v33, v37
.LBB73_99:
	global_load_dword v0, v0, s[16:17]
	s_waitcnt vmcnt(0)
	v_readfirstlane_b32 s0, v0
	s_add_i32 s0, s0, -1
	s_cmp_eq_u32 s0, 0
	s_cbranch_scc1 .LBB73_101
; %bb.100:
	s_lshl_b32 m0, s0, 1
	v_movrels_b32_e32 v0, v2
	v_movrels_b32_e32 v1, v3
	v_mov_b32_e32 v35, v33
	v_mov_b32_e32 v34, v32
	;; [unrolled: 1-line block ×34, first 2 shown]
	v_movreld_b32_e32 v4, v2
	v_movreld_b32_e32 v5, v3
	v_mov_b32_e32 v2, v4
	v_mov_b32_e32 v3, v5
	;; [unrolled: 1-line block ×32, first 2 shown]
.LBB73_101:
	flat_store_dwordx2 v[52:53], v[2:3]
	flat_store_dwordx2 v[54:55], v[4:5]
	flat_store_dwordx2 v[56:57], v[6:7]
	flat_store_dwordx2 v[58:59], v[8:9]
	flat_store_dwordx2 v[60:61], v[10:11]
	flat_store_dwordx2 v[62:63], v[12:13]
	flat_store_dwordx2 v[64:65], v[14:15]
	flat_store_dwordx2 v[66:67], v[16:17]
	flat_store_dwordx2 v[70:71], v[18:19]
	flat_store_dwordx2 v[68:69], v[20:21]
	s_endpgm
	.section	.rodata,"a",@progbits
	.p2align	6, 0x0
	.amdhsa_kernel _ZN9rocsolver6v33100L18getri_kernel_smallILi10EdPKPdEEvT1_iilPiilS6_bb
		.amdhsa_group_segment_fixed_size 168
		.amdhsa_private_segment_fixed_size 0
		.amdhsa_kernarg_size 60
		.amdhsa_user_sgpr_count 6
		.amdhsa_user_sgpr_private_segment_buffer 1
		.amdhsa_user_sgpr_dispatch_ptr 0
		.amdhsa_user_sgpr_queue_ptr 0
		.amdhsa_user_sgpr_kernarg_segment_ptr 1
		.amdhsa_user_sgpr_dispatch_id 0
		.amdhsa_user_sgpr_flat_scratch_init 0
		.amdhsa_user_sgpr_private_segment_size 0
		.amdhsa_wavefront_size32 1
		.amdhsa_uses_dynamic_stack 0
		.amdhsa_system_sgpr_private_segment_wavefront_offset 0
		.amdhsa_system_sgpr_workgroup_id_x 1
		.amdhsa_system_sgpr_workgroup_id_y 0
		.amdhsa_system_sgpr_workgroup_id_z 0
		.amdhsa_system_sgpr_workgroup_info 0
		.amdhsa_system_vgpr_workitem_id 0
		.amdhsa_next_free_vgpr 72
		.amdhsa_next_free_sgpr 19
		.amdhsa_reserve_vcc 1
		.amdhsa_reserve_flat_scratch 1
		.amdhsa_float_round_mode_32 0
		.amdhsa_float_round_mode_16_64 0
		.amdhsa_float_denorm_mode_32 3
		.amdhsa_float_denorm_mode_16_64 3
		.amdhsa_dx10_clamp 1
		.amdhsa_ieee_mode 1
		.amdhsa_fp16_overflow 0
		.amdhsa_workgroup_processor_mode 1
		.amdhsa_memory_ordered 1
		.amdhsa_forward_progress 1
		.amdhsa_shared_vgpr_count 0
		.amdhsa_exception_fp_ieee_invalid_op 0
		.amdhsa_exception_fp_denorm_src 0
		.amdhsa_exception_fp_ieee_div_zero 0
		.amdhsa_exception_fp_ieee_overflow 0
		.amdhsa_exception_fp_ieee_underflow 0
		.amdhsa_exception_fp_ieee_inexact 0
		.amdhsa_exception_int_div_zero 0
	.end_amdhsa_kernel
	.section	.text._ZN9rocsolver6v33100L18getri_kernel_smallILi10EdPKPdEEvT1_iilPiilS6_bb,"axG",@progbits,_ZN9rocsolver6v33100L18getri_kernel_smallILi10EdPKPdEEvT1_iilPiilS6_bb,comdat
.Lfunc_end73:
	.size	_ZN9rocsolver6v33100L18getri_kernel_smallILi10EdPKPdEEvT1_iilPiilS6_bb, .Lfunc_end73-_ZN9rocsolver6v33100L18getri_kernel_smallILi10EdPKPdEEvT1_iilPiilS6_bb
                                        ; -- End function
	.set _ZN9rocsolver6v33100L18getri_kernel_smallILi10EdPKPdEEvT1_iilPiilS6_bb.num_vgpr, 72
	.set _ZN9rocsolver6v33100L18getri_kernel_smallILi10EdPKPdEEvT1_iilPiilS6_bb.num_agpr, 0
	.set _ZN9rocsolver6v33100L18getri_kernel_smallILi10EdPKPdEEvT1_iilPiilS6_bb.numbered_sgpr, 19
	.set _ZN9rocsolver6v33100L18getri_kernel_smallILi10EdPKPdEEvT1_iilPiilS6_bb.num_named_barrier, 0
	.set _ZN9rocsolver6v33100L18getri_kernel_smallILi10EdPKPdEEvT1_iilPiilS6_bb.private_seg_size, 0
	.set _ZN9rocsolver6v33100L18getri_kernel_smallILi10EdPKPdEEvT1_iilPiilS6_bb.uses_vcc, 1
	.set _ZN9rocsolver6v33100L18getri_kernel_smallILi10EdPKPdEEvT1_iilPiilS6_bb.uses_flat_scratch, 1
	.set _ZN9rocsolver6v33100L18getri_kernel_smallILi10EdPKPdEEvT1_iilPiilS6_bb.has_dyn_sized_stack, 0
	.set _ZN9rocsolver6v33100L18getri_kernel_smallILi10EdPKPdEEvT1_iilPiilS6_bb.has_recursion, 0
	.set _ZN9rocsolver6v33100L18getri_kernel_smallILi10EdPKPdEEvT1_iilPiilS6_bb.has_indirect_call, 0
	.section	.AMDGPU.csdata,"",@progbits
; Kernel info:
; codeLenInByte = 11784
; TotalNumSgprs: 21
; NumVgprs: 72
; ScratchSize: 0
; MemoryBound: 0
; FloatMode: 240
; IeeeMode: 1
; LDSByteSize: 168 bytes/workgroup (compile time only)
; SGPRBlocks: 0
; VGPRBlocks: 8
; NumSGPRsForWavesPerEU: 21
; NumVGPRsForWavesPerEU: 72
; Occupancy: 12
; WaveLimiterHint : 1
; COMPUTE_PGM_RSRC2:SCRATCH_EN: 0
; COMPUTE_PGM_RSRC2:USER_SGPR: 6
; COMPUTE_PGM_RSRC2:TRAP_HANDLER: 0
; COMPUTE_PGM_RSRC2:TGID_X_EN: 1
; COMPUTE_PGM_RSRC2:TGID_Y_EN: 0
; COMPUTE_PGM_RSRC2:TGID_Z_EN: 0
; COMPUTE_PGM_RSRC2:TIDIG_COMP_CNT: 0
	.section	.text._ZN9rocsolver6v33100L18getri_kernel_smallILi11EdPKPdEEvT1_iilPiilS6_bb,"axG",@progbits,_ZN9rocsolver6v33100L18getri_kernel_smallILi11EdPKPdEEvT1_iilPiilS6_bb,comdat
	.globl	_ZN9rocsolver6v33100L18getri_kernel_smallILi11EdPKPdEEvT1_iilPiilS6_bb ; -- Begin function _ZN9rocsolver6v33100L18getri_kernel_smallILi11EdPKPdEEvT1_iilPiilS6_bb
	.p2align	8
	.type	_ZN9rocsolver6v33100L18getri_kernel_smallILi11EdPKPdEEvT1_iilPiilS6_bb,@function
_ZN9rocsolver6v33100L18getri_kernel_smallILi11EdPKPdEEvT1_iilPiilS6_bb: ; @_ZN9rocsolver6v33100L18getri_kernel_smallILi11EdPKPdEEvT1_iilPiilS6_bb
; %bb.0:
	s_mov_b32 s0, exec_lo
	v_cmpx_gt_u32_e32 11, v0
	s_cbranch_execz .LBB74_16
; %bb.1:
	s_clause 0x2
	s_load_dword s8, s[4:5], 0x38
	s_load_dwordx2 s[0:1], s[4:5], 0x0
	s_load_dwordx4 s[12:15], s[4:5], 0x28
                                        ; implicit-def: $sgpr16_sgpr17
	s_waitcnt lgkmcnt(0)
	s_bitcmp1_b32 s8, 8
	s_cselect_b32 s18, -1, 0
	s_ashr_i32 s7, s6, 31
	s_lshl_b64 s[2:3], s[6:7], 3
	s_add_u32 s0, s0, s2
	s_addc_u32 s1, s1, s3
	s_load_dwordx2 s[2:3], s[0:1], 0x0
	s_bfe_u32 s0, s8, 0x10008
	s_cmp_eq_u32 s0, 0
	s_cbranch_scc1 .LBB74_3
; %bb.2:
	s_clause 0x1
	s_load_dword s0, s[4:5], 0x20
	s_load_dwordx2 s[8:9], s[4:5], 0x18
	s_mul_i32 s1, s12, s7
	s_mul_hi_u32 s10, s12, s6
	s_mul_i32 s11, s13, s6
	s_add_i32 s1, s10, s1
	s_mul_i32 s10, s12, s6
	s_add_i32 s11, s1, s11
	s_lshl_b64 s[10:11], s[10:11], 2
	s_waitcnt lgkmcnt(0)
	s_ashr_i32 s1, s0, 31
	s_add_u32 s8, s8, s10
	s_addc_u32 s9, s9, s11
	s_lshl_b64 s[0:1], s[0:1], 2
	s_add_u32 s16, s8, s0
	s_addc_u32 s17, s9, s1
.LBB74_3:
	s_clause 0x1
	s_load_dwordx2 s[0:1], s[4:5], 0x8
	s_load_dword s10, s[4:5], 0x38
	v_lshlrev_b32_e32 v26, 3, v0
	s_waitcnt lgkmcnt(0)
	v_add3_u32 v1, s1, s1, v0
	s_ashr_i32 s5, s0, 31
	s_mov_b32 s4, s0
	s_mov_b32 s8, s1
	s_lshl_b64 s[4:5], s[4:5], 3
	v_add_nc_u32_e32 v3, s1, v1
	v_ashrrev_i32_e32 v2, 31, v1
	s_add_u32 s0, s2, s4
	s_addc_u32 s4, s3, s5
	v_add_co_u32 v56, s2, s0, v26
	v_add_nc_u32_e32 v5, s1, v3
	v_ashrrev_i32_e32 v4, 31, v3
	s_ashr_i32 s9, s1, 31
	v_lshlrev_b64 v[1:2], 3, v[1:2]
	v_add_co_ci_u32_e64 v57, null, s4, 0, s2
	v_add_nc_u32_e32 v7, s1, v5
	v_ashrrev_i32_e32 v6, 31, v5
	s_lshl_b64 s[2:3], s[8:9], 3
	v_lshlrev_b64 v[3:4], 3, v[3:4]
	v_add_co_u32 v58, vcc_lo, v56, s2
	v_add_nc_u32_e32 v12, s1, v7
	v_lshlrev_b64 v[10:11], 3, v[5:6]
	v_ashrrev_i32_e32 v8, 31, v7
	v_add_co_ci_u32_e64 v59, null, s3, v57, vcc_lo
	v_add_co_u32 v60, vcc_lo, s0, v1
	v_ashrrev_i32_e32 v13, 31, v12
	v_add_nc_u32_e32 v16, s1, v12
	v_add_co_ci_u32_e64 v61, null, s4, v2, vcc_lo
	v_add_co_u32 v62, vcc_lo, s0, v3
	v_lshlrev_b64 v[14:15], 3, v[7:8]
	v_add_co_ci_u32_e64 v63, null, s4, v4, vcc_lo
	v_add_co_u32 v64, vcc_lo, s0, v10
	v_add_co_ci_u32_e64 v65, null, s4, v11, vcc_lo
	v_lshlrev_b64 v[10:11], 3, v[12:13]
	v_ashrrev_i32_e32 v17, 31, v16
	v_add_nc_u32_e32 v12, s1, v16
	v_add_co_u32 v66, vcc_lo, s0, v14
	v_add_co_ci_u32_e64 v67, null, s4, v15, vcc_lo
	v_lshlrev_b64 v[14:15], 3, v[16:17]
	v_ashrrev_i32_e32 v13, 31, v12
	v_add_nc_u32_e32 v16, s1, v12
	v_add_co_u32 v68, vcc_lo, s0, v10
	v_add_co_ci_u32_e64 v69, null, s4, v11, vcc_lo
	v_lshlrev_b64 v[10:11], 3, v[12:13]
	v_add_nc_u32_e32 v12, s1, v16
	v_ashrrev_i32_e32 v17, 31, v16
	v_add_co_u32 v70, vcc_lo, s0, v14
	v_add_co_ci_u32_e64 v71, null, s4, v15, vcc_lo
	v_ashrrev_i32_e32 v13, 31, v12
	v_lshlrev_b64 v[14:15], 3, v[16:17]
	v_add_co_u32 v72, vcc_lo, s0, v10
	v_add_co_ci_u32_e64 v73, null, s4, v11, vcc_lo
	v_lshlrev_b64 v[10:11], 3, v[12:13]
	v_add_co_u32 v76, vcc_lo, s0, v14
	v_add_co_ci_u32_e64 v77, null, s4, v15, vcc_lo
	s_clause 0x3
	flat_load_dwordx2 v[2:3], v[56:57]
	flat_load_dwordx2 v[4:5], v[58:59]
	;; [unrolled: 1-line block ×4, first 2 shown]
	v_add_co_u32 v74, vcc_lo, s0, v10
	v_add_co_ci_u32_e64 v75, null, s4, v11, vcc_lo
	s_clause 0x6
	flat_load_dwordx2 v[10:11], v[64:65]
	flat_load_dwordx2 v[12:13], v[66:67]
	;; [unrolled: 1-line block ×7, first 2 shown]
	v_mov_b32_e32 v1, 0
	s_bitcmp0_b32 s10, 0
	s_mov_b32 s0, -1
	s_cbranch_scc1 .LBB74_14
; %bb.4:
	v_cmp_eq_u32_e64 s0, 0, v0
	s_and_saveexec_b32 s1, s0
; %bb.5:
	v_mov_b32_e32 v24, 0
	ds_write_b32 v24, v24 offset:88
; %bb.6:
	s_or_b32 exec_lo, exec_lo, s1
	v_cmp_eq_u32_e32 vcc_lo, 1, v0
	s_mov_b32 s2, exec_lo
	s_waitcnt vmcnt(0) lgkmcnt(0)
	s_barrier
	buffer_gl0_inv
	v_cndmask_b32_e32 v24, v3, v5, vcc_lo
	v_cndmask_b32_e32 v25, v2, v4, vcc_lo
	v_cmp_eq_u32_e32 vcc_lo, 2, v0
	v_cndmask_b32_e32 v24, v24, v7, vcc_lo
	v_cndmask_b32_e32 v25, v25, v6, vcc_lo
	v_cmp_eq_u32_e32 vcc_lo, 3, v0
	;; [unrolled: 3-line block ×9, first 2 shown]
	v_cndmask_b32_e32 v25, v24, v23, vcc_lo
	v_cndmask_b32_e32 v24, v27, v22, vcc_lo
	v_cmpx_eq_f64_e32 0, v[24:25]
	s_cbranch_execz .LBB74_10
; %bb.7:
	v_mov_b32_e32 v27, 0
	s_mov_b32 s3, 0
	ds_read_b32 v28, v27 offset:88
	s_waitcnt lgkmcnt(0)
	v_readfirstlane_b32 s1, v28
	v_add_nc_u32_e32 v28, 1, v0
	s_cmp_eq_u32 s1, 0
	v_cmp_gt_i32_e32 vcc_lo, s1, v28
	s_cselect_b32 s4, -1, 0
	s_or_b32 s4, s4, vcc_lo
	s_and_b32 exec_lo, exec_lo, s4
	s_cbranch_execz .LBB74_10
; %bb.8:
	v_mov_b32_e32 v29, s1
.LBB74_9:                               ; =>This Inner Loop Header: Depth=1
	ds_cmpst_rtn_b32 v29, v27, v29, v28 offset:88
	s_waitcnt lgkmcnt(0)
	v_cmp_ne_u32_e32 vcc_lo, 0, v29
	v_cmp_le_i32_e64 s1, v29, v28
	s_and_b32 s1, vcc_lo, s1
	s_and_b32 s1, exec_lo, s1
	s_or_b32 s3, s1, s3
	s_andn2_b32 exec_lo, exec_lo, s3
	s_cbranch_execnz .LBB74_9
.LBB74_10:
	s_or_b32 exec_lo, exec_lo, s2
	v_mov_b32_e32 v27, 0
	s_barrier
	buffer_gl0_inv
	ds_read_b32 v28, v27 offset:88
	s_and_saveexec_b32 s1, s0
	s_cbranch_execz .LBB74_12
; %bb.11:
	s_lshl_b64 s[2:3], s[6:7], 2
	s_add_u32 s2, s14, s2
	s_addc_u32 s3, s15, s3
	s_waitcnt lgkmcnt(0)
	global_store_dword v27, v28, s[2:3]
.LBB74_12:
	s_or_b32 exec_lo, exec_lo, s1
	s_waitcnt lgkmcnt(0)
	v_cmp_ne_u32_e32 vcc_lo, 0, v28
	s_cbranch_vccz .LBB74_17
; %bb.13:
	s_mov_b32 s0, 0
                                        ; implicit-def: $vgpr2_vgpr3_vgpr4_vgpr5_vgpr6_vgpr7_vgpr8_vgpr9_vgpr10_vgpr11_vgpr12_vgpr13_vgpr14_vgpr15_vgpr16_vgpr17_vgpr18_vgpr19_vgpr20_vgpr21_vgpr22_vgpr23_vgpr24_vgpr25_vgpr26_vgpr27_vgpr28_vgpr29_vgpr30_vgpr31_vgpr32_vgpr33
.LBB74_14:
	s_and_b32 vcc_lo, exec_lo, s0
	s_cbranch_vccz .LBB74_16
.LBB74_15:
	s_lshl_b64 s[0:1], s[6:7], 2
	v_mov_b32_e32 v1, 0
	s_add_u32 s0, s14, s0
	s_addc_u32 s1, s15, s1
	global_load_dword v1, v1, s[0:1]
	s_waitcnt vmcnt(0)
	v_cmp_ne_u32_e32 vcc_lo, 0, v1
	s_cbranch_vccz .LBB74_68
.LBB74_16:
	s_endpgm
.LBB74_17:
	v_div_scale_f64 v[27:28], null, v[24:25], v[24:25], 1.0
	v_div_scale_f64 v[33:34], vcc_lo, 1.0, v[24:25], 1.0
	v_cmp_eq_u32_e64 s1, 9, v0
	v_cmp_eq_u32_e64 s2, 8, v0
	;; [unrolled: 1-line block ×10, first 2 shown]
	v_rcp_f64_e32 v[29:30], v[27:28]
	v_fma_f64 v[31:32], -v[27:28], v[29:30], 1.0
	v_fma_f64 v[29:30], v[29:30], v[31:32], v[29:30]
	v_fma_f64 v[31:32], -v[27:28], v[29:30], 1.0
	v_fma_f64 v[29:30], v[29:30], v[31:32], v[29:30]
	v_mul_f64 v[31:32], v[33:34], v[29:30]
	v_fma_f64 v[27:28], -v[27:28], v[31:32], v[33:34]
	v_div_fmas_f64 v[27:28], v[27:28], v[29:30], v[31:32]
	v_cmp_eq_u32_e32 vcc_lo, 10, v0
	v_div_fixup_f64 v[24:25], v[27:28], v[24:25], 1.0
	v_add_nc_u32_e32 v28, 0x60, v26
	v_cndmask_b32_e32 v23, v23, v25, vcc_lo
	v_cndmask_b32_e32 v22, v22, v24, vcc_lo
	v_cndmask_b32_e64 v21, v21, v25, s1
	v_cndmask_b32_e64 v20, v20, v24, s1
	;; [unrolled: 1-line block ×16, first 2 shown]
	v_xor_b32_e32 v30, 0x80000000, v25
	v_mov_b32_e32 v29, v24
	v_cndmask_b32_e64 v7, v7, v25, s10
	v_cndmask_b32_e64 v6, v6, v24, s10
	;; [unrolled: 1-line block ×4, first 2 shown]
	ds_write2_b64 v26, v[29:30], v[4:5] offset1:12
	s_waitcnt lgkmcnt(0)
	s_waitcnt_vscnt null, 0x0
	s_barrier
	buffer_gl0_inv
	s_and_saveexec_b32 s1, s0
	s_cbranch_execz .LBB74_19
; %bb.18:
	ds_read_b64 v[4:5], v28
	v_mov_b32_e32 v26, 0
	ds_read_b64 v[26:27], v26 offset:8
	s_waitcnt lgkmcnt(1)
	v_fma_f64 v[4:5], v[24:25], v[4:5], 0
	s_waitcnt lgkmcnt(0)
	v_mul_f64 v[4:5], v[4:5], v[26:27]
.LBB74_19:
	s_or_b32 exec_lo, exec_lo, s1
	v_cmp_gt_u32_e32 vcc_lo, 2, v0
	s_barrier
	buffer_gl0_inv
	ds_write_b64 v28, v[6:7]
	s_waitcnt lgkmcnt(0)
	s_barrier
	buffer_gl0_inv
	s_and_saveexec_b32 s3, vcc_lo
	s_cbranch_execz .LBB74_23
; %bb.20:
	v_cmp_eq_u32_e64 s1, 1, v0
	v_cmp_eq_u32_e64 s2, 8, v0
	v_cndmask_b32_e64 v24, v3, v5, s1
	v_cndmask_b32_e64 v25, v2, v4, s1
	v_cmp_eq_u32_e64 s1, 2, v0
	v_cndmask_b32_e64 v7, v24, v7, s1
	v_cndmask_b32_e64 v6, v25, v6, s1
	;; [unrolled: 3-line block ×7, first 2 shown]
	ds_read_b64 v[6:7], v28
	v_cmp_eq_u32_e64 s1, 9, v0
	v_cndmask_b32_e64 v24, v24, v19, s2
	v_cndmask_b32_e64 v25, v25, v18, s2
	;; [unrolled: 1-line block ×4, first 2 shown]
	v_cmp_eq_u32_e64 s1, 10, v0
	v_cndmask_b32_e64 v25, v24, v23, s1
	v_cndmask_b32_e64 v24, v26, v22, s1
	s_waitcnt lgkmcnt(0)
	v_fma_f64 v[6:7], v[24:25], v[6:7], 0
	s_and_saveexec_b32 s1, s0
	s_cbranch_execz .LBB74_22
; %bb.21:
	v_mov_b32_e32 v24, 0
	ds_read_b64 v[24:25], v24 offset:104
	s_waitcnt lgkmcnt(0)
	v_fma_f64 v[6:7], v[4:5], v[24:25], v[6:7]
.LBB74_22:
	s_or_b32 exec_lo, exec_lo, s1
	v_mov_b32_e32 v24, 0
	ds_read_b64 v[24:25], v24 offset:16
	s_waitcnt lgkmcnt(0)
	v_mul_f64 v[6:7], v[6:7], v[24:25]
.LBB74_23:
	s_or_b32 exec_lo, exec_lo, s3
	s_mov_b32 s3, exec_lo
	s_barrier
	buffer_gl0_inv
	ds_write_b64 v28, v[8:9]
	s_waitcnt lgkmcnt(0)
	s_barrier
	buffer_gl0_inv
	v_cmpx_gt_u32_e32 3, v0
	s_cbranch_execz .LBB74_27
; %bb.24:
	v_mov_b32_e32 v24, 0
	v_mov_b32_e32 v27, v1
	v_lshl_add_u32 v29, v0, 3, 0x60
	v_mov_b32_e32 v25, 0
	v_mov_b32_e32 v26, v0
	s_mov_b32 s4, 0
.LBB74_25:                              ; =>This Inner Loop Header: Depth=1
	v_cmp_eq_u32_e64 s1, 1, v26
	v_cmp_eq_u32_e64 s2, 2, v26
	v_cndmask_b32_e64 v30, v3, v5, s1
	v_cndmask_b32_e64 v31, v2, v4, s1
	v_cmp_eq_u32_e64 s1, 3, v26
	v_cndmask_b32_e64 v30, v30, v7, s2
	v_cndmask_b32_e64 v31, v31, v6, s2
	;; [unrolled: 3-line block ×6, first 2 shown]
	ds_read_b64 v[30:31], v29
	v_cmp_eq_u32_e64 s2, 8, v26
	v_add_nc_u32_e32 v29, 8, v29
	v_cndmask_b32_e64 v32, v32, v17, s1
	v_cndmask_b32_e64 v33, v33, v16, s1
	v_cmp_eq_u32_e64 s1, 9, v26
	v_cndmask_b32_e64 v32, v32, v19, s2
	v_cndmask_b32_e64 v33, v33, v18, s2
	v_cmp_eq_u32_e64 s2, 10, v26
	v_cndmask_b32_e64 v32, v32, v21, s1
	v_cndmask_b32_e64 v34, v33, v20, s1
	v_add_co_u32 v26, s1, v26, 1
	v_add_co_ci_u32_e64 v27, null, 0, v27, s1
	v_cndmask_b32_e64 v33, v32, v23, s2
	v_cndmask_b32_e64 v32, v34, v22, s2
	s_waitcnt lgkmcnt(0)
	v_fma_f64 v[24:25], v[32:33], v[30:31], v[24:25]
	v_add_nc_u32_e32 v30, -1, v26
	v_cmp_lt_u32_e64 s1, 1, v30
	s_or_b32 s4, s1, s4
	s_andn2_b32 exec_lo, exec_lo, s4
	s_cbranch_execnz .LBB74_25
; %bb.26:
	s_or_b32 exec_lo, exec_lo, s4
	v_mov_b32_e32 v8, 0
	ds_read_b64 v[8:9], v8 offset:24
	s_waitcnt lgkmcnt(0)
	v_mul_f64 v[8:9], v[24:25], v[8:9]
.LBB74_27:
	s_or_b32 exec_lo, exec_lo, s3
	v_cmp_gt_u32_e64 s1, 4, v0
	s_barrier
	buffer_gl0_inv
	ds_write_b64 v28, v[10:11]
	s_waitcnt lgkmcnt(0)
	s_barrier
	buffer_gl0_inv
	s_and_saveexec_b32 s4, s1
	s_cbranch_execz .LBB74_31
; %bb.28:
	v_mov_b32_e32 v24, 0
	v_mov_b32_e32 v27, v1
	v_lshl_add_u32 v29, v0, 3, 0x60
	v_mov_b32_e32 v25, 0
	v_mov_b32_e32 v26, v0
	s_mov_b32 s5, 0
.LBB74_29:                              ; =>This Inner Loop Header: Depth=1
	v_cmp_eq_u32_e64 s2, 1, v26
	v_cmp_eq_u32_e64 s3, 2, v26
	v_cndmask_b32_e64 v30, v3, v5, s2
	v_cndmask_b32_e64 v31, v2, v4, s2
	v_cmp_eq_u32_e64 s2, 3, v26
	v_cndmask_b32_e64 v30, v30, v7, s3
	v_cndmask_b32_e64 v31, v31, v6, s3
	;; [unrolled: 3-line block ×6, first 2 shown]
	ds_read_b64 v[30:31], v29
	v_cmp_eq_u32_e64 s3, 8, v26
	v_add_nc_u32_e32 v29, 8, v29
	v_cndmask_b32_e64 v32, v32, v17, s2
	v_cndmask_b32_e64 v33, v33, v16, s2
	v_cmp_eq_u32_e64 s2, 9, v26
	v_cndmask_b32_e64 v32, v32, v19, s3
	v_cndmask_b32_e64 v33, v33, v18, s3
	v_cmp_eq_u32_e64 s3, 10, v26
	v_cndmask_b32_e64 v32, v32, v21, s2
	v_cndmask_b32_e64 v34, v33, v20, s2
	v_add_co_u32 v26, s2, v26, 1
	v_add_co_ci_u32_e64 v27, null, 0, v27, s2
	v_cndmask_b32_e64 v33, v32, v23, s3
	v_cndmask_b32_e64 v32, v34, v22, s3
	s_waitcnt lgkmcnt(0)
	v_fma_f64 v[24:25], v[32:33], v[30:31], v[24:25]
	v_add_nc_u32_e32 v30, -1, v26
	v_cmp_lt_u32_e64 s2, 2, v30
	s_or_b32 s5, s2, s5
	s_andn2_b32 exec_lo, exec_lo, s5
	s_cbranch_execnz .LBB74_29
; %bb.30:
	s_or_b32 exec_lo, exec_lo, s5
	v_mov_b32_e32 v10, 0
	ds_read_b64 v[10:11], v10 offset:32
	s_waitcnt lgkmcnt(0)
	v_mul_f64 v[10:11], v[24:25], v[10:11]
.LBB74_31:
	s_or_b32 exec_lo, exec_lo, s4
	s_mov_b32 s4, exec_lo
	s_barrier
	buffer_gl0_inv
	ds_write_b64 v28, v[12:13]
	s_waitcnt lgkmcnt(0)
	s_barrier
	buffer_gl0_inv
	v_cmpx_gt_u32_e32 5, v0
	s_cbranch_execz .LBB74_35
; %bb.32:
	v_mov_b32_e32 v24, 0
	v_mov_b32_e32 v27, v1
	v_lshl_add_u32 v29, v0, 3, 0x60
	v_mov_b32_e32 v25, 0
	v_mov_b32_e32 v26, v0
	s_mov_b32 s5, 0
.LBB74_33:                              ; =>This Inner Loop Header: Depth=1
	v_cmp_eq_u32_e64 s2, 1, v26
	v_cmp_eq_u32_e64 s3, 2, v26
	v_cndmask_b32_e64 v30, v3, v5, s2
	v_cndmask_b32_e64 v31, v2, v4, s2
	v_cmp_eq_u32_e64 s2, 3, v26
	v_cndmask_b32_e64 v30, v30, v7, s3
	v_cndmask_b32_e64 v31, v31, v6, s3
	;; [unrolled: 3-line block ×6, first 2 shown]
	ds_read_b64 v[30:31], v29
	v_cmp_eq_u32_e64 s3, 8, v26
	v_add_nc_u32_e32 v29, 8, v29
	v_cndmask_b32_e64 v32, v32, v17, s2
	v_cndmask_b32_e64 v33, v33, v16, s2
	v_cmp_eq_u32_e64 s2, 9, v26
	v_cndmask_b32_e64 v32, v32, v19, s3
	v_cndmask_b32_e64 v33, v33, v18, s3
	v_cmp_eq_u32_e64 s3, 10, v26
	v_cndmask_b32_e64 v32, v32, v21, s2
	v_cndmask_b32_e64 v34, v33, v20, s2
	v_add_co_u32 v26, s2, v26, 1
	v_add_co_ci_u32_e64 v27, null, 0, v27, s2
	v_cndmask_b32_e64 v33, v32, v23, s3
	v_cndmask_b32_e64 v32, v34, v22, s3
	s_waitcnt lgkmcnt(0)
	v_fma_f64 v[24:25], v[32:33], v[30:31], v[24:25]
	v_add_nc_u32_e32 v30, -1, v26
	v_cmp_lt_u32_e64 s2, 3, v30
	s_or_b32 s5, s2, s5
	s_andn2_b32 exec_lo, exec_lo, s5
	s_cbranch_execnz .LBB74_33
; %bb.34:
	s_or_b32 exec_lo, exec_lo, s5
	v_mov_b32_e32 v12, 0
	ds_read_b64 v[12:13], v12 offset:40
	s_waitcnt lgkmcnt(0)
	v_mul_f64 v[12:13], v[24:25], v[12:13]
.LBB74_35:
	s_or_b32 exec_lo, exec_lo, s4
	v_cmp_gt_u32_e64 s2, 6, v0
	s_barrier
	buffer_gl0_inv
	ds_write_b64 v28, v[14:15]
	s_waitcnt lgkmcnt(0)
	s_barrier
	buffer_gl0_inv
	s_and_saveexec_b32 s5, s2
	s_cbranch_execz .LBB74_39
; %bb.36:
	v_mov_b32_e32 v24, 0
	v_mov_b32_e32 v27, v1
	v_lshl_add_u32 v29, v0, 3, 0x60
	v_mov_b32_e32 v25, 0
	v_mov_b32_e32 v26, v0
	s_mov_b32 s8, 0
.LBB74_37:                              ; =>This Inner Loop Header: Depth=1
	v_cmp_eq_u32_e64 s3, 1, v26
	v_cmp_eq_u32_e64 s4, 2, v26
	v_cndmask_b32_e64 v30, v3, v5, s3
	v_cndmask_b32_e64 v31, v2, v4, s3
	v_cmp_eq_u32_e64 s3, 3, v26
	v_cndmask_b32_e64 v30, v30, v7, s4
	v_cndmask_b32_e64 v31, v31, v6, s4
	v_cmp_eq_u32_e64 s4, 4, v26
	v_cndmask_b32_e64 v30, v30, v9, s3
	v_cndmask_b32_e64 v31, v31, v8, s3
	v_cmp_eq_u32_e64 s3, 5, v26
	v_cndmask_b32_e64 v30, v30, v11, s4
	v_cndmask_b32_e64 v31, v31, v10, s4
	v_cmp_eq_u32_e64 s4, 6, v26
	v_cndmask_b32_e64 v30, v30, v13, s3
	v_cndmask_b32_e64 v31, v31, v12, s3
	v_cmp_eq_u32_e64 s3, 7, v26
	v_cndmask_b32_e64 v32, v30, v15, s4
	v_cndmask_b32_e64 v33, v31, v14, s4
	ds_read_b64 v[30:31], v29
	v_cmp_eq_u32_e64 s4, 8, v26
	v_add_nc_u32_e32 v29, 8, v29
	v_cndmask_b32_e64 v32, v32, v17, s3
	v_cndmask_b32_e64 v33, v33, v16, s3
	v_cmp_eq_u32_e64 s3, 9, v26
	v_cndmask_b32_e64 v32, v32, v19, s4
	v_cndmask_b32_e64 v33, v33, v18, s4
	v_cmp_eq_u32_e64 s4, 10, v26
	v_cndmask_b32_e64 v32, v32, v21, s3
	v_cndmask_b32_e64 v34, v33, v20, s3
	v_add_co_u32 v26, s3, v26, 1
	v_add_co_ci_u32_e64 v27, null, 0, v27, s3
	v_cndmask_b32_e64 v33, v32, v23, s4
	v_cndmask_b32_e64 v32, v34, v22, s4
	s_waitcnt lgkmcnt(0)
	v_fma_f64 v[24:25], v[32:33], v[30:31], v[24:25]
	v_add_nc_u32_e32 v30, -1, v26
	v_cmp_lt_u32_e64 s3, 4, v30
	s_or_b32 s8, s3, s8
	s_andn2_b32 exec_lo, exec_lo, s8
	s_cbranch_execnz .LBB74_37
; %bb.38:
	s_or_b32 exec_lo, exec_lo, s8
	v_mov_b32_e32 v14, 0
	ds_read_b64 v[14:15], v14 offset:48
	s_waitcnt lgkmcnt(0)
	v_mul_f64 v[14:15], v[24:25], v[14:15]
.LBB74_39:
	s_or_b32 exec_lo, exec_lo, s5
	s_mov_b32 s5, exec_lo
	s_barrier
	buffer_gl0_inv
	ds_write_b64 v28, v[16:17]
	s_waitcnt lgkmcnt(0)
	s_barrier
	buffer_gl0_inv
	v_cmpx_gt_u32_e32 7, v0
	s_cbranch_execz .LBB74_43
; %bb.40:
	v_mov_b32_e32 v24, 0
	v_mov_b32_e32 v27, v1
	v_lshl_add_u32 v29, v0, 3, 0x60
	v_mov_b32_e32 v25, 0
	v_mov_b32_e32 v26, v0
	s_mov_b32 s8, 0
.LBB74_41:                              ; =>This Inner Loop Header: Depth=1
	v_cmp_eq_u32_e64 s3, 1, v26
	v_cmp_eq_u32_e64 s4, 2, v26
	v_cndmask_b32_e64 v30, v3, v5, s3
	v_cndmask_b32_e64 v31, v2, v4, s3
	v_cmp_eq_u32_e64 s3, 3, v26
	v_cndmask_b32_e64 v30, v30, v7, s4
	v_cndmask_b32_e64 v31, v31, v6, s4
	;; [unrolled: 3-line block ×6, first 2 shown]
	ds_read_b64 v[30:31], v29
	v_cmp_eq_u32_e64 s4, 8, v26
	v_add_nc_u32_e32 v29, 8, v29
	v_cndmask_b32_e64 v32, v32, v17, s3
	v_cndmask_b32_e64 v33, v33, v16, s3
	v_cmp_eq_u32_e64 s3, 9, v26
	v_cndmask_b32_e64 v32, v32, v19, s4
	v_cndmask_b32_e64 v33, v33, v18, s4
	v_cmp_eq_u32_e64 s4, 10, v26
	v_cndmask_b32_e64 v32, v32, v21, s3
	v_cndmask_b32_e64 v34, v33, v20, s3
	v_add_co_u32 v26, s3, v26, 1
	v_add_co_ci_u32_e64 v27, null, 0, v27, s3
	v_cndmask_b32_e64 v33, v32, v23, s4
	v_cndmask_b32_e64 v32, v34, v22, s4
	s_waitcnt lgkmcnt(0)
	v_fma_f64 v[24:25], v[32:33], v[30:31], v[24:25]
	v_add_nc_u32_e32 v30, -1, v26
	v_cmp_lt_u32_e64 s3, 5, v30
	s_or_b32 s8, s3, s8
	s_andn2_b32 exec_lo, exec_lo, s8
	s_cbranch_execnz .LBB74_41
; %bb.42:
	s_or_b32 exec_lo, exec_lo, s8
	v_mov_b32_e32 v16, 0
	ds_read_b64 v[16:17], v16 offset:56
	s_waitcnt lgkmcnt(0)
	v_mul_f64 v[16:17], v[24:25], v[16:17]
.LBB74_43:
	s_or_b32 exec_lo, exec_lo, s5
	s_mov_b32 s5, exec_lo
	s_barrier
	buffer_gl0_inv
	ds_write_b64 v28, v[18:19]
	s_waitcnt lgkmcnt(0)
	s_barrier
	buffer_gl0_inv
	v_cmpx_gt_u32_e32 8, v0
	s_cbranch_execz .LBB74_59
; %bb.44:
	v_cmp_eq_u32_e64 s3, 1, v0
	v_cmp_eq_u32_e64 s4, 8, v0
	s_mov_b32 s8, exec_lo
	v_cndmask_b32_e64 v24, v3, v5, s3
	v_cndmask_b32_e64 v25, v2, v4, s3
	v_cmp_eq_u32_e64 s3, 2, v0
	v_cndmask_b32_e64 v24, v24, v7, s3
	v_cndmask_b32_e64 v25, v25, v6, s3
	v_cmp_eq_u32_e64 s3, 3, v0
	v_cndmask_b32_e64 v24, v24, v9, s3
	v_cndmask_b32_e64 v25, v25, v8, s3
	v_cmp_eq_u32_e64 s3, 4, v0
	v_cndmask_b32_e64 v24, v24, v11, s3
	v_cndmask_b32_e64 v25, v25, v10, s3
	v_cmp_eq_u32_e64 s3, 5, v0
	v_cndmask_b32_e64 v24, v24, v13, s3
	v_cndmask_b32_e64 v25, v25, v12, s3
	v_cmp_eq_u32_e64 s3, 6, v0
	v_cndmask_b32_e64 v24, v24, v15, s3
	v_cndmask_b32_e64 v25, v25, v14, s3
	v_cmp_eq_u32_e64 s3, 7, v0
	v_cndmask_b32_e64 v26, v24, v17, s3
	v_cndmask_b32_e64 v27, v25, v16, s3
	ds_read_b64 v[24:25], v28
	v_cmp_eq_u32_e64 s3, 9, v0
	v_cndmask_b32_e64 v26, v26, v19, s4
	v_cndmask_b32_e64 v27, v27, v18, s4
	v_cndmask_b32_e64 v26, v26, v21, s3
	v_cndmask_b32_e64 v29, v27, v20, s3
	v_cmp_eq_u32_e64 s3, 10, v0
	v_cndmask_b32_e64 v27, v26, v23, s3
	v_cndmask_b32_e64 v26, v29, v22, s3
	s_waitcnt lgkmcnt(0)
	v_fma_f64 v[24:25], v[26:27], v[24:25], 0
	v_cmpx_ne_u32_e32 7, v0
	s_cbranch_execz .LBB74_58
; %bb.45:
	v_add_nc_u32_e32 v29, 1, v0
	v_cmp_eq_u32_e64 s3, 1, v29
	v_cmp_eq_u32_e64 s4, 8, v29
	v_cndmask_b32_e64 v26, v3, v5, s3
	v_cndmask_b32_e64 v27, v2, v4, s3
	v_cmp_eq_u32_e64 s3, 2, v29
	v_cndmask_b32_e64 v26, v26, v7, s3
	v_cndmask_b32_e64 v27, v27, v6, s3
	;; [unrolled: 3-line block ×7, first 2 shown]
	ds_read_b64 v[26:27], v28 offset:8
	v_cmp_eq_u32_e64 s3, 9, v29
	v_cndmask_b32_e64 v30, v30, v19, s4
	v_cndmask_b32_e64 v31, v31, v18, s4
	v_cndmask_b32_e64 v30, v30, v21, s3
	v_cndmask_b32_e64 v31, v31, v20, s3
	v_cmp_eq_u32_e64 s3, 10, v29
	v_cndmask_b32_e64 v30, v30, v23, s3
	v_cndmask_b32_e64 v29, v31, v22, s3
	s_waitcnt lgkmcnt(0)
	v_fma_f64 v[24:25], v[29:30], v[26:27], v[24:25]
	s_and_saveexec_b32 s4, s2
	s_cbranch_execz .LBB74_57
; %bb.46:
	v_add_nc_u32_e32 v29, 2, v0
	s_mov_b32 s9, exec_lo
	v_cmp_eq_u32_e64 s2, 1, v29
	v_cmp_eq_u32_e64 s3, 8, v29
	v_cndmask_b32_e64 v26, v3, v5, s2
	v_cndmask_b32_e64 v27, v2, v4, s2
	v_cmp_eq_u32_e64 s2, 2, v29
	v_cndmask_b32_e64 v26, v26, v7, s2
	v_cndmask_b32_e64 v27, v27, v6, s2
	;; [unrolled: 3-line block ×7, first 2 shown]
	ds_read_b64 v[26:27], v28 offset:16
	v_cmp_eq_u32_e64 s2, 9, v29
	v_cndmask_b32_e64 v30, v30, v19, s3
	v_cndmask_b32_e64 v31, v31, v18, s3
	v_cndmask_b32_e64 v30, v30, v21, s2
	v_cndmask_b32_e64 v31, v31, v20, s2
	v_cmp_eq_u32_e64 s2, 10, v29
	v_cndmask_b32_e64 v30, v30, v23, s2
	v_cndmask_b32_e64 v29, v31, v22, s2
	s_waitcnt lgkmcnt(0)
	v_fma_f64 v[24:25], v[29:30], v[26:27], v[24:25]
	v_cmpx_ne_u32_e32 5, v0
	s_cbranch_execz .LBB74_56
; %bb.47:
	v_add_nc_u32_e32 v29, 3, v0
	v_cmp_eq_u32_e64 s2, 1, v29
	v_cmp_eq_u32_e64 s3, 8, v29
	v_cndmask_b32_e64 v26, v3, v5, s2
	v_cndmask_b32_e64 v27, v2, v4, s2
	v_cmp_eq_u32_e64 s2, 2, v29
	v_cndmask_b32_e64 v26, v26, v7, s2
	v_cndmask_b32_e64 v27, v27, v6, s2
	;; [unrolled: 3-line block ×7, first 2 shown]
	ds_read_b64 v[26:27], v28 offset:24
	v_cmp_eq_u32_e64 s2, 9, v29
	v_cndmask_b32_e64 v30, v30, v19, s3
	v_cndmask_b32_e64 v31, v31, v18, s3
	v_cndmask_b32_e64 v30, v30, v21, s2
	v_cndmask_b32_e64 v31, v31, v20, s2
	v_cmp_eq_u32_e64 s2, 10, v29
	v_cndmask_b32_e64 v30, v30, v23, s2
	v_cndmask_b32_e64 v29, v31, v22, s2
	s_waitcnt lgkmcnt(0)
	v_fma_f64 v[24:25], v[29:30], v[26:27], v[24:25]
	s_and_saveexec_b32 s3, s1
	s_cbranch_execz .LBB74_55
; %bb.48:
	v_or_b32_e32 v29, 4, v0
	s_mov_b32 s10, exec_lo
	v_cmp_eq_u32_e64 s1, 1, v29
	v_cmp_eq_u32_e64 s2, 8, v29
	v_cndmask_b32_e64 v26, v3, v5, s1
	v_cndmask_b32_e64 v27, v2, v4, s1
	v_cmp_eq_u32_e64 s1, 2, v29
	v_cndmask_b32_e64 v26, v26, v7, s1
	v_cndmask_b32_e64 v27, v27, v6, s1
	;; [unrolled: 3-line block ×7, first 2 shown]
	ds_read_b64 v[26:27], v28 offset:32
	v_cmp_eq_u32_e64 s1, 9, v29
	v_cndmask_b32_e64 v30, v30, v19, s2
	v_cndmask_b32_e64 v31, v31, v18, s2
	;; [unrolled: 1-line block ×4, first 2 shown]
	v_cmp_eq_u32_e64 s1, 10, v29
	v_cndmask_b32_e64 v30, v30, v23, s1
	v_cndmask_b32_e64 v29, v31, v22, s1
	s_waitcnt lgkmcnt(0)
	v_fma_f64 v[24:25], v[29:30], v[26:27], v[24:25]
	v_cmpx_ne_u32_e32 3, v0
	s_cbranch_execz .LBB74_54
; %bb.49:
	v_add_nc_u32_e32 v29, 5, v0
	v_cmp_eq_u32_e64 s1, 1, v29
	v_cmp_eq_u32_e64 s2, 8, v29
	v_cndmask_b32_e64 v26, v3, v5, s1
	v_cndmask_b32_e64 v27, v2, v4, s1
	v_cmp_eq_u32_e64 s1, 2, v29
	v_cndmask_b32_e64 v26, v26, v7, s1
	v_cndmask_b32_e64 v27, v27, v6, s1
	;; [unrolled: 3-line block ×7, first 2 shown]
	ds_read_b64 v[26:27], v28 offset:40
	v_cmp_eq_u32_e64 s1, 9, v29
	v_cndmask_b32_e64 v30, v30, v19, s2
	v_cndmask_b32_e64 v31, v31, v18, s2
	;; [unrolled: 1-line block ×4, first 2 shown]
	v_cmp_eq_u32_e64 s1, 10, v29
	v_cndmask_b32_e64 v30, v30, v23, s1
	v_cndmask_b32_e64 v29, v31, v22, s1
	s_waitcnt lgkmcnt(0)
	v_fma_f64 v[24:25], v[29:30], v[26:27], v[24:25]
	s_and_saveexec_b32 s2, vcc_lo
	s_cbranch_execz .LBB74_53
; %bb.50:
	v_or_b32_e32 v29, 6, v0
	v_cmp_eq_u32_e32 vcc_lo, 1, v29
	v_cmp_eq_u32_e64 s1, 8, v29
	v_cndmask_b32_e32 v26, v3, v5, vcc_lo
	v_cndmask_b32_e32 v27, v2, v4, vcc_lo
	v_cmp_eq_u32_e32 vcc_lo, 2, v29
	v_cndmask_b32_e32 v26, v26, v7, vcc_lo
	v_cndmask_b32_e32 v27, v27, v6, vcc_lo
	v_cmp_eq_u32_e32 vcc_lo, 3, v29
	;; [unrolled: 3-line block ×6, first 2 shown]
	v_cndmask_b32_e32 v30, v26, v17, vcc_lo
	v_cndmask_b32_e32 v31, v27, v16, vcc_lo
	ds_read_b64 v[26:27], v28 offset:48
	v_cmp_eq_u32_e32 vcc_lo, 9, v29
	v_cndmask_b32_e64 v19, v30, v19, s1
	v_cndmask_b32_e64 v18, v31, v18, s1
	v_cndmask_b32_e32 v19, v19, v21, vcc_lo
	v_cndmask_b32_e32 v18, v18, v20, vcc_lo
	v_cmp_eq_u32_e32 vcc_lo, 10, v29
	v_cndmask_b32_e32 v19, v19, v23, vcc_lo
	v_cndmask_b32_e32 v18, v18, v22, vcc_lo
	s_waitcnt lgkmcnt(0)
	v_fma_f64 v[24:25], v[18:19], v[26:27], v[24:25]
	s_and_saveexec_b32 s1, s0
	s_cbranch_execz .LBB74_52
; %bb.51:
	ds_read_b64 v[18:19], v28 offset:56
	s_waitcnt lgkmcnt(0)
	v_fma_f64 v[24:25], v[16:17], v[18:19], v[24:25]
.LBB74_52:
	s_or_b32 exec_lo, exec_lo, s1
.LBB74_53:
	s_or_b32 exec_lo, exec_lo, s2
.LBB74_54:
	s_or_b32 exec_lo, exec_lo, s10
.LBB74_55:
	s_or_b32 exec_lo, exec_lo, s3
.LBB74_56:
	s_or_b32 exec_lo, exec_lo, s9
.LBB74_57:
	s_or_b32 exec_lo, exec_lo, s4
.LBB74_58:
	s_or_b32 exec_lo, exec_lo, s8
	v_mov_b32_e32 v18, 0
	ds_read_b64 v[18:19], v18 offset:64
	s_waitcnt lgkmcnt(0)
	v_mul_f64 v[18:19], v[24:25], v[18:19]
.LBB74_59:
	s_or_b32 exec_lo, exec_lo, s5
	s_mov_b32 s1, exec_lo
	s_barrier
	buffer_gl0_inv
	ds_write_b64 v28, v[20:21]
	s_waitcnt lgkmcnt(0)
	s_barrier
	buffer_gl0_inv
	v_cmpx_gt_u32_e32 9, v0
	s_cbranch_execz .LBB74_63
; %bb.60:
	v_mov_b32_e32 v24, 0
	v_mov_b32_e32 v27, v1
	v_lshl_add_u32 v29, v0, 3, 0x60
	v_mov_b32_e32 v25, 0
	v_mov_b32_e32 v26, v0
	s_mov_b32 s2, 0
.LBB74_61:                              ; =>This Inner Loop Header: Depth=1
	v_cmp_eq_u32_e32 vcc_lo, 1, v26
	v_cmp_eq_u32_e64 s0, 2, v26
	v_cndmask_b32_e32 v30, v3, v5, vcc_lo
	v_cndmask_b32_e32 v31, v2, v4, vcc_lo
	v_cmp_eq_u32_e32 vcc_lo, 3, v26
	v_cndmask_b32_e64 v30, v30, v7, s0
	v_cndmask_b32_e64 v31, v31, v6, s0
	v_cmp_eq_u32_e64 s0, 4, v26
	v_cndmask_b32_e32 v30, v30, v9, vcc_lo
	v_cndmask_b32_e32 v31, v31, v8, vcc_lo
	v_cmp_eq_u32_e32 vcc_lo, 5, v26
	v_cndmask_b32_e64 v30, v30, v11, s0
	v_cndmask_b32_e64 v31, v31, v10, s0
	v_cmp_eq_u32_e64 s0, 6, v26
	v_cndmask_b32_e32 v30, v30, v13, vcc_lo
	v_cndmask_b32_e32 v31, v31, v12, vcc_lo
	v_cmp_eq_u32_e32 vcc_lo, 7, v26
	v_cndmask_b32_e64 v32, v30, v15, s0
	v_cndmask_b32_e64 v33, v31, v14, s0
	ds_read_b64 v[30:31], v29
	v_cmp_eq_u32_e64 s0, 8, v26
	v_add_nc_u32_e32 v29, 8, v29
	v_cndmask_b32_e32 v32, v32, v17, vcc_lo
	v_cndmask_b32_e32 v33, v33, v16, vcc_lo
	v_cmp_eq_u32_e32 vcc_lo, 9, v26
	v_cndmask_b32_e64 v32, v32, v19, s0
	v_cndmask_b32_e64 v33, v33, v18, s0
	v_cmp_eq_u32_e64 s0, 10, v26
	v_cndmask_b32_e32 v32, v32, v21, vcc_lo
	v_cndmask_b32_e32 v34, v33, v20, vcc_lo
	v_add_co_u32 v26, vcc_lo, v26, 1
	v_add_co_ci_u32_e64 v27, null, 0, v27, vcc_lo
	v_cndmask_b32_e64 v33, v32, v23, s0
	v_cndmask_b32_e64 v32, v34, v22, s0
	s_waitcnt lgkmcnt(0)
	v_fma_f64 v[24:25], v[32:33], v[30:31], v[24:25]
	v_add_nc_u32_e32 v30, -1, v26
	v_cmp_lt_u32_e32 vcc_lo, 7, v30
	s_or_b32 s2, vcc_lo, s2
	s_andn2_b32 exec_lo, exec_lo, s2
	s_cbranch_execnz .LBB74_61
; %bb.62:
	s_or_b32 exec_lo, exec_lo, s2
	v_mov_b32_e32 v20, 0
	ds_read_b64 v[20:21], v20 offset:72
	s_waitcnt lgkmcnt(0)
	v_mul_f64 v[20:21], v[24:25], v[20:21]
.LBB74_63:
	s_or_b32 exec_lo, exec_lo, s1
	s_mov_b32 s1, exec_lo
	s_barrier
	buffer_gl0_inv
	ds_write_b64 v28, v[22:23]
	s_waitcnt lgkmcnt(0)
	s_barrier
	buffer_gl0_inv
	v_cmpx_ne_u32_e32 10, v0
	s_cbranch_execz .LBB74_67
; %bb.64:
	v_mov_b32_e32 v24, 0
	v_mov_b32_e32 v27, v1
	v_lshl_add_u32 v28, v0, 3, 0x60
	v_mov_b32_e32 v25, 0
	v_mov_b32_e32 v26, v0
	s_mov_b32 s2, 0
.LBB74_65:                              ; =>This Inner Loop Header: Depth=1
	v_cmp_eq_u32_e32 vcc_lo, 1, v26
	v_cmp_eq_u32_e64 s0, 2, v26
	v_cndmask_b32_e32 v1, v3, v5, vcc_lo
	v_cndmask_b32_e32 v29, v2, v4, vcc_lo
	v_cmp_eq_u32_e32 vcc_lo, 3, v26
	v_cndmask_b32_e64 v1, v1, v7, s0
	v_cndmask_b32_e64 v29, v29, v6, s0
	v_cmp_eq_u32_e64 s0, 4, v26
	v_cndmask_b32_e32 v1, v1, v9, vcc_lo
	v_cndmask_b32_e32 v29, v29, v8, vcc_lo
	v_cmp_eq_u32_e32 vcc_lo, 5, v26
	v_cndmask_b32_e64 v1, v1, v11, s0
	v_cndmask_b32_e64 v29, v29, v10, s0
	;; [unrolled: 6-line block ×3, first 2 shown]
	ds_read_b64 v[29:30], v28
	v_cmp_eq_u32_e64 s0, 8, v26
	v_add_nc_u32_e32 v28, 8, v28
	v_cndmask_b32_e32 v1, v1, v17, vcc_lo
	v_cndmask_b32_e32 v31, v31, v16, vcc_lo
	v_cmp_eq_u32_e32 vcc_lo, 9, v26
	v_cndmask_b32_e64 v1, v1, v19, s0
	v_cndmask_b32_e64 v31, v31, v18, s0
	v_cmp_eq_u32_e64 s0, 10, v26
	v_cndmask_b32_e32 v1, v1, v21, vcc_lo
	v_cndmask_b32_e32 v31, v31, v20, vcc_lo
	v_add_co_u32 v26, vcc_lo, v26, 1
	v_add_co_ci_u32_e64 v27, null, 0, v27, vcc_lo
	v_cndmask_b32_e64 v32, v1, v23, s0
	v_cndmask_b32_e64 v31, v31, v22, s0
	v_add_nc_u32_e32 v1, -1, v26
	s_waitcnt lgkmcnt(0)
	v_fma_f64 v[24:25], v[31:32], v[29:30], v[24:25]
	v_cmp_lt_u32_e32 vcc_lo, 8, v1
	s_or_b32 s2, vcc_lo, s2
	s_andn2_b32 exec_lo, exec_lo, s2
	s_cbranch_execnz .LBB74_65
; %bb.66:
	s_or_b32 exec_lo, exec_lo, s2
	v_mov_b32_e32 v1, 0
	ds_read_b64 v[22:23], v1 offset:80
	s_waitcnt lgkmcnt(0)
	v_mul_f64 v[22:23], v[24:25], v[22:23]
.LBB74_67:
	s_or_b32 exec_lo, exec_lo, s1
	s_barrier
	buffer_gl0_inv
	s_cbranch_execnz .LBB74_15
	s_branch .LBB74_16
.LBB74_68:
	v_lshl_add_u32 v1, v0, 3, 0x60
	s_mov_b32 s0, exec_lo
	v_cmpx_eq_u32_e32 10, v0
	s_cbranch_execz .LBB74_70
; %bb.69:
	v_mov_b32_e32 v42, 0
	s_waitcnt lgkmcnt(10)
	v_mov_b32_e32 v24, v2
	s_waitcnt lgkmcnt(5)
	v_mov_b32_e32 v34, v12
	v_mov_b32_e32 v35, v13
	s_waitcnt lgkmcnt(4)
	v_mov_b32_e32 v36, v14
	;; [unrolled: 3-line block ×5, first 2 shown]
	v_mov_b32_e32 v45, v23
	v_mov_b32_e32 v43, v42
	;; [unrolled: 1-line block ×11, first 2 shown]
	ds_write_b64 v1, v[20:21]
	v_mov_b32_e32 v2, v24
	v_mov_b32_e32 v3, v25
	v_mov_b32_e32 v4, v26
	v_mov_b32_e32 v5, v27
	v_mov_b32_e32 v6, v28
	v_mov_b32_e32 v7, v29
	v_mov_b32_e32 v8, v30
	v_mov_b32_e32 v9, v31
	v_mov_b32_e32 v10, v32
	v_mov_b32_e32 v11, v33
	v_mov_b32_e32 v12, v34
	v_mov_b32_e32 v13, v35
	v_mov_b32_e32 v14, v36
	v_mov_b32_e32 v15, v37
	v_mov_b32_e32 v16, v38
	v_mov_b32_e32 v17, v39
	v_mov_b32_e32 v18, v40
	v_mov_b32_e32 v19, v41
	v_mov_b32_e32 v20, v42
	v_mov_b32_e32 v21, v43
	v_mov_b32_e32 v22, v44
	v_mov_b32_e32 v23, v45
	v_mov_b32_e32 v24, v46
	v_mov_b32_e32 v25, v47
	v_mov_b32_e32 v26, v48
	v_mov_b32_e32 v27, v49
	v_mov_b32_e32 v28, v50
	v_mov_b32_e32 v29, v51
	v_mov_b32_e32 v30, v52
	v_mov_b32_e32 v31, v53
	v_mov_b32_e32 v32, v54
	v_mov_b32_e32 v33, v55
.LBB74_70:
	s_or_b32 exec_lo, exec_lo, s0
	v_mov_b32_e32 v40, 0
	s_waitcnt lgkmcnt(0)
	s_waitcnt_vscnt null, 0x0
	s_barrier
	buffer_gl0_inv
	s_mov_b32 s0, exec_lo
	ds_read_b64 v[24:25], v40 offset:176
	s_waitcnt lgkmcnt(0)
	v_fma_f64 v[24:25], v[22:23], v[24:25], 0
	v_add_f64 v[20:21], v[20:21], -v[24:25]
	v_cmpx_lt_u32_e32 8, v0
	s_cbranch_execz .LBB74_72
; %bb.71:
	v_mov_b32_e32 v24, v2
	v_mov_b32_e32 v34, v12
	;; [unrolled: 1-line block ×21, first 2 shown]
	ds_write_b64 v1, v[18:19]
	v_mov_b32_e32 v2, v24
	v_mov_b32_e32 v3, v25
	;; [unrolled: 1-line block ×32, first 2 shown]
.LBB74_72:
	s_or_b32 exec_lo, exec_lo, s0
	s_waitcnt lgkmcnt(0)
	s_barrier
	buffer_gl0_inv
	ds_read2_b64 v[24:27], v40 offset0:21 offset1:22
	s_mov_b32 s0, exec_lo
	s_waitcnt lgkmcnt(0)
	v_fma_f64 v[24:25], v[20:21], v[24:25], 0
	v_fma_f64 v[24:25], v[22:23], v[26:27], v[24:25]
	v_add_f64 v[18:19], v[18:19], -v[24:25]
	v_cmpx_lt_u32_e32 7, v0
	s_cbranch_execz .LBB74_74
; %bb.73:
	v_mov_b32_e32 v38, 0
	v_mov_b32_e32 v24, v2
	;; [unrolled: 1-line block ×22, first 2 shown]
	ds_write_b64 v1, v[16:17]
	v_mov_b32_e32 v2, v24
	v_mov_b32_e32 v3, v25
	;; [unrolled: 1-line block ×32, first 2 shown]
.LBB74_74:
	s_or_b32 exec_lo, exec_lo, s0
	v_mov_b32_e32 v36, 0
	s_waitcnt lgkmcnt(0)
	s_barrier
	buffer_gl0_inv
	s_mov_b32 s0, exec_lo
	ds_read_b128 v[24:27], v36 offset:160
	ds_read_b64 v[28:29], v36 offset:176
	s_waitcnt lgkmcnt(1)
	v_fma_f64 v[24:25], v[18:19], v[24:25], 0
	v_fma_f64 v[24:25], v[20:21], v[26:27], v[24:25]
	s_waitcnt lgkmcnt(0)
	v_fma_f64 v[24:25], v[22:23], v[28:29], v[24:25]
	v_add_f64 v[16:17], v[16:17], -v[24:25]
	v_cmpx_lt_u32_e32 6, v0
	s_cbranch_execz .LBB74_76
; %bb.75:
	v_mov_b32_e32 v24, v2
	v_mov_b32_e32 v34, v12
	;; [unrolled: 1-line block ×21, first 2 shown]
	ds_write_b64 v1, v[14:15]
	v_mov_b32_e32 v2, v24
	v_mov_b32_e32 v3, v25
	;; [unrolled: 1-line block ×32, first 2 shown]
.LBB74_76:
	s_or_b32 exec_lo, exec_lo, s0
	s_waitcnt lgkmcnt(0)
	s_barrier
	buffer_gl0_inv
	ds_read2_b64 v[24:27], v36 offset0:19 offset1:20
	ds_read2_b64 v[28:31], v36 offset0:21 offset1:22
	s_mov_b32 s0, exec_lo
	s_waitcnt lgkmcnt(1)
	v_fma_f64 v[24:25], v[16:17], v[24:25], 0
	v_fma_f64 v[24:25], v[18:19], v[26:27], v[24:25]
	s_waitcnt lgkmcnt(0)
	v_fma_f64 v[24:25], v[20:21], v[28:29], v[24:25]
	v_fma_f64 v[24:25], v[22:23], v[30:31], v[24:25]
	v_add_f64 v[14:15], v[14:15], -v[24:25]
	v_cmpx_lt_u32_e32 5, v0
	s_cbranch_execz .LBB74_78
; %bb.77:
	v_mov_b32_e32 v34, 0
	v_mov_b32_e32 v24, v2
	;; [unrolled: 1-line block ×22, first 2 shown]
	ds_write_b64 v1, v[12:13]
	v_mov_b32_e32 v2, v24
	v_mov_b32_e32 v3, v25
	;; [unrolled: 1-line block ×32, first 2 shown]
.LBB74_78:
	s_or_b32 exec_lo, exec_lo, s0
	v_mov_b32_e32 v34, 0
	s_waitcnt lgkmcnt(0)
	s_barrier
	buffer_gl0_inv
	s_mov_b32 s0, exec_lo
	ds_read_b128 v[24:27], v34 offset:144
	ds_read_b128 v[28:31], v34 offset:160
	s_waitcnt lgkmcnt(1)
	v_fma_f64 v[24:25], v[14:15], v[24:25], 0
	v_fma_f64 v[24:25], v[16:17], v[26:27], v[24:25]
	ds_read_b64 v[26:27], v34 offset:176
	s_waitcnt lgkmcnt(1)
	v_fma_f64 v[24:25], v[18:19], v[28:29], v[24:25]
	v_fma_f64 v[24:25], v[20:21], v[30:31], v[24:25]
	s_waitcnt lgkmcnt(0)
	v_fma_f64 v[24:25], v[22:23], v[26:27], v[24:25]
	v_add_f64 v[12:13], v[12:13], -v[24:25]
	v_cmpx_lt_u32_e32 4, v0
	s_cbranch_execz .LBB74_80
; %bb.79:
	v_mov_b32_e32 v26, v2
	v_mov_b32_e32 v35, v34
	;; [unrolled: 1-line block ×21, first 2 shown]
	ds_write_b64 v1, v[10:11]
	v_mov_b32_e32 v2, v26
	v_mov_b32_e32 v3, v27
	;; [unrolled: 1-line block ×32, first 2 shown]
.LBB74_80:
	s_or_b32 exec_lo, exec_lo, s0
	s_waitcnt lgkmcnt(0)
	s_barrier
	buffer_gl0_inv
	ds_read2_b64 v[24:27], v34 offset0:17 offset1:18
	ds_read2_b64 v[28:31], v34 offset0:19 offset1:20
	s_mov_b32 s0, exec_lo
	s_waitcnt lgkmcnt(1)
	v_fma_f64 v[24:25], v[12:13], v[24:25], 0
	v_fma_f64 v[24:25], v[14:15], v[26:27], v[24:25]
	s_waitcnt lgkmcnt(0)
	v_fma_f64 v[24:25], v[16:17], v[28:29], v[24:25]
	v_fma_f64 v[28:29], v[18:19], v[30:31], v[24:25]
	ds_read2_b64 v[24:27], v34 offset0:21 offset1:22
	s_waitcnt lgkmcnt(0)
	v_fma_f64 v[24:25], v[20:21], v[24:25], v[28:29]
	v_fma_f64 v[24:25], v[22:23], v[26:27], v[24:25]
	v_add_f64 v[10:11], v[10:11], -v[24:25]
	v_cmpx_lt_u32_e32 3, v0
	s_cbranch_execz .LBB74_82
; %bb.81:
	v_mov_b32_e32 v30, 0
	v_mov_b32_e32 v24, v2
	;; [unrolled: 1-line block ×22, first 2 shown]
	ds_write_b64 v1, v[8:9]
	v_mov_b32_e32 v2, v24
	v_mov_b32_e32 v3, v25
	;; [unrolled: 1-line block ×32, first 2 shown]
.LBB74_82:
	s_or_b32 exec_lo, exec_lo, s0
	v_mov_b32_e32 v34, 0
	s_waitcnt lgkmcnt(0)
	s_barrier
	buffer_gl0_inv
	s_mov_b32 s0, exec_lo
	ds_read_b128 v[24:27], v34 offset:128
	ds_read_b128 v[28:31], v34 offset:144
	s_waitcnt lgkmcnt(1)
	v_fma_f64 v[24:25], v[10:11], v[24:25], 0
	v_fma_f64 v[24:25], v[12:13], v[26:27], v[24:25]
	s_waitcnt lgkmcnt(0)
	v_fma_f64 v[24:25], v[14:15], v[28:29], v[24:25]
	v_fma_f64 v[28:29], v[16:17], v[30:31], v[24:25]
	ds_read_b128 v[24:27], v34 offset:160
	ds_read_b64 v[30:31], v34 offset:176
	s_waitcnt lgkmcnt(1)
	v_fma_f64 v[24:25], v[18:19], v[24:25], v[28:29]
	v_fma_f64 v[24:25], v[20:21], v[26:27], v[24:25]
	s_waitcnt lgkmcnt(0)
	v_fma_f64 v[24:25], v[22:23], v[30:31], v[24:25]
	v_add_f64 v[8:9], v[8:9], -v[24:25]
	v_cmpx_lt_u32_e32 2, v0
	s_cbranch_execz .LBB74_84
; %bb.83:
	v_mov_b32_e32 v30, v2
	v_mov_b32_e32 v35, v34
	;; [unrolled: 1-line block ×21, first 2 shown]
	ds_write_b64 v1, v[6:7]
	v_mov_b32_e32 v2, v30
	v_mov_b32_e32 v3, v31
	;; [unrolled: 1-line block ×32, first 2 shown]
.LBB74_84:
	s_or_b32 exec_lo, exec_lo, s0
	s_waitcnt lgkmcnt(0)
	s_barrier
	buffer_gl0_inv
	ds_read2_b64 v[24:27], v34 offset0:15 offset1:16
	ds_read2_b64 v[28:31], v34 offset0:17 offset1:18
	s_mov_b32 s0, exec_lo
	s_waitcnt lgkmcnt(1)
	v_fma_f64 v[24:25], v[8:9], v[24:25], 0
	v_fma_f64 v[24:25], v[10:11], v[26:27], v[24:25]
	s_waitcnt lgkmcnt(0)
	v_fma_f64 v[24:25], v[12:13], v[28:29], v[24:25]
	v_fma_f64 v[32:33], v[14:15], v[30:31], v[24:25]
	ds_read2_b64 v[24:27], v34 offset0:19 offset1:20
	ds_read2_b64 v[28:31], v34 offset0:21 offset1:22
	s_waitcnt lgkmcnt(1)
	v_fma_f64 v[24:25], v[16:17], v[24:25], v[32:33]
	v_fma_f64 v[24:25], v[18:19], v[26:27], v[24:25]
	s_waitcnt lgkmcnt(0)
	v_fma_f64 v[24:25], v[20:21], v[28:29], v[24:25]
	v_fma_f64 v[24:25], v[22:23], v[30:31], v[24:25]
	v_add_f64 v[6:7], v[6:7], -v[24:25]
	v_cmpx_lt_u32_e32 1, v0
	s_cbranch_execz .LBB74_86
; %bb.85:
	v_mov_b32_e32 v26, 0
	v_mov_b32_e32 v24, v2
	v_mov_b32_e32 v34, v12
	v_mov_b32_e32 v35, v13
	v_mov_b32_e32 v36, v14
	v_mov_b32_e32 v37, v15
	v_mov_b32_e32 v38, v16
	v_mov_b32_e32 v39, v17
	v_mov_b32_e32 v40, v18
	v_mov_b32_e32 v41, v19
	v_mov_b32_e32 v42, v20
	v_mov_b32_e32 v43, v21
	v_mov_b32_e32 v44, v22
	v_mov_b32_e32 v45, v23
	v_mov_b32_e32 v25, v3
	v_mov_b32_e32 v28, v6
	v_mov_b32_e32 v29, v7
	v_mov_b32_e32 v27, v26
	v_mov_b32_e32 v30, v8
	v_mov_b32_e32 v31, v9
	v_mov_b32_e32 v32, v10
	v_mov_b32_e32 v33, v11
	ds_write_b64 v1, v[4:5]
	v_mov_b32_e32 v2, v24
	v_mov_b32_e32 v3, v25
	v_mov_b32_e32 v4, v26
	v_mov_b32_e32 v5, v27
	v_mov_b32_e32 v6, v28
	v_mov_b32_e32 v7, v29
	v_mov_b32_e32 v8, v30
	v_mov_b32_e32 v9, v31
	v_mov_b32_e32 v10, v32
	v_mov_b32_e32 v11, v33
	v_mov_b32_e32 v12, v34
	v_mov_b32_e32 v13, v35
	v_mov_b32_e32 v14, v36
	v_mov_b32_e32 v15, v37
	v_mov_b32_e32 v16, v38
	v_mov_b32_e32 v17, v39
	v_mov_b32_e32 v18, v40
	v_mov_b32_e32 v19, v41
	v_mov_b32_e32 v20, v42
	v_mov_b32_e32 v21, v43
	v_mov_b32_e32 v22, v44
	v_mov_b32_e32 v23, v45
	v_mov_b32_e32 v24, v46
	v_mov_b32_e32 v25, v47
	v_mov_b32_e32 v26, v48
	v_mov_b32_e32 v27, v49
	v_mov_b32_e32 v28, v50
	v_mov_b32_e32 v29, v51
	v_mov_b32_e32 v30, v52
	v_mov_b32_e32 v31, v53
	v_mov_b32_e32 v32, v54
	v_mov_b32_e32 v33, v55
.LBB74_86:
	s_or_b32 exec_lo, exec_lo, s0
	v_mov_b32_e32 v34, 0
	s_waitcnt lgkmcnt(0)
	s_barrier
	buffer_gl0_inv
	s_mov_b32 s0, exec_lo
	ds_read_b128 v[24:27], v34 offset:112
	ds_read_b128 v[28:31], v34 offset:128
	s_waitcnt lgkmcnt(1)
	v_fma_f64 v[24:25], v[6:7], v[24:25], 0
	v_fma_f64 v[24:25], v[8:9], v[26:27], v[24:25]
	s_waitcnt lgkmcnt(0)
	v_fma_f64 v[24:25], v[10:11], v[28:29], v[24:25]
	v_fma_f64 v[32:33], v[12:13], v[30:31], v[24:25]
	ds_read_b128 v[24:27], v34 offset:144
	ds_read_b128 v[28:31], v34 offset:160
	s_waitcnt lgkmcnt(1)
	v_fma_f64 v[24:25], v[14:15], v[24:25], v[32:33]
	v_fma_f64 v[24:25], v[16:17], v[26:27], v[24:25]
	ds_read_b64 v[26:27], v34 offset:176
	s_waitcnt lgkmcnt(1)
	v_fma_f64 v[24:25], v[18:19], v[28:29], v[24:25]
	v_fma_f64 v[24:25], v[20:21], v[30:31], v[24:25]
	s_waitcnt lgkmcnt(0)
	v_fma_f64 v[24:25], v[22:23], v[26:27], v[24:25]
	v_add_f64 v[4:5], v[4:5], -v[24:25]
	v_cmpx_ne_u32_e32 0, v0
	s_cbranch_execz .LBB74_88
; %bb.87:
	v_mov_b32_e32 v35, v34
	v_mov_b32_e32 v36, v4
	;; [unrolled: 1-line block ×21, first 2 shown]
	ds_write_b64 v1, v[2:3]
	v_mov_b32_e32 v2, v34
	v_mov_b32_e32 v3, v35
	;; [unrolled: 1-line block ×32, first 2 shown]
.LBB74_88:
	s_or_b32 exec_lo, exec_lo, s0
	s_waitcnt lgkmcnt(0)
	s_barrier
	buffer_gl0_inv
	ds_read2_b64 v[24:27], v34 offset0:13 offset1:14
	ds_read2_b64 v[28:31], v34 offset0:15 offset1:16
	s_and_b32 vcc_lo, exec_lo, s18
	s_waitcnt lgkmcnt(1)
	v_fma_f64 v[0:1], v[4:5], v[24:25], 0
	v_fma_f64 v[0:1], v[6:7], v[26:27], v[0:1]
	s_waitcnt lgkmcnt(0)
	v_fma_f64 v[0:1], v[8:9], v[28:29], v[0:1]
	v_fma_f64 v[0:1], v[10:11], v[30:31], v[0:1]
	ds_read2_b64 v[24:27], v34 offset0:17 offset1:18
	ds_read2_b64 v[28:31], v34 offset0:19 offset1:20
	s_waitcnt lgkmcnt(1)
	v_fma_f64 v[0:1], v[12:13], v[24:25], v[0:1]
	v_fma_f64 v[0:1], v[14:15], v[26:27], v[0:1]
	ds_read2_b64 v[24:27], v34 offset0:21 offset1:22
	s_waitcnt lgkmcnt(1)
	v_fma_f64 v[0:1], v[16:17], v[28:29], v[0:1]
	v_fma_f64 v[0:1], v[18:19], v[30:31], v[0:1]
	s_waitcnt lgkmcnt(0)
	v_fma_f64 v[0:1], v[20:21], v[24:25], v[0:1]
	v_fma_f64 v[0:1], v[22:23], v[26:27], v[0:1]
	v_add_f64 v[2:3], v[2:3], -v[0:1]
	s_cbranch_vccz .LBB74_109
; %bb.89:
	v_mov_b32_e32 v0, 0
	global_load_dword v1, v0, s[16:17] offset:36
	s_waitcnt vmcnt(0)
	v_readfirstlane_b32 s0, v1
	s_add_i32 s0, s0, -1
	s_cmp_lg_u32 s0, 9
	s_cbranch_scc0 .LBB74_91
; %bb.90:
	s_lshl_b32 m0, s0, 1
	v_movrels_b32_e32 v1, v2
	v_movrels_b32_e32 v54, v3
	v_mov_b32_e32 v53, v33
	v_mov_b32_e32 v52, v32
	;; [unrolled: 1-line block ×34, first 2 shown]
	v_movreld_b32_e32 v22, v20
	v_movreld_b32_e32 v23, v21
	v_mov_b32_e32 v2, v22
	v_mov_b32_e32 v3, v23
	;; [unrolled: 1-line block ×32, first 2 shown]
.LBB74_91:
	global_load_dword v0, v0, s[16:17] offset:32
	s_waitcnt vmcnt(0)
	v_readfirstlane_b32 s0, v0
	s_add_i32 s0, s0, -1
	s_cmp_eq_u32 s0, 8
	s_cbranch_scc1 .LBB74_93
; %bb.92:
	s_lshl_b32 m0, s0, 1
	v_movrels_b32_e32 v0, v2
	v_movrels_b32_e32 v1, v3
	v_mov_b32_e32 v51, v33
	v_mov_b32_e32 v50, v32
	;; [unrolled: 1-line block ×34, first 2 shown]
	v_movreld_b32_e32 v20, v18
	v_movreld_b32_e32 v21, v19
	v_mov_b32_e32 v2, v20
	v_mov_b32_e32 v3, v21
	;; [unrolled: 1-line block ×32, first 2 shown]
.LBB74_93:
	v_mov_b32_e32 v0, 0
	global_load_dword v1, v0, s[16:17] offset:28
	s_waitcnt vmcnt(0)
	v_readfirstlane_b32 s0, v1
	s_add_i32 s0, s0, -1
	s_cmp_eq_u32 s0, 7
	s_cbranch_scc1 .LBB74_95
; %bb.94:
	s_lshl_b32 m0, s0, 1
	v_movrels_b32_e32 v1, v2
	v_movrels_b32_e32 v50, v3
	v_mov_b32_e32 v49, v33
	v_mov_b32_e32 v48, v32
	;; [unrolled: 1-line block ×34, first 2 shown]
	v_movreld_b32_e32 v18, v16
	v_movreld_b32_e32 v19, v17
	v_mov_b32_e32 v2, v18
	v_mov_b32_e32 v3, v19
	;; [unrolled: 1-line block ×32, first 2 shown]
.LBB74_95:
	global_load_dword v0, v0, s[16:17] offset:24
	s_waitcnt vmcnt(0)
	v_readfirstlane_b32 s0, v0
	s_add_i32 s0, s0, -1
	s_cmp_eq_u32 s0, 6
	s_cbranch_scc1 .LBB74_97
; %bb.96:
	s_lshl_b32 m0, s0, 1
	v_movrels_b32_e32 v0, v2
	v_movrels_b32_e32 v1, v3
	v_mov_b32_e32 v47, v33
	v_mov_b32_e32 v46, v32
	;; [unrolled: 1-line block ×34, first 2 shown]
	v_movreld_b32_e32 v16, v14
	v_movreld_b32_e32 v17, v15
	v_mov_b32_e32 v2, v16
	v_mov_b32_e32 v3, v17
	;; [unrolled: 1-line block ×32, first 2 shown]
.LBB74_97:
	v_mov_b32_e32 v0, 0
	global_load_dword v1, v0, s[16:17] offset:20
	s_waitcnt vmcnt(0)
	v_readfirstlane_b32 s0, v1
	s_add_i32 s0, s0, -1
	s_cmp_eq_u32 s0, 5
	s_cbranch_scc1 .LBB74_99
; %bb.98:
	s_lshl_b32 m0, s0, 1
	v_movrels_b32_e32 v1, v2
	v_movrels_b32_e32 v46, v3
	v_mov_b32_e32 v45, v33
	v_mov_b32_e32 v44, v32
	;; [unrolled: 1-line block ×34, first 2 shown]
	v_movreld_b32_e32 v14, v12
	v_movreld_b32_e32 v15, v13
	v_mov_b32_e32 v2, v14
	v_mov_b32_e32 v3, v15
	;; [unrolled: 1-line block ×32, first 2 shown]
.LBB74_99:
	global_load_dword v0, v0, s[16:17] offset:16
	s_waitcnt vmcnt(0)
	v_readfirstlane_b32 s0, v0
	s_add_i32 s0, s0, -1
	s_cmp_eq_u32 s0, 4
	s_cbranch_scc1 .LBB74_101
; %bb.100:
	s_lshl_b32 m0, s0, 1
	v_movrels_b32_e32 v0, v2
	v_movrels_b32_e32 v1, v3
	v_mov_b32_e32 v43, v33
	v_mov_b32_e32 v42, v32
	;; [unrolled: 1-line block ×34, first 2 shown]
	v_movreld_b32_e32 v12, v10
	v_movreld_b32_e32 v13, v11
	v_mov_b32_e32 v2, v12
	v_mov_b32_e32 v3, v13
	;; [unrolled: 1-line block ×32, first 2 shown]
.LBB74_101:
	v_mov_b32_e32 v0, 0
	global_load_dword v1, v0, s[16:17] offset:12
	s_waitcnt vmcnt(0)
	v_readfirstlane_b32 s0, v1
	s_add_i32 s0, s0, -1
	s_cmp_eq_u32 s0, 3
	s_cbranch_scc1 .LBB74_103
; %bb.102:
	s_lshl_b32 m0, s0, 1
	v_movrels_b32_e32 v1, v2
	v_movrels_b32_e32 v42, v3
	v_mov_b32_e32 v41, v33
	v_mov_b32_e32 v40, v32
	;; [unrolled: 1-line block ×34, first 2 shown]
	v_movreld_b32_e32 v10, v8
	v_movreld_b32_e32 v11, v9
	v_mov_b32_e32 v2, v10
	v_mov_b32_e32 v3, v11
	;; [unrolled: 1-line block ×32, first 2 shown]
.LBB74_103:
	global_load_dword v0, v0, s[16:17] offset:8
	s_waitcnt vmcnt(0)
	v_readfirstlane_b32 s0, v0
	s_add_i32 s0, s0, -1
	s_cmp_eq_u32 s0, 2
	s_cbranch_scc1 .LBB74_105
; %bb.104:
	s_lshl_b32 m0, s0, 1
	v_movrels_b32_e32 v0, v2
	v_movrels_b32_e32 v1, v3
	v_mov_b32_e32 v39, v33
	v_mov_b32_e32 v38, v32
	;; [unrolled: 1-line block ×34, first 2 shown]
	v_movreld_b32_e32 v8, v6
	v_movreld_b32_e32 v9, v7
	v_mov_b32_e32 v2, v8
	v_mov_b32_e32 v3, v9
	v_mov_b32_e32 v4, v10
	v_mov_b32_e32 v5, v11
	v_mov_b32_e32 v6, v12
	v_mov_b32_e32 v7, v13
	v_mov_b32_e32 v8, v14
	v_mov_b32_e32 v9, v15
	v_mov_b32_e32 v10, v16
	v_mov_b32_e32 v11, v17
	v_mov_b32_e32 v12, v18
	v_mov_b32_e32 v13, v19
	v_mov_b32_e32 v14, v20
	v_mov_b32_e32 v15, v21
	v_mov_b32_e32 v16, v22
	v_mov_b32_e32 v17, v23
	v_mov_b32_e32 v18, v24
	v_mov_b32_e32 v19, v25
	v_mov_b32_e32 v20, v26
	v_mov_b32_e32 v21, v27
	v_mov_b32_e32 v22, v28
	v_mov_b32_e32 v23, v29
	v_mov_b32_e32 v24, v30
	v_mov_b32_e32 v25, v31
	v_mov_b32_e32 v26, v32
	v_mov_b32_e32 v27, v33
	v_mov_b32_e32 v28, v34
	v_mov_b32_e32 v29, v35
	v_mov_b32_e32 v30, v36
	v_mov_b32_e32 v31, v37
	v_mov_b32_e32 v32, v38
	v_mov_b32_e32 v33, v39
.LBB74_105:
	v_mov_b32_e32 v0, 0
	global_load_dword v1, v0, s[16:17] offset:4
	s_waitcnt vmcnt(0)
	v_readfirstlane_b32 s0, v1
	s_add_i32 s0, s0, -1
	s_cmp_eq_u32 s0, 1
	s_cbranch_scc1 .LBB74_107
; %bb.106:
	s_lshl_b32 m0, s0, 1
	v_movrels_b32_e32 v1, v2
	v_movrels_b32_e32 v38, v3
	v_mov_b32_e32 v37, v33
	v_mov_b32_e32 v36, v32
	;; [unrolled: 1-line block ×34, first 2 shown]
	v_movreld_b32_e32 v6, v4
	v_movreld_b32_e32 v7, v5
	v_mov_b32_e32 v2, v6
	v_mov_b32_e32 v3, v7
	;; [unrolled: 1-line block ×32, first 2 shown]
.LBB74_107:
	global_load_dword v0, v0, s[16:17]
	s_waitcnt vmcnt(0)
	v_readfirstlane_b32 s0, v0
	s_add_i32 s0, s0, -1
	s_cmp_eq_u32 s0, 0
	s_cbranch_scc1 .LBB74_109
; %bb.108:
	s_lshl_b32 m0, s0, 1
	v_movrels_b32_e32 v0, v2
	v_movrels_b32_e32 v1, v3
	v_mov_b32_e32 v35, v33
	v_mov_b32_e32 v34, v32
	v_mov_b32_e32 v33, v31
	v_mov_b32_e32 v32, v30
	v_mov_b32_e32 v31, v29
	v_mov_b32_e32 v30, v28
	v_mov_b32_e32 v29, v27
	v_mov_b32_e32 v28, v26
	v_mov_b32_e32 v27, v25
	v_mov_b32_e32 v26, v24
	v_mov_b32_e32 v25, v23
	v_mov_b32_e32 v24, v22
	v_mov_b32_e32 v23, v21
	v_mov_b32_e32 v22, v20
	v_mov_b32_e32 v21, v19
	v_mov_b32_e32 v20, v18
	v_mov_b32_e32 v19, v17
	v_mov_b32_e32 v18, v16
	v_mov_b32_e32 v17, v15
	v_mov_b32_e32 v16, v14
	v_mov_b32_e32 v15, v13
	v_mov_b32_e32 v14, v12
	v_mov_b32_e32 v13, v11
	v_mov_b32_e32 v12, v10
	v_mov_b32_e32 v11, v9
	v_mov_b32_e32 v10, v8
	v_mov_b32_e32 v9, v7
	v_mov_b32_e32 v8, v6
	v_mov_b32_e32 v7, v5
	v_mov_b32_e32 v6, v4
	v_mov_b32_e32 v5, v3
	v_mov_b32_e32 v4, v2
	v_mov_b32_e32 v4, v0
	v_mov_b32_e32 v5, v1
	v_movreld_b32_e32 v4, v2
	v_movreld_b32_e32 v5, v3
	v_mov_b32_e32 v2, v4
	v_mov_b32_e32 v3, v5
	;; [unrolled: 1-line block ×32, first 2 shown]
.LBB74_109:
	flat_store_dwordx2 v[56:57], v[2:3]
	flat_store_dwordx2 v[58:59], v[4:5]
	;; [unrolled: 1-line block ×11, first 2 shown]
	s_endpgm
	.section	.rodata,"a",@progbits
	.p2align	6, 0x0
	.amdhsa_kernel _ZN9rocsolver6v33100L18getri_kernel_smallILi11EdPKPdEEvT1_iilPiilS6_bb
		.amdhsa_group_segment_fixed_size 184
		.amdhsa_private_segment_fixed_size 0
		.amdhsa_kernarg_size 60
		.amdhsa_user_sgpr_count 6
		.amdhsa_user_sgpr_private_segment_buffer 1
		.amdhsa_user_sgpr_dispatch_ptr 0
		.amdhsa_user_sgpr_queue_ptr 0
		.amdhsa_user_sgpr_kernarg_segment_ptr 1
		.amdhsa_user_sgpr_dispatch_id 0
		.amdhsa_user_sgpr_flat_scratch_init 0
		.amdhsa_user_sgpr_private_segment_size 0
		.amdhsa_wavefront_size32 1
		.amdhsa_uses_dynamic_stack 0
		.amdhsa_system_sgpr_private_segment_wavefront_offset 0
		.amdhsa_system_sgpr_workgroup_id_x 1
		.amdhsa_system_sgpr_workgroup_id_y 0
		.amdhsa_system_sgpr_workgroup_id_z 0
		.amdhsa_system_sgpr_workgroup_info 0
		.amdhsa_system_vgpr_workitem_id 0
		.amdhsa_next_free_vgpr 78
		.amdhsa_next_free_sgpr 19
		.amdhsa_reserve_vcc 1
		.amdhsa_reserve_flat_scratch 1
		.amdhsa_float_round_mode_32 0
		.amdhsa_float_round_mode_16_64 0
		.amdhsa_float_denorm_mode_32 3
		.amdhsa_float_denorm_mode_16_64 3
		.amdhsa_dx10_clamp 1
		.amdhsa_ieee_mode 1
		.amdhsa_fp16_overflow 0
		.amdhsa_workgroup_processor_mode 1
		.amdhsa_memory_ordered 1
		.amdhsa_forward_progress 1
		.amdhsa_shared_vgpr_count 0
		.amdhsa_exception_fp_ieee_invalid_op 0
		.amdhsa_exception_fp_denorm_src 0
		.amdhsa_exception_fp_ieee_div_zero 0
		.amdhsa_exception_fp_ieee_overflow 0
		.amdhsa_exception_fp_ieee_underflow 0
		.amdhsa_exception_fp_ieee_inexact 0
		.amdhsa_exception_int_div_zero 0
	.end_amdhsa_kernel
	.section	.text._ZN9rocsolver6v33100L18getri_kernel_smallILi11EdPKPdEEvT1_iilPiilS6_bb,"axG",@progbits,_ZN9rocsolver6v33100L18getri_kernel_smallILi11EdPKPdEEvT1_iilPiilS6_bb,comdat
.Lfunc_end74:
	.size	_ZN9rocsolver6v33100L18getri_kernel_smallILi11EdPKPdEEvT1_iilPiilS6_bb, .Lfunc_end74-_ZN9rocsolver6v33100L18getri_kernel_smallILi11EdPKPdEEvT1_iilPiilS6_bb
                                        ; -- End function
	.set _ZN9rocsolver6v33100L18getri_kernel_smallILi11EdPKPdEEvT1_iilPiilS6_bb.num_vgpr, 78
	.set _ZN9rocsolver6v33100L18getri_kernel_smallILi11EdPKPdEEvT1_iilPiilS6_bb.num_agpr, 0
	.set _ZN9rocsolver6v33100L18getri_kernel_smallILi11EdPKPdEEvT1_iilPiilS6_bb.numbered_sgpr, 19
	.set _ZN9rocsolver6v33100L18getri_kernel_smallILi11EdPKPdEEvT1_iilPiilS6_bb.num_named_barrier, 0
	.set _ZN9rocsolver6v33100L18getri_kernel_smallILi11EdPKPdEEvT1_iilPiilS6_bb.private_seg_size, 0
	.set _ZN9rocsolver6v33100L18getri_kernel_smallILi11EdPKPdEEvT1_iilPiilS6_bb.uses_vcc, 1
	.set _ZN9rocsolver6v33100L18getri_kernel_smallILi11EdPKPdEEvT1_iilPiilS6_bb.uses_flat_scratch, 1
	.set _ZN9rocsolver6v33100L18getri_kernel_smallILi11EdPKPdEEvT1_iilPiilS6_bb.has_dyn_sized_stack, 0
	.set _ZN9rocsolver6v33100L18getri_kernel_smallILi11EdPKPdEEvT1_iilPiilS6_bb.has_recursion, 0
	.set _ZN9rocsolver6v33100L18getri_kernel_smallILi11EdPKPdEEvT1_iilPiilS6_bb.has_indirect_call, 0
	.section	.AMDGPU.csdata,"",@progbits
; Kernel info:
; codeLenInByte = 13340
; TotalNumSgprs: 21
; NumVgprs: 78
; ScratchSize: 0
; MemoryBound: 0
; FloatMode: 240
; IeeeMode: 1
; LDSByteSize: 184 bytes/workgroup (compile time only)
; SGPRBlocks: 0
; VGPRBlocks: 9
; NumSGPRsForWavesPerEU: 21
; NumVGPRsForWavesPerEU: 78
; Occupancy: 12
; WaveLimiterHint : 1
; COMPUTE_PGM_RSRC2:SCRATCH_EN: 0
; COMPUTE_PGM_RSRC2:USER_SGPR: 6
; COMPUTE_PGM_RSRC2:TRAP_HANDLER: 0
; COMPUTE_PGM_RSRC2:TGID_X_EN: 1
; COMPUTE_PGM_RSRC2:TGID_Y_EN: 0
; COMPUTE_PGM_RSRC2:TGID_Z_EN: 0
; COMPUTE_PGM_RSRC2:TIDIG_COMP_CNT: 0
	.section	.text._ZN9rocsolver6v33100L18getri_kernel_smallILi12EdPKPdEEvT1_iilPiilS6_bb,"axG",@progbits,_ZN9rocsolver6v33100L18getri_kernel_smallILi12EdPKPdEEvT1_iilPiilS6_bb,comdat
	.globl	_ZN9rocsolver6v33100L18getri_kernel_smallILi12EdPKPdEEvT1_iilPiilS6_bb ; -- Begin function _ZN9rocsolver6v33100L18getri_kernel_smallILi12EdPKPdEEvT1_iilPiilS6_bb
	.p2align	8
	.type	_ZN9rocsolver6v33100L18getri_kernel_smallILi12EdPKPdEEvT1_iilPiilS6_bb,@function
_ZN9rocsolver6v33100L18getri_kernel_smallILi12EdPKPdEEvT1_iilPiilS6_bb: ; @_ZN9rocsolver6v33100L18getri_kernel_smallILi12EdPKPdEEvT1_iilPiilS6_bb
; %bb.0:
	s_mov_b32 s0, exec_lo
	v_cmpx_gt_u32_e32 12, v0
	s_cbranch_execz .LBB75_16
; %bb.1:
	s_clause 0x2
	s_load_dword s8, s[4:5], 0x38
	s_load_dwordx2 s[0:1], s[4:5], 0x0
	s_load_dwordx4 s[12:15], s[4:5], 0x28
                                        ; implicit-def: $sgpr16_sgpr17
	s_waitcnt lgkmcnt(0)
	s_bitcmp1_b32 s8, 8
	s_cselect_b32 s18, -1, 0
	s_ashr_i32 s7, s6, 31
	s_lshl_b64 s[2:3], s[6:7], 3
	s_add_u32 s0, s0, s2
	s_addc_u32 s1, s1, s3
	s_load_dwordx2 s[2:3], s[0:1], 0x0
	s_bfe_u32 s0, s8, 0x10008
	s_cmp_eq_u32 s0, 0
	s_cbranch_scc1 .LBB75_3
; %bb.2:
	s_clause 0x1
	s_load_dword s0, s[4:5], 0x20
	s_load_dwordx2 s[8:9], s[4:5], 0x18
	s_mul_i32 s1, s12, s7
	s_mul_hi_u32 s10, s12, s6
	s_mul_i32 s11, s13, s6
	s_add_i32 s1, s10, s1
	s_mul_i32 s10, s12, s6
	s_add_i32 s11, s1, s11
	s_lshl_b64 s[10:11], s[10:11], 2
	s_waitcnt lgkmcnt(0)
	s_ashr_i32 s1, s0, 31
	s_add_u32 s8, s8, s10
	s_addc_u32 s9, s9, s11
	s_lshl_b64 s[0:1], s[0:1], 2
	s_add_u32 s16, s8, s0
	s_addc_u32 s17, s9, s1
.LBB75_3:
	s_clause 0x1
	s_load_dwordx2 s[0:1], s[4:5], 0x8
	s_load_dword s10, s[4:5], 0x38
	v_lshlrev_b32_e32 v28, 3, v0
	s_waitcnt lgkmcnt(0)
	v_add3_u32 v1, s1, s1, v0
	s_ashr_i32 s5, s0, 31
	s_mov_b32 s4, s0
	s_mov_b32 s8, s1
	s_lshl_b64 s[4:5], s[4:5], 3
	v_add_nc_u32_e32 v3, s1, v1
	v_ashrrev_i32_e32 v2, 31, v1
	s_add_u32 s0, s2, s4
	s_addc_u32 s4, s3, s5
	v_add_co_u32 v56, s2, s0, v28
	v_add_nc_u32_e32 v5, s1, v3
	s_ashr_i32 s9, s1, 31
	v_lshlrev_b64 v[1:2], 3, v[1:2]
	v_ashrrev_i32_e32 v4, 31, v3
	v_add_co_ci_u32_e64 v57, null, s4, 0, s2
	s_lshl_b64 s[2:3], s[8:9], 3
	v_ashrrev_i32_e32 v6, 31, v5
	v_add_nc_u32_e32 v7, s1, v5
	v_add_co_u32 v60, vcc_lo, v56, s2
	v_lshlrev_b64 v[3:4], 3, v[3:4]
	v_add_co_ci_u32_e64 v61, null, s3, v57, vcc_lo
	v_add_co_u32 v58, vcc_lo, s0, v1
	v_add_co_ci_u32_e64 v59, null, s4, v2, vcc_lo
	v_lshlrev_b64 v[1:2], 3, v[5:6]
	v_ashrrev_i32_e32 v8, 31, v7
	v_add_nc_u32_e32 v5, s1, v7
	v_add_co_u32 v62, vcc_lo, s0, v3
	v_add_co_ci_u32_e64 v63, null, s4, v4, vcc_lo
	v_lshlrev_b64 v[3:4], 3, v[7:8]
	v_ashrrev_i32_e32 v6, 31, v5
	v_add_nc_u32_e32 v7, s1, v5
	;; [unrolled: 5-line block ×5, first 2 shown]
	v_add_co_u32 v68, vcc_lo, s0, v3
	v_add_co_ci_u32_e64 v69, null, s4, v4, vcc_lo
	v_lshlrev_b64 v[3:4], 3, v[7:8]
	v_add_nc_u32_e32 v7, s1, v5
	v_ashrrev_i32_e32 v6, 31, v5
	v_add_co_u32 v72, vcc_lo, s0, v1
	v_add_co_ci_u32_e64 v73, null, s4, v2, vcc_lo
	v_ashrrev_i32_e32 v8, 31, v7
	v_lshlrev_b64 v[1:2], 3, v[5:6]
	v_add_co_u32 v74, vcc_lo, s0, v3
	v_add_co_ci_u32_e64 v75, null, s4, v4, vcc_lo
	v_lshlrev_b64 v[3:4], 3, v[7:8]
	v_add_co_u32 v76, vcc_lo, s0, v1
	v_add_co_ci_u32_e64 v77, null, s4, v2, vcc_lo
	v_mov_b32_e32 v1, 0
	v_add_co_u32 v78, vcc_lo, s0, v3
	v_add_co_ci_u32_e64 v79, null, s4, v4, vcc_lo
	s_clause 0xb
	flat_load_dwordx2 v[2:3], v[56:57]
	flat_load_dwordx2 v[4:5], v[60:61]
	;; [unrolled: 1-line block ×12, first 2 shown]
	s_bitcmp0_b32 s10, 0
	s_mov_b32 s0, -1
	s_cbranch_scc1 .LBB75_14
; %bb.4:
	v_cmp_eq_u32_e64 s0, 0, v0
	s_and_saveexec_b32 s1, s0
; %bb.5:
	v_mov_b32_e32 v26, 0
	ds_write_b32 v26, v26 offset:192
; %bb.6:
	s_or_b32 exec_lo, exec_lo, s1
	v_cmp_eq_u32_e32 vcc_lo, 1, v0
	s_mov_b32 s2, exec_lo
	s_waitcnt vmcnt(0) lgkmcnt(0)
	s_barrier
	buffer_gl0_inv
	v_cndmask_b32_e32 v26, v3, v5, vcc_lo
	v_cndmask_b32_e32 v27, v2, v4, vcc_lo
	v_cmp_eq_u32_e32 vcc_lo, 2, v0
	v_cndmask_b32_e32 v26, v26, v7, vcc_lo
	v_cndmask_b32_e32 v27, v27, v6, vcc_lo
	v_cmp_eq_u32_e32 vcc_lo, 3, v0
	;; [unrolled: 3-line block ×10, first 2 shown]
	v_cndmask_b32_e32 v27, v26, v25, vcc_lo
	v_cndmask_b32_e32 v26, v29, v24, vcc_lo
	v_cmpx_eq_f64_e32 0, v[26:27]
	s_cbranch_execz .LBB75_10
; %bb.7:
	v_mov_b32_e32 v29, 0
	s_mov_b32 s3, 0
	ds_read_b32 v30, v29 offset:192
	s_waitcnt lgkmcnt(0)
	v_readfirstlane_b32 s1, v30
	v_add_nc_u32_e32 v30, 1, v0
	s_cmp_eq_u32 s1, 0
	v_cmp_gt_i32_e32 vcc_lo, s1, v30
	s_cselect_b32 s4, -1, 0
	s_or_b32 s4, s4, vcc_lo
	s_and_b32 exec_lo, exec_lo, s4
	s_cbranch_execz .LBB75_10
; %bb.8:
	v_mov_b32_e32 v31, s1
.LBB75_9:                               ; =>This Inner Loop Header: Depth=1
	ds_cmpst_rtn_b32 v31, v29, v31, v30 offset:192
	s_waitcnt lgkmcnt(0)
	v_cmp_ne_u32_e32 vcc_lo, 0, v31
	v_cmp_le_i32_e64 s1, v31, v30
	s_and_b32 s1, vcc_lo, s1
	s_and_b32 s1, exec_lo, s1
	s_or_b32 s3, s1, s3
	s_andn2_b32 exec_lo, exec_lo, s3
	s_cbranch_execnz .LBB75_9
.LBB75_10:
	s_or_b32 exec_lo, exec_lo, s2
	v_mov_b32_e32 v29, 0
	s_barrier
	buffer_gl0_inv
	ds_read_b32 v30, v29 offset:192
	s_and_saveexec_b32 s1, s0
	s_cbranch_execz .LBB75_12
; %bb.11:
	s_lshl_b64 s[2:3], s[6:7], 2
	s_add_u32 s2, s14, s2
	s_addc_u32 s3, s15, s3
	s_waitcnt lgkmcnt(0)
	global_store_dword v29, v30, s[2:3]
.LBB75_12:
	s_or_b32 exec_lo, exec_lo, s1
	s_waitcnt lgkmcnt(0)
	v_cmp_ne_u32_e32 vcc_lo, 0, v30
	s_cbranch_vccz .LBB75_17
; %bb.13:
	s_mov_b32 s0, 0
                                        ; implicit-def: $vgpr2_vgpr3_vgpr4_vgpr5_vgpr6_vgpr7_vgpr8_vgpr9_vgpr10_vgpr11_vgpr12_vgpr13_vgpr14_vgpr15_vgpr16_vgpr17_vgpr18_vgpr19_vgpr20_vgpr21_vgpr22_vgpr23_vgpr24_vgpr25_vgpr26_vgpr27_vgpr28_vgpr29_vgpr30_vgpr31_vgpr32_vgpr33
.LBB75_14:
	s_and_b32 vcc_lo, exec_lo, s0
	s_cbranch_vccz .LBB75_16
.LBB75_15:
	s_lshl_b64 s[0:1], s[6:7], 2
	v_mov_b32_e32 v1, 0
	s_add_u32 s0, s14, s0
	s_addc_u32 s1, s15, s1
	global_load_dword v1, v1, s[0:1]
	s_waitcnt vmcnt(0)
	v_cmp_ne_u32_e32 vcc_lo, 0, v1
	s_cbranch_vccz .LBB75_72
.LBB75_16:
	s_endpgm
.LBB75_17:
	v_div_scale_f64 v[29:30], null, v[26:27], v[26:27], 1.0
	v_div_scale_f64 v[35:36], vcc_lo, 1.0, v[26:27], 1.0
	v_cmp_eq_u32_e64 s1, 10, v0
	v_cmp_eq_u32_e64 s2, 9, v0
	;; [unrolled: 1-line block ×11, first 2 shown]
	v_rcp_f64_e32 v[31:32], v[29:30]
	v_fma_f64 v[33:34], -v[29:30], v[31:32], 1.0
	v_fma_f64 v[31:32], v[31:32], v[33:34], v[31:32]
	v_fma_f64 v[33:34], -v[29:30], v[31:32], 1.0
	v_fma_f64 v[31:32], v[31:32], v[33:34], v[31:32]
	v_mul_f64 v[33:34], v[35:36], v[31:32]
	v_fma_f64 v[29:30], -v[29:30], v[33:34], v[35:36]
	v_div_fmas_f64 v[29:30], v[29:30], v[31:32], v[33:34]
	v_cmp_eq_u32_e32 vcc_lo, 11, v0
	v_div_fixup_f64 v[26:27], v[29:30], v[26:27], 1.0
	v_add_nc_u32_e32 v30, 0x60, v28
	v_cndmask_b32_e32 v25, v25, v27, vcc_lo
	v_cndmask_b32_e32 v24, v24, v26, vcc_lo
	v_cndmask_b32_e64 v23, v23, v27, s1
	v_cndmask_b32_e64 v22, v22, v26, s1
	;; [unrolled: 1-line block ×18, first 2 shown]
	v_xor_b32_e32 v32, 0x80000000, v27
	v_mov_b32_e32 v31, v26
	v_cndmask_b32_e64 v7, v7, v27, s11
	v_cndmask_b32_e64 v6, v6, v26, s11
	;; [unrolled: 1-line block ×4, first 2 shown]
	ds_write2_b64 v28, v[31:32], v[4:5] offset1:12
	s_waitcnt lgkmcnt(0)
	s_waitcnt_vscnt null, 0x0
	s_barrier
	buffer_gl0_inv
	s_and_saveexec_b32 s1, s0
	s_cbranch_execz .LBB75_19
; %bb.18:
	ds_read_b64 v[4:5], v30
	v_mov_b32_e32 v28, 0
	ds_read_b64 v[28:29], v28 offset:8
	s_waitcnt lgkmcnt(1)
	v_fma_f64 v[4:5], v[26:27], v[4:5], 0
	s_waitcnt lgkmcnt(0)
	v_mul_f64 v[4:5], v[4:5], v[28:29]
.LBB75_19:
	s_or_b32 exec_lo, exec_lo, s1
	v_cmp_gt_u32_e32 vcc_lo, 2, v0
	s_barrier
	buffer_gl0_inv
	ds_write_b64 v30, v[6:7]
	s_waitcnt lgkmcnt(0)
	s_barrier
	buffer_gl0_inv
	s_and_saveexec_b32 s3, vcc_lo
	s_cbranch_execz .LBB75_23
; %bb.20:
	v_cmp_eq_u32_e64 s1, 1, v0
	v_cmp_eq_u32_e64 s2, 9, v0
	v_cndmask_b32_e64 v26, v3, v5, s1
	v_cndmask_b32_e64 v27, v2, v4, s1
	v_cmp_eq_u32_e64 s1, 2, v0
	v_cndmask_b32_e64 v7, v26, v7, s1
	v_cndmask_b32_e64 v6, v27, v6, s1
	;; [unrolled: 3-line block ×8, first 2 shown]
	ds_read_b64 v[6:7], v30
	v_cmp_eq_u32_e64 s1, 10, v0
	v_cndmask_b32_e64 v26, v26, v21, s2
	v_cndmask_b32_e64 v27, v27, v20, s2
	;; [unrolled: 1-line block ×4, first 2 shown]
	v_cmp_eq_u32_e64 s1, 11, v0
	v_cndmask_b32_e64 v27, v26, v25, s1
	v_cndmask_b32_e64 v26, v28, v24, s1
	s_waitcnt lgkmcnt(0)
	v_fma_f64 v[6:7], v[26:27], v[6:7], 0
	s_and_saveexec_b32 s1, s0
	s_cbranch_execz .LBB75_22
; %bb.21:
	v_mov_b32_e32 v26, 0
	ds_read_b64 v[26:27], v26 offset:104
	s_waitcnt lgkmcnt(0)
	v_fma_f64 v[6:7], v[4:5], v[26:27], v[6:7]
.LBB75_22:
	s_or_b32 exec_lo, exec_lo, s1
	v_mov_b32_e32 v26, 0
	ds_read_b64 v[26:27], v26 offset:16
	s_waitcnt lgkmcnt(0)
	v_mul_f64 v[6:7], v[6:7], v[26:27]
.LBB75_23:
	s_or_b32 exec_lo, exec_lo, s3
	s_mov_b32 s3, exec_lo
	s_barrier
	buffer_gl0_inv
	ds_write_b64 v30, v[8:9]
	s_waitcnt lgkmcnt(0)
	s_barrier
	buffer_gl0_inv
	v_cmpx_gt_u32_e32 3, v0
	s_cbranch_execz .LBB75_27
; %bb.24:
	v_mov_b32_e32 v26, 0
	v_mov_b32_e32 v29, v1
	v_lshl_add_u32 v31, v0, 3, 0x60
	v_mov_b32_e32 v27, 0
	v_mov_b32_e32 v28, v0
	s_mov_b32 s4, 0
.LBB75_25:                              ; =>This Inner Loop Header: Depth=1
	v_cmp_eq_u32_e64 s1, 1, v28
	v_cmp_eq_u32_e64 s2, 2, v28
	v_cndmask_b32_e64 v32, v3, v5, s1
	v_cndmask_b32_e64 v33, v2, v4, s1
	v_cmp_eq_u32_e64 s1, 3, v28
	v_cndmask_b32_e64 v32, v32, v7, s2
	v_cndmask_b32_e64 v33, v33, v6, s2
	;; [unrolled: 3-line block ×7, first 2 shown]
	ds_read_b64 v[32:33], v31
	v_cmp_eq_u32_e64 s1, 9, v28
	v_add_nc_u32_e32 v31, 8, v31
	v_cndmask_b32_e64 v34, v34, v19, s2
	v_cndmask_b32_e64 v35, v35, v18, s2
	v_cmp_eq_u32_e64 s2, 10, v28
	v_cndmask_b32_e64 v34, v34, v21, s1
	v_cndmask_b32_e64 v35, v35, v20, s1
	v_cmp_eq_u32_e64 s1, 11, v28
	v_cndmask_b32_e64 v34, v34, v23, s2
	v_cndmask_b32_e64 v36, v35, v22, s2
	;; [unrolled: 1-line block ×4, first 2 shown]
	v_add_co_u32 v28, s1, v28, 1
	v_add_co_ci_u32_e64 v29, null, 0, v29, s1
	s_waitcnt lgkmcnt(0)
	v_fma_f64 v[26:27], v[34:35], v[32:33], v[26:27]
	v_add_nc_u32_e32 v32, -1, v28
	v_cmp_lt_u32_e64 s1, 1, v32
	s_or_b32 s4, s1, s4
	s_andn2_b32 exec_lo, exec_lo, s4
	s_cbranch_execnz .LBB75_25
; %bb.26:
	s_or_b32 exec_lo, exec_lo, s4
	v_mov_b32_e32 v8, 0
	ds_read_b64 v[8:9], v8 offset:24
	s_waitcnt lgkmcnt(0)
	v_mul_f64 v[8:9], v[26:27], v[8:9]
.LBB75_27:
	s_or_b32 exec_lo, exec_lo, s3
	v_cmp_gt_u32_e64 s1, 4, v0
	s_barrier
	buffer_gl0_inv
	ds_write_b64 v30, v[10:11]
	s_waitcnt lgkmcnt(0)
	s_barrier
	buffer_gl0_inv
	s_and_saveexec_b32 s4, s1
	s_cbranch_execz .LBB75_31
; %bb.28:
	v_mov_b32_e32 v26, 0
	v_mov_b32_e32 v29, v1
	v_lshl_add_u32 v31, v0, 3, 0x60
	v_mov_b32_e32 v27, 0
	v_mov_b32_e32 v28, v0
	s_mov_b32 s5, 0
.LBB75_29:                              ; =>This Inner Loop Header: Depth=1
	v_cmp_eq_u32_e64 s2, 1, v28
	v_cmp_eq_u32_e64 s3, 2, v28
	v_cndmask_b32_e64 v32, v3, v5, s2
	v_cndmask_b32_e64 v33, v2, v4, s2
	v_cmp_eq_u32_e64 s2, 3, v28
	v_cndmask_b32_e64 v32, v32, v7, s3
	v_cndmask_b32_e64 v33, v33, v6, s3
	;; [unrolled: 3-line block ×7, first 2 shown]
	ds_read_b64 v[32:33], v31
	v_cmp_eq_u32_e64 s2, 9, v28
	v_add_nc_u32_e32 v31, 8, v31
	v_cndmask_b32_e64 v34, v34, v19, s3
	v_cndmask_b32_e64 v35, v35, v18, s3
	v_cmp_eq_u32_e64 s3, 10, v28
	v_cndmask_b32_e64 v34, v34, v21, s2
	v_cndmask_b32_e64 v35, v35, v20, s2
	v_cmp_eq_u32_e64 s2, 11, v28
	v_cndmask_b32_e64 v34, v34, v23, s3
	v_cndmask_b32_e64 v36, v35, v22, s3
	;; [unrolled: 1-line block ×4, first 2 shown]
	v_add_co_u32 v28, s2, v28, 1
	v_add_co_ci_u32_e64 v29, null, 0, v29, s2
	s_waitcnt lgkmcnt(0)
	v_fma_f64 v[26:27], v[34:35], v[32:33], v[26:27]
	v_add_nc_u32_e32 v32, -1, v28
	v_cmp_lt_u32_e64 s2, 2, v32
	s_or_b32 s5, s2, s5
	s_andn2_b32 exec_lo, exec_lo, s5
	s_cbranch_execnz .LBB75_29
; %bb.30:
	s_or_b32 exec_lo, exec_lo, s5
	v_mov_b32_e32 v10, 0
	ds_read_b64 v[10:11], v10 offset:32
	s_waitcnt lgkmcnt(0)
	v_mul_f64 v[10:11], v[26:27], v[10:11]
.LBB75_31:
	s_or_b32 exec_lo, exec_lo, s4
	s_mov_b32 s4, exec_lo
	s_barrier
	buffer_gl0_inv
	ds_write_b64 v30, v[12:13]
	s_waitcnt lgkmcnt(0)
	s_barrier
	buffer_gl0_inv
	v_cmpx_gt_u32_e32 5, v0
	s_cbranch_execz .LBB75_35
; %bb.32:
	v_mov_b32_e32 v26, 0
	v_mov_b32_e32 v29, v1
	v_lshl_add_u32 v31, v0, 3, 0x60
	v_mov_b32_e32 v27, 0
	v_mov_b32_e32 v28, v0
	s_mov_b32 s5, 0
.LBB75_33:                              ; =>This Inner Loop Header: Depth=1
	v_cmp_eq_u32_e64 s2, 1, v28
	v_cmp_eq_u32_e64 s3, 2, v28
	v_cndmask_b32_e64 v32, v3, v5, s2
	v_cndmask_b32_e64 v33, v2, v4, s2
	v_cmp_eq_u32_e64 s2, 3, v28
	v_cndmask_b32_e64 v32, v32, v7, s3
	v_cndmask_b32_e64 v33, v33, v6, s3
	;; [unrolled: 3-line block ×7, first 2 shown]
	ds_read_b64 v[32:33], v31
	v_cmp_eq_u32_e64 s2, 9, v28
	v_add_nc_u32_e32 v31, 8, v31
	v_cndmask_b32_e64 v34, v34, v19, s3
	v_cndmask_b32_e64 v35, v35, v18, s3
	v_cmp_eq_u32_e64 s3, 10, v28
	v_cndmask_b32_e64 v34, v34, v21, s2
	v_cndmask_b32_e64 v35, v35, v20, s2
	v_cmp_eq_u32_e64 s2, 11, v28
	v_cndmask_b32_e64 v34, v34, v23, s3
	v_cndmask_b32_e64 v36, v35, v22, s3
	;; [unrolled: 1-line block ×4, first 2 shown]
	v_add_co_u32 v28, s2, v28, 1
	v_add_co_ci_u32_e64 v29, null, 0, v29, s2
	s_waitcnt lgkmcnt(0)
	v_fma_f64 v[26:27], v[34:35], v[32:33], v[26:27]
	v_add_nc_u32_e32 v32, -1, v28
	v_cmp_lt_u32_e64 s2, 3, v32
	s_or_b32 s5, s2, s5
	s_andn2_b32 exec_lo, exec_lo, s5
	s_cbranch_execnz .LBB75_33
; %bb.34:
	s_or_b32 exec_lo, exec_lo, s5
	v_mov_b32_e32 v12, 0
	ds_read_b64 v[12:13], v12 offset:40
	s_waitcnt lgkmcnt(0)
	v_mul_f64 v[12:13], v[26:27], v[12:13]
.LBB75_35:
	s_or_b32 exec_lo, exec_lo, s4
	v_cmp_gt_u32_e64 s2, 6, v0
	s_barrier
	buffer_gl0_inv
	ds_write_b64 v30, v[14:15]
	s_waitcnt lgkmcnt(0)
	s_barrier
	buffer_gl0_inv
	s_and_saveexec_b32 s5, s2
	s_cbranch_execz .LBB75_39
; %bb.36:
	v_mov_b32_e32 v26, 0
	v_mov_b32_e32 v29, v1
	v_lshl_add_u32 v31, v0, 3, 0x60
	v_mov_b32_e32 v27, 0
	v_mov_b32_e32 v28, v0
	s_mov_b32 s8, 0
.LBB75_37:                              ; =>This Inner Loop Header: Depth=1
	v_cmp_eq_u32_e64 s3, 1, v28
	v_cmp_eq_u32_e64 s4, 2, v28
	v_cndmask_b32_e64 v32, v3, v5, s3
	v_cndmask_b32_e64 v33, v2, v4, s3
	v_cmp_eq_u32_e64 s3, 3, v28
	v_cndmask_b32_e64 v32, v32, v7, s4
	v_cndmask_b32_e64 v33, v33, v6, s4
	;; [unrolled: 3-line block ×7, first 2 shown]
	ds_read_b64 v[32:33], v31
	v_cmp_eq_u32_e64 s3, 9, v28
	v_add_nc_u32_e32 v31, 8, v31
	v_cndmask_b32_e64 v34, v34, v19, s4
	v_cndmask_b32_e64 v35, v35, v18, s4
	v_cmp_eq_u32_e64 s4, 10, v28
	v_cndmask_b32_e64 v34, v34, v21, s3
	v_cndmask_b32_e64 v35, v35, v20, s3
	v_cmp_eq_u32_e64 s3, 11, v28
	v_cndmask_b32_e64 v34, v34, v23, s4
	v_cndmask_b32_e64 v36, v35, v22, s4
	;; [unrolled: 1-line block ×4, first 2 shown]
	v_add_co_u32 v28, s3, v28, 1
	v_add_co_ci_u32_e64 v29, null, 0, v29, s3
	s_waitcnt lgkmcnt(0)
	v_fma_f64 v[26:27], v[34:35], v[32:33], v[26:27]
	v_add_nc_u32_e32 v32, -1, v28
	v_cmp_lt_u32_e64 s3, 4, v32
	s_or_b32 s8, s3, s8
	s_andn2_b32 exec_lo, exec_lo, s8
	s_cbranch_execnz .LBB75_37
; %bb.38:
	s_or_b32 exec_lo, exec_lo, s8
	v_mov_b32_e32 v14, 0
	ds_read_b64 v[14:15], v14 offset:48
	s_waitcnt lgkmcnt(0)
	v_mul_f64 v[14:15], v[26:27], v[14:15]
.LBB75_39:
	s_or_b32 exec_lo, exec_lo, s5
	s_mov_b32 s5, exec_lo
	s_barrier
	buffer_gl0_inv
	ds_write_b64 v30, v[16:17]
	s_waitcnt lgkmcnt(0)
	s_barrier
	buffer_gl0_inv
	v_cmpx_gt_u32_e32 7, v0
	s_cbranch_execz .LBB75_43
; %bb.40:
	v_mov_b32_e32 v26, 0
	v_mov_b32_e32 v29, v1
	v_lshl_add_u32 v31, v0, 3, 0x60
	v_mov_b32_e32 v27, 0
	v_mov_b32_e32 v28, v0
	s_mov_b32 s8, 0
.LBB75_41:                              ; =>This Inner Loop Header: Depth=1
	v_cmp_eq_u32_e64 s3, 1, v28
	v_cmp_eq_u32_e64 s4, 2, v28
	v_cndmask_b32_e64 v32, v3, v5, s3
	v_cndmask_b32_e64 v33, v2, v4, s3
	v_cmp_eq_u32_e64 s3, 3, v28
	v_cndmask_b32_e64 v32, v32, v7, s4
	v_cndmask_b32_e64 v33, v33, v6, s4
	;; [unrolled: 3-line block ×7, first 2 shown]
	ds_read_b64 v[32:33], v31
	v_cmp_eq_u32_e64 s3, 9, v28
	v_add_nc_u32_e32 v31, 8, v31
	v_cndmask_b32_e64 v34, v34, v19, s4
	v_cndmask_b32_e64 v35, v35, v18, s4
	v_cmp_eq_u32_e64 s4, 10, v28
	v_cndmask_b32_e64 v34, v34, v21, s3
	v_cndmask_b32_e64 v35, v35, v20, s3
	v_cmp_eq_u32_e64 s3, 11, v28
	v_cndmask_b32_e64 v34, v34, v23, s4
	v_cndmask_b32_e64 v36, v35, v22, s4
	;; [unrolled: 1-line block ×4, first 2 shown]
	v_add_co_u32 v28, s3, v28, 1
	v_add_co_ci_u32_e64 v29, null, 0, v29, s3
	s_waitcnt lgkmcnt(0)
	v_fma_f64 v[26:27], v[34:35], v[32:33], v[26:27]
	v_add_nc_u32_e32 v32, -1, v28
	v_cmp_lt_u32_e64 s3, 5, v32
	s_or_b32 s8, s3, s8
	s_andn2_b32 exec_lo, exec_lo, s8
	s_cbranch_execnz .LBB75_41
; %bb.42:
	s_or_b32 exec_lo, exec_lo, s8
	v_mov_b32_e32 v16, 0
	ds_read_b64 v[16:17], v16 offset:56
	s_waitcnt lgkmcnt(0)
	v_mul_f64 v[16:17], v[26:27], v[16:17]
.LBB75_43:
	s_or_b32 exec_lo, exec_lo, s5
	s_mov_b32 s5, exec_lo
	s_barrier
	buffer_gl0_inv
	ds_write_b64 v30, v[18:19]
	s_waitcnt lgkmcnt(0)
	s_barrier
	buffer_gl0_inv
	v_cmpx_gt_u32_e32 8, v0
	s_cbranch_execz .LBB75_59
; %bb.44:
	v_cmp_eq_u32_e64 s3, 1, v0
	v_cmp_eq_u32_e64 s4, 9, v0
	s_mov_b32 s8, exec_lo
	v_cndmask_b32_e64 v26, v3, v5, s3
	v_cndmask_b32_e64 v27, v2, v4, s3
	v_cmp_eq_u32_e64 s3, 2, v0
	v_cndmask_b32_e64 v26, v26, v7, s3
	v_cndmask_b32_e64 v27, v27, v6, s3
	v_cmp_eq_u32_e64 s3, 3, v0
	;; [unrolled: 3-line block ×7, first 2 shown]
	v_cndmask_b32_e64 v28, v26, v19, s3
	v_cndmask_b32_e64 v29, v27, v18, s3
	ds_read_b64 v[26:27], v30
	v_cmp_eq_u32_e64 s3, 10, v0
	v_cndmask_b32_e64 v28, v28, v21, s4
	v_cndmask_b32_e64 v29, v29, v20, s4
	;; [unrolled: 1-line block ×4, first 2 shown]
	v_cmp_eq_u32_e64 s3, 11, v0
	v_cndmask_b32_e64 v29, v28, v25, s3
	v_cndmask_b32_e64 v28, v31, v24, s3
	s_waitcnt lgkmcnt(0)
	v_fma_f64 v[26:27], v[28:29], v[26:27], 0
	v_cmpx_ne_u32_e32 7, v0
	s_cbranch_execz .LBB75_58
; %bb.45:
	v_add_nc_u32_e32 v31, 1, v0
	v_cmp_eq_u32_e64 s3, 1, v31
	v_cmp_eq_u32_e64 s4, 9, v31
	v_cndmask_b32_e64 v28, v3, v5, s3
	v_cndmask_b32_e64 v29, v2, v4, s3
	v_cmp_eq_u32_e64 s3, 2, v31
	v_cndmask_b32_e64 v28, v28, v7, s3
	v_cndmask_b32_e64 v29, v29, v6, s3
	;; [unrolled: 3-line block ×8, first 2 shown]
	ds_read_b64 v[28:29], v30 offset:8
	v_cmp_eq_u32_e64 s3, 10, v31
	v_cndmask_b32_e64 v32, v32, v21, s4
	v_cndmask_b32_e64 v33, v33, v20, s4
	;; [unrolled: 1-line block ×4, first 2 shown]
	v_cmp_eq_u32_e64 s3, 11, v31
	v_cndmask_b32_e64 v32, v32, v25, s3
	v_cndmask_b32_e64 v31, v33, v24, s3
	s_waitcnt lgkmcnt(0)
	v_fma_f64 v[26:27], v[31:32], v[28:29], v[26:27]
	s_and_saveexec_b32 s4, s2
	s_cbranch_execz .LBB75_57
; %bb.46:
	v_add_nc_u32_e32 v31, 2, v0
	s_mov_b32 s9, exec_lo
	v_cmp_eq_u32_e64 s2, 1, v31
	v_cmp_eq_u32_e64 s3, 9, v31
	v_cndmask_b32_e64 v28, v3, v5, s2
	v_cndmask_b32_e64 v29, v2, v4, s2
	v_cmp_eq_u32_e64 s2, 2, v31
	v_cndmask_b32_e64 v28, v28, v7, s2
	v_cndmask_b32_e64 v29, v29, v6, s2
	;; [unrolled: 3-line block ×8, first 2 shown]
	ds_read_b64 v[28:29], v30 offset:16
	v_cmp_eq_u32_e64 s2, 10, v31
	v_cndmask_b32_e64 v32, v32, v21, s3
	v_cndmask_b32_e64 v33, v33, v20, s3
	;; [unrolled: 1-line block ×4, first 2 shown]
	v_cmp_eq_u32_e64 s2, 11, v31
	v_cndmask_b32_e64 v32, v32, v25, s2
	v_cndmask_b32_e64 v31, v33, v24, s2
	s_waitcnt lgkmcnt(0)
	v_fma_f64 v[26:27], v[31:32], v[28:29], v[26:27]
	v_cmpx_ne_u32_e32 5, v0
	s_cbranch_execz .LBB75_56
; %bb.47:
	v_add_nc_u32_e32 v31, 3, v0
	v_cmp_eq_u32_e64 s2, 1, v31
	v_cmp_eq_u32_e64 s3, 9, v31
	v_cndmask_b32_e64 v28, v3, v5, s2
	v_cndmask_b32_e64 v29, v2, v4, s2
	v_cmp_eq_u32_e64 s2, 2, v31
	v_cndmask_b32_e64 v28, v28, v7, s2
	v_cndmask_b32_e64 v29, v29, v6, s2
	;; [unrolled: 3-line block ×8, first 2 shown]
	ds_read_b64 v[28:29], v30 offset:24
	v_cmp_eq_u32_e64 s2, 10, v31
	v_cndmask_b32_e64 v32, v32, v21, s3
	v_cndmask_b32_e64 v33, v33, v20, s3
	;; [unrolled: 1-line block ×4, first 2 shown]
	v_cmp_eq_u32_e64 s2, 11, v31
	v_cndmask_b32_e64 v32, v32, v25, s2
	v_cndmask_b32_e64 v31, v33, v24, s2
	s_waitcnt lgkmcnt(0)
	v_fma_f64 v[26:27], v[31:32], v[28:29], v[26:27]
	s_and_saveexec_b32 s3, s1
	s_cbranch_execz .LBB75_55
; %bb.48:
	v_or_b32_e32 v31, 4, v0
	s_mov_b32 s10, exec_lo
	v_cmp_eq_u32_e64 s1, 1, v31
	v_cmp_eq_u32_e64 s2, 9, v31
	v_cndmask_b32_e64 v28, v3, v5, s1
	v_cndmask_b32_e64 v29, v2, v4, s1
	v_cmp_eq_u32_e64 s1, 2, v31
	v_cndmask_b32_e64 v28, v28, v7, s1
	v_cndmask_b32_e64 v29, v29, v6, s1
	;; [unrolled: 3-line block ×8, first 2 shown]
	ds_read_b64 v[28:29], v30 offset:32
	v_cmp_eq_u32_e64 s1, 10, v31
	v_cndmask_b32_e64 v32, v32, v21, s2
	v_cndmask_b32_e64 v33, v33, v20, s2
	;; [unrolled: 1-line block ×4, first 2 shown]
	v_cmp_eq_u32_e64 s1, 11, v31
	v_cndmask_b32_e64 v32, v32, v25, s1
	v_cndmask_b32_e64 v31, v33, v24, s1
	s_waitcnt lgkmcnt(0)
	v_fma_f64 v[26:27], v[31:32], v[28:29], v[26:27]
	v_cmpx_ne_u32_e32 3, v0
	s_cbranch_execz .LBB75_54
; %bb.49:
	v_add_nc_u32_e32 v31, 5, v0
	v_cmp_eq_u32_e64 s1, 1, v31
	v_cmp_eq_u32_e64 s2, 9, v31
	v_cndmask_b32_e64 v28, v3, v5, s1
	v_cndmask_b32_e64 v29, v2, v4, s1
	v_cmp_eq_u32_e64 s1, 2, v31
	v_cndmask_b32_e64 v28, v28, v7, s1
	v_cndmask_b32_e64 v29, v29, v6, s1
	;; [unrolled: 3-line block ×8, first 2 shown]
	ds_read_b64 v[28:29], v30 offset:40
	v_cmp_eq_u32_e64 s1, 10, v31
	v_cndmask_b32_e64 v32, v32, v21, s2
	v_cndmask_b32_e64 v33, v33, v20, s2
	;; [unrolled: 1-line block ×4, first 2 shown]
	v_cmp_eq_u32_e64 s1, 11, v31
	v_cndmask_b32_e64 v32, v32, v25, s1
	v_cndmask_b32_e64 v31, v33, v24, s1
	s_waitcnt lgkmcnt(0)
	v_fma_f64 v[26:27], v[31:32], v[28:29], v[26:27]
	s_and_saveexec_b32 s2, vcc_lo
	s_cbranch_execz .LBB75_53
; %bb.50:
	v_or_b32_e32 v28, 6, v0
	v_cmp_eq_u32_e32 vcc_lo, 1, v28
	v_cmp_eq_u32_e64 s1, 9, v28
	v_cndmask_b32_e32 v29, v3, v5, vcc_lo
	v_cndmask_b32_e32 v31, v2, v4, vcc_lo
	v_cmp_eq_u32_e32 vcc_lo, 2, v28
	v_cndmask_b32_e32 v29, v29, v7, vcc_lo
	v_cndmask_b32_e32 v31, v31, v6, vcc_lo
	v_cmp_eq_u32_e32 vcc_lo, 3, v28
	;; [unrolled: 3-line block ×7, first 2 shown]
	v_cndmask_b32_e32 v29, v29, v19, vcc_lo
	v_cndmask_b32_e32 v31, v31, v18, vcc_lo
	ds_read_b64 v[18:19], v30 offset:48
	v_cmp_eq_u32_e32 vcc_lo, 10, v28
	v_cndmask_b32_e64 v29, v29, v21, s1
	v_cndmask_b32_e64 v31, v31, v20, s1
	v_cndmask_b32_e32 v29, v29, v23, vcc_lo
	v_cndmask_b32_e32 v31, v31, v22, vcc_lo
	v_cmp_eq_u32_e32 vcc_lo, 11, v28
	v_cndmask_b32_e32 v29, v29, v25, vcc_lo
	v_cndmask_b32_e32 v28, v31, v24, vcc_lo
	s_waitcnt lgkmcnt(0)
	v_fma_f64 v[26:27], v[28:29], v[18:19], v[26:27]
	s_and_saveexec_b32 s1, s0
	s_cbranch_execz .LBB75_52
; %bb.51:
	ds_read_b64 v[18:19], v30 offset:56
	s_waitcnt lgkmcnt(0)
	v_fma_f64 v[26:27], v[16:17], v[18:19], v[26:27]
.LBB75_52:
	s_or_b32 exec_lo, exec_lo, s1
.LBB75_53:
	s_or_b32 exec_lo, exec_lo, s2
.LBB75_54:
	s_or_b32 exec_lo, exec_lo, s10
.LBB75_55:
	s_or_b32 exec_lo, exec_lo, s3
.LBB75_56:
	s_or_b32 exec_lo, exec_lo, s9
.LBB75_57:
	s_or_b32 exec_lo, exec_lo, s4
.LBB75_58:
	s_or_b32 exec_lo, exec_lo, s8
	v_mov_b32_e32 v18, 0
	ds_read_b64 v[18:19], v18 offset:64
	s_waitcnt lgkmcnt(0)
	v_mul_f64 v[18:19], v[26:27], v[18:19]
.LBB75_59:
	s_or_b32 exec_lo, exec_lo, s5
	s_mov_b32 s1, exec_lo
	s_barrier
	buffer_gl0_inv
	ds_write_b64 v30, v[20:21]
	s_waitcnt lgkmcnt(0)
	s_barrier
	buffer_gl0_inv
	v_cmpx_gt_u32_e32 9, v0
	s_cbranch_execz .LBB75_63
; %bb.60:
	v_mov_b32_e32 v26, 0
	v_mov_b32_e32 v29, v1
	v_lshl_add_u32 v31, v0, 3, 0x60
	v_mov_b32_e32 v27, 0
	v_mov_b32_e32 v28, v0
	s_mov_b32 s2, 0
.LBB75_61:                              ; =>This Inner Loop Header: Depth=1
	v_cmp_eq_u32_e32 vcc_lo, 1, v28
	v_cmp_eq_u32_e64 s0, 2, v28
	v_cndmask_b32_e32 v32, v3, v5, vcc_lo
	v_cndmask_b32_e32 v33, v2, v4, vcc_lo
	v_cmp_eq_u32_e32 vcc_lo, 3, v28
	v_cndmask_b32_e64 v32, v32, v7, s0
	v_cndmask_b32_e64 v33, v33, v6, s0
	v_cmp_eq_u32_e64 s0, 4, v28
	v_cndmask_b32_e32 v32, v32, v9, vcc_lo
	v_cndmask_b32_e32 v33, v33, v8, vcc_lo
	v_cmp_eq_u32_e32 vcc_lo, 5, v28
	v_cndmask_b32_e64 v32, v32, v11, s0
	v_cndmask_b32_e64 v33, v33, v10, s0
	v_cmp_eq_u32_e64 s0, 6, v28
	v_cndmask_b32_e32 v32, v32, v13, vcc_lo
	v_cndmask_b32_e32 v33, v33, v12, vcc_lo
	v_cmp_eq_u32_e32 vcc_lo, 7, v28
	v_cndmask_b32_e64 v32, v32, v15, s0
	v_cndmask_b32_e64 v33, v33, v14, s0
	v_cmp_eq_u32_e64 s0, 8, v28
	v_cndmask_b32_e32 v34, v32, v17, vcc_lo
	v_cndmask_b32_e32 v35, v33, v16, vcc_lo
	ds_read_b64 v[32:33], v31
	v_cmp_eq_u32_e32 vcc_lo, 9, v28
	v_add_nc_u32_e32 v31, 8, v31
	v_cndmask_b32_e64 v34, v34, v19, s0
	v_cndmask_b32_e64 v35, v35, v18, s0
	v_cmp_eq_u32_e64 s0, 10, v28
	v_cndmask_b32_e32 v34, v34, v21, vcc_lo
	v_cndmask_b32_e32 v35, v35, v20, vcc_lo
	v_cmp_eq_u32_e32 vcc_lo, 11, v28
	v_cndmask_b32_e64 v34, v34, v23, s0
	v_cndmask_b32_e64 v36, v35, v22, s0
	v_cndmask_b32_e32 v35, v34, v25, vcc_lo
	v_cndmask_b32_e32 v34, v36, v24, vcc_lo
	v_add_co_u32 v28, vcc_lo, v28, 1
	v_add_co_ci_u32_e64 v29, null, 0, v29, vcc_lo
	s_waitcnt lgkmcnt(0)
	v_fma_f64 v[26:27], v[34:35], v[32:33], v[26:27]
	v_add_nc_u32_e32 v32, -1, v28
	v_cmp_lt_u32_e32 vcc_lo, 7, v32
	s_or_b32 s2, vcc_lo, s2
	s_andn2_b32 exec_lo, exec_lo, s2
	s_cbranch_execnz .LBB75_61
; %bb.62:
	s_or_b32 exec_lo, exec_lo, s2
	v_mov_b32_e32 v20, 0
	ds_read_b64 v[20:21], v20 offset:72
	s_waitcnt lgkmcnt(0)
	v_mul_f64 v[20:21], v[26:27], v[20:21]
.LBB75_63:
	s_or_b32 exec_lo, exec_lo, s1
	s_mov_b32 s1, exec_lo
	s_barrier
	buffer_gl0_inv
	ds_write_b64 v30, v[22:23]
	s_waitcnt lgkmcnt(0)
	s_barrier
	buffer_gl0_inv
	v_cmpx_gt_u32_e32 10, v0
	s_cbranch_execz .LBB75_67
; %bb.64:
	v_mov_b32_e32 v26, 0
	v_mov_b32_e32 v29, v1
	v_lshl_add_u32 v31, v0, 3, 0x60
	v_mov_b32_e32 v27, 0
	v_mov_b32_e32 v28, v0
	s_mov_b32 s2, 0
.LBB75_65:                              ; =>This Inner Loop Header: Depth=1
	v_cmp_eq_u32_e32 vcc_lo, 1, v28
	v_cmp_eq_u32_e64 s0, 2, v28
	v_cndmask_b32_e32 v32, v3, v5, vcc_lo
	v_cndmask_b32_e32 v33, v2, v4, vcc_lo
	v_cmp_eq_u32_e32 vcc_lo, 3, v28
	v_cndmask_b32_e64 v32, v32, v7, s0
	v_cndmask_b32_e64 v33, v33, v6, s0
	v_cmp_eq_u32_e64 s0, 4, v28
	v_cndmask_b32_e32 v32, v32, v9, vcc_lo
	v_cndmask_b32_e32 v33, v33, v8, vcc_lo
	v_cmp_eq_u32_e32 vcc_lo, 5, v28
	v_cndmask_b32_e64 v32, v32, v11, s0
	v_cndmask_b32_e64 v33, v33, v10, s0
	;; [unrolled: 6-line block ×3, first 2 shown]
	v_cmp_eq_u32_e64 s0, 8, v28
	v_cndmask_b32_e32 v34, v32, v17, vcc_lo
	v_cndmask_b32_e32 v35, v33, v16, vcc_lo
	ds_read_b64 v[32:33], v31
	v_cmp_eq_u32_e32 vcc_lo, 9, v28
	v_add_nc_u32_e32 v31, 8, v31
	v_cndmask_b32_e64 v34, v34, v19, s0
	v_cndmask_b32_e64 v35, v35, v18, s0
	v_cmp_eq_u32_e64 s0, 10, v28
	v_cndmask_b32_e32 v34, v34, v21, vcc_lo
	v_cndmask_b32_e32 v35, v35, v20, vcc_lo
	v_cmp_eq_u32_e32 vcc_lo, 11, v28
	v_cndmask_b32_e64 v34, v34, v23, s0
	v_cndmask_b32_e64 v36, v35, v22, s0
	v_cndmask_b32_e32 v35, v34, v25, vcc_lo
	v_cndmask_b32_e32 v34, v36, v24, vcc_lo
	v_add_co_u32 v28, vcc_lo, v28, 1
	v_add_co_ci_u32_e64 v29, null, 0, v29, vcc_lo
	s_waitcnt lgkmcnt(0)
	v_fma_f64 v[26:27], v[34:35], v[32:33], v[26:27]
	v_add_nc_u32_e32 v32, -1, v28
	v_cmp_lt_u32_e32 vcc_lo, 8, v32
	s_or_b32 s2, vcc_lo, s2
	s_andn2_b32 exec_lo, exec_lo, s2
	s_cbranch_execnz .LBB75_65
; %bb.66:
	s_or_b32 exec_lo, exec_lo, s2
	v_mov_b32_e32 v22, 0
	ds_read_b64 v[22:23], v22 offset:80
	s_waitcnt lgkmcnt(0)
	v_mul_f64 v[22:23], v[26:27], v[22:23]
.LBB75_67:
	s_or_b32 exec_lo, exec_lo, s1
	s_mov_b32 s1, exec_lo
	s_barrier
	buffer_gl0_inv
	ds_write_b64 v30, v[24:25]
	s_waitcnt lgkmcnt(0)
	s_barrier
	buffer_gl0_inv
	v_cmpx_ne_u32_e32 11, v0
	s_cbranch_execz .LBB75_71
; %bb.68:
	v_mov_b32_e32 v26, 0
	v_mov_b32_e32 v29, v1
	v_lshl_add_u32 v30, v0, 3, 0x60
	v_mov_b32_e32 v27, 0
	v_mov_b32_e32 v28, v0
	s_mov_b32 s2, 0
.LBB75_69:                              ; =>This Inner Loop Header: Depth=1
	v_cmp_eq_u32_e32 vcc_lo, 1, v28
	v_cmp_eq_u32_e64 s0, 2, v28
	v_cndmask_b32_e32 v1, v3, v5, vcc_lo
	v_cndmask_b32_e32 v31, v2, v4, vcc_lo
	v_cmp_eq_u32_e32 vcc_lo, 3, v28
	v_cndmask_b32_e64 v1, v1, v7, s0
	v_cndmask_b32_e64 v31, v31, v6, s0
	v_cmp_eq_u32_e64 s0, 4, v28
	v_cndmask_b32_e32 v1, v1, v9, vcc_lo
	v_cndmask_b32_e32 v31, v31, v8, vcc_lo
	v_cmp_eq_u32_e32 vcc_lo, 5, v28
	v_cndmask_b32_e64 v1, v1, v11, s0
	v_cndmask_b32_e64 v31, v31, v10, s0
	;; [unrolled: 6-line block ×3, first 2 shown]
	v_cmp_eq_u32_e64 s0, 8, v28
	v_cndmask_b32_e32 v1, v1, v17, vcc_lo
	v_cndmask_b32_e32 v33, v31, v16, vcc_lo
	ds_read_b64 v[31:32], v30
	v_cmp_eq_u32_e32 vcc_lo, 9, v28
	v_add_nc_u32_e32 v30, 8, v30
	v_cndmask_b32_e64 v1, v1, v19, s0
	v_cndmask_b32_e64 v33, v33, v18, s0
	v_cmp_eq_u32_e64 s0, 10, v28
	v_cndmask_b32_e32 v1, v1, v21, vcc_lo
	v_cndmask_b32_e32 v33, v33, v20, vcc_lo
	v_cmp_eq_u32_e32 vcc_lo, 11, v28
	v_cndmask_b32_e64 v1, v1, v23, s0
	v_cndmask_b32_e64 v33, v33, v22, s0
	v_cndmask_b32_e32 v34, v1, v25, vcc_lo
	v_cndmask_b32_e32 v33, v33, v24, vcc_lo
	v_add_co_u32 v28, vcc_lo, v28, 1
	v_add_co_ci_u32_e64 v29, null, 0, v29, vcc_lo
	s_waitcnt lgkmcnt(0)
	v_fma_f64 v[26:27], v[33:34], v[31:32], v[26:27]
	v_add_nc_u32_e32 v1, -1, v28
	v_cmp_lt_u32_e32 vcc_lo, 9, v1
	s_or_b32 s2, vcc_lo, s2
	s_andn2_b32 exec_lo, exec_lo, s2
	s_cbranch_execnz .LBB75_69
; %bb.70:
	s_or_b32 exec_lo, exec_lo, s2
	v_mov_b32_e32 v1, 0
	ds_read_b64 v[24:25], v1 offset:88
	s_waitcnt lgkmcnt(0)
	v_mul_f64 v[24:25], v[26:27], v[24:25]
.LBB75_71:
	s_or_b32 exec_lo, exec_lo, s1
	s_barrier
	buffer_gl0_inv
	s_cbranch_execnz .LBB75_15
	s_branch .LBB75_16
.LBB75_72:
	v_lshl_add_u32 v1, v0, 3, 0x60
	s_mov_b32 s0, exec_lo
	v_cmpx_eq_u32_e32 11, v0
	s_cbranch_execz .LBB75_74
; %bb.73:
	v_mov_b32_e32 v46, 0
	s_waitcnt lgkmcnt(11)
	v_mov_b32_e32 v26, v2
	s_waitcnt lgkmcnt(7)
	v_mov_b32_e32 v34, v10
	v_mov_b32_e32 v35, v11
	s_waitcnt lgkmcnt(6)
	v_mov_b32_e32 v36, v12
	;; [unrolled: 3-line block ×7, first 2 shown]
	v_mov_b32_e32 v49, v25
	v_mov_b32_e32 v47, v46
	;; [unrolled: 1-line block ×9, first 2 shown]
	ds_write_b64 v1, v[22:23]
	v_mov_b32_e32 v2, v26
	v_mov_b32_e32 v3, v27
	;; [unrolled: 1-line block ×32, first 2 shown]
.LBB75_74:
	s_or_b32 exec_lo, exec_lo, s0
	v_mov_b32_e32 v44, 0
	s_waitcnt lgkmcnt(0)
	s_waitcnt_vscnt null, 0x0
	s_barrier
	buffer_gl0_inv
	s_mov_b32 s0, exec_lo
	ds_read_b64 v[26:27], v44 offset:184
	s_waitcnt lgkmcnt(0)
	v_fma_f64 v[26:27], v[24:25], v[26:27], 0
	v_add_f64 v[22:23], v[22:23], -v[26:27]
	v_cmpx_lt_u32_e32 9, v0
	s_cbranch_execz .LBB75_76
; %bb.75:
	v_mov_b32_e32 v26, v2
	v_mov_b32_e32 v34, v10
	;; [unrolled: 1-line block ×23, first 2 shown]
	ds_write_b64 v1, v[20:21]
	v_mov_b32_e32 v2, v26
	v_mov_b32_e32 v3, v27
	;; [unrolled: 1-line block ×32, first 2 shown]
.LBB75_76:
	s_or_b32 exec_lo, exec_lo, s0
	s_waitcnt lgkmcnt(0)
	s_barrier
	buffer_gl0_inv
	ds_read_b128 v[26:29], v44 offset:176
	s_mov_b32 s0, exec_lo
	s_waitcnt lgkmcnt(0)
	v_fma_f64 v[26:27], v[22:23], v[26:27], 0
	v_fma_f64 v[26:27], v[24:25], v[28:29], v[26:27]
	v_add_f64 v[20:21], v[20:21], -v[26:27]
	v_cmpx_lt_u32_e32 8, v0
	s_cbranch_execz .LBB75_78
; %bb.77:
	v_mov_b32_e32 v42, 0
	v_mov_b32_e32 v26, v2
	;; [unrolled: 1-line block ×24, first 2 shown]
	ds_write_b64 v1, v[18:19]
	v_mov_b32_e32 v2, v26
	v_mov_b32_e32 v3, v27
	;; [unrolled: 1-line block ×32, first 2 shown]
.LBB75_78:
	s_or_b32 exec_lo, exec_lo, s0
	v_mov_b32_e32 v40, 0
	s_waitcnt lgkmcnt(0)
	s_barrier
	buffer_gl0_inv
	s_mov_b32 s0, exec_lo
	ds_read2_b64 v[26:29], v40 offset0:21 offset1:22
	ds_read_b64 v[30:31], v40 offset:184
	s_waitcnt lgkmcnt(1)
	v_fma_f64 v[26:27], v[20:21], v[26:27], 0
	v_fma_f64 v[26:27], v[22:23], v[28:29], v[26:27]
	s_waitcnt lgkmcnt(0)
	v_fma_f64 v[26:27], v[24:25], v[30:31], v[26:27]
	v_add_f64 v[18:19], v[18:19], -v[26:27]
	v_cmpx_lt_u32_e32 7, v0
	s_cbranch_execz .LBB75_80
; %bb.79:
	v_mov_b32_e32 v26, v2
	v_mov_b32_e32 v34, v10
	v_mov_b32_e32 v35, v11
	v_mov_b32_e32 v36, v12
	v_mov_b32_e32 v37, v13
	v_mov_b32_e32 v38, v14
	v_mov_b32_e32 v39, v15
	v_mov_b32_e32 v41, v40
	v_mov_b32_e32 v42, v18
	v_mov_b32_e32 v43, v19
	v_mov_b32_e32 v44, v20
	v_mov_b32_e32 v45, v21
	v_mov_b32_e32 v46, v22
	v_mov_b32_e32 v47, v23
	v_mov_b32_e32 v48, v24
	v_mov_b32_e32 v49, v25
	v_mov_b32_e32 v27, v3
	v_mov_b32_e32 v28, v4
	v_mov_b32_e32 v29, v5
	v_mov_b32_e32 v30, v6
	v_mov_b32_e32 v31, v7
	v_mov_b32_e32 v32, v8
	v_mov_b32_e32 v33, v9
	ds_write_b64 v1, v[16:17]
	v_mov_b32_e32 v2, v26
	v_mov_b32_e32 v3, v27
	;; [unrolled: 1-line block ×32, first 2 shown]
.LBB75_80:
	s_or_b32 exec_lo, exec_lo, s0
	s_waitcnt lgkmcnt(0)
	s_barrier
	buffer_gl0_inv
	ds_read_b128 v[26:29], v40 offset:160
	ds_read_b128 v[30:33], v40 offset:176
	s_mov_b32 s0, exec_lo
	s_waitcnt lgkmcnt(1)
	v_fma_f64 v[26:27], v[18:19], v[26:27], 0
	v_fma_f64 v[26:27], v[20:21], v[28:29], v[26:27]
	s_waitcnt lgkmcnt(0)
	v_fma_f64 v[26:27], v[22:23], v[30:31], v[26:27]
	v_fma_f64 v[26:27], v[24:25], v[32:33], v[26:27]
	v_add_f64 v[16:17], v[16:17], -v[26:27]
	v_cmpx_lt_u32_e32 6, v0
	s_cbranch_execz .LBB75_82
; %bb.81:
	v_mov_b32_e32 v38, 0
	v_mov_b32_e32 v26, v2
	;; [unrolled: 1-line block ×24, first 2 shown]
	ds_write_b64 v1, v[14:15]
	v_mov_b32_e32 v2, v26
	v_mov_b32_e32 v3, v27
	v_mov_b32_e32 v4, v28
	v_mov_b32_e32 v5, v29
	v_mov_b32_e32 v6, v30
	v_mov_b32_e32 v7, v31
	v_mov_b32_e32 v8, v32
	v_mov_b32_e32 v9, v33
	v_mov_b32_e32 v10, v34
	v_mov_b32_e32 v11, v35
	v_mov_b32_e32 v12, v36
	v_mov_b32_e32 v13, v37
	v_mov_b32_e32 v14, v38
	v_mov_b32_e32 v15, v39
	v_mov_b32_e32 v16, v40
	v_mov_b32_e32 v17, v41
	v_mov_b32_e32 v18, v42
	v_mov_b32_e32 v19, v43
	v_mov_b32_e32 v20, v44
	v_mov_b32_e32 v21, v45
	v_mov_b32_e32 v22, v46
	v_mov_b32_e32 v23, v47
	v_mov_b32_e32 v24, v48
	v_mov_b32_e32 v25, v49
	v_mov_b32_e32 v26, v50
	v_mov_b32_e32 v27, v51
	v_mov_b32_e32 v28, v52
	v_mov_b32_e32 v29, v53
	v_mov_b32_e32 v30, v54
	v_mov_b32_e32 v31, v55
	v_mov_b32_e32 v32, v56
	v_mov_b32_e32 v33, v57
.LBB75_82:
	s_or_b32 exec_lo, exec_lo, s0
	v_mov_b32_e32 v36, 0
	s_waitcnt lgkmcnt(0)
	s_barrier
	buffer_gl0_inv
	s_mov_b32 s0, exec_lo
	ds_read2_b64 v[26:29], v36 offset0:19 offset1:20
	ds_read2_b64 v[30:33], v36 offset0:21 offset1:22
	s_waitcnt lgkmcnt(1)
	v_fma_f64 v[26:27], v[16:17], v[26:27], 0
	v_fma_f64 v[26:27], v[18:19], v[28:29], v[26:27]
	ds_read_b64 v[28:29], v36 offset:184
	s_waitcnt lgkmcnt(1)
	v_fma_f64 v[26:27], v[20:21], v[30:31], v[26:27]
	v_fma_f64 v[26:27], v[22:23], v[32:33], v[26:27]
	s_waitcnt lgkmcnt(0)
	v_fma_f64 v[26:27], v[24:25], v[28:29], v[26:27]
	v_add_f64 v[14:15], v[14:15], -v[26:27]
	v_cmpx_lt_u32_e32 5, v0
	s_cbranch_execz .LBB75_84
; %bb.83:
	v_mov_b32_e32 v26, v2
	v_mov_b32_e32 v34, v10
	;; [unrolled: 1-line block ×23, first 2 shown]
	ds_write_b64 v1, v[12:13]
	v_mov_b32_e32 v2, v26
	v_mov_b32_e32 v3, v27
	;; [unrolled: 1-line block ×32, first 2 shown]
.LBB75_84:
	s_or_b32 exec_lo, exec_lo, s0
	s_waitcnt lgkmcnt(0)
	s_barrier
	buffer_gl0_inv
	ds_read_b128 v[26:29], v36 offset:144
	ds_read_b128 v[30:33], v36 offset:160
	s_mov_b32 s0, exec_lo
	s_waitcnt lgkmcnt(1)
	v_fma_f64 v[26:27], v[14:15], v[26:27], 0
	v_fma_f64 v[26:27], v[16:17], v[28:29], v[26:27]
	s_waitcnt lgkmcnt(0)
	v_fma_f64 v[26:27], v[18:19], v[30:31], v[26:27]
	v_fma_f64 v[30:31], v[20:21], v[32:33], v[26:27]
	ds_read_b128 v[26:29], v36 offset:176
	s_waitcnt lgkmcnt(0)
	v_fma_f64 v[26:27], v[22:23], v[26:27], v[30:31]
	v_fma_f64 v[26:27], v[24:25], v[28:29], v[26:27]
	v_add_f64 v[12:13], v[12:13], -v[26:27]
	v_cmpx_lt_u32_e32 4, v0
	s_cbranch_execz .LBB75_86
; %bb.85:
	v_mov_b32_e32 v34, 0
	v_mov_b32_e32 v26, v2
	;; [unrolled: 1-line block ×24, first 2 shown]
	ds_write_b64 v1, v[10:11]
	v_mov_b32_e32 v2, v26
	v_mov_b32_e32 v3, v27
	;; [unrolled: 1-line block ×32, first 2 shown]
.LBB75_86:
	s_or_b32 exec_lo, exec_lo, s0
	v_mov_b32_e32 v34, 0
	s_waitcnt lgkmcnt(0)
	s_barrier
	buffer_gl0_inv
	s_mov_b32 s0, exec_lo
	ds_read2_b64 v[26:29], v34 offset0:17 offset1:18
	ds_read2_b64 v[30:33], v34 offset0:19 offset1:20
	s_waitcnt lgkmcnt(1)
	v_fma_f64 v[26:27], v[12:13], v[26:27], 0
	v_fma_f64 v[26:27], v[14:15], v[28:29], v[26:27]
	s_waitcnt lgkmcnt(0)
	v_fma_f64 v[26:27], v[16:17], v[30:31], v[26:27]
	v_fma_f64 v[30:31], v[18:19], v[32:33], v[26:27]
	ds_read2_b64 v[26:29], v34 offset0:21 offset1:22
	ds_read_b64 v[32:33], v34 offset:184
	s_waitcnt lgkmcnt(1)
	v_fma_f64 v[26:27], v[20:21], v[26:27], v[30:31]
	v_fma_f64 v[26:27], v[22:23], v[28:29], v[26:27]
	s_waitcnt lgkmcnt(0)
	v_fma_f64 v[26:27], v[24:25], v[32:33], v[26:27]
	v_add_f64 v[10:11], v[10:11], -v[26:27]
	v_cmpx_lt_u32_e32 3, v0
	s_cbranch_execz .LBB75_88
; %bb.87:
	v_mov_b32_e32 v28, v2
	v_mov_b32_e32 v35, v34
	v_mov_b32_e32 v36, v10
	v_mov_b32_e32 v37, v11
	v_mov_b32_e32 v38, v12
	v_mov_b32_e32 v39, v13
	v_mov_b32_e32 v40, v14
	v_mov_b32_e32 v41, v15
	v_mov_b32_e32 v42, v16
	v_mov_b32_e32 v43, v17
	v_mov_b32_e32 v44, v18
	v_mov_b32_e32 v45, v19
	v_mov_b32_e32 v46, v20
	v_mov_b32_e32 v47, v21
	v_mov_b32_e32 v48, v22
	v_mov_b32_e32 v49, v23
	v_mov_b32_e32 v50, v24
	v_mov_b32_e32 v51, v25
	v_mov_b32_e32 v29, v3
	v_mov_b32_e32 v30, v4
	v_mov_b32_e32 v31, v5
	v_mov_b32_e32 v32, v6
	v_mov_b32_e32 v33, v7
	ds_write_b64 v1, v[8:9]
	v_mov_b32_e32 v2, v28
	v_mov_b32_e32 v3, v29
	;; [unrolled: 1-line block ×32, first 2 shown]
.LBB75_88:
	s_or_b32 exec_lo, exec_lo, s0
	s_waitcnt lgkmcnt(0)
	s_barrier
	buffer_gl0_inv
	ds_read_b128 v[26:29], v34 offset:128
	ds_read_b128 v[30:33], v34 offset:144
	s_mov_b32 s0, exec_lo
	s_waitcnt lgkmcnt(1)
	v_fma_f64 v[26:27], v[10:11], v[26:27], 0
	v_fma_f64 v[26:27], v[12:13], v[28:29], v[26:27]
	s_waitcnt lgkmcnt(0)
	v_fma_f64 v[26:27], v[14:15], v[30:31], v[26:27]
	v_fma_f64 v[35:36], v[16:17], v[32:33], v[26:27]
	ds_read_b128 v[26:29], v34 offset:160
	ds_read_b128 v[30:33], v34 offset:176
	s_waitcnt lgkmcnt(1)
	v_fma_f64 v[26:27], v[18:19], v[26:27], v[35:36]
	v_fma_f64 v[26:27], v[20:21], v[28:29], v[26:27]
	s_waitcnt lgkmcnt(0)
	v_fma_f64 v[26:27], v[22:23], v[30:31], v[26:27]
	v_fma_f64 v[26:27], v[24:25], v[32:33], v[26:27]
	v_add_f64 v[8:9], v[8:9], -v[26:27]
	v_cmpx_lt_u32_e32 2, v0
	s_cbranch_execz .LBB75_90
; %bb.89:
	v_mov_b32_e32 v30, 0
	v_mov_b32_e32 v26, v2
	;; [unrolled: 1-line block ×24, first 2 shown]
	ds_write_b64 v1, v[6:7]
	v_mov_b32_e32 v2, v26
	v_mov_b32_e32 v3, v27
	;; [unrolled: 1-line block ×32, first 2 shown]
.LBB75_90:
	s_or_b32 exec_lo, exec_lo, s0
	v_mov_b32_e32 v34, 0
	s_waitcnt lgkmcnt(0)
	s_barrier
	buffer_gl0_inv
	s_mov_b32 s0, exec_lo
	ds_read2_b64 v[26:29], v34 offset0:15 offset1:16
	ds_read2_b64 v[30:33], v34 offset0:17 offset1:18
	s_waitcnt lgkmcnt(1)
	v_fma_f64 v[26:27], v[8:9], v[26:27], 0
	v_fma_f64 v[26:27], v[10:11], v[28:29], v[26:27]
	s_waitcnt lgkmcnt(0)
	v_fma_f64 v[26:27], v[12:13], v[30:31], v[26:27]
	v_fma_f64 v[35:36], v[14:15], v[32:33], v[26:27]
	ds_read2_b64 v[26:29], v34 offset0:19 offset1:20
	ds_read2_b64 v[30:33], v34 offset0:21 offset1:22
	s_waitcnt lgkmcnt(1)
	v_fma_f64 v[26:27], v[16:17], v[26:27], v[35:36]
	v_fma_f64 v[26:27], v[18:19], v[28:29], v[26:27]
	ds_read_b64 v[28:29], v34 offset:184
	s_waitcnt lgkmcnt(1)
	v_fma_f64 v[26:27], v[20:21], v[30:31], v[26:27]
	v_fma_f64 v[26:27], v[22:23], v[32:33], v[26:27]
	s_waitcnt lgkmcnt(0)
	v_fma_f64 v[26:27], v[24:25], v[28:29], v[26:27]
	v_add_f64 v[6:7], v[6:7], -v[26:27]
	v_cmpx_lt_u32_e32 1, v0
	s_cbranch_execz .LBB75_92
; %bb.91:
	v_mov_b32_e32 v32, v2
	v_mov_b32_e32 v35, v34
	;; [unrolled: 1-line block ×23, first 2 shown]
	ds_write_b64 v1, v[4:5]
	v_mov_b32_e32 v2, v32
	v_mov_b32_e32 v3, v33
	;; [unrolled: 1-line block ×32, first 2 shown]
.LBB75_92:
	s_or_b32 exec_lo, exec_lo, s0
	s_waitcnt lgkmcnt(0)
	s_barrier
	buffer_gl0_inv
	ds_read_b128 v[26:29], v34 offset:112
	ds_read_b128 v[30:33], v34 offset:128
	s_mov_b32 s0, exec_lo
	s_waitcnt lgkmcnt(1)
	v_fma_f64 v[26:27], v[6:7], v[26:27], 0
	v_fma_f64 v[26:27], v[8:9], v[28:29], v[26:27]
	s_waitcnt lgkmcnt(0)
	v_fma_f64 v[26:27], v[10:11], v[30:31], v[26:27]
	v_fma_f64 v[35:36], v[12:13], v[32:33], v[26:27]
	ds_read_b128 v[26:29], v34 offset:144
	ds_read_b128 v[30:33], v34 offset:160
	s_waitcnt lgkmcnt(1)
	v_fma_f64 v[26:27], v[14:15], v[26:27], v[35:36]
	v_fma_f64 v[26:27], v[16:17], v[28:29], v[26:27]
	s_waitcnt lgkmcnt(0)
	v_fma_f64 v[26:27], v[18:19], v[30:31], v[26:27]
	v_fma_f64 v[30:31], v[20:21], v[32:33], v[26:27]
	ds_read_b128 v[26:29], v34 offset:176
	s_waitcnt lgkmcnt(0)
	v_fma_f64 v[26:27], v[22:23], v[26:27], v[30:31]
	v_fma_f64 v[26:27], v[24:25], v[28:29], v[26:27]
	v_add_f64 v[4:5], v[4:5], -v[26:27]
	v_cmpx_ne_u32_e32 0, v0
	s_cbranch_execz .LBB75_94
; %bb.93:
	v_mov_b32_e32 v26, 0
	v_mov_b32_e32 v34, v10
	;; [unrolled: 1-line block ×58, first 2 shown]
	ds_write_b64 v1, v[50:51]
.LBB75_94:
	s_or_b32 exec_lo, exec_lo, s0
	v_mov_b32_e32 v0, 0
	s_waitcnt lgkmcnt(0)
	s_barrier
	buffer_gl0_inv
	s_and_b32 vcc_lo, exec_lo, s18
	ds_read2_b64 v[26:29], v0 offset0:13 offset1:14
	ds_read2_b64 v[30:33], v0 offset0:15 offset1:16
	s_waitcnt lgkmcnt(1)
	v_fma_f64 v[26:27], v[4:5], v[26:27], 0
	v_fma_f64 v[26:27], v[6:7], v[28:29], v[26:27]
	s_waitcnt lgkmcnt(0)
	v_fma_f64 v[26:27], v[8:9], v[30:31], v[26:27]
	v_fma_f64 v[34:35], v[10:11], v[32:33], v[26:27]
	ds_read2_b64 v[26:29], v0 offset0:17 offset1:18
	ds_read2_b64 v[30:33], v0 offset0:19 offset1:20
	s_waitcnt lgkmcnt(1)
	v_fma_f64 v[26:27], v[12:13], v[26:27], v[34:35]
	v_fma_f64 v[26:27], v[14:15], v[28:29], v[26:27]
	s_waitcnt lgkmcnt(0)
	v_fma_f64 v[26:27], v[16:17], v[30:31], v[26:27]
	v_fma_f64 v[30:31], v[18:19], v[32:33], v[26:27]
	ds_read2_b64 v[26:29], v0 offset0:21 offset1:22
	ds_read_b64 v[32:33], v0 offset:184
	s_waitcnt lgkmcnt(1)
	v_fma_f64 v[26:27], v[20:21], v[26:27], v[30:31]
	v_fma_f64 v[26:27], v[22:23], v[28:29], v[26:27]
	s_waitcnt lgkmcnt(0)
	v_fma_f64 v[26:27], v[24:25], v[32:33], v[26:27]
	v_add_f64 v[2:3], v[2:3], -v[26:27]
	s_cbranch_vccz .LBB75_117
; %bb.95:
	global_load_dword v0, v0, s[16:17] offset:40
	s_waitcnt vmcnt(0)
	v_readfirstlane_b32 s0, v0
	s_add_i32 s0, s0, -1
	s_cmp_lg_u32 s0, 10
	s_cbranch_scc0 .LBB75_97
; %bb.96:
	s_lshl_b32 m0, s0, 1
	v_movrels_b32_e32 v0, v2
	v_movrels_b32_e32 v1, v3
	v_mov_b32_e32 v55, v33
	v_mov_b32_e32 v54, v32
	;; [unrolled: 1-line block ×34, first 2 shown]
	v_movreld_b32_e32 v24, v22
	v_movreld_b32_e32 v25, v23
	v_mov_b32_e32 v2, v24
	v_mov_b32_e32 v3, v25
	;; [unrolled: 1-line block ×32, first 2 shown]
.LBB75_97:
	v_mov_b32_e32 v0, 0
	global_load_dword v1, v0, s[16:17] offset:36
	s_waitcnt vmcnt(0)
	v_readfirstlane_b32 s0, v1
	s_add_i32 s0, s0, -1
	s_cmp_eq_u32 s0, 9
	s_cbranch_scc1 .LBB75_99
; %bb.98:
	s_lshl_b32 m0, s0, 1
	v_movrels_b32_e32 v1, v2
	v_movrels_b32_e32 v54, v3
	v_mov_b32_e32 v53, v33
	v_mov_b32_e32 v52, v32
	;; [unrolled: 1-line block ×34, first 2 shown]
	v_movreld_b32_e32 v22, v20
	v_movreld_b32_e32 v23, v21
	v_mov_b32_e32 v2, v22
	v_mov_b32_e32 v3, v23
	;; [unrolled: 1-line block ×32, first 2 shown]
.LBB75_99:
	global_load_dword v0, v0, s[16:17] offset:32
	s_waitcnt vmcnt(0)
	v_readfirstlane_b32 s0, v0
	s_add_i32 s0, s0, -1
	s_cmp_eq_u32 s0, 8
	s_cbranch_scc1 .LBB75_101
; %bb.100:
	s_lshl_b32 m0, s0, 1
	v_movrels_b32_e32 v0, v2
	v_movrels_b32_e32 v1, v3
	v_mov_b32_e32 v51, v33
	v_mov_b32_e32 v50, v32
	;; [unrolled: 1-line block ×34, first 2 shown]
	v_movreld_b32_e32 v20, v18
	v_movreld_b32_e32 v21, v19
	v_mov_b32_e32 v2, v20
	v_mov_b32_e32 v3, v21
	;; [unrolled: 1-line block ×32, first 2 shown]
.LBB75_101:
	v_mov_b32_e32 v0, 0
	global_load_dword v1, v0, s[16:17] offset:28
	s_waitcnt vmcnt(0)
	v_readfirstlane_b32 s0, v1
	s_add_i32 s0, s0, -1
	s_cmp_eq_u32 s0, 7
	s_cbranch_scc1 .LBB75_103
; %bb.102:
	s_lshl_b32 m0, s0, 1
	v_movrels_b32_e32 v1, v2
	v_movrels_b32_e32 v50, v3
	v_mov_b32_e32 v49, v33
	v_mov_b32_e32 v48, v32
	;; [unrolled: 1-line block ×34, first 2 shown]
	v_movreld_b32_e32 v18, v16
	v_movreld_b32_e32 v19, v17
	v_mov_b32_e32 v2, v18
	v_mov_b32_e32 v3, v19
	;; [unrolled: 1-line block ×32, first 2 shown]
.LBB75_103:
	global_load_dword v0, v0, s[16:17] offset:24
	s_waitcnt vmcnt(0)
	v_readfirstlane_b32 s0, v0
	s_add_i32 s0, s0, -1
	s_cmp_eq_u32 s0, 6
	s_cbranch_scc1 .LBB75_105
; %bb.104:
	s_lshl_b32 m0, s0, 1
	v_movrels_b32_e32 v0, v2
	v_movrels_b32_e32 v1, v3
	v_mov_b32_e32 v47, v33
	v_mov_b32_e32 v46, v32
	;; [unrolled: 1-line block ×34, first 2 shown]
	v_movreld_b32_e32 v16, v14
	v_movreld_b32_e32 v17, v15
	v_mov_b32_e32 v2, v16
	v_mov_b32_e32 v3, v17
	v_mov_b32_e32 v4, v18
	v_mov_b32_e32 v5, v19
	v_mov_b32_e32 v6, v20
	v_mov_b32_e32 v7, v21
	v_mov_b32_e32 v8, v22
	v_mov_b32_e32 v9, v23
	v_mov_b32_e32 v10, v24
	v_mov_b32_e32 v11, v25
	v_mov_b32_e32 v12, v26
	v_mov_b32_e32 v13, v27
	v_mov_b32_e32 v14, v28
	v_mov_b32_e32 v15, v29
	v_mov_b32_e32 v16, v30
	v_mov_b32_e32 v17, v31
	v_mov_b32_e32 v18, v32
	v_mov_b32_e32 v19, v33
	v_mov_b32_e32 v20, v34
	v_mov_b32_e32 v21, v35
	v_mov_b32_e32 v22, v36
	v_mov_b32_e32 v23, v37
	v_mov_b32_e32 v24, v38
	v_mov_b32_e32 v25, v39
	v_mov_b32_e32 v26, v40
	v_mov_b32_e32 v27, v41
	v_mov_b32_e32 v28, v42
	v_mov_b32_e32 v29, v43
	v_mov_b32_e32 v30, v44
	v_mov_b32_e32 v31, v45
	v_mov_b32_e32 v32, v46
	v_mov_b32_e32 v33, v47
.LBB75_105:
	v_mov_b32_e32 v0, 0
	global_load_dword v1, v0, s[16:17] offset:20
	s_waitcnt vmcnt(0)
	v_readfirstlane_b32 s0, v1
	s_add_i32 s0, s0, -1
	s_cmp_eq_u32 s0, 5
	s_cbranch_scc1 .LBB75_107
; %bb.106:
	s_lshl_b32 m0, s0, 1
	v_movrels_b32_e32 v1, v2
	v_movrels_b32_e32 v46, v3
	v_mov_b32_e32 v45, v33
	v_mov_b32_e32 v44, v32
	;; [unrolled: 1-line block ×34, first 2 shown]
	v_movreld_b32_e32 v14, v12
	v_movreld_b32_e32 v15, v13
	v_mov_b32_e32 v2, v14
	v_mov_b32_e32 v3, v15
	v_mov_b32_e32 v4, v16
	v_mov_b32_e32 v5, v17
	v_mov_b32_e32 v6, v18
	v_mov_b32_e32 v7, v19
	v_mov_b32_e32 v8, v20
	v_mov_b32_e32 v9, v21
	v_mov_b32_e32 v10, v22
	v_mov_b32_e32 v11, v23
	v_mov_b32_e32 v12, v24
	v_mov_b32_e32 v13, v25
	v_mov_b32_e32 v14, v26
	v_mov_b32_e32 v15, v27
	v_mov_b32_e32 v16, v28
	v_mov_b32_e32 v17, v29
	v_mov_b32_e32 v18, v30
	v_mov_b32_e32 v19, v31
	v_mov_b32_e32 v20, v32
	v_mov_b32_e32 v21, v33
	v_mov_b32_e32 v22, v34
	v_mov_b32_e32 v23, v35
	v_mov_b32_e32 v24, v36
	v_mov_b32_e32 v25, v37
	v_mov_b32_e32 v26, v38
	v_mov_b32_e32 v27, v39
	v_mov_b32_e32 v28, v40
	v_mov_b32_e32 v29, v41
	v_mov_b32_e32 v30, v42
	v_mov_b32_e32 v31, v43
	v_mov_b32_e32 v32, v44
	v_mov_b32_e32 v33, v45
.LBB75_107:
	global_load_dword v0, v0, s[16:17] offset:16
	s_waitcnt vmcnt(0)
	v_readfirstlane_b32 s0, v0
	s_add_i32 s0, s0, -1
	s_cmp_eq_u32 s0, 4
	s_cbranch_scc1 .LBB75_109
; %bb.108:
	s_lshl_b32 m0, s0, 1
	v_movrels_b32_e32 v0, v2
	v_movrels_b32_e32 v1, v3
	v_mov_b32_e32 v43, v33
	v_mov_b32_e32 v42, v32
	;; [unrolled: 1-line block ×34, first 2 shown]
	v_movreld_b32_e32 v12, v10
	v_movreld_b32_e32 v13, v11
	v_mov_b32_e32 v2, v12
	v_mov_b32_e32 v3, v13
	;; [unrolled: 1-line block ×32, first 2 shown]
.LBB75_109:
	v_mov_b32_e32 v0, 0
	global_load_dword v1, v0, s[16:17] offset:12
	s_waitcnt vmcnt(0)
	v_readfirstlane_b32 s0, v1
	s_add_i32 s0, s0, -1
	s_cmp_eq_u32 s0, 3
	s_cbranch_scc1 .LBB75_111
; %bb.110:
	s_lshl_b32 m0, s0, 1
	v_movrels_b32_e32 v1, v2
	v_movrels_b32_e32 v42, v3
	v_mov_b32_e32 v41, v33
	v_mov_b32_e32 v40, v32
	;; [unrolled: 1-line block ×34, first 2 shown]
	v_movreld_b32_e32 v10, v8
	v_movreld_b32_e32 v11, v9
	v_mov_b32_e32 v2, v10
	v_mov_b32_e32 v3, v11
	;; [unrolled: 1-line block ×32, first 2 shown]
.LBB75_111:
	global_load_dword v0, v0, s[16:17] offset:8
	s_waitcnt vmcnt(0)
	v_readfirstlane_b32 s0, v0
	s_add_i32 s0, s0, -1
	s_cmp_eq_u32 s0, 2
	s_cbranch_scc1 .LBB75_113
; %bb.112:
	s_lshl_b32 m0, s0, 1
	v_movrels_b32_e32 v0, v2
	v_movrels_b32_e32 v1, v3
	v_mov_b32_e32 v39, v33
	v_mov_b32_e32 v38, v32
	v_mov_b32_e32 v37, v31
	v_mov_b32_e32 v36, v30
	v_mov_b32_e32 v35, v29
	v_mov_b32_e32 v34, v28
	v_mov_b32_e32 v33, v27
	v_mov_b32_e32 v32, v26
	v_mov_b32_e32 v31, v25
	v_mov_b32_e32 v30, v24
	v_mov_b32_e32 v29, v23
	v_mov_b32_e32 v28, v22
	v_mov_b32_e32 v27, v21
	v_mov_b32_e32 v26, v20
	v_mov_b32_e32 v25, v19
	v_mov_b32_e32 v24, v18
	v_mov_b32_e32 v23, v17
	v_mov_b32_e32 v22, v16
	v_mov_b32_e32 v21, v15
	v_mov_b32_e32 v20, v14
	v_mov_b32_e32 v19, v13
	v_mov_b32_e32 v18, v12
	v_mov_b32_e32 v17, v11
	v_mov_b32_e32 v16, v10
	v_mov_b32_e32 v15, v9
	v_mov_b32_e32 v14, v8
	v_mov_b32_e32 v13, v7
	v_mov_b32_e32 v12, v6
	v_mov_b32_e32 v11, v5
	v_mov_b32_e32 v10, v4
	v_mov_b32_e32 v9, v3
	v_mov_b32_e32 v8, v2
	v_mov_b32_e32 v12, v0
	v_mov_b32_e32 v13, v1
	v_movreld_b32_e32 v8, v6
	v_movreld_b32_e32 v9, v7
	v_mov_b32_e32 v2, v8
	v_mov_b32_e32 v3, v9
	;; [unrolled: 1-line block ×32, first 2 shown]
.LBB75_113:
	v_mov_b32_e32 v0, 0
	global_load_dword v1, v0, s[16:17] offset:4
	s_waitcnt vmcnt(0)
	v_readfirstlane_b32 s0, v1
	s_add_i32 s0, s0, -1
	s_cmp_eq_u32 s0, 1
	s_cbranch_scc1 .LBB75_115
; %bb.114:
	s_lshl_b32 m0, s0, 1
	v_movrels_b32_e32 v1, v2
	v_movrels_b32_e32 v38, v3
	v_mov_b32_e32 v37, v33
	v_mov_b32_e32 v36, v32
	;; [unrolled: 1-line block ×34, first 2 shown]
	v_movreld_b32_e32 v6, v4
	v_movreld_b32_e32 v7, v5
	v_mov_b32_e32 v2, v6
	v_mov_b32_e32 v3, v7
	v_mov_b32_e32 v4, v8
	v_mov_b32_e32 v5, v9
	v_mov_b32_e32 v6, v10
	v_mov_b32_e32 v7, v11
	v_mov_b32_e32 v8, v12
	v_mov_b32_e32 v9, v13
	v_mov_b32_e32 v10, v14
	v_mov_b32_e32 v11, v15
	v_mov_b32_e32 v12, v16
	v_mov_b32_e32 v13, v17
	v_mov_b32_e32 v14, v18
	v_mov_b32_e32 v15, v19
	v_mov_b32_e32 v16, v20
	v_mov_b32_e32 v17, v21
	v_mov_b32_e32 v18, v22
	v_mov_b32_e32 v19, v23
	v_mov_b32_e32 v20, v24
	v_mov_b32_e32 v21, v25
	v_mov_b32_e32 v22, v26
	v_mov_b32_e32 v23, v27
	v_mov_b32_e32 v24, v28
	v_mov_b32_e32 v25, v29
	v_mov_b32_e32 v26, v30
	v_mov_b32_e32 v27, v31
	v_mov_b32_e32 v28, v32
	v_mov_b32_e32 v29, v33
	v_mov_b32_e32 v30, v34
	v_mov_b32_e32 v31, v35
	v_mov_b32_e32 v32, v36
	v_mov_b32_e32 v33, v37
.LBB75_115:
	global_load_dword v0, v0, s[16:17]
	s_waitcnt vmcnt(0)
	v_readfirstlane_b32 s0, v0
	s_add_i32 s0, s0, -1
	s_cmp_eq_u32 s0, 0
	s_cbranch_scc1 .LBB75_117
; %bb.116:
	s_lshl_b32 m0, s0, 1
	v_movrels_b32_e32 v0, v2
	v_movrels_b32_e32 v1, v3
	v_mov_b32_e32 v35, v33
	v_mov_b32_e32 v34, v32
	;; [unrolled: 1-line block ×34, first 2 shown]
	v_movreld_b32_e32 v4, v2
	v_movreld_b32_e32 v5, v3
	v_mov_b32_e32 v2, v4
	v_mov_b32_e32 v3, v5
	v_mov_b32_e32 v4, v6
	v_mov_b32_e32 v5, v7
	v_mov_b32_e32 v6, v8
	v_mov_b32_e32 v7, v9
	v_mov_b32_e32 v8, v10
	v_mov_b32_e32 v9, v11
	v_mov_b32_e32 v10, v12
	v_mov_b32_e32 v11, v13
	v_mov_b32_e32 v12, v14
	v_mov_b32_e32 v13, v15
	v_mov_b32_e32 v14, v16
	v_mov_b32_e32 v15, v17
	v_mov_b32_e32 v16, v18
	v_mov_b32_e32 v17, v19
	v_mov_b32_e32 v18, v20
	v_mov_b32_e32 v19, v21
	v_mov_b32_e32 v20, v22
	v_mov_b32_e32 v21, v23
	v_mov_b32_e32 v22, v24
	v_mov_b32_e32 v23, v25
	v_mov_b32_e32 v24, v26
	v_mov_b32_e32 v25, v27
	v_mov_b32_e32 v26, v28
	v_mov_b32_e32 v27, v29
	v_mov_b32_e32 v28, v30
	v_mov_b32_e32 v29, v31
	v_mov_b32_e32 v30, v32
	v_mov_b32_e32 v31, v33
	v_mov_b32_e32 v32, v34
	v_mov_b32_e32 v33, v35
.LBB75_117:
	v_mov_b32_e32 v0, v2
	v_mov_b32_e32 v1, v3
	;; [unrolled: 1-line block ×5, first 2 shown]
	flat_store_dwordx2 v[56:57], v[0:1]
	flat_store_dwordx2 v[60:61], v[2:3]
	v_mov_b32_e32 v0, v6
	v_mov_b32_e32 v1, v7
	;; [unrolled: 1-line block ×9, first 2 shown]
	flat_store_dwordx2 v[58:59], v[0:1]
	flat_store_dwordx2 v[62:63], v[2:3]
	;; [unrolled: 1-line block ×5, first 2 shown]
	v_mov_b32_e32 v0, v16
	v_mov_b32_e32 v1, v17
	;; [unrolled: 1-line block ×10, first 2 shown]
	flat_store_dwordx2 v[68:69], v[0:1]
	flat_store_dwordx2 v[72:73], v[2:3]
	;; [unrolled: 1-line block ×5, first 2 shown]
	s_endpgm
	.section	.rodata,"a",@progbits
	.p2align	6, 0x0
	.amdhsa_kernel _ZN9rocsolver6v33100L18getri_kernel_smallILi12EdPKPdEEvT1_iilPiilS6_bb
		.amdhsa_group_segment_fixed_size 200
		.amdhsa_private_segment_fixed_size 0
		.amdhsa_kernarg_size 60
		.amdhsa_user_sgpr_count 6
		.amdhsa_user_sgpr_private_segment_buffer 1
		.amdhsa_user_sgpr_dispatch_ptr 0
		.amdhsa_user_sgpr_queue_ptr 0
		.amdhsa_user_sgpr_kernarg_segment_ptr 1
		.amdhsa_user_sgpr_dispatch_id 0
		.amdhsa_user_sgpr_flat_scratch_init 0
		.amdhsa_user_sgpr_private_segment_size 0
		.amdhsa_wavefront_size32 1
		.amdhsa_uses_dynamic_stack 0
		.amdhsa_system_sgpr_private_segment_wavefront_offset 0
		.amdhsa_system_sgpr_workgroup_id_x 1
		.amdhsa_system_sgpr_workgroup_id_y 0
		.amdhsa_system_sgpr_workgroup_id_z 0
		.amdhsa_system_sgpr_workgroup_info 0
		.amdhsa_system_vgpr_workitem_id 0
		.amdhsa_next_free_vgpr 80
		.amdhsa_next_free_sgpr 19
		.amdhsa_reserve_vcc 1
		.amdhsa_reserve_flat_scratch 1
		.amdhsa_float_round_mode_32 0
		.amdhsa_float_round_mode_16_64 0
		.amdhsa_float_denorm_mode_32 3
		.amdhsa_float_denorm_mode_16_64 3
		.amdhsa_dx10_clamp 1
		.amdhsa_ieee_mode 1
		.amdhsa_fp16_overflow 0
		.amdhsa_workgroup_processor_mode 1
		.amdhsa_memory_ordered 1
		.amdhsa_forward_progress 1
		.amdhsa_shared_vgpr_count 0
		.amdhsa_exception_fp_ieee_invalid_op 0
		.amdhsa_exception_fp_denorm_src 0
		.amdhsa_exception_fp_ieee_div_zero 0
		.amdhsa_exception_fp_ieee_overflow 0
		.amdhsa_exception_fp_ieee_underflow 0
		.amdhsa_exception_fp_ieee_inexact 0
		.amdhsa_exception_int_div_zero 0
	.end_amdhsa_kernel
	.section	.text._ZN9rocsolver6v33100L18getri_kernel_smallILi12EdPKPdEEvT1_iilPiilS6_bb,"axG",@progbits,_ZN9rocsolver6v33100L18getri_kernel_smallILi12EdPKPdEEvT1_iilPiilS6_bb,comdat
.Lfunc_end75:
	.size	_ZN9rocsolver6v33100L18getri_kernel_smallILi12EdPKPdEEvT1_iilPiilS6_bb, .Lfunc_end75-_ZN9rocsolver6v33100L18getri_kernel_smallILi12EdPKPdEEvT1_iilPiilS6_bb
                                        ; -- End function
	.set _ZN9rocsolver6v33100L18getri_kernel_smallILi12EdPKPdEEvT1_iilPiilS6_bb.num_vgpr, 80
	.set _ZN9rocsolver6v33100L18getri_kernel_smallILi12EdPKPdEEvT1_iilPiilS6_bb.num_agpr, 0
	.set _ZN9rocsolver6v33100L18getri_kernel_smallILi12EdPKPdEEvT1_iilPiilS6_bb.numbered_sgpr, 19
	.set _ZN9rocsolver6v33100L18getri_kernel_smallILi12EdPKPdEEvT1_iilPiilS6_bb.num_named_barrier, 0
	.set _ZN9rocsolver6v33100L18getri_kernel_smallILi12EdPKPdEEvT1_iilPiilS6_bb.private_seg_size, 0
	.set _ZN9rocsolver6v33100L18getri_kernel_smallILi12EdPKPdEEvT1_iilPiilS6_bb.uses_vcc, 1
	.set _ZN9rocsolver6v33100L18getri_kernel_smallILi12EdPKPdEEvT1_iilPiilS6_bb.uses_flat_scratch, 1
	.set _ZN9rocsolver6v33100L18getri_kernel_smallILi12EdPKPdEEvT1_iilPiilS6_bb.has_dyn_sized_stack, 0
	.set _ZN9rocsolver6v33100L18getri_kernel_smallILi12EdPKPdEEvT1_iilPiilS6_bb.has_recursion, 0
	.set _ZN9rocsolver6v33100L18getri_kernel_smallILi12EdPKPdEEvT1_iilPiilS6_bb.has_indirect_call, 0
	.section	.AMDGPU.csdata,"",@progbits
; Kernel info:
; codeLenInByte = 15048
; TotalNumSgprs: 21
; NumVgprs: 80
; ScratchSize: 0
; MemoryBound: 0
; FloatMode: 240
; IeeeMode: 1
; LDSByteSize: 200 bytes/workgroup (compile time only)
; SGPRBlocks: 0
; VGPRBlocks: 9
; NumSGPRsForWavesPerEU: 21
; NumVGPRsForWavesPerEU: 80
; Occupancy: 12
; WaveLimiterHint : 1
; COMPUTE_PGM_RSRC2:SCRATCH_EN: 0
; COMPUTE_PGM_RSRC2:USER_SGPR: 6
; COMPUTE_PGM_RSRC2:TRAP_HANDLER: 0
; COMPUTE_PGM_RSRC2:TGID_X_EN: 1
; COMPUTE_PGM_RSRC2:TGID_Y_EN: 0
; COMPUTE_PGM_RSRC2:TGID_Z_EN: 0
; COMPUTE_PGM_RSRC2:TIDIG_COMP_CNT: 0
	.section	.text._ZN9rocsolver6v33100L18getri_kernel_smallILi13EdPKPdEEvT1_iilPiilS6_bb,"axG",@progbits,_ZN9rocsolver6v33100L18getri_kernel_smallILi13EdPKPdEEvT1_iilPiilS6_bb,comdat
	.globl	_ZN9rocsolver6v33100L18getri_kernel_smallILi13EdPKPdEEvT1_iilPiilS6_bb ; -- Begin function _ZN9rocsolver6v33100L18getri_kernel_smallILi13EdPKPdEEvT1_iilPiilS6_bb
	.p2align	8
	.type	_ZN9rocsolver6v33100L18getri_kernel_smallILi13EdPKPdEEvT1_iilPiilS6_bb,@function
_ZN9rocsolver6v33100L18getri_kernel_smallILi13EdPKPdEEvT1_iilPiilS6_bb: ; @_ZN9rocsolver6v33100L18getri_kernel_smallILi13EdPKPdEEvT1_iilPiilS6_bb
; %bb.0:
	s_mov_b32 s0, exec_lo
	v_cmpx_gt_u32_e32 13, v0
	s_cbranch_execz .LBB76_16
; %bb.1:
	s_clause 0x2
	s_load_dword s8, s[4:5], 0x38
	s_load_dwordx2 s[0:1], s[4:5], 0x0
	s_load_dwordx4 s[16:19], s[4:5], 0x28
                                        ; implicit-def: $sgpr20_sgpr21
	s_waitcnt lgkmcnt(0)
	s_bitcmp1_b32 s8, 8
	s_cselect_b32 s15, -1, 0
	s_ashr_i32 s7, s6, 31
	s_lshl_b64 s[2:3], s[6:7], 3
	s_add_u32 s0, s0, s2
	s_addc_u32 s1, s1, s3
	s_load_dwordx2 s[2:3], s[0:1], 0x0
	s_bfe_u32 s0, s8, 0x10008
	s_cmp_eq_u32 s0, 0
	s_cbranch_scc1 .LBB76_3
; %bb.2:
	s_clause 0x1
	s_load_dword s0, s[4:5], 0x20
	s_load_dwordx2 s[8:9], s[4:5], 0x18
	s_mul_i32 s1, s16, s7
	s_mul_hi_u32 s10, s16, s6
	s_mul_i32 s11, s17, s6
	s_add_i32 s1, s10, s1
	s_mul_i32 s10, s16, s6
	s_add_i32 s11, s1, s11
	s_lshl_b64 s[10:11], s[10:11], 2
	s_waitcnt lgkmcnt(0)
	s_ashr_i32 s1, s0, 31
	s_add_u32 s8, s8, s10
	s_addc_u32 s9, s9, s11
	s_lshl_b64 s[0:1], s[0:1], 2
	s_add_u32 s20, s8, s0
	s_addc_u32 s21, s9, s1
.LBB76_3:
	s_clause 0x1
	s_load_dwordx2 s[0:1], s[4:5], 0x8
	s_load_dword s4, s[4:5], 0x38
	v_lshlrev_b32_e32 v30, 3, v0
	s_waitcnt lgkmcnt(0)
	v_add3_u32 v1, s1, s1, v0
	s_ashr_i32 s9, s0, 31
	s_mov_b32 s8, s0
	s_mov_b32 s10, s1
	s_lshl_b64 s[8:9], s[8:9], 3
	v_add_nc_u32_e32 v3, s1, v1
	v_ashrrev_i32_e32 v2, 31, v1
	s_add_u32 s0, s2, s8
	s_addc_u32 s5, s3, s9
	v_add_co_u32 v60, s2, s0, v30
	v_add_nc_u32_e32 v5, s1, v3
	s_ashr_i32 s11, s1, 31
	v_lshlrev_b64 v[1:2], 3, v[1:2]
	v_ashrrev_i32_e32 v4, 31, v3
	v_add_co_ci_u32_e64 v61, null, s5, 0, s2
	s_lshl_b64 s[2:3], s[10:11], 3
	v_ashrrev_i32_e32 v6, 31, v5
	v_add_nc_u32_e32 v7, s1, v5
	v_add_co_u32 v62, vcc_lo, v60, s2
	v_lshlrev_b64 v[3:4], 3, v[3:4]
	v_add_co_ci_u32_e64 v63, null, s3, v61, vcc_lo
	v_add_co_u32 v66, vcc_lo, s0, v1
	v_add_co_ci_u32_e64 v67, null, s5, v2, vcc_lo
	v_lshlrev_b64 v[1:2], 3, v[5:6]
	v_ashrrev_i32_e32 v8, 31, v7
	v_add_nc_u32_e32 v5, s1, v7
	v_add_co_u32 v64, vcc_lo, s0, v3
	v_add_co_ci_u32_e64 v65, null, s5, v4, vcc_lo
	v_lshlrev_b64 v[3:4], 3, v[7:8]
	v_ashrrev_i32_e32 v6, 31, v5
	v_add_nc_u32_e32 v7, s1, v5
	;; [unrolled: 5-line block ×6, first 2 shown]
	v_add_co_u32 v74, vcc_lo, s0, v1
	v_add_co_ci_u32_e64 v75, null, s5, v2, vcc_lo
	v_lshlrev_b64 v[1:2], 3, v[5:6]
	v_add_nc_u32_e32 v5, s1, v7
	v_ashrrev_i32_e32 v8, 31, v7
	v_add_co_u32 v78, vcc_lo, s0, v3
	v_add_co_ci_u32_e64 v79, null, s5, v4, vcc_lo
	v_ashrrev_i32_e32 v6, 31, v5
	v_lshlrev_b64 v[3:4], 3, v[7:8]
	v_add_co_u32 v80, vcc_lo, s0, v1
	v_add_co_ci_u32_e64 v81, null, s5, v2, vcc_lo
	v_lshlrev_b64 v[1:2], 3, v[5:6]
	v_add_co_u32 v82, vcc_lo, s0, v3
	v_add_co_ci_u32_e64 v83, null, s5, v4, vcc_lo
	s_bitcmp0_b32 s4, 0
	v_add_co_u32 v84, vcc_lo, s0, v1
	v_add_co_ci_u32_e64 v85, null, s5, v2, vcc_lo
	s_clause 0xc
	flat_load_dwordx2 v[2:3], v[60:61]
	flat_load_dwordx2 v[4:5], v[62:63]
	;; [unrolled: 1-line block ×13, first 2 shown]
	v_mov_b32_e32 v1, 0
	s_mov_b32 s0, -1
	s_cbranch_scc1 .LBB76_14
; %bb.4:
	v_cmp_eq_u32_e64 s0, 0, v0
	s_and_saveexec_b32 s1, s0
; %bb.5:
	v_mov_b32_e32 v28, 0
	ds_write_b32 v28, v28 offset:104
; %bb.6:
	s_or_b32 exec_lo, exec_lo, s1
	v_cmp_eq_u32_e32 vcc_lo, 1, v0
	s_mov_b32 s2, exec_lo
	s_waitcnt vmcnt(0) lgkmcnt(0)
	s_barrier
	buffer_gl0_inv
	v_cndmask_b32_e32 v28, v3, v5, vcc_lo
	v_cndmask_b32_e32 v29, v2, v4, vcc_lo
	v_cmp_eq_u32_e32 vcc_lo, 2, v0
	v_cndmask_b32_e32 v28, v28, v7, vcc_lo
	v_cndmask_b32_e32 v29, v29, v6, vcc_lo
	v_cmp_eq_u32_e32 vcc_lo, 3, v0
	v_cndmask_b32_e32 v28, v28, v9, vcc_lo
	v_cndmask_b32_e32 v29, v29, v8, vcc_lo
	v_cmp_eq_u32_e32 vcc_lo, 4, v0
	v_cndmask_b32_e32 v28, v28, v11, vcc_lo
	v_cndmask_b32_e32 v29, v29, v10, vcc_lo
	v_cmp_eq_u32_e32 vcc_lo, 5, v0
	v_cndmask_b32_e32 v28, v28, v13, vcc_lo
	v_cndmask_b32_e32 v29, v29, v12, vcc_lo
	v_cmp_eq_u32_e32 vcc_lo, 6, v0
	v_cndmask_b32_e32 v28, v28, v15, vcc_lo
	v_cndmask_b32_e32 v29, v29, v14, vcc_lo
	v_cmp_eq_u32_e32 vcc_lo, 7, v0
	v_cndmask_b32_e32 v28, v28, v17, vcc_lo
	v_cndmask_b32_e32 v29, v29, v16, vcc_lo
	v_cmp_eq_u32_e32 vcc_lo, 8, v0
	v_cndmask_b32_e32 v28, v28, v19, vcc_lo
	v_cndmask_b32_e32 v29, v29, v18, vcc_lo
	v_cmp_eq_u32_e32 vcc_lo, 9, v0
	v_cndmask_b32_e32 v28, v28, v21, vcc_lo
	v_cndmask_b32_e32 v29, v29, v20, vcc_lo
	v_cmp_eq_u32_e32 vcc_lo, 10, v0
	v_cndmask_b32_e32 v28, v28, v23, vcc_lo
	v_cndmask_b32_e32 v29, v29, v22, vcc_lo
	v_cmp_eq_u32_e32 vcc_lo, 11, v0
	v_cndmask_b32_e32 v28, v28, v25, vcc_lo
	v_cndmask_b32_e32 v31, v29, v24, vcc_lo
	v_cmp_eq_u32_e32 vcc_lo, 12, v0
	v_cndmask_b32_e32 v29, v28, v27, vcc_lo
	v_cndmask_b32_e32 v28, v31, v26, vcc_lo
	v_cmpx_eq_f64_e32 0, v[28:29]
	s_cbranch_execz .LBB76_10
; %bb.7:
	v_mov_b32_e32 v31, 0
	s_mov_b32 s3, 0
	ds_read_b32 v32, v31 offset:104
	s_waitcnt lgkmcnt(0)
	v_readfirstlane_b32 s1, v32
	v_add_nc_u32_e32 v32, 1, v0
	s_cmp_eq_u32 s1, 0
	v_cmp_gt_i32_e32 vcc_lo, s1, v32
	s_cselect_b32 s4, -1, 0
	s_or_b32 s4, s4, vcc_lo
	s_and_b32 exec_lo, exec_lo, s4
	s_cbranch_execz .LBB76_10
; %bb.8:
	v_mov_b32_e32 v33, s1
.LBB76_9:                               ; =>This Inner Loop Header: Depth=1
	ds_cmpst_rtn_b32 v33, v31, v33, v32 offset:104
	s_waitcnt lgkmcnt(0)
	v_cmp_ne_u32_e32 vcc_lo, 0, v33
	v_cmp_le_i32_e64 s1, v33, v32
	s_and_b32 s1, vcc_lo, s1
	s_and_b32 s1, exec_lo, s1
	s_or_b32 s3, s1, s3
	s_andn2_b32 exec_lo, exec_lo, s3
	s_cbranch_execnz .LBB76_9
.LBB76_10:
	s_or_b32 exec_lo, exec_lo, s2
	v_mov_b32_e32 v31, 0
	s_barrier
	buffer_gl0_inv
	ds_read_b32 v32, v31 offset:104
	s_and_saveexec_b32 s1, s0
	s_cbranch_execz .LBB76_12
; %bb.11:
	s_lshl_b64 s[2:3], s[6:7], 2
	s_add_u32 s2, s18, s2
	s_addc_u32 s3, s19, s3
	s_waitcnt lgkmcnt(0)
	global_store_dword v31, v32, s[2:3]
.LBB76_12:
	s_or_b32 exec_lo, exec_lo, s1
	s_waitcnt lgkmcnt(0)
	v_cmp_ne_u32_e32 vcc_lo, 0, v32
	s_cbranch_vccz .LBB76_17
; %bb.13:
	s_mov_b32 s0, 0
                                        ; implicit-def: $vgpr2_vgpr3_vgpr4_vgpr5_vgpr6_vgpr7_vgpr8_vgpr9_vgpr10_vgpr11_vgpr12_vgpr13_vgpr14_vgpr15_vgpr16_vgpr17_vgpr18_vgpr19_vgpr20_vgpr21_vgpr22_vgpr23_vgpr24_vgpr25_vgpr26_vgpr27_vgpr28_vgpr29_vgpr30_vgpr31_vgpr32_vgpr33
.LBB76_14:
	s_and_b32 vcc_lo, exec_lo, s0
	s_cbranch_vccz .LBB76_16
.LBB76_15:
	s_lshl_b64 s[0:1], s[6:7], 2
	v_mov_b32_e32 v1, 0
	s_add_u32 s0, s18, s0
	s_addc_u32 s1, s19, s1
	global_load_dword v1, v1, s[0:1]
	s_waitcnt vmcnt(0)
	v_cmp_ne_u32_e32 vcc_lo, 0, v1
	s_cbranch_vccz .LBB76_76
.LBB76_16:
	s_endpgm
.LBB76_17:
	v_div_scale_f64 v[31:32], null, v[28:29], v[28:29], 1.0
	v_div_scale_f64 v[37:38], vcc_lo, 1.0, v[28:29], 1.0
	v_cmp_eq_u32_e64 s1, 11, v0
	v_cmp_eq_u32_e64 s2, 10, v0
	;; [unrolled: 1-line block ×12, first 2 shown]
	v_rcp_f64_e32 v[33:34], v[31:32]
	v_fma_f64 v[35:36], -v[31:32], v[33:34], 1.0
	v_fma_f64 v[33:34], v[33:34], v[35:36], v[33:34]
	v_fma_f64 v[35:36], -v[31:32], v[33:34], 1.0
	v_fma_f64 v[33:34], v[33:34], v[35:36], v[33:34]
	v_mul_f64 v[35:36], v[37:38], v[33:34]
	v_fma_f64 v[31:32], -v[31:32], v[35:36], v[37:38]
	v_div_fmas_f64 v[31:32], v[31:32], v[33:34], v[35:36]
	v_cmp_eq_u32_e32 vcc_lo, 12, v0
	v_div_fixup_f64 v[28:29], v[31:32], v[28:29], 1.0
	v_add_nc_u32_e32 v32, 0x70, v30
	v_cndmask_b32_e32 v27, v27, v29, vcc_lo
	v_cndmask_b32_e32 v26, v26, v28, vcc_lo
	v_cndmask_b32_e64 v25, v25, v29, s1
	v_cndmask_b32_e64 v24, v24, v28, s1
	;; [unrolled: 1-line block ×20, first 2 shown]
	v_xor_b32_e32 v34, 0x80000000, v29
	v_mov_b32_e32 v33, v28
	v_cndmask_b32_e64 v7, v7, v29, s12
	v_cndmask_b32_e64 v6, v6, v28, s12
	;; [unrolled: 1-line block ×4, first 2 shown]
	ds_write2_b64 v30, v[33:34], v[4:5] offset1:14
	s_waitcnt lgkmcnt(0)
	s_waitcnt_vscnt null, 0x0
	s_barrier
	buffer_gl0_inv
	s_and_saveexec_b32 s1, s0
	s_cbranch_execz .LBB76_19
; %bb.18:
	ds_read_b64 v[4:5], v32
	v_mov_b32_e32 v30, 0
	ds_read_b64 v[30:31], v30 offset:8
	s_waitcnt lgkmcnt(1)
	v_fma_f64 v[4:5], v[28:29], v[4:5], 0
	s_waitcnt lgkmcnt(0)
	v_mul_f64 v[4:5], v[4:5], v[30:31]
.LBB76_19:
	s_or_b32 exec_lo, exec_lo, s1
	v_cmp_gt_u32_e32 vcc_lo, 2, v0
	s_barrier
	buffer_gl0_inv
	ds_write_b64 v32, v[6:7]
	s_waitcnt lgkmcnt(0)
	s_barrier
	buffer_gl0_inv
	s_and_saveexec_b32 s3, vcc_lo
	s_cbranch_execz .LBB76_23
; %bb.20:
	v_cmp_eq_u32_e64 s1, 1, v0
	v_cmp_eq_u32_e64 s2, 10, v0
	v_cndmask_b32_e64 v28, v3, v5, s1
	v_cndmask_b32_e64 v29, v2, v4, s1
	v_cmp_eq_u32_e64 s1, 2, v0
	v_cndmask_b32_e64 v7, v28, v7, s1
	v_cndmask_b32_e64 v6, v29, v6, s1
	v_cmp_eq_u32_e64 s1, 3, v0
	v_cndmask_b32_e64 v7, v7, v9, s1
	v_cndmask_b32_e64 v6, v6, v8, s1
	v_cmp_eq_u32_e64 s1, 4, v0
	v_cndmask_b32_e64 v7, v7, v11, s1
	v_cndmask_b32_e64 v6, v6, v10, s1
	v_cmp_eq_u32_e64 s1, 5, v0
	v_cndmask_b32_e64 v7, v7, v13, s1
	v_cndmask_b32_e64 v6, v6, v12, s1
	v_cmp_eq_u32_e64 s1, 6, v0
	v_cndmask_b32_e64 v7, v7, v15, s1
	v_cndmask_b32_e64 v6, v6, v14, s1
	v_cmp_eq_u32_e64 s1, 7, v0
	v_cndmask_b32_e64 v7, v7, v17, s1
	v_cndmask_b32_e64 v6, v6, v16, s1
	v_cmp_eq_u32_e64 s1, 8, v0
	v_cndmask_b32_e64 v7, v7, v19, s1
	v_cndmask_b32_e64 v6, v6, v18, s1
	v_cmp_eq_u32_e64 s1, 9, v0
	v_cndmask_b32_e64 v28, v7, v21, s1
	v_cndmask_b32_e64 v29, v6, v20, s1
	ds_read_b64 v[6:7], v32
	v_cmp_eq_u32_e64 s1, 11, v0
	v_cndmask_b32_e64 v28, v28, v23, s2
	v_cndmask_b32_e64 v29, v29, v22, s2
	;; [unrolled: 1-line block ×4, first 2 shown]
	v_cmp_eq_u32_e64 s1, 12, v0
	v_cndmask_b32_e64 v29, v28, v27, s1
	v_cndmask_b32_e64 v28, v30, v26, s1
	s_waitcnt lgkmcnt(0)
	v_fma_f64 v[6:7], v[28:29], v[6:7], 0
	s_and_saveexec_b32 s1, s0
	s_cbranch_execz .LBB76_22
; %bb.21:
	v_mov_b32_e32 v28, 0
	ds_read_b64 v[28:29], v28 offset:120
	s_waitcnt lgkmcnt(0)
	v_fma_f64 v[6:7], v[4:5], v[28:29], v[6:7]
.LBB76_22:
	s_or_b32 exec_lo, exec_lo, s1
	v_mov_b32_e32 v28, 0
	ds_read_b64 v[28:29], v28 offset:16
	s_waitcnt lgkmcnt(0)
	v_mul_f64 v[6:7], v[6:7], v[28:29]
.LBB76_23:
	s_or_b32 exec_lo, exec_lo, s3
	s_mov_b32 s3, exec_lo
	s_barrier
	buffer_gl0_inv
	ds_write_b64 v32, v[8:9]
	s_waitcnt lgkmcnt(0)
	s_barrier
	buffer_gl0_inv
	v_cmpx_gt_u32_e32 3, v0
	s_cbranch_execz .LBB76_27
; %bb.24:
	v_mov_b32_e32 v28, 0
	v_mov_b32_e32 v31, v1
	v_lshl_add_u32 v33, v0, 3, 0x70
	v_mov_b32_e32 v29, 0
	v_mov_b32_e32 v30, v0
	s_mov_b32 s4, 0
.LBB76_25:                              ; =>This Inner Loop Header: Depth=1
	v_cmp_eq_u32_e64 s1, 1, v30
	v_cmp_eq_u32_e64 s2, 2, v30
	v_cndmask_b32_e64 v34, v3, v5, s1
	v_cndmask_b32_e64 v35, v2, v4, s1
	v_cmp_eq_u32_e64 s1, 3, v30
	v_cndmask_b32_e64 v34, v34, v7, s2
	v_cndmask_b32_e64 v35, v35, v6, s2
	;; [unrolled: 3-line block ×8, first 2 shown]
	ds_read_b64 v[34:35], v33
	v_cmp_eq_u32_e64 s2, 10, v30
	v_add_nc_u32_e32 v33, 8, v33
	v_cndmask_b32_e64 v36, v36, v21, s1
	v_cndmask_b32_e64 v37, v37, v20, s1
	v_cmp_eq_u32_e64 s1, 11, v30
	v_cndmask_b32_e64 v36, v36, v23, s2
	v_cndmask_b32_e64 v37, v37, v22, s2
	v_cmp_eq_u32_e64 s2, 12, v30
	v_cndmask_b32_e64 v36, v36, v25, s1
	v_cndmask_b32_e64 v38, v37, v24, s1
	v_add_co_u32 v30, s1, v30, 1
	v_add_co_ci_u32_e64 v31, null, 0, v31, s1
	v_cndmask_b32_e64 v37, v36, v27, s2
	v_cndmask_b32_e64 v36, v38, v26, s2
	s_waitcnt lgkmcnt(0)
	v_fma_f64 v[28:29], v[36:37], v[34:35], v[28:29]
	v_add_nc_u32_e32 v34, -1, v30
	v_cmp_lt_u32_e64 s1, 1, v34
	s_or_b32 s4, s1, s4
	s_andn2_b32 exec_lo, exec_lo, s4
	s_cbranch_execnz .LBB76_25
; %bb.26:
	s_or_b32 exec_lo, exec_lo, s4
	v_mov_b32_e32 v8, 0
	ds_read_b64 v[8:9], v8 offset:24
	s_waitcnt lgkmcnt(0)
	v_mul_f64 v[8:9], v[28:29], v[8:9]
.LBB76_27:
	s_or_b32 exec_lo, exec_lo, s3
	v_cmp_gt_u32_e64 s1, 4, v0
	s_barrier
	buffer_gl0_inv
	ds_write_b64 v32, v[10:11]
	s_waitcnt lgkmcnt(0)
	s_barrier
	buffer_gl0_inv
	s_and_saveexec_b32 s4, s1
	s_cbranch_execz .LBB76_31
; %bb.28:
	v_mov_b32_e32 v28, 0
	v_mov_b32_e32 v31, v1
	v_lshl_add_u32 v33, v0, 3, 0x70
	v_mov_b32_e32 v29, 0
	v_mov_b32_e32 v30, v0
	s_mov_b32 s5, 0
.LBB76_29:                              ; =>This Inner Loop Header: Depth=1
	v_cmp_eq_u32_e64 s2, 1, v30
	v_cmp_eq_u32_e64 s3, 2, v30
	v_cndmask_b32_e64 v34, v3, v5, s2
	v_cndmask_b32_e64 v35, v2, v4, s2
	v_cmp_eq_u32_e64 s2, 3, v30
	v_cndmask_b32_e64 v34, v34, v7, s3
	v_cndmask_b32_e64 v35, v35, v6, s3
	;; [unrolled: 3-line block ×8, first 2 shown]
	ds_read_b64 v[34:35], v33
	v_cmp_eq_u32_e64 s3, 10, v30
	v_add_nc_u32_e32 v33, 8, v33
	v_cndmask_b32_e64 v36, v36, v21, s2
	v_cndmask_b32_e64 v37, v37, v20, s2
	v_cmp_eq_u32_e64 s2, 11, v30
	v_cndmask_b32_e64 v36, v36, v23, s3
	v_cndmask_b32_e64 v37, v37, v22, s3
	v_cmp_eq_u32_e64 s3, 12, v30
	v_cndmask_b32_e64 v36, v36, v25, s2
	v_cndmask_b32_e64 v38, v37, v24, s2
	v_add_co_u32 v30, s2, v30, 1
	v_add_co_ci_u32_e64 v31, null, 0, v31, s2
	v_cndmask_b32_e64 v37, v36, v27, s3
	v_cndmask_b32_e64 v36, v38, v26, s3
	s_waitcnt lgkmcnt(0)
	v_fma_f64 v[28:29], v[36:37], v[34:35], v[28:29]
	v_add_nc_u32_e32 v34, -1, v30
	v_cmp_lt_u32_e64 s2, 2, v34
	s_or_b32 s5, s2, s5
	s_andn2_b32 exec_lo, exec_lo, s5
	s_cbranch_execnz .LBB76_29
; %bb.30:
	s_or_b32 exec_lo, exec_lo, s5
	v_mov_b32_e32 v10, 0
	ds_read_b64 v[10:11], v10 offset:32
	s_waitcnt lgkmcnt(0)
	v_mul_f64 v[10:11], v[28:29], v[10:11]
.LBB76_31:
	s_or_b32 exec_lo, exec_lo, s4
	s_mov_b32 s4, exec_lo
	s_barrier
	buffer_gl0_inv
	ds_write_b64 v32, v[12:13]
	s_waitcnt lgkmcnt(0)
	s_barrier
	buffer_gl0_inv
	v_cmpx_gt_u32_e32 5, v0
	s_cbranch_execz .LBB76_35
; %bb.32:
	v_mov_b32_e32 v28, 0
	v_mov_b32_e32 v31, v1
	v_lshl_add_u32 v33, v0, 3, 0x70
	v_mov_b32_e32 v29, 0
	v_mov_b32_e32 v30, v0
	s_mov_b32 s5, 0
.LBB76_33:                              ; =>This Inner Loop Header: Depth=1
	v_cmp_eq_u32_e64 s2, 1, v30
	v_cmp_eq_u32_e64 s3, 2, v30
	v_cndmask_b32_e64 v34, v3, v5, s2
	v_cndmask_b32_e64 v35, v2, v4, s2
	v_cmp_eq_u32_e64 s2, 3, v30
	v_cndmask_b32_e64 v34, v34, v7, s3
	v_cndmask_b32_e64 v35, v35, v6, s3
	;; [unrolled: 3-line block ×8, first 2 shown]
	ds_read_b64 v[34:35], v33
	v_cmp_eq_u32_e64 s3, 10, v30
	v_add_nc_u32_e32 v33, 8, v33
	v_cndmask_b32_e64 v36, v36, v21, s2
	v_cndmask_b32_e64 v37, v37, v20, s2
	v_cmp_eq_u32_e64 s2, 11, v30
	v_cndmask_b32_e64 v36, v36, v23, s3
	v_cndmask_b32_e64 v37, v37, v22, s3
	v_cmp_eq_u32_e64 s3, 12, v30
	v_cndmask_b32_e64 v36, v36, v25, s2
	v_cndmask_b32_e64 v38, v37, v24, s2
	v_add_co_u32 v30, s2, v30, 1
	v_add_co_ci_u32_e64 v31, null, 0, v31, s2
	v_cndmask_b32_e64 v37, v36, v27, s3
	v_cndmask_b32_e64 v36, v38, v26, s3
	s_waitcnt lgkmcnt(0)
	v_fma_f64 v[28:29], v[36:37], v[34:35], v[28:29]
	v_add_nc_u32_e32 v34, -1, v30
	v_cmp_lt_u32_e64 s2, 3, v34
	s_or_b32 s5, s2, s5
	s_andn2_b32 exec_lo, exec_lo, s5
	s_cbranch_execnz .LBB76_33
; %bb.34:
	s_or_b32 exec_lo, exec_lo, s5
	v_mov_b32_e32 v12, 0
	ds_read_b64 v[12:13], v12 offset:40
	s_waitcnt lgkmcnt(0)
	v_mul_f64 v[12:13], v[28:29], v[12:13]
.LBB76_35:
	s_or_b32 exec_lo, exec_lo, s4
	v_cmp_gt_u32_e64 s2, 6, v0
	s_barrier
	buffer_gl0_inv
	ds_write_b64 v32, v[14:15]
	s_waitcnt lgkmcnt(0)
	s_barrier
	buffer_gl0_inv
	s_and_saveexec_b32 s5, s2
	s_cbranch_execz .LBB76_39
; %bb.36:
	v_mov_b32_e32 v28, 0
	v_mov_b32_e32 v31, v1
	v_lshl_add_u32 v33, v0, 3, 0x70
	v_mov_b32_e32 v29, 0
	v_mov_b32_e32 v30, v0
	s_mov_b32 s8, 0
.LBB76_37:                              ; =>This Inner Loop Header: Depth=1
	v_cmp_eq_u32_e64 s3, 1, v30
	v_cmp_eq_u32_e64 s4, 2, v30
	v_cndmask_b32_e64 v34, v3, v5, s3
	v_cndmask_b32_e64 v35, v2, v4, s3
	v_cmp_eq_u32_e64 s3, 3, v30
	v_cndmask_b32_e64 v34, v34, v7, s4
	v_cndmask_b32_e64 v35, v35, v6, s4
	;; [unrolled: 3-line block ×8, first 2 shown]
	ds_read_b64 v[34:35], v33
	v_cmp_eq_u32_e64 s4, 10, v30
	v_add_nc_u32_e32 v33, 8, v33
	v_cndmask_b32_e64 v36, v36, v21, s3
	v_cndmask_b32_e64 v37, v37, v20, s3
	v_cmp_eq_u32_e64 s3, 11, v30
	v_cndmask_b32_e64 v36, v36, v23, s4
	v_cndmask_b32_e64 v37, v37, v22, s4
	v_cmp_eq_u32_e64 s4, 12, v30
	v_cndmask_b32_e64 v36, v36, v25, s3
	v_cndmask_b32_e64 v38, v37, v24, s3
	v_add_co_u32 v30, s3, v30, 1
	v_add_co_ci_u32_e64 v31, null, 0, v31, s3
	v_cndmask_b32_e64 v37, v36, v27, s4
	v_cndmask_b32_e64 v36, v38, v26, s4
	s_waitcnt lgkmcnt(0)
	v_fma_f64 v[28:29], v[36:37], v[34:35], v[28:29]
	v_add_nc_u32_e32 v34, -1, v30
	v_cmp_lt_u32_e64 s3, 4, v34
	s_or_b32 s8, s3, s8
	s_andn2_b32 exec_lo, exec_lo, s8
	s_cbranch_execnz .LBB76_37
; %bb.38:
	s_or_b32 exec_lo, exec_lo, s8
	v_mov_b32_e32 v14, 0
	ds_read_b64 v[14:15], v14 offset:48
	s_waitcnt lgkmcnt(0)
	v_mul_f64 v[14:15], v[28:29], v[14:15]
.LBB76_39:
	s_or_b32 exec_lo, exec_lo, s5
	s_mov_b32 s5, exec_lo
	s_barrier
	buffer_gl0_inv
	ds_write_b64 v32, v[16:17]
	s_waitcnt lgkmcnt(0)
	s_barrier
	buffer_gl0_inv
	v_cmpx_gt_u32_e32 7, v0
	s_cbranch_execz .LBB76_43
; %bb.40:
	v_mov_b32_e32 v28, 0
	v_mov_b32_e32 v31, v1
	v_lshl_add_u32 v33, v0, 3, 0x70
	v_mov_b32_e32 v29, 0
	v_mov_b32_e32 v30, v0
	s_mov_b32 s8, 0
.LBB76_41:                              ; =>This Inner Loop Header: Depth=1
	v_cmp_eq_u32_e64 s3, 1, v30
	v_cmp_eq_u32_e64 s4, 2, v30
	v_cndmask_b32_e64 v34, v3, v5, s3
	v_cndmask_b32_e64 v35, v2, v4, s3
	v_cmp_eq_u32_e64 s3, 3, v30
	v_cndmask_b32_e64 v34, v34, v7, s4
	v_cndmask_b32_e64 v35, v35, v6, s4
	;; [unrolled: 3-line block ×8, first 2 shown]
	ds_read_b64 v[34:35], v33
	v_cmp_eq_u32_e64 s4, 10, v30
	v_add_nc_u32_e32 v33, 8, v33
	v_cndmask_b32_e64 v36, v36, v21, s3
	v_cndmask_b32_e64 v37, v37, v20, s3
	v_cmp_eq_u32_e64 s3, 11, v30
	v_cndmask_b32_e64 v36, v36, v23, s4
	v_cndmask_b32_e64 v37, v37, v22, s4
	v_cmp_eq_u32_e64 s4, 12, v30
	v_cndmask_b32_e64 v36, v36, v25, s3
	v_cndmask_b32_e64 v38, v37, v24, s3
	v_add_co_u32 v30, s3, v30, 1
	v_add_co_ci_u32_e64 v31, null, 0, v31, s3
	v_cndmask_b32_e64 v37, v36, v27, s4
	v_cndmask_b32_e64 v36, v38, v26, s4
	s_waitcnt lgkmcnt(0)
	v_fma_f64 v[28:29], v[36:37], v[34:35], v[28:29]
	v_add_nc_u32_e32 v34, -1, v30
	v_cmp_lt_u32_e64 s3, 5, v34
	s_or_b32 s8, s3, s8
	s_andn2_b32 exec_lo, exec_lo, s8
	s_cbranch_execnz .LBB76_41
; %bb.42:
	s_or_b32 exec_lo, exec_lo, s8
	v_mov_b32_e32 v16, 0
	ds_read_b64 v[16:17], v16 offset:56
	s_waitcnt lgkmcnt(0)
	v_mul_f64 v[16:17], v[28:29], v[16:17]
.LBB76_43:
	s_or_b32 exec_lo, exec_lo, s5
	s_mov_b32 s5, exec_lo
	s_barrier
	buffer_gl0_inv
	ds_write_b64 v32, v[18:19]
	s_waitcnt lgkmcnt(0)
	s_barrier
	buffer_gl0_inv
	v_cmpx_gt_u32_e32 8, v0
	s_cbranch_execz .LBB76_59
; %bb.44:
	v_cmp_eq_u32_e64 s3, 1, v0
	v_cmp_eq_u32_e64 s4, 10, v0
	s_mov_b32 s8, exec_lo
	v_cndmask_b32_e64 v28, v3, v5, s3
	v_cndmask_b32_e64 v29, v2, v4, s3
	v_cmp_eq_u32_e64 s3, 2, v0
	v_cndmask_b32_e64 v28, v28, v7, s3
	v_cndmask_b32_e64 v29, v29, v6, s3
	v_cmp_eq_u32_e64 s3, 3, v0
	;; [unrolled: 3-line block ×8, first 2 shown]
	v_cndmask_b32_e64 v30, v28, v21, s3
	v_cndmask_b32_e64 v31, v29, v20, s3
	ds_read_b64 v[28:29], v32
	v_cmp_eq_u32_e64 s3, 11, v0
	v_cndmask_b32_e64 v30, v30, v23, s4
	v_cndmask_b32_e64 v31, v31, v22, s4
	;; [unrolled: 1-line block ×4, first 2 shown]
	v_cmp_eq_u32_e64 s3, 12, v0
	v_cndmask_b32_e64 v31, v30, v27, s3
	v_cndmask_b32_e64 v30, v33, v26, s3
	s_waitcnt lgkmcnt(0)
	v_fma_f64 v[28:29], v[30:31], v[28:29], 0
	v_cmpx_ne_u32_e32 7, v0
	s_cbranch_execz .LBB76_58
; %bb.45:
	v_add_nc_u32_e32 v33, 1, v0
	v_cmp_eq_u32_e64 s3, 1, v33
	v_cmp_eq_u32_e64 s4, 10, v33
	v_cndmask_b32_e64 v30, v3, v5, s3
	v_cndmask_b32_e64 v31, v2, v4, s3
	v_cmp_eq_u32_e64 s3, 2, v33
	v_cndmask_b32_e64 v30, v30, v7, s3
	v_cndmask_b32_e64 v31, v31, v6, s3
	v_cmp_eq_u32_e64 s3, 3, v33
	v_cndmask_b32_e64 v30, v30, v9, s3
	v_cndmask_b32_e64 v31, v31, v8, s3
	v_cmp_eq_u32_e64 s3, 4, v33
	v_cndmask_b32_e64 v30, v30, v11, s3
	v_cndmask_b32_e64 v31, v31, v10, s3
	v_cmp_eq_u32_e64 s3, 5, v33
	v_cndmask_b32_e64 v30, v30, v13, s3
	v_cndmask_b32_e64 v31, v31, v12, s3
	v_cmp_eq_u32_e64 s3, 6, v33
	v_cndmask_b32_e64 v30, v30, v15, s3
	v_cndmask_b32_e64 v31, v31, v14, s3
	v_cmp_eq_u32_e64 s3, 7, v33
	v_cndmask_b32_e64 v30, v30, v17, s3
	v_cndmask_b32_e64 v31, v31, v16, s3
	v_cmp_eq_u32_e64 s3, 8, v33
	v_cndmask_b32_e64 v30, v30, v19, s3
	v_cndmask_b32_e64 v31, v31, v18, s3
	v_cmp_eq_u32_e64 s3, 9, v33
	v_cndmask_b32_e64 v34, v30, v21, s3
	v_cndmask_b32_e64 v35, v31, v20, s3
	ds_read_b64 v[30:31], v32 offset:8
	v_cmp_eq_u32_e64 s3, 11, v33
	v_cndmask_b32_e64 v34, v34, v23, s4
	v_cndmask_b32_e64 v35, v35, v22, s4
	;; [unrolled: 1-line block ×4, first 2 shown]
	v_cmp_eq_u32_e64 s3, 12, v33
	v_cndmask_b32_e64 v34, v34, v27, s3
	v_cndmask_b32_e64 v33, v35, v26, s3
	s_waitcnt lgkmcnt(0)
	v_fma_f64 v[28:29], v[33:34], v[30:31], v[28:29]
	s_and_saveexec_b32 s4, s2
	s_cbranch_execz .LBB76_57
; %bb.46:
	v_add_nc_u32_e32 v33, 2, v0
	s_mov_b32 s9, exec_lo
	v_cmp_eq_u32_e64 s2, 1, v33
	v_cmp_eq_u32_e64 s3, 10, v33
	v_cndmask_b32_e64 v30, v3, v5, s2
	v_cndmask_b32_e64 v31, v2, v4, s2
	v_cmp_eq_u32_e64 s2, 2, v33
	v_cndmask_b32_e64 v30, v30, v7, s2
	v_cndmask_b32_e64 v31, v31, v6, s2
	;; [unrolled: 3-line block ×9, first 2 shown]
	ds_read_b64 v[30:31], v32 offset:16
	v_cmp_eq_u32_e64 s2, 11, v33
	v_cndmask_b32_e64 v34, v34, v23, s3
	v_cndmask_b32_e64 v35, v35, v22, s3
	;; [unrolled: 1-line block ×4, first 2 shown]
	v_cmp_eq_u32_e64 s2, 12, v33
	v_cndmask_b32_e64 v34, v34, v27, s2
	v_cndmask_b32_e64 v33, v35, v26, s2
	s_waitcnt lgkmcnt(0)
	v_fma_f64 v[28:29], v[33:34], v[30:31], v[28:29]
	v_cmpx_ne_u32_e32 5, v0
	s_cbranch_execz .LBB76_56
; %bb.47:
	v_add_nc_u32_e32 v33, 3, v0
	v_cmp_eq_u32_e64 s2, 1, v33
	v_cmp_eq_u32_e64 s3, 10, v33
	v_cndmask_b32_e64 v30, v3, v5, s2
	v_cndmask_b32_e64 v31, v2, v4, s2
	v_cmp_eq_u32_e64 s2, 2, v33
	v_cndmask_b32_e64 v30, v30, v7, s2
	v_cndmask_b32_e64 v31, v31, v6, s2
	;; [unrolled: 3-line block ×9, first 2 shown]
	ds_read_b64 v[30:31], v32 offset:24
	v_cmp_eq_u32_e64 s2, 11, v33
	v_cndmask_b32_e64 v34, v34, v23, s3
	v_cndmask_b32_e64 v35, v35, v22, s3
	;; [unrolled: 1-line block ×4, first 2 shown]
	v_cmp_eq_u32_e64 s2, 12, v33
	v_cndmask_b32_e64 v34, v34, v27, s2
	v_cndmask_b32_e64 v33, v35, v26, s2
	s_waitcnt lgkmcnt(0)
	v_fma_f64 v[28:29], v[33:34], v[30:31], v[28:29]
	s_and_saveexec_b32 s3, s1
	s_cbranch_execz .LBB76_55
; %bb.48:
	v_or_b32_e32 v33, 4, v0
	s_mov_b32 s10, exec_lo
	v_cmp_eq_u32_e64 s1, 1, v33
	v_cmp_eq_u32_e64 s2, 10, v33
	v_cndmask_b32_e64 v30, v3, v5, s1
	v_cndmask_b32_e64 v31, v2, v4, s1
	v_cmp_eq_u32_e64 s1, 2, v33
	v_cndmask_b32_e64 v30, v30, v7, s1
	v_cndmask_b32_e64 v31, v31, v6, s1
	;; [unrolled: 3-line block ×9, first 2 shown]
	ds_read_b64 v[30:31], v32 offset:32
	v_cmp_eq_u32_e64 s1, 11, v33
	v_cndmask_b32_e64 v34, v34, v23, s2
	v_cndmask_b32_e64 v35, v35, v22, s2
	;; [unrolled: 1-line block ×4, first 2 shown]
	v_cmp_eq_u32_e64 s1, 12, v33
	v_cndmask_b32_e64 v34, v34, v27, s1
	v_cndmask_b32_e64 v33, v35, v26, s1
	s_waitcnt lgkmcnt(0)
	v_fma_f64 v[28:29], v[33:34], v[30:31], v[28:29]
	v_cmpx_ne_u32_e32 3, v0
	s_cbranch_execz .LBB76_54
; %bb.49:
	v_add_nc_u32_e32 v33, 5, v0
	v_cmp_eq_u32_e64 s1, 1, v33
	v_cmp_eq_u32_e64 s2, 10, v33
	v_cndmask_b32_e64 v30, v3, v5, s1
	v_cndmask_b32_e64 v31, v2, v4, s1
	v_cmp_eq_u32_e64 s1, 2, v33
	v_cndmask_b32_e64 v30, v30, v7, s1
	v_cndmask_b32_e64 v31, v31, v6, s1
	;; [unrolled: 3-line block ×9, first 2 shown]
	ds_read_b64 v[30:31], v32 offset:40
	v_cmp_eq_u32_e64 s1, 11, v33
	v_cndmask_b32_e64 v34, v34, v23, s2
	v_cndmask_b32_e64 v35, v35, v22, s2
	;; [unrolled: 1-line block ×4, first 2 shown]
	v_cmp_eq_u32_e64 s1, 12, v33
	v_cndmask_b32_e64 v34, v34, v27, s1
	v_cndmask_b32_e64 v33, v35, v26, s1
	s_waitcnt lgkmcnt(0)
	v_fma_f64 v[28:29], v[33:34], v[30:31], v[28:29]
	s_and_saveexec_b32 s2, vcc_lo
	s_cbranch_execz .LBB76_53
; %bb.50:
	v_or_b32_e32 v30, 6, v0
	v_cmp_eq_u32_e32 vcc_lo, 1, v30
	v_cmp_eq_u32_e64 s1, 10, v30
	v_cndmask_b32_e32 v31, v3, v5, vcc_lo
	v_cndmask_b32_e32 v33, v2, v4, vcc_lo
	v_cmp_eq_u32_e32 vcc_lo, 2, v30
	v_cndmask_b32_e32 v31, v31, v7, vcc_lo
	v_cndmask_b32_e32 v33, v33, v6, vcc_lo
	v_cmp_eq_u32_e32 vcc_lo, 3, v30
	;; [unrolled: 3-line block ×8, first 2 shown]
	v_cndmask_b32_e32 v31, v19, v21, vcc_lo
	v_cndmask_b32_e32 v33, v18, v20, vcc_lo
	ds_read_b64 v[18:19], v32 offset:48
	v_cmp_eq_u32_e32 vcc_lo, 11, v30
	v_cndmask_b32_e64 v31, v31, v23, s1
	v_cndmask_b32_e64 v33, v33, v22, s1
	v_cndmask_b32_e32 v31, v31, v25, vcc_lo
	v_cndmask_b32_e32 v33, v33, v24, vcc_lo
	v_cmp_eq_u32_e32 vcc_lo, 12, v30
	v_cndmask_b32_e32 v31, v31, v27, vcc_lo
	v_cndmask_b32_e32 v30, v33, v26, vcc_lo
	s_waitcnt lgkmcnt(0)
	v_fma_f64 v[28:29], v[30:31], v[18:19], v[28:29]
	s_and_saveexec_b32 s1, s0
	s_cbranch_execz .LBB76_52
; %bb.51:
	ds_read_b64 v[18:19], v32 offset:56
	s_waitcnt lgkmcnt(0)
	v_fma_f64 v[28:29], v[16:17], v[18:19], v[28:29]
.LBB76_52:
	s_or_b32 exec_lo, exec_lo, s1
.LBB76_53:
	s_or_b32 exec_lo, exec_lo, s2
.LBB76_54:
	s_or_b32 exec_lo, exec_lo, s10
.LBB76_55:
	s_or_b32 exec_lo, exec_lo, s3
.LBB76_56:
	s_or_b32 exec_lo, exec_lo, s9
.LBB76_57:
	s_or_b32 exec_lo, exec_lo, s4
.LBB76_58:
	s_or_b32 exec_lo, exec_lo, s8
	v_mov_b32_e32 v18, 0
	ds_read_b64 v[18:19], v18 offset:64
	s_waitcnt lgkmcnt(0)
	v_mul_f64 v[18:19], v[28:29], v[18:19]
.LBB76_59:
	s_or_b32 exec_lo, exec_lo, s5
	s_mov_b32 s1, exec_lo
	s_barrier
	buffer_gl0_inv
	ds_write_b64 v32, v[20:21]
	s_waitcnt lgkmcnt(0)
	s_barrier
	buffer_gl0_inv
	v_cmpx_gt_u32_e32 9, v0
	s_cbranch_execz .LBB76_63
; %bb.60:
	v_mov_b32_e32 v28, 0
	v_mov_b32_e32 v31, v1
	v_lshl_add_u32 v33, v0, 3, 0x70
	v_mov_b32_e32 v29, 0
	v_mov_b32_e32 v30, v0
	s_mov_b32 s2, 0
.LBB76_61:                              ; =>This Inner Loop Header: Depth=1
	v_cmp_eq_u32_e32 vcc_lo, 1, v30
	v_cmp_eq_u32_e64 s0, 2, v30
	v_cndmask_b32_e32 v34, v3, v5, vcc_lo
	v_cndmask_b32_e32 v35, v2, v4, vcc_lo
	v_cmp_eq_u32_e32 vcc_lo, 3, v30
	v_cndmask_b32_e64 v34, v34, v7, s0
	v_cndmask_b32_e64 v35, v35, v6, s0
	v_cmp_eq_u32_e64 s0, 4, v30
	v_cndmask_b32_e32 v34, v34, v9, vcc_lo
	v_cndmask_b32_e32 v35, v35, v8, vcc_lo
	v_cmp_eq_u32_e32 vcc_lo, 5, v30
	v_cndmask_b32_e64 v34, v34, v11, s0
	v_cndmask_b32_e64 v35, v35, v10, s0
	;; [unrolled: 6-line block ×4, first 2 shown]
	ds_read_b64 v[34:35], v33
	v_cmp_eq_u32_e64 s0, 10, v30
	v_add_nc_u32_e32 v33, 8, v33
	v_cndmask_b32_e32 v36, v36, v21, vcc_lo
	v_cndmask_b32_e32 v37, v37, v20, vcc_lo
	v_cmp_eq_u32_e32 vcc_lo, 11, v30
	v_cndmask_b32_e64 v36, v36, v23, s0
	v_cndmask_b32_e64 v37, v37, v22, s0
	v_cmp_eq_u32_e64 s0, 12, v30
	v_cndmask_b32_e32 v36, v36, v25, vcc_lo
	v_cndmask_b32_e32 v38, v37, v24, vcc_lo
	v_add_co_u32 v30, vcc_lo, v30, 1
	v_add_co_ci_u32_e64 v31, null, 0, v31, vcc_lo
	v_cndmask_b32_e64 v37, v36, v27, s0
	v_cndmask_b32_e64 v36, v38, v26, s0
	s_waitcnt lgkmcnt(0)
	v_fma_f64 v[28:29], v[36:37], v[34:35], v[28:29]
	v_add_nc_u32_e32 v34, -1, v30
	v_cmp_lt_u32_e32 vcc_lo, 7, v34
	s_or_b32 s2, vcc_lo, s2
	s_andn2_b32 exec_lo, exec_lo, s2
	s_cbranch_execnz .LBB76_61
; %bb.62:
	s_or_b32 exec_lo, exec_lo, s2
	v_mov_b32_e32 v20, 0
	ds_read_b64 v[20:21], v20 offset:72
	s_waitcnt lgkmcnt(0)
	v_mul_f64 v[20:21], v[28:29], v[20:21]
.LBB76_63:
	s_or_b32 exec_lo, exec_lo, s1
	s_mov_b32 s1, exec_lo
	s_barrier
	buffer_gl0_inv
	ds_write_b64 v32, v[22:23]
	s_waitcnt lgkmcnt(0)
	s_barrier
	buffer_gl0_inv
	v_cmpx_gt_u32_e32 10, v0
	s_cbranch_execz .LBB76_67
; %bb.64:
	v_mov_b32_e32 v28, 0
	v_mov_b32_e32 v31, v1
	v_lshl_add_u32 v33, v0, 3, 0x70
	v_mov_b32_e32 v29, 0
	v_mov_b32_e32 v30, v0
	s_mov_b32 s2, 0
.LBB76_65:                              ; =>This Inner Loop Header: Depth=1
	v_cmp_eq_u32_e32 vcc_lo, 1, v30
	v_cmp_eq_u32_e64 s0, 2, v30
	v_cndmask_b32_e32 v34, v3, v5, vcc_lo
	v_cndmask_b32_e32 v35, v2, v4, vcc_lo
	v_cmp_eq_u32_e32 vcc_lo, 3, v30
	v_cndmask_b32_e64 v34, v34, v7, s0
	v_cndmask_b32_e64 v35, v35, v6, s0
	v_cmp_eq_u32_e64 s0, 4, v30
	v_cndmask_b32_e32 v34, v34, v9, vcc_lo
	v_cndmask_b32_e32 v35, v35, v8, vcc_lo
	v_cmp_eq_u32_e32 vcc_lo, 5, v30
	v_cndmask_b32_e64 v34, v34, v11, s0
	v_cndmask_b32_e64 v35, v35, v10, s0
	;; [unrolled: 6-line block ×4, first 2 shown]
	ds_read_b64 v[34:35], v33
	v_cmp_eq_u32_e64 s0, 10, v30
	v_add_nc_u32_e32 v33, 8, v33
	v_cndmask_b32_e32 v36, v36, v21, vcc_lo
	v_cndmask_b32_e32 v37, v37, v20, vcc_lo
	v_cmp_eq_u32_e32 vcc_lo, 11, v30
	v_cndmask_b32_e64 v36, v36, v23, s0
	v_cndmask_b32_e64 v37, v37, v22, s0
	v_cmp_eq_u32_e64 s0, 12, v30
	v_cndmask_b32_e32 v36, v36, v25, vcc_lo
	v_cndmask_b32_e32 v38, v37, v24, vcc_lo
	v_add_co_u32 v30, vcc_lo, v30, 1
	v_add_co_ci_u32_e64 v31, null, 0, v31, vcc_lo
	v_cndmask_b32_e64 v37, v36, v27, s0
	v_cndmask_b32_e64 v36, v38, v26, s0
	s_waitcnt lgkmcnt(0)
	v_fma_f64 v[28:29], v[36:37], v[34:35], v[28:29]
	v_add_nc_u32_e32 v34, -1, v30
	v_cmp_lt_u32_e32 vcc_lo, 8, v34
	s_or_b32 s2, vcc_lo, s2
	s_andn2_b32 exec_lo, exec_lo, s2
	s_cbranch_execnz .LBB76_65
; %bb.66:
	s_or_b32 exec_lo, exec_lo, s2
	v_mov_b32_e32 v22, 0
	ds_read_b64 v[22:23], v22 offset:80
	s_waitcnt lgkmcnt(0)
	v_mul_f64 v[22:23], v[28:29], v[22:23]
.LBB76_67:
	s_or_b32 exec_lo, exec_lo, s1
	s_mov_b32 s1, exec_lo
	s_barrier
	buffer_gl0_inv
	ds_write_b64 v32, v[24:25]
	s_waitcnt lgkmcnt(0)
	s_barrier
	buffer_gl0_inv
	v_cmpx_gt_u32_e32 11, v0
	s_cbranch_execz .LBB76_71
; %bb.68:
	v_mov_b32_e32 v28, 0
	v_mov_b32_e32 v31, v1
	v_lshl_add_u32 v33, v0, 3, 0x70
	v_mov_b32_e32 v29, 0
	v_mov_b32_e32 v30, v0
	s_mov_b32 s2, 0
.LBB76_69:                              ; =>This Inner Loop Header: Depth=1
	v_cmp_eq_u32_e32 vcc_lo, 1, v30
	v_cmp_eq_u32_e64 s0, 2, v30
	v_cndmask_b32_e32 v34, v3, v5, vcc_lo
	v_cndmask_b32_e32 v35, v2, v4, vcc_lo
	v_cmp_eq_u32_e32 vcc_lo, 3, v30
	v_cndmask_b32_e64 v34, v34, v7, s0
	v_cndmask_b32_e64 v35, v35, v6, s0
	v_cmp_eq_u32_e64 s0, 4, v30
	v_cndmask_b32_e32 v34, v34, v9, vcc_lo
	v_cndmask_b32_e32 v35, v35, v8, vcc_lo
	v_cmp_eq_u32_e32 vcc_lo, 5, v30
	v_cndmask_b32_e64 v34, v34, v11, s0
	v_cndmask_b32_e64 v35, v35, v10, s0
	;; [unrolled: 6-line block ×4, first 2 shown]
	ds_read_b64 v[34:35], v33
	v_cmp_eq_u32_e64 s0, 10, v30
	v_add_nc_u32_e32 v33, 8, v33
	v_cndmask_b32_e32 v36, v36, v21, vcc_lo
	v_cndmask_b32_e32 v37, v37, v20, vcc_lo
	v_cmp_eq_u32_e32 vcc_lo, 11, v30
	v_cndmask_b32_e64 v36, v36, v23, s0
	v_cndmask_b32_e64 v37, v37, v22, s0
	v_cmp_eq_u32_e64 s0, 12, v30
	v_cndmask_b32_e32 v36, v36, v25, vcc_lo
	v_cndmask_b32_e32 v38, v37, v24, vcc_lo
	v_add_co_u32 v30, vcc_lo, v30, 1
	v_add_co_ci_u32_e64 v31, null, 0, v31, vcc_lo
	v_cndmask_b32_e64 v37, v36, v27, s0
	v_cndmask_b32_e64 v36, v38, v26, s0
	s_waitcnt lgkmcnt(0)
	v_fma_f64 v[28:29], v[36:37], v[34:35], v[28:29]
	v_add_nc_u32_e32 v34, -1, v30
	v_cmp_lt_u32_e32 vcc_lo, 9, v34
	s_or_b32 s2, vcc_lo, s2
	s_andn2_b32 exec_lo, exec_lo, s2
	s_cbranch_execnz .LBB76_69
; %bb.70:
	s_or_b32 exec_lo, exec_lo, s2
	v_mov_b32_e32 v24, 0
	ds_read_b64 v[24:25], v24 offset:88
	s_waitcnt lgkmcnt(0)
	v_mul_f64 v[24:25], v[28:29], v[24:25]
.LBB76_71:
	s_or_b32 exec_lo, exec_lo, s1
	s_mov_b32 s1, exec_lo
	s_barrier
	buffer_gl0_inv
	ds_write_b64 v32, v[26:27]
	s_waitcnt lgkmcnt(0)
	s_barrier
	buffer_gl0_inv
	v_cmpx_ne_u32_e32 12, v0
	s_cbranch_execz .LBB76_75
; %bb.72:
	v_mov_b32_e32 v28, 0
	v_mov_b32_e32 v31, v1
	v_lshl_add_u32 v32, v0, 3, 0x70
	v_mov_b32_e32 v29, 0
	v_mov_b32_e32 v30, v0
	s_mov_b32 s2, 0
.LBB76_73:                              ; =>This Inner Loop Header: Depth=1
	v_cmp_eq_u32_e32 vcc_lo, 1, v30
	v_cmp_eq_u32_e64 s0, 2, v30
	v_cndmask_b32_e32 v1, v3, v5, vcc_lo
	v_cndmask_b32_e32 v33, v2, v4, vcc_lo
	v_cmp_eq_u32_e32 vcc_lo, 3, v30
	v_cndmask_b32_e64 v1, v1, v7, s0
	v_cndmask_b32_e64 v33, v33, v6, s0
	v_cmp_eq_u32_e64 s0, 4, v30
	v_cndmask_b32_e32 v1, v1, v9, vcc_lo
	v_cndmask_b32_e32 v33, v33, v8, vcc_lo
	v_cmp_eq_u32_e32 vcc_lo, 5, v30
	v_cndmask_b32_e64 v1, v1, v11, s0
	v_cndmask_b32_e64 v33, v33, v10, s0
	;; [unrolled: 6-line block ×4, first 2 shown]
	ds_read_b64 v[33:34], v32
	v_cmp_eq_u32_e64 s0, 10, v30
	v_add_nc_u32_e32 v32, 8, v32
	v_cndmask_b32_e32 v1, v1, v21, vcc_lo
	v_cndmask_b32_e32 v35, v35, v20, vcc_lo
	v_cmp_eq_u32_e32 vcc_lo, 11, v30
	v_cndmask_b32_e64 v1, v1, v23, s0
	v_cndmask_b32_e64 v35, v35, v22, s0
	v_cmp_eq_u32_e64 s0, 12, v30
	v_cndmask_b32_e32 v1, v1, v25, vcc_lo
	v_cndmask_b32_e32 v35, v35, v24, vcc_lo
	v_add_co_u32 v30, vcc_lo, v30, 1
	v_add_co_ci_u32_e64 v31, null, 0, v31, vcc_lo
	v_cndmask_b32_e64 v36, v1, v27, s0
	v_cndmask_b32_e64 v35, v35, v26, s0
	v_add_nc_u32_e32 v1, -1, v30
	s_waitcnt lgkmcnt(0)
	v_fma_f64 v[28:29], v[35:36], v[33:34], v[28:29]
	v_cmp_lt_u32_e32 vcc_lo, 10, v1
	s_or_b32 s2, vcc_lo, s2
	s_andn2_b32 exec_lo, exec_lo, s2
	s_cbranch_execnz .LBB76_73
; %bb.74:
	s_or_b32 exec_lo, exec_lo, s2
	v_mov_b32_e32 v1, 0
	ds_read_b64 v[26:27], v1 offset:96
	s_waitcnt lgkmcnt(0)
	v_mul_f64 v[26:27], v[28:29], v[26:27]
.LBB76_75:
	s_or_b32 exec_lo, exec_lo, s1
	s_barrier
	buffer_gl0_inv
	s_cbranch_execnz .LBB76_15
	s_branch .LBB76_16
.LBB76_76:
	v_lshl_add_u32 v1, v0, 3, 0x70
	s_mov_b32 s0, exec_lo
	v_cmpx_eq_u32_e32 12, v0
	s_cbranch_execz .LBB76_78
; %bb.77:
	v_mov_b32_e32 v50, 0
	s_waitcnt lgkmcnt(12)
	v_mov_b32_e32 v28, v2
	s_waitcnt lgkmcnt(9)
	v_mov_b32_e32 v34, v8
	v_mov_b32_e32 v35, v9
	s_waitcnt lgkmcnt(8)
	v_mov_b32_e32 v36, v10
	;; [unrolled: 3-line block ×8, first 2 shown]
	v_mov_b32_e32 v49, v23
	v_mov_b32_e32 v51, v50
	s_waitcnt lgkmcnt(0)
	v_mov_b32_e32 v52, v26
	v_mov_b32_e32 v53, v27
	;; [unrolled: 1-line block ×7, first 2 shown]
	ds_write_b64 v1, v[24:25]
	v_mov_b32_e32 v2, v28
	v_mov_b32_e32 v3, v29
	;; [unrolled: 1-line block ×32, first 2 shown]
.LBB76_78:
	s_or_b32 exec_lo, exec_lo, s0
	v_mov_b32_e32 v48, 0
	s_waitcnt lgkmcnt(0)
	s_waitcnt_vscnt null, 0x0
	s_barrier
	buffer_gl0_inv
	s_mov_b32 s0, exec_lo
	ds_read_b64 v[28:29], v48 offset:208
	s_waitcnt lgkmcnt(0)
	v_fma_f64 v[28:29], v[26:27], v[28:29], 0
	v_add_f64 v[24:25], v[24:25], -v[28:29]
	v_cmpx_lt_u32_e32 10, v0
	s_cbranch_execz .LBB76_80
; %bb.79:
	v_mov_b32_e32 v28, v2
	v_mov_b32_e32 v34, v8
	;; [unrolled: 1-line block ×25, first 2 shown]
	ds_write_b64 v1, v[22:23]
	v_mov_b32_e32 v2, v28
	v_mov_b32_e32 v3, v29
	;; [unrolled: 1-line block ×32, first 2 shown]
.LBB76_80:
	s_or_b32 exec_lo, exec_lo, s0
	s_waitcnt lgkmcnt(0)
	s_barrier
	buffer_gl0_inv
	ds_read2_b64 v[28:31], v48 offset0:25 offset1:26
	s_mov_b32 s0, exec_lo
	s_waitcnt lgkmcnt(0)
	v_fma_f64 v[28:29], v[24:25], v[28:29], 0
	v_fma_f64 v[28:29], v[26:27], v[30:31], v[28:29]
	v_add_f64 v[22:23], v[22:23], -v[28:29]
	v_cmpx_lt_u32_e32 9, v0
	s_cbranch_execz .LBB76_82
; %bb.81:
	v_mov_b32_e32 v46, 0
	v_mov_b32_e32 v28, v2
	;; [unrolled: 1-line block ×26, first 2 shown]
	ds_write_b64 v1, v[20:21]
	v_mov_b32_e32 v2, v28
	v_mov_b32_e32 v3, v29
	;; [unrolled: 1-line block ×32, first 2 shown]
.LBB76_82:
	s_or_b32 exec_lo, exec_lo, s0
	v_mov_b32_e32 v44, 0
	s_waitcnt lgkmcnt(0)
	s_barrier
	buffer_gl0_inv
	s_mov_b32 s0, exec_lo
	ds_read_b128 v[28:31], v44 offset:192
	ds_read_b64 v[32:33], v44 offset:208
	s_waitcnt lgkmcnt(1)
	v_fma_f64 v[28:29], v[22:23], v[28:29], 0
	v_fma_f64 v[28:29], v[24:25], v[30:31], v[28:29]
	s_waitcnt lgkmcnt(0)
	v_fma_f64 v[28:29], v[26:27], v[32:33], v[28:29]
	v_add_f64 v[20:21], v[20:21], -v[28:29]
	v_cmpx_lt_u32_e32 8, v0
	s_cbranch_execz .LBB76_84
; %bb.83:
	v_mov_b32_e32 v28, v2
	v_mov_b32_e32 v34, v8
	;; [unrolled: 1-line block ×25, first 2 shown]
	ds_write_b64 v1, v[18:19]
	v_mov_b32_e32 v2, v28
	v_mov_b32_e32 v3, v29
	;; [unrolled: 1-line block ×32, first 2 shown]
.LBB76_84:
	s_or_b32 exec_lo, exec_lo, s0
	s_waitcnt lgkmcnt(0)
	s_barrier
	buffer_gl0_inv
	ds_read2_b64 v[28:31], v44 offset0:23 offset1:24
	ds_read2_b64 v[32:35], v44 offset0:25 offset1:26
	s_mov_b32 s0, exec_lo
	s_waitcnt lgkmcnt(1)
	v_fma_f64 v[28:29], v[20:21], v[28:29], 0
	v_fma_f64 v[28:29], v[22:23], v[30:31], v[28:29]
	s_waitcnt lgkmcnt(0)
	v_fma_f64 v[28:29], v[24:25], v[32:33], v[28:29]
	v_fma_f64 v[28:29], v[26:27], v[34:35], v[28:29]
	v_add_f64 v[18:19], v[18:19], -v[28:29]
	v_cmpx_lt_u32_e32 7, v0
	s_cbranch_execz .LBB76_86
; %bb.85:
	v_mov_b32_e32 v42, 0
	v_mov_b32_e32 v28, v2
	;; [unrolled: 1-line block ×26, first 2 shown]
	ds_write_b64 v1, v[16:17]
	v_mov_b32_e32 v2, v28
	v_mov_b32_e32 v3, v29
	;; [unrolled: 1-line block ×32, first 2 shown]
.LBB76_86:
	s_or_b32 exec_lo, exec_lo, s0
	v_mov_b32_e32 v40, 0
	s_waitcnt lgkmcnt(0)
	s_barrier
	buffer_gl0_inv
	s_mov_b32 s0, exec_lo
	ds_read_b128 v[28:31], v40 offset:176
	ds_read_b128 v[32:35], v40 offset:192
	s_waitcnt lgkmcnt(1)
	v_fma_f64 v[28:29], v[18:19], v[28:29], 0
	v_fma_f64 v[28:29], v[20:21], v[30:31], v[28:29]
	ds_read_b64 v[30:31], v40 offset:208
	s_waitcnt lgkmcnt(1)
	v_fma_f64 v[28:29], v[22:23], v[32:33], v[28:29]
	v_fma_f64 v[28:29], v[24:25], v[34:35], v[28:29]
	s_waitcnt lgkmcnt(0)
	v_fma_f64 v[28:29], v[26:27], v[30:31], v[28:29]
	v_add_f64 v[16:17], v[16:17], -v[28:29]
	v_cmpx_lt_u32_e32 6, v0
	s_cbranch_execz .LBB76_88
; %bb.87:
	v_mov_b32_e32 v28, v2
	v_mov_b32_e32 v34, v8
	v_mov_b32_e32 v35, v9
	v_mov_b32_e32 v36, v10
	v_mov_b32_e32 v37, v11
	v_mov_b32_e32 v38, v12
	v_mov_b32_e32 v39, v13
	v_mov_b32_e32 v41, v40
	v_mov_b32_e32 v42, v16
	v_mov_b32_e32 v43, v17
	v_mov_b32_e32 v44, v18
	v_mov_b32_e32 v45, v19
	v_mov_b32_e32 v46, v20
	v_mov_b32_e32 v47, v21
	v_mov_b32_e32 v48, v22
	v_mov_b32_e32 v49, v23
	v_mov_b32_e32 v50, v24
	v_mov_b32_e32 v51, v25
	v_mov_b32_e32 v52, v26
	v_mov_b32_e32 v53, v27
	v_mov_b32_e32 v29, v3
	v_mov_b32_e32 v30, v4
	v_mov_b32_e32 v31, v5
	v_mov_b32_e32 v32, v6
	v_mov_b32_e32 v33, v7
	ds_write_b64 v1, v[14:15]
	v_mov_b32_e32 v2, v28
	v_mov_b32_e32 v3, v29
	v_mov_b32_e32 v4, v30
	v_mov_b32_e32 v5, v31
	v_mov_b32_e32 v6, v32
	v_mov_b32_e32 v7, v33
	v_mov_b32_e32 v8, v34
	v_mov_b32_e32 v9, v35
	v_mov_b32_e32 v10, v36
	v_mov_b32_e32 v11, v37
	v_mov_b32_e32 v12, v38
	v_mov_b32_e32 v13, v39
	v_mov_b32_e32 v14, v40
	v_mov_b32_e32 v15, v41
	v_mov_b32_e32 v16, v42
	v_mov_b32_e32 v17, v43
	v_mov_b32_e32 v18, v44
	v_mov_b32_e32 v19, v45
	v_mov_b32_e32 v20, v46
	v_mov_b32_e32 v21, v47
	v_mov_b32_e32 v22, v48
	v_mov_b32_e32 v23, v49
	v_mov_b32_e32 v24, v50
	v_mov_b32_e32 v25, v51
	v_mov_b32_e32 v26, v52
	v_mov_b32_e32 v27, v53
	v_mov_b32_e32 v28, v54
	v_mov_b32_e32 v29, v55
	v_mov_b32_e32 v30, v56
	v_mov_b32_e32 v31, v57
	v_mov_b32_e32 v32, v58
	v_mov_b32_e32 v33, v59
.LBB76_88:
	s_or_b32 exec_lo, exec_lo, s0
	s_waitcnt lgkmcnt(0)
	s_barrier
	buffer_gl0_inv
	ds_read2_b64 v[28:31], v40 offset0:21 offset1:22
	ds_read2_b64 v[32:35], v40 offset0:23 offset1:24
	s_mov_b32 s0, exec_lo
	s_waitcnt lgkmcnt(1)
	v_fma_f64 v[28:29], v[16:17], v[28:29], 0
	v_fma_f64 v[28:29], v[18:19], v[30:31], v[28:29]
	s_waitcnt lgkmcnt(0)
	v_fma_f64 v[28:29], v[20:21], v[32:33], v[28:29]
	v_fma_f64 v[32:33], v[22:23], v[34:35], v[28:29]
	ds_read2_b64 v[28:31], v40 offset0:25 offset1:26
	s_waitcnt lgkmcnt(0)
	v_fma_f64 v[28:29], v[24:25], v[28:29], v[32:33]
	v_fma_f64 v[28:29], v[26:27], v[30:31], v[28:29]
	v_add_f64 v[14:15], v[14:15], -v[28:29]
	v_cmpx_lt_u32_e32 5, v0
	s_cbranch_execz .LBB76_90
; %bb.89:
	v_mov_b32_e32 v38, 0
	v_mov_b32_e32 v28, v2
	;; [unrolled: 1-line block ×26, first 2 shown]
	ds_write_b64 v1, v[12:13]
	v_mov_b32_e32 v2, v28
	v_mov_b32_e32 v3, v29
	v_mov_b32_e32 v4, v30
	v_mov_b32_e32 v5, v31
	v_mov_b32_e32 v6, v32
	v_mov_b32_e32 v7, v33
	v_mov_b32_e32 v8, v34
	v_mov_b32_e32 v9, v35
	v_mov_b32_e32 v10, v36
	v_mov_b32_e32 v11, v37
	v_mov_b32_e32 v12, v38
	v_mov_b32_e32 v13, v39
	v_mov_b32_e32 v14, v40
	v_mov_b32_e32 v15, v41
	v_mov_b32_e32 v16, v42
	v_mov_b32_e32 v17, v43
	v_mov_b32_e32 v18, v44
	v_mov_b32_e32 v19, v45
	v_mov_b32_e32 v20, v46
	v_mov_b32_e32 v21, v47
	v_mov_b32_e32 v22, v48
	v_mov_b32_e32 v23, v49
	v_mov_b32_e32 v24, v50
	v_mov_b32_e32 v25, v51
	v_mov_b32_e32 v26, v52
	v_mov_b32_e32 v27, v53
	v_mov_b32_e32 v28, v54
	v_mov_b32_e32 v29, v55
	v_mov_b32_e32 v30, v56
	v_mov_b32_e32 v31, v57
	v_mov_b32_e32 v32, v58
	v_mov_b32_e32 v33, v59
.LBB76_90:
	s_or_b32 exec_lo, exec_lo, s0
	v_mov_b32_e32 v36, 0
	s_waitcnt lgkmcnt(0)
	s_barrier
	buffer_gl0_inv
	s_mov_b32 s0, exec_lo
	ds_read_b128 v[28:31], v36 offset:160
	ds_read_b128 v[32:35], v36 offset:176
	s_waitcnt lgkmcnt(1)
	v_fma_f64 v[28:29], v[14:15], v[28:29], 0
	v_fma_f64 v[28:29], v[16:17], v[30:31], v[28:29]
	s_waitcnt lgkmcnt(0)
	v_fma_f64 v[28:29], v[18:19], v[32:33], v[28:29]
	v_fma_f64 v[32:33], v[20:21], v[34:35], v[28:29]
	ds_read_b128 v[28:31], v36 offset:192
	ds_read_b64 v[34:35], v36 offset:208
	s_waitcnt lgkmcnt(1)
	v_fma_f64 v[28:29], v[22:23], v[28:29], v[32:33]
	v_fma_f64 v[28:29], v[24:25], v[30:31], v[28:29]
	s_waitcnt lgkmcnt(0)
	v_fma_f64 v[28:29], v[26:27], v[34:35], v[28:29]
	v_add_f64 v[12:13], v[12:13], -v[28:29]
	v_cmpx_lt_u32_e32 4, v0
	s_cbranch_execz .LBB76_92
; %bb.91:
	v_mov_b32_e32 v28, v2
	v_mov_b32_e32 v34, v8
	;; [unrolled: 1-line block ×25, first 2 shown]
	ds_write_b64 v1, v[10:11]
	v_mov_b32_e32 v2, v28
	v_mov_b32_e32 v3, v29
	v_mov_b32_e32 v4, v30
	v_mov_b32_e32 v5, v31
	v_mov_b32_e32 v6, v32
	v_mov_b32_e32 v7, v33
	v_mov_b32_e32 v8, v34
	v_mov_b32_e32 v9, v35
	v_mov_b32_e32 v10, v36
	v_mov_b32_e32 v11, v37
	v_mov_b32_e32 v12, v38
	v_mov_b32_e32 v13, v39
	v_mov_b32_e32 v14, v40
	v_mov_b32_e32 v15, v41
	v_mov_b32_e32 v16, v42
	v_mov_b32_e32 v17, v43
	v_mov_b32_e32 v18, v44
	v_mov_b32_e32 v19, v45
	v_mov_b32_e32 v20, v46
	v_mov_b32_e32 v21, v47
	v_mov_b32_e32 v22, v48
	v_mov_b32_e32 v23, v49
	v_mov_b32_e32 v24, v50
	v_mov_b32_e32 v25, v51
	v_mov_b32_e32 v26, v52
	v_mov_b32_e32 v27, v53
	v_mov_b32_e32 v28, v54
	v_mov_b32_e32 v29, v55
	v_mov_b32_e32 v30, v56
	v_mov_b32_e32 v31, v57
	v_mov_b32_e32 v32, v58
	v_mov_b32_e32 v33, v59
.LBB76_92:
	s_or_b32 exec_lo, exec_lo, s0
	s_waitcnt lgkmcnt(0)
	s_barrier
	buffer_gl0_inv
	ds_read2_b64 v[28:31], v36 offset0:19 offset1:20
	ds_read2_b64 v[32:35], v36 offset0:21 offset1:22
	s_mov_b32 s0, exec_lo
	s_waitcnt lgkmcnt(1)
	v_fma_f64 v[28:29], v[12:13], v[28:29], 0
	v_fma_f64 v[28:29], v[14:15], v[30:31], v[28:29]
	s_waitcnt lgkmcnt(0)
	v_fma_f64 v[28:29], v[16:17], v[32:33], v[28:29]
	v_fma_f64 v[37:38], v[18:19], v[34:35], v[28:29]
	ds_read2_b64 v[28:31], v36 offset0:23 offset1:24
	ds_read2_b64 v[32:35], v36 offset0:25 offset1:26
	s_waitcnt lgkmcnt(1)
	v_fma_f64 v[28:29], v[20:21], v[28:29], v[37:38]
	v_fma_f64 v[28:29], v[22:23], v[30:31], v[28:29]
	s_waitcnt lgkmcnt(0)
	v_fma_f64 v[28:29], v[24:25], v[32:33], v[28:29]
	v_fma_f64 v[28:29], v[26:27], v[34:35], v[28:29]
	v_add_f64 v[10:11], v[10:11], -v[28:29]
	v_cmpx_lt_u32_e32 3, v0
	s_cbranch_execz .LBB76_94
; %bb.93:
	v_mov_b32_e32 v34, 0
	v_mov_b32_e32 v28, v2
	;; [unrolled: 1-line block ×26, first 2 shown]
	ds_write_b64 v1, v[8:9]
	v_mov_b32_e32 v2, v28
	v_mov_b32_e32 v3, v29
	v_mov_b32_e32 v4, v30
	v_mov_b32_e32 v5, v31
	v_mov_b32_e32 v6, v32
	v_mov_b32_e32 v7, v33
	v_mov_b32_e32 v8, v34
	v_mov_b32_e32 v9, v35
	v_mov_b32_e32 v10, v36
	v_mov_b32_e32 v11, v37
	v_mov_b32_e32 v12, v38
	v_mov_b32_e32 v13, v39
	v_mov_b32_e32 v14, v40
	v_mov_b32_e32 v15, v41
	v_mov_b32_e32 v16, v42
	v_mov_b32_e32 v17, v43
	v_mov_b32_e32 v18, v44
	v_mov_b32_e32 v19, v45
	v_mov_b32_e32 v20, v46
	v_mov_b32_e32 v21, v47
	v_mov_b32_e32 v22, v48
	v_mov_b32_e32 v23, v49
	v_mov_b32_e32 v24, v50
	v_mov_b32_e32 v25, v51
	v_mov_b32_e32 v26, v52
	v_mov_b32_e32 v27, v53
	v_mov_b32_e32 v28, v54
	v_mov_b32_e32 v29, v55
	v_mov_b32_e32 v30, v56
	v_mov_b32_e32 v31, v57
	v_mov_b32_e32 v32, v58
	v_mov_b32_e32 v33, v59
.LBB76_94:
	s_or_b32 exec_lo, exec_lo, s0
	v_mov_b32_e32 v34, 0
	s_waitcnt lgkmcnt(0)
	s_barrier
	buffer_gl0_inv
	s_mov_b32 s0, exec_lo
	ds_read_b128 v[28:31], v34 offset:144
	ds_read_b128 v[35:38], v34 offset:160
	s_waitcnt lgkmcnt(1)
	v_fma_f64 v[28:29], v[10:11], v[28:29], 0
	v_fma_f64 v[28:29], v[12:13], v[30:31], v[28:29]
	s_waitcnt lgkmcnt(0)
	v_fma_f64 v[28:29], v[14:15], v[35:36], v[28:29]
	v_fma_f64 v[32:33], v[16:17], v[37:38], v[28:29]
	ds_read_b128 v[28:31], v34 offset:176
	ds_read_b128 v[35:38], v34 offset:192
	s_waitcnt lgkmcnt(1)
	v_fma_f64 v[28:29], v[18:19], v[28:29], v[32:33]
	v_fma_f64 v[28:29], v[20:21], v[30:31], v[28:29]
	ds_read_b64 v[30:31], v34 offset:208
	s_waitcnt lgkmcnt(1)
	v_fma_f64 v[28:29], v[22:23], v[35:36], v[28:29]
	v_fma_f64 v[28:29], v[24:25], v[37:38], v[28:29]
	s_waitcnt lgkmcnt(0)
	v_fma_f64 v[28:29], v[26:27], v[30:31], v[28:29]
	v_add_f64 v[8:9], v[8:9], -v[28:29]
	v_cmpx_lt_u32_e32 2, v0
	s_cbranch_execz .LBB76_96
; %bb.95:
	v_mov_b32_e32 v30, v2
	v_mov_b32_e32 v35, v34
	;; [unrolled: 1-line block ×59, first 2 shown]
	ds_write_b64 v1, v[56:57]
.LBB76_96:
	s_or_b32 exec_lo, exec_lo, s0
	s_waitcnt lgkmcnt(0)
	s_barrier
	buffer_gl0_inv
	ds_read2_b64 v[28:31], v34 offset0:17 offset1:18
	ds_read2_b64 v[35:38], v34 offset0:19 offset1:20
	s_mov_b32 s0, exec_lo
	s_waitcnt lgkmcnt(1)
	v_fma_f64 v[28:29], v[8:9], v[28:29], 0
	v_fma_f64 v[28:29], v[10:11], v[30:31], v[28:29]
	s_waitcnt lgkmcnt(0)
	v_fma_f64 v[28:29], v[12:13], v[35:36], v[28:29]
	v_fma_f64 v[32:33], v[14:15], v[37:38], v[28:29]
	ds_read2_b64 v[28:31], v34 offset0:21 offset1:22
	ds_read2_b64 v[35:38], v34 offset0:23 offset1:24
	s_waitcnt lgkmcnt(1)
	v_fma_f64 v[28:29], v[16:17], v[28:29], v[32:33]
	v_fma_f64 v[28:29], v[18:19], v[30:31], v[28:29]
	s_waitcnt lgkmcnt(0)
	v_fma_f64 v[28:29], v[20:21], v[35:36], v[28:29]
	v_fma_f64 v[32:33], v[22:23], v[37:38], v[28:29]
	ds_read2_b64 v[28:31], v34 offset0:25 offset1:26
	s_waitcnt lgkmcnt(0)
	v_fma_f64 v[28:29], v[24:25], v[28:29], v[32:33]
	v_fma_f64 v[28:29], v[26:27], v[30:31], v[28:29]
	v_add_f64 v[6:7], v[6:7], -v[28:29]
	v_cmpx_lt_u32_e32 1, v0
	s_cbranch_execz .LBB76_98
; %bb.97:
	v_mov_b32_e32 v30, 0
	v_mov_b32_e32 v28, v2
	;; [unrolled: 1-line block ×60, first 2 shown]
	ds_write_b64 v1, v[54:55]
.LBB76_98:
	s_or_b32 exec_lo, exec_lo, s0
	v_mov_b32_e32 v34, 0
	s_waitcnt lgkmcnt(0)
	s_barrier
	buffer_gl0_inv
	s_mov_b32 s0, exec_lo
	ds_read_b128 v[28:31], v34 offset:128
	ds_read_b128 v[35:38], v34 offset:144
	s_waitcnt lgkmcnt(1)
	v_fma_f64 v[28:29], v[6:7], v[28:29], 0
	v_fma_f64 v[28:29], v[8:9], v[30:31], v[28:29]
	s_waitcnt lgkmcnt(0)
	v_fma_f64 v[28:29], v[10:11], v[35:36], v[28:29]
	v_fma_f64 v[32:33], v[12:13], v[37:38], v[28:29]
	ds_read_b128 v[28:31], v34 offset:160
	ds_read_b128 v[35:38], v34 offset:176
	s_waitcnt lgkmcnt(1)
	v_fma_f64 v[28:29], v[14:15], v[28:29], v[32:33]
	v_fma_f64 v[28:29], v[16:17], v[30:31], v[28:29]
	s_waitcnt lgkmcnt(0)
	v_fma_f64 v[28:29], v[18:19], v[35:36], v[28:29]
	v_fma_f64 v[32:33], v[20:21], v[37:38], v[28:29]
	ds_read_b128 v[28:31], v34 offset:192
	ds_read_b64 v[35:36], v34 offset:208
	s_waitcnt lgkmcnt(1)
	v_fma_f64 v[28:29], v[22:23], v[28:29], v[32:33]
	v_fma_f64 v[28:29], v[24:25], v[30:31], v[28:29]
	s_waitcnt lgkmcnt(0)
	v_fma_f64 v[28:29], v[26:27], v[35:36], v[28:29]
	v_add_f64 v[4:5], v[4:5], -v[28:29]
	v_cmpx_ne_u32_e32 0, v0
	s_cbranch_execz .LBB76_100
; %bb.99:
	v_mov_b32_e32 v35, v34
	v_mov_b32_e32 v36, v4
	;; [unrolled: 1-line block ×59, first 2 shown]
	ds_write_b64 v1, v[86:87]
.LBB76_100:
	s_or_b32 exec_lo, exec_lo, s0
	s_waitcnt lgkmcnt(0)
	s_barrier
	buffer_gl0_inv
	ds_read2_b64 v[28:31], v34 offset0:15 offset1:16
	ds_read2_b64 v[35:38], v34 offset0:17 offset1:18
	s_and_b32 vcc_lo, exec_lo, s15
	s_waitcnt lgkmcnt(1)
	v_fma_f64 v[0:1], v[4:5], v[28:29], 0
	v_fma_f64 v[0:1], v[6:7], v[30:31], v[0:1]
	s_waitcnt lgkmcnt(0)
	v_fma_f64 v[0:1], v[8:9], v[35:36], v[0:1]
	v_fma_f64 v[0:1], v[10:11], v[37:38], v[0:1]
	ds_read2_b64 v[28:31], v34 offset0:19 offset1:20
	ds_read2_b64 v[35:38], v34 offset0:21 offset1:22
	s_waitcnt lgkmcnt(1)
	v_fma_f64 v[0:1], v[12:13], v[28:29], v[0:1]
	v_fma_f64 v[0:1], v[14:15], v[30:31], v[0:1]
	s_waitcnt lgkmcnt(0)
	v_fma_f64 v[0:1], v[16:17], v[35:36], v[0:1]
	ds_read2_b64 v[28:31], v34 offset0:23 offset1:24
	ds_read2_b64 v[32:35], v34 offset0:25 offset1:26
	v_fma_f64 v[0:1], v[18:19], v[37:38], v[0:1]
	s_waitcnt lgkmcnt(1)
	v_fma_f64 v[0:1], v[20:21], v[28:29], v[0:1]
	v_fma_f64 v[0:1], v[22:23], v[30:31], v[0:1]
	s_waitcnt lgkmcnt(0)
	v_fma_f64 v[0:1], v[24:25], v[32:33], v[0:1]
	v_fma_f64 v[0:1], v[26:27], v[34:35], v[0:1]
	v_add_f64 v[2:3], v[2:3], -v[0:1]
	s_cbranch_vccz .LBB76_125
; %bb.101:
	v_mov_b32_e32 v0, 0
	global_load_dword v1, v0, s[20:21] offset:44
	s_waitcnt vmcnt(0)
	v_readfirstlane_b32 s0, v1
	s_add_i32 s0, s0, -1
	s_cmp_lg_u32 s0, 11
	s_cbranch_scc0 .LBB76_103
; %bb.102:
	s_lshl_b32 m0, s0, 1
	v_movrels_b32_e32 v1, v2
	v_movrels_b32_e32 v58, v3
	v_mov_b32_e32 v57, v33
	v_mov_b32_e32 v56, v32
	;; [unrolled: 1-line block ×34, first 2 shown]
	v_movreld_b32_e32 v26, v24
	v_movreld_b32_e32 v27, v25
	v_mov_b32_e32 v2, v26
	v_mov_b32_e32 v3, v27
	;; [unrolled: 1-line block ×32, first 2 shown]
.LBB76_103:
	global_load_dword v0, v0, s[20:21] offset:40
	s_waitcnt vmcnt(0)
	v_readfirstlane_b32 s0, v0
	s_add_i32 s0, s0, -1
	s_cmp_eq_u32 s0, 10
	s_cbranch_scc1 .LBB76_105
; %bb.104:
	s_lshl_b32 m0, s0, 1
	v_movrels_b32_e32 v0, v2
	v_movrels_b32_e32 v1, v3
	v_mov_b32_e32 v55, v33
	v_mov_b32_e32 v54, v32
	;; [unrolled: 1-line block ×34, first 2 shown]
	v_movreld_b32_e32 v24, v22
	v_movreld_b32_e32 v25, v23
	v_mov_b32_e32 v2, v24
	v_mov_b32_e32 v3, v25
	;; [unrolled: 1-line block ×32, first 2 shown]
.LBB76_105:
	v_mov_b32_e32 v0, 0
	global_load_dword v1, v0, s[20:21] offset:36
	s_waitcnt vmcnt(0)
	v_readfirstlane_b32 s0, v1
	s_add_i32 s0, s0, -1
	s_cmp_eq_u32 s0, 9
	s_cbranch_scc1 .LBB76_107
; %bb.106:
	s_lshl_b32 m0, s0, 1
	v_movrels_b32_e32 v1, v2
	v_movrels_b32_e32 v54, v3
	v_mov_b32_e32 v53, v33
	v_mov_b32_e32 v52, v32
	;; [unrolled: 1-line block ×34, first 2 shown]
	v_movreld_b32_e32 v22, v20
	v_movreld_b32_e32 v23, v21
	v_mov_b32_e32 v2, v22
	v_mov_b32_e32 v3, v23
	;; [unrolled: 1-line block ×32, first 2 shown]
.LBB76_107:
	global_load_dword v0, v0, s[20:21] offset:32
	s_waitcnt vmcnt(0)
	v_readfirstlane_b32 s0, v0
	s_add_i32 s0, s0, -1
	s_cmp_eq_u32 s0, 8
	s_cbranch_scc1 .LBB76_109
; %bb.108:
	s_lshl_b32 m0, s0, 1
	v_movrels_b32_e32 v0, v2
	v_movrels_b32_e32 v1, v3
	v_mov_b32_e32 v51, v33
	v_mov_b32_e32 v50, v32
	;; [unrolled: 1-line block ×34, first 2 shown]
	v_movreld_b32_e32 v20, v18
	v_movreld_b32_e32 v21, v19
	v_mov_b32_e32 v2, v20
	v_mov_b32_e32 v3, v21
	;; [unrolled: 1-line block ×32, first 2 shown]
.LBB76_109:
	v_mov_b32_e32 v0, 0
	global_load_dword v1, v0, s[20:21] offset:28
	s_waitcnt vmcnt(0)
	v_readfirstlane_b32 s0, v1
	s_add_i32 s0, s0, -1
	s_cmp_eq_u32 s0, 7
	s_cbranch_scc1 .LBB76_111
; %bb.110:
	s_lshl_b32 m0, s0, 1
	v_movrels_b32_e32 v1, v2
	v_movrels_b32_e32 v50, v3
	v_mov_b32_e32 v49, v33
	v_mov_b32_e32 v48, v32
	;; [unrolled: 1-line block ×34, first 2 shown]
	v_movreld_b32_e32 v18, v16
	v_movreld_b32_e32 v19, v17
	v_mov_b32_e32 v2, v18
	v_mov_b32_e32 v3, v19
	;; [unrolled: 1-line block ×32, first 2 shown]
.LBB76_111:
	global_load_dword v0, v0, s[20:21] offset:24
	s_waitcnt vmcnt(0)
	v_readfirstlane_b32 s0, v0
	s_add_i32 s0, s0, -1
	s_cmp_eq_u32 s0, 6
	s_cbranch_scc1 .LBB76_113
; %bb.112:
	s_lshl_b32 m0, s0, 1
	v_movrels_b32_e32 v0, v2
	v_movrels_b32_e32 v1, v3
	v_mov_b32_e32 v47, v33
	v_mov_b32_e32 v46, v32
	;; [unrolled: 1-line block ×34, first 2 shown]
	v_movreld_b32_e32 v16, v14
	v_movreld_b32_e32 v17, v15
	v_mov_b32_e32 v2, v16
	v_mov_b32_e32 v3, v17
	;; [unrolled: 1-line block ×32, first 2 shown]
.LBB76_113:
	v_mov_b32_e32 v0, 0
	global_load_dword v1, v0, s[20:21] offset:20
	s_waitcnt vmcnt(0)
	v_readfirstlane_b32 s0, v1
	s_add_i32 s0, s0, -1
	s_cmp_eq_u32 s0, 5
	s_cbranch_scc1 .LBB76_115
; %bb.114:
	s_lshl_b32 m0, s0, 1
	v_movrels_b32_e32 v1, v2
	v_movrels_b32_e32 v46, v3
	v_mov_b32_e32 v45, v33
	v_mov_b32_e32 v44, v32
	v_mov_b32_e32 v43, v31
	v_mov_b32_e32 v42, v30
	v_mov_b32_e32 v41, v29
	v_mov_b32_e32 v40, v28
	v_mov_b32_e32 v39, v27
	v_mov_b32_e32 v38, v26
	v_mov_b32_e32 v37, v25
	v_mov_b32_e32 v36, v24
	v_mov_b32_e32 v35, v23
	v_mov_b32_e32 v34, v22
	v_mov_b32_e32 v33, v21
	v_mov_b32_e32 v32, v20
	v_mov_b32_e32 v31, v19
	v_mov_b32_e32 v30, v18
	v_mov_b32_e32 v29, v17
	v_mov_b32_e32 v28, v16
	v_mov_b32_e32 v27, v15
	v_mov_b32_e32 v26, v14
	v_mov_b32_e32 v25, v13
	v_mov_b32_e32 v24, v12
	v_mov_b32_e32 v23, v11
	v_mov_b32_e32 v22, v10
	v_mov_b32_e32 v21, v9
	v_mov_b32_e32 v20, v8
	v_mov_b32_e32 v19, v7
	v_mov_b32_e32 v18, v6
	v_mov_b32_e32 v17, v5
	v_mov_b32_e32 v16, v4
	v_mov_b32_e32 v15, v3
	v_mov_b32_e32 v14, v2
	v_mov_b32_e32 v24, v1
	v_mov_b32_e32 v25, v46
	v_movreld_b32_e32 v14, v12
	v_movreld_b32_e32 v15, v13
	v_mov_b32_e32 v2, v14
	v_mov_b32_e32 v3, v15
	;; [unrolled: 1-line block ×32, first 2 shown]
.LBB76_115:
	global_load_dword v0, v0, s[20:21] offset:16
	s_waitcnt vmcnt(0)
	v_readfirstlane_b32 s0, v0
	s_add_i32 s0, s0, -1
	s_cmp_eq_u32 s0, 4
	s_cbranch_scc1 .LBB76_117
; %bb.116:
	s_lshl_b32 m0, s0, 1
	v_movrels_b32_e32 v0, v2
	v_movrels_b32_e32 v1, v3
	v_mov_b32_e32 v43, v33
	v_mov_b32_e32 v42, v32
	;; [unrolled: 1-line block ×34, first 2 shown]
	v_movreld_b32_e32 v12, v10
	v_movreld_b32_e32 v13, v11
	v_mov_b32_e32 v2, v12
	v_mov_b32_e32 v3, v13
	;; [unrolled: 1-line block ×32, first 2 shown]
.LBB76_117:
	v_mov_b32_e32 v0, 0
	global_load_dword v1, v0, s[20:21] offset:12
	s_waitcnt vmcnt(0)
	v_readfirstlane_b32 s0, v1
	s_add_i32 s0, s0, -1
	s_cmp_eq_u32 s0, 3
	s_cbranch_scc1 .LBB76_119
; %bb.118:
	s_lshl_b32 m0, s0, 1
	v_movrels_b32_e32 v1, v2
	v_movrels_b32_e32 v42, v3
	v_mov_b32_e32 v41, v33
	v_mov_b32_e32 v40, v32
	;; [unrolled: 1-line block ×34, first 2 shown]
	v_movreld_b32_e32 v10, v8
	v_movreld_b32_e32 v11, v9
	v_mov_b32_e32 v2, v10
	v_mov_b32_e32 v3, v11
	;; [unrolled: 1-line block ×32, first 2 shown]
.LBB76_119:
	global_load_dword v0, v0, s[20:21] offset:8
	s_waitcnt vmcnt(0)
	v_readfirstlane_b32 s0, v0
	s_add_i32 s0, s0, -1
	s_cmp_eq_u32 s0, 2
	s_cbranch_scc1 .LBB76_121
; %bb.120:
	s_lshl_b32 m0, s0, 1
	v_movrels_b32_e32 v0, v2
	v_movrels_b32_e32 v1, v3
	v_mov_b32_e32 v39, v33
	v_mov_b32_e32 v38, v32
	;; [unrolled: 1-line block ×34, first 2 shown]
	v_movreld_b32_e32 v8, v6
	v_movreld_b32_e32 v9, v7
	v_mov_b32_e32 v2, v8
	v_mov_b32_e32 v3, v9
	;; [unrolled: 1-line block ×32, first 2 shown]
.LBB76_121:
	v_mov_b32_e32 v0, 0
	global_load_dword v1, v0, s[20:21] offset:4
	s_waitcnt vmcnt(0)
	v_readfirstlane_b32 s0, v1
	s_add_i32 s0, s0, -1
	s_cmp_eq_u32 s0, 1
	s_cbranch_scc1 .LBB76_123
; %bb.122:
	s_lshl_b32 m0, s0, 1
	v_movrels_b32_e32 v1, v2
	v_movrels_b32_e32 v38, v3
	v_mov_b32_e32 v37, v33
	v_mov_b32_e32 v36, v32
	;; [unrolled: 1-line block ×34, first 2 shown]
	v_movreld_b32_e32 v6, v4
	v_movreld_b32_e32 v7, v5
	v_mov_b32_e32 v2, v6
	v_mov_b32_e32 v3, v7
	v_mov_b32_e32 v4, v8
	v_mov_b32_e32 v5, v9
	v_mov_b32_e32 v6, v10
	v_mov_b32_e32 v7, v11
	v_mov_b32_e32 v8, v12
	v_mov_b32_e32 v9, v13
	v_mov_b32_e32 v10, v14
	v_mov_b32_e32 v11, v15
	v_mov_b32_e32 v12, v16
	v_mov_b32_e32 v13, v17
	v_mov_b32_e32 v14, v18
	v_mov_b32_e32 v15, v19
	v_mov_b32_e32 v16, v20
	v_mov_b32_e32 v17, v21
	v_mov_b32_e32 v18, v22
	v_mov_b32_e32 v19, v23
	v_mov_b32_e32 v20, v24
	v_mov_b32_e32 v21, v25
	v_mov_b32_e32 v22, v26
	v_mov_b32_e32 v23, v27
	v_mov_b32_e32 v24, v28
	v_mov_b32_e32 v25, v29
	v_mov_b32_e32 v26, v30
	v_mov_b32_e32 v27, v31
	v_mov_b32_e32 v28, v32
	v_mov_b32_e32 v29, v33
	v_mov_b32_e32 v30, v34
	v_mov_b32_e32 v31, v35
	v_mov_b32_e32 v32, v36
	v_mov_b32_e32 v33, v37
.LBB76_123:
	global_load_dword v0, v0, s[20:21]
	s_waitcnt vmcnt(0)
	v_readfirstlane_b32 s0, v0
	s_add_i32 s0, s0, -1
	s_cmp_eq_u32 s0, 0
	s_cbranch_scc1 .LBB76_125
; %bb.124:
	s_lshl_b32 m0, s0, 1
	v_movrels_b32_e32 v0, v2
	v_movrels_b32_e32 v1, v3
	v_mov_b32_e32 v35, v33
	v_mov_b32_e32 v34, v32
	;; [unrolled: 1-line block ×34, first 2 shown]
	v_movreld_b32_e32 v4, v2
	v_movreld_b32_e32 v5, v3
	v_mov_b32_e32 v2, v4
	v_mov_b32_e32 v3, v5
	;; [unrolled: 1-line block ×32, first 2 shown]
.LBB76_125:
	v_mov_b32_e32 v0, v2
	v_mov_b32_e32 v1, v3
	;; [unrolled: 1-line block ×6, first 2 shown]
	flat_store_dwordx2 v[60:61], v[0:1]
	flat_store_dwordx2 v[62:63], v[2:3]
	;; [unrolled: 1-line block ×3, first 2 shown]
	v_mov_b32_e32 v0, v8
	v_mov_b32_e32 v1, v9
	;; [unrolled: 1-line block ×10, first 2 shown]
	flat_store_dwordx2 v[64:65], v[0:1]
	flat_store_dwordx2 v[68:69], v[2:3]
	;; [unrolled: 1-line block ×5, first 2 shown]
	v_mov_b32_e32 v0, v18
	v_mov_b32_e32 v1, v19
	v_mov_b32_e32 v2, v20
	v_mov_b32_e32 v3, v21
	v_mov_b32_e32 v4, v22
	v_mov_b32_e32 v5, v23
	v_mov_b32_e32 v6, v24
	v_mov_b32_e32 v7, v25
	v_mov_b32_e32 v8, v26
	v_mov_b32_e32 v9, v27
	flat_store_dwordx2 v[74:75], v[0:1]
	flat_store_dwordx2 v[78:79], v[2:3]
	;; [unrolled: 1-line block ×5, first 2 shown]
	s_endpgm
	.section	.rodata,"a",@progbits
	.p2align	6, 0x0
	.amdhsa_kernel _ZN9rocsolver6v33100L18getri_kernel_smallILi13EdPKPdEEvT1_iilPiilS6_bb
		.amdhsa_group_segment_fixed_size 216
		.amdhsa_private_segment_fixed_size 0
		.amdhsa_kernarg_size 60
		.amdhsa_user_sgpr_count 6
		.amdhsa_user_sgpr_private_segment_buffer 1
		.amdhsa_user_sgpr_dispatch_ptr 0
		.amdhsa_user_sgpr_queue_ptr 0
		.amdhsa_user_sgpr_kernarg_segment_ptr 1
		.amdhsa_user_sgpr_dispatch_id 0
		.amdhsa_user_sgpr_flat_scratch_init 0
		.amdhsa_user_sgpr_private_segment_size 0
		.amdhsa_wavefront_size32 1
		.amdhsa_uses_dynamic_stack 0
		.amdhsa_system_sgpr_private_segment_wavefront_offset 0
		.amdhsa_system_sgpr_workgroup_id_x 1
		.amdhsa_system_sgpr_workgroup_id_y 0
		.amdhsa_system_sgpr_workgroup_id_z 0
		.amdhsa_system_sgpr_workgroup_info 0
		.amdhsa_system_vgpr_workitem_id 0
		.amdhsa_next_free_vgpr 88
		.amdhsa_next_free_sgpr 22
		.amdhsa_reserve_vcc 1
		.amdhsa_reserve_flat_scratch 1
		.amdhsa_float_round_mode_32 0
		.amdhsa_float_round_mode_16_64 0
		.amdhsa_float_denorm_mode_32 3
		.amdhsa_float_denorm_mode_16_64 3
		.amdhsa_dx10_clamp 1
		.amdhsa_ieee_mode 1
		.amdhsa_fp16_overflow 0
		.amdhsa_workgroup_processor_mode 1
		.amdhsa_memory_ordered 1
		.amdhsa_forward_progress 1
		.amdhsa_shared_vgpr_count 0
		.amdhsa_exception_fp_ieee_invalid_op 0
		.amdhsa_exception_fp_denorm_src 0
		.amdhsa_exception_fp_ieee_div_zero 0
		.amdhsa_exception_fp_ieee_overflow 0
		.amdhsa_exception_fp_ieee_underflow 0
		.amdhsa_exception_fp_ieee_inexact 0
		.amdhsa_exception_int_div_zero 0
	.end_amdhsa_kernel
	.section	.text._ZN9rocsolver6v33100L18getri_kernel_smallILi13EdPKPdEEvT1_iilPiilS6_bb,"axG",@progbits,_ZN9rocsolver6v33100L18getri_kernel_smallILi13EdPKPdEEvT1_iilPiilS6_bb,comdat
.Lfunc_end76:
	.size	_ZN9rocsolver6v33100L18getri_kernel_smallILi13EdPKPdEEvT1_iilPiilS6_bb, .Lfunc_end76-_ZN9rocsolver6v33100L18getri_kernel_smallILi13EdPKPdEEvT1_iilPiilS6_bb
                                        ; -- End function
	.set _ZN9rocsolver6v33100L18getri_kernel_smallILi13EdPKPdEEvT1_iilPiilS6_bb.num_vgpr, 88
	.set _ZN9rocsolver6v33100L18getri_kernel_smallILi13EdPKPdEEvT1_iilPiilS6_bb.num_agpr, 0
	.set _ZN9rocsolver6v33100L18getri_kernel_smallILi13EdPKPdEEvT1_iilPiilS6_bb.numbered_sgpr, 22
	.set _ZN9rocsolver6v33100L18getri_kernel_smallILi13EdPKPdEEvT1_iilPiilS6_bb.num_named_barrier, 0
	.set _ZN9rocsolver6v33100L18getri_kernel_smallILi13EdPKPdEEvT1_iilPiilS6_bb.private_seg_size, 0
	.set _ZN9rocsolver6v33100L18getri_kernel_smallILi13EdPKPdEEvT1_iilPiilS6_bb.uses_vcc, 1
	.set _ZN9rocsolver6v33100L18getri_kernel_smallILi13EdPKPdEEvT1_iilPiilS6_bb.uses_flat_scratch, 1
	.set _ZN9rocsolver6v33100L18getri_kernel_smallILi13EdPKPdEEvT1_iilPiilS6_bb.has_dyn_sized_stack, 0
	.set _ZN9rocsolver6v33100L18getri_kernel_smallILi13EdPKPdEEvT1_iilPiilS6_bb.has_recursion, 0
	.set _ZN9rocsolver6v33100L18getri_kernel_smallILi13EdPKPdEEvT1_iilPiilS6_bb.has_indirect_call, 0
	.section	.AMDGPU.csdata,"",@progbits
; Kernel info:
; codeLenInByte = 16772
; TotalNumSgprs: 24
; NumVgprs: 88
; ScratchSize: 0
; MemoryBound: 0
; FloatMode: 240
; IeeeMode: 1
; LDSByteSize: 216 bytes/workgroup (compile time only)
; SGPRBlocks: 0
; VGPRBlocks: 10
; NumSGPRsForWavesPerEU: 24
; NumVGPRsForWavesPerEU: 88
; Occupancy: 10
; WaveLimiterHint : 1
; COMPUTE_PGM_RSRC2:SCRATCH_EN: 0
; COMPUTE_PGM_RSRC2:USER_SGPR: 6
; COMPUTE_PGM_RSRC2:TRAP_HANDLER: 0
; COMPUTE_PGM_RSRC2:TGID_X_EN: 1
; COMPUTE_PGM_RSRC2:TGID_Y_EN: 0
; COMPUTE_PGM_RSRC2:TGID_Z_EN: 0
; COMPUTE_PGM_RSRC2:TIDIG_COMP_CNT: 0
	.section	.text._ZN9rocsolver6v33100L18getri_kernel_smallILi14EdPKPdEEvT1_iilPiilS6_bb,"axG",@progbits,_ZN9rocsolver6v33100L18getri_kernel_smallILi14EdPKPdEEvT1_iilPiilS6_bb,comdat
	.globl	_ZN9rocsolver6v33100L18getri_kernel_smallILi14EdPKPdEEvT1_iilPiilS6_bb ; -- Begin function _ZN9rocsolver6v33100L18getri_kernel_smallILi14EdPKPdEEvT1_iilPiilS6_bb
	.p2align	8
	.type	_ZN9rocsolver6v33100L18getri_kernel_smallILi14EdPKPdEEvT1_iilPiilS6_bb,@function
_ZN9rocsolver6v33100L18getri_kernel_smallILi14EdPKPdEEvT1_iilPiilS6_bb: ; @_ZN9rocsolver6v33100L18getri_kernel_smallILi14EdPKPdEEvT1_iilPiilS6_bb
; %bb.0:
	s_mov_b32 s0, exec_lo
	v_cmpx_gt_u32_e32 14, v0
	s_cbranch_execz .LBB77_16
; %bb.1:
	s_clause 0x2
	s_load_dword s8, s[4:5], 0x38
	s_load_dwordx2 s[0:1], s[4:5], 0x0
	s_load_dwordx4 s[16:19], s[4:5], 0x28
                                        ; implicit-def: $sgpr20_sgpr21
	s_waitcnt lgkmcnt(0)
	s_bitcmp1_b32 s8, 8
	s_cselect_b32 s22, -1, 0
	s_ashr_i32 s7, s6, 31
	s_lshl_b64 s[2:3], s[6:7], 3
	s_add_u32 s0, s0, s2
	s_addc_u32 s1, s1, s3
	s_load_dwordx2 s[2:3], s[0:1], 0x0
	s_bfe_u32 s0, s8, 0x10008
	s_cmp_eq_u32 s0, 0
	s_cbranch_scc1 .LBB77_3
; %bb.2:
	s_clause 0x1
	s_load_dword s0, s[4:5], 0x20
	s_load_dwordx2 s[8:9], s[4:5], 0x18
	s_mul_i32 s1, s16, s7
	s_mul_hi_u32 s10, s16, s6
	s_mul_i32 s11, s17, s6
	s_add_i32 s1, s10, s1
	s_mul_i32 s10, s16, s6
	s_add_i32 s11, s1, s11
	s_lshl_b64 s[10:11], s[10:11], 2
	s_waitcnt lgkmcnt(0)
	s_ashr_i32 s1, s0, 31
	s_add_u32 s8, s8, s10
	s_addc_u32 s9, s9, s11
	s_lshl_b64 s[0:1], s[0:1], 2
	s_add_u32 s20, s8, s0
	s_addc_u32 s21, s9, s1
.LBB77_3:
	s_clause 0x1
	s_load_dwordx2 s[0:1], s[4:5], 0x8
	s_load_dword s4, s[4:5], 0x38
	v_lshlrev_b32_e32 v32, 3, v0
	s_waitcnt lgkmcnt(0)
	v_add3_u32 v1, s1, s1, v0
	s_ashr_i32 s9, s0, 31
	s_mov_b32 s8, s0
	s_mov_b32 s10, s1
	s_lshl_b64 s[8:9], s[8:9], 3
	v_add_nc_u32_e32 v3, s1, v1
	v_ashrrev_i32_e32 v2, 31, v1
	s_add_u32 s0, s2, s8
	s_addc_u32 s5, s3, s9
	v_add_co_u32 v60, s2, s0, v32
	v_add_nc_u32_e32 v5, s1, v3
	s_ashr_i32 s11, s1, 31
	v_lshlrev_b64 v[1:2], 3, v[1:2]
	v_ashrrev_i32_e32 v4, 31, v3
	v_add_co_ci_u32_e64 v61, null, s5, 0, s2
	s_lshl_b64 s[2:3], s[10:11], 3
	v_ashrrev_i32_e32 v6, 31, v5
	v_add_nc_u32_e32 v7, s1, v5
	v_add_co_u32 v62, vcc_lo, v60, s2
	v_lshlrev_b64 v[3:4], 3, v[3:4]
	v_add_co_ci_u32_e64 v63, null, s3, v61, vcc_lo
	v_add_co_u32 v64, vcc_lo, s0, v1
	v_add_co_ci_u32_e64 v65, null, s5, v2, vcc_lo
	v_lshlrev_b64 v[1:2], 3, v[5:6]
	v_ashrrev_i32_e32 v8, 31, v7
	v_add_nc_u32_e32 v5, s1, v7
	v_add_co_u32 v68, vcc_lo, s0, v3
	v_add_co_ci_u32_e64 v69, null, s5, v4, vcc_lo
	v_lshlrev_b64 v[3:4], 3, v[7:8]
	v_ashrrev_i32_e32 v6, 31, v5
	v_add_nc_u32_e32 v7, s1, v5
	;; [unrolled: 5-line block ×7, first 2 shown]
	v_add_co_u32 v76, vcc_lo, s0, v3
	v_add_co_ci_u32_e64 v77, null, s5, v4, vcc_lo
	v_lshlrev_b64 v[3:4], 3, v[7:8]
	v_add_nc_u32_e32 v7, s1, v5
	v_ashrrev_i32_e32 v6, 31, v5
	v_add_co_u32 v80, vcc_lo, s0, v1
	v_add_co_ci_u32_e64 v81, null, s5, v2, vcc_lo
	v_ashrrev_i32_e32 v8, 31, v7
	v_lshlrev_b64 v[1:2], 3, v[5:6]
	v_add_co_u32 v82, vcc_lo, s0, v3
	v_add_co_ci_u32_e64 v83, null, s5, v4, vcc_lo
	v_lshlrev_b64 v[3:4], 3, v[7:8]
	v_add_co_u32 v84, vcc_lo, s0, v1
	v_add_co_ci_u32_e64 v85, null, s5, v2, vcc_lo
	v_mov_b32_e32 v1, 0
	v_add_co_u32 v86, vcc_lo, s0, v3
	v_add_co_ci_u32_e64 v87, null, s5, v4, vcc_lo
	s_clause 0xd
	flat_load_dwordx2 v[2:3], v[60:61]
	flat_load_dwordx2 v[4:5], v[62:63]
	;; [unrolled: 1-line block ×14, first 2 shown]
	s_bitcmp0_b32 s4, 0
	s_mov_b32 s0, -1
	s_cbranch_scc1 .LBB77_14
; %bb.4:
	v_cmp_eq_u32_e64 s0, 0, v0
	s_and_saveexec_b32 s1, s0
; %bb.5:
	v_mov_b32_e32 v30, 0
	ds_write_b32 v30, v30 offset:224
; %bb.6:
	s_or_b32 exec_lo, exec_lo, s1
	v_cmp_eq_u32_e32 vcc_lo, 1, v0
	s_mov_b32 s2, exec_lo
	s_waitcnt vmcnt(0) lgkmcnt(0)
	s_barrier
	buffer_gl0_inv
	v_cndmask_b32_e32 v30, v3, v5, vcc_lo
	v_cndmask_b32_e32 v31, v2, v4, vcc_lo
	v_cmp_eq_u32_e32 vcc_lo, 2, v0
	v_cndmask_b32_e32 v30, v30, v7, vcc_lo
	v_cndmask_b32_e32 v31, v31, v6, vcc_lo
	v_cmp_eq_u32_e32 vcc_lo, 3, v0
	;; [unrolled: 3-line block ×12, first 2 shown]
	v_cndmask_b32_e32 v31, v30, v29, vcc_lo
	v_cndmask_b32_e32 v30, v33, v28, vcc_lo
	v_cmpx_eq_f64_e32 0, v[30:31]
	s_cbranch_execz .LBB77_10
; %bb.7:
	v_mov_b32_e32 v33, 0
	s_mov_b32 s3, 0
	ds_read_b32 v34, v33 offset:224
	s_waitcnt lgkmcnt(0)
	v_readfirstlane_b32 s1, v34
	v_add_nc_u32_e32 v34, 1, v0
	s_cmp_eq_u32 s1, 0
	v_cmp_gt_i32_e32 vcc_lo, s1, v34
	s_cselect_b32 s4, -1, 0
	s_or_b32 s4, s4, vcc_lo
	s_and_b32 exec_lo, exec_lo, s4
	s_cbranch_execz .LBB77_10
; %bb.8:
	v_mov_b32_e32 v35, s1
.LBB77_9:                               ; =>This Inner Loop Header: Depth=1
	ds_cmpst_rtn_b32 v35, v33, v35, v34 offset:224
	s_waitcnt lgkmcnt(0)
	v_cmp_ne_u32_e32 vcc_lo, 0, v35
	v_cmp_le_i32_e64 s1, v35, v34
	s_and_b32 s1, vcc_lo, s1
	s_and_b32 s1, exec_lo, s1
	s_or_b32 s3, s1, s3
	s_andn2_b32 exec_lo, exec_lo, s3
	s_cbranch_execnz .LBB77_9
.LBB77_10:
	s_or_b32 exec_lo, exec_lo, s2
	v_mov_b32_e32 v33, 0
	s_barrier
	buffer_gl0_inv
	ds_read_b32 v34, v33 offset:224
	s_and_saveexec_b32 s1, s0
	s_cbranch_execz .LBB77_12
; %bb.11:
	s_lshl_b64 s[2:3], s[6:7], 2
	s_add_u32 s2, s18, s2
	s_addc_u32 s3, s19, s3
	s_waitcnt lgkmcnt(0)
	global_store_dword v33, v34, s[2:3]
.LBB77_12:
	s_or_b32 exec_lo, exec_lo, s1
	s_waitcnt lgkmcnt(0)
	v_cmp_ne_u32_e32 vcc_lo, 0, v34
	s_cbranch_vccz .LBB77_17
; %bb.13:
	s_mov_b32 s0, 0
                                        ; implicit-def: $vgpr2_vgpr3_vgpr4_vgpr5_vgpr6_vgpr7_vgpr8_vgpr9_vgpr10_vgpr11_vgpr12_vgpr13_vgpr14_vgpr15_vgpr16_vgpr17_vgpr18_vgpr19_vgpr20_vgpr21_vgpr22_vgpr23_vgpr24_vgpr25_vgpr26_vgpr27_vgpr28_vgpr29_vgpr30_vgpr31_vgpr32_vgpr33
.LBB77_14:
	s_and_b32 vcc_lo, exec_lo, s0
	s_cbranch_vccz .LBB77_16
.LBB77_15:
	s_lshl_b64 s[0:1], s[6:7], 2
	v_mov_b32_e32 v1, 0
	s_add_u32 s0, s18, s0
	s_addc_u32 s1, s19, s1
	global_load_dword v1, v1, s[0:1]
	s_waitcnt vmcnt(0)
	v_cmp_ne_u32_e32 vcc_lo, 0, v1
	s_cbranch_vccz .LBB77_80
.LBB77_16:
	s_endpgm
.LBB77_17:
	v_div_scale_f64 v[33:34], null, v[30:31], v[30:31], 1.0
	v_div_scale_f64 v[39:40], vcc_lo, 1.0, v[30:31], 1.0
	v_cmp_eq_u32_e64 s1, 12, v0
	v_cmp_eq_u32_e64 s2, 11, v0
	;; [unrolled: 1-line block ×13, first 2 shown]
	v_rcp_f64_e32 v[35:36], v[33:34]
	v_fma_f64 v[37:38], -v[33:34], v[35:36], 1.0
	v_fma_f64 v[35:36], v[35:36], v[37:38], v[35:36]
	v_fma_f64 v[37:38], -v[33:34], v[35:36], 1.0
	v_fma_f64 v[35:36], v[35:36], v[37:38], v[35:36]
	v_mul_f64 v[37:38], v[39:40], v[35:36]
	v_fma_f64 v[33:34], -v[33:34], v[37:38], v[39:40]
	v_div_fmas_f64 v[33:34], v[33:34], v[35:36], v[37:38]
	v_cmp_eq_u32_e32 vcc_lo, 13, v0
	v_div_fixup_f64 v[30:31], v[33:34], v[30:31], 1.0
	v_add_nc_u32_e32 v34, 0x70, v32
	v_cndmask_b32_e32 v29, v29, v31, vcc_lo
	v_cndmask_b32_e32 v28, v28, v30, vcc_lo
	v_cndmask_b32_e64 v27, v27, v31, s1
	v_cndmask_b32_e64 v26, v26, v30, s1
	;; [unrolled: 1-line block ×22, first 2 shown]
	v_xor_b32_e32 v36, 0x80000000, v31
	v_mov_b32_e32 v35, v30
	v_cndmask_b32_e64 v7, v7, v31, s13
	v_cndmask_b32_e64 v6, v6, v30, s13
	;; [unrolled: 1-line block ×4, first 2 shown]
	ds_write2_b64 v32, v[35:36], v[4:5] offset1:14
	s_waitcnt lgkmcnt(0)
	s_waitcnt_vscnt null, 0x0
	s_barrier
	buffer_gl0_inv
	s_and_saveexec_b32 s1, s0
	s_cbranch_execz .LBB77_19
; %bb.18:
	ds_read_b64 v[4:5], v34
	v_mov_b32_e32 v32, 0
	ds_read_b64 v[32:33], v32 offset:8
	s_waitcnt lgkmcnt(1)
	v_fma_f64 v[4:5], v[30:31], v[4:5], 0
	s_waitcnt lgkmcnt(0)
	v_mul_f64 v[4:5], v[4:5], v[32:33]
.LBB77_19:
	s_or_b32 exec_lo, exec_lo, s1
	v_cmp_gt_u32_e32 vcc_lo, 2, v0
	s_barrier
	buffer_gl0_inv
	ds_write_b64 v34, v[6:7]
	s_waitcnt lgkmcnt(0)
	s_barrier
	buffer_gl0_inv
	s_and_saveexec_b32 s3, vcc_lo
	s_cbranch_execz .LBB77_23
; %bb.20:
	v_cmp_eq_u32_e64 s1, 1, v0
	v_cmp_eq_u32_e64 s2, 11, v0
	v_cndmask_b32_e64 v30, v3, v5, s1
	v_cndmask_b32_e64 v31, v2, v4, s1
	v_cmp_eq_u32_e64 s1, 2, v0
	v_cndmask_b32_e64 v7, v30, v7, s1
	v_cndmask_b32_e64 v6, v31, v6, s1
	;; [unrolled: 3-line block ×10, first 2 shown]
	ds_read_b64 v[6:7], v34
	v_cmp_eq_u32_e64 s1, 12, v0
	v_cndmask_b32_e64 v30, v30, v25, s2
	v_cndmask_b32_e64 v31, v31, v24, s2
	;; [unrolled: 1-line block ×4, first 2 shown]
	v_cmp_eq_u32_e64 s1, 13, v0
	v_cndmask_b32_e64 v31, v30, v29, s1
	v_cndmask_b32_e64 v30, v32, v28, s1
	s_waitcnt lgkmcnt(0)
	v_fma_f64 v[6:7], v[30:31], v[6:7], 0
	s_and_saveexec_b32 s1, s0
	s_cbranch_execz .LBB77_22
; %bb.21:
	v_mov_b32_e32 v30, 0
	ds_read_b64 v[30:31], v30 offset:120
	s_waitcnt lgkmcnt(0)
	v_fma_f64 v[6:7], v[4:5], v[30:31], v[6:7]
.LBB77_22:
	s_or_b32 exec_lo, exec_lo, s1
	v_mov_b32_e32 v30, 0
	ds_read_b64 v[30:31], v30 offset:16
	s_waitcnt lgkmcnt(0)
	v_mul_f64 v[6:7], v[6:7], v[30:31]
.LBB77_23:
	s_or_b32 exec_lo, exec_lo, s3
	s_mov_b32 s3, exec_lo
	s_barrier
	buffer_gl0_inv
	ds_write_b64 v34, v[8:9]
	s_waitcnt lgkmcnt(0)
	s_barrier
	buffer_gl0_inv
	v_cmpx_gt_u32_e32 3, v0
	s_cbranch_execz .LBB77_27
; %bb.24:
	v_mov_b32_e32 v30, 0
	v_mov_b32_e32 v33, v1
	v_lshl_add_u32 v35, v0, 3, 0x70
	v_mov_b32_e32 v31, 0
	v_mov_b32_e32 v32, v0
	s_mov_b32 s4, 0
.LBB77_25:                              ; =>This Inner Loop Header: Depth=1
	v_cmp_eq_u32_e64 s1, 1, v32
	v_cmp_eq_u32_e64 s2, 2, v32
	v_cndmask_b32_e64 v36, v3, v5, s1
	v_cndmask_b32_e64 v37, v2, v4, s1
	v_cmp_eq_u32_e64 s1, 3, v32
	v_cndmask_b32_e64 v36, v36, v7, s2
	v_cndmask_b32_e64 v37, v37, v6, s2
	;; [unrolled: 3-line block ×9, first 2 shown]
	ds_read_b64 v[36:37], v35
	v_cmp_eq_u32_e64 s1, 11, v32
	v_add_nc_u32_e32 v35, 8, v35
	v_cndmask_b32_e64 v38, v38, v23, s2
	v_cndmask_b32_e64 v39, v39, v22, s2
	v_cmp_eq_u32_e64 s2, 12, v32
	v_cndmask_b32_e64 v38, v38, v25, s1
	v_cndmask_b32_e64 v39, v39, v24, s1
	v_cmp_eq_u32_e64 s1, 13, v32
	v_cndmask_b32_e64 v38, v38, v27, s2
	v_cndmask_b32_e64 v40, v39, v26, s2
	;; [unrolled: 1-line block ×4, first 2 shown]
	v_add_co_u32 v32, s1, v32, 1
	v_add_co_ci_u32_e64 v33, null, 0, v33, s1
	s_waitcnt lgkmcnt(0)
	v_fma_f64 v[30:31], v[38:39], v[36:37], v[30:31]
	v_add_nc_u32_e32 v36, -1, v32
	v_cmp_lt_u32_e64 s1, 1, v36
	s_or_b32 s4, s1, s4
	s_andn2_b32 exec_lo, exec_lo, s4
	s_cbranch_execnz .LBB77_25
; %bb.26:
	s_or_b32 exec_lo, exec_lo, s4
	v_mov_b32_e32 v8, 0
	ds_read_b64 v[8:9], v8 offset:24
	s_waitcnt lgkmcnt(0)
	v_mul_f64 v[8:9], v[30:31], v[8:9]
.LBB77_27:
	s_or_b32 exec_lo, exec_lo, s3
	v_cmp_gt_u32_e64 s1, 4, v0
	s_barrier
	buffer_gl0_inv
	ds_write_b64 v34, v[10:11]
	s_waitcnt lgkmcnt(0)
	s_barrier
	buffer_gl0_inv
	s_and_saveexec_b32 s4, s1
	s_cbranch_execz .LBB77_31
; %bb.28:
	v_mov_b32_e32 v30, 0
	v_mov_b32_e32 v33, v1
	v_lshl_add_u32 v35, v0, 3, 0x70
	v_mov_b32_e32 v31, 0
	v_mov_b32_e32 v32, v0
	s_mov_b32 s5, 0
.LBB77_29:                              ; =>This Inner Loop Header: Depth=1
	v_cmp_eq_u32_e64 s2, 1, v32
	v_cmp_eq_u32_e64 s3, 2, v32
	v_cndmask_b32_e64 v36, v3, v5, s2
	v_cndmask_b32_e64 v37, v2, v4, s2
	v_cmp_eq_u32_e64 s2, 3, v32
	v_cndmask_b32_e64 v36, v36, v7, s3
	v_cndmask_b32_e64 v37, v37, v6, s3
	;; [unrolled: 3-line block ×9, first 2 shown]
	ds_read_b64 v[36:37], v35
	v_cmp_eq_u32_e64 s2, 11, v32
	v_add_nc_u32_e32 v35, 8, v35
	v_cndmask_b32_e64 v38, v38, v23, s3
	v_cndmask_b32_e64 v39, v39, v22, s3
	v_cmp_eq_u32_e64 s3, 12, v32
	v_cndmask_b32_e64 v38, v38, v25, s2
	v_cndmask_b32_e64 v39, v39, v24, s2
	v_cmp_eq_u32_e64 s2, 13, v32
	v_cndmask_b32_e64 v38, v38, v27, s3
	v_cndmask_b32_e64 v40, v39, v26, s3
	;; [unrolled: 1-line block ×4, first 2 shown]
	v_add_co_u32 v32, s2, v32, 1
	v_add_co_ci_u32_e64 v33, null, 0, v33, s2
	s_waitcnt lgkmcnt(0)
	v_fma_f64 v[30:31], v[38:39], v[36:37], v[30:31]
	v_add_nc_u32_e32 v36, -1, v32
	v_cmp_lt_u32_e64 s2, 2, v36
	s_or_b32 s5, s2, s5
	s_andn2_b32 exec_lo, exec_lo, s5
	s_cbranch_execnz .LBB77_29
; %bb.30:
	s_or_b32 exec_lo, exec_lo, s5
	v_mov_b32_e32 v10, 0
	ds_read_b64 v[10:11], v10 offset:32
	s_waitcnt lgkmcnt(0)
	v_mul_f64 v[10:11], v[30:31], v[10:11]
.LBB77_31:
	s_or_b32 exec_lo, exec_lo, s4
	s_mov_b32 s4, exec_lo
	s_barrier
	buffer_gl0_inv
	ds_write_b64 v34, v[12:13]
	s_waitcnt lgkmcnt(0)
	s_barrier
	buffer_gl0_inv
	v_cmpx_gt_u32_e32 5, v0
	s_cbranch_execz .LBB77_35
; %bb.32:
	v_mov_b32_e32 v30, 0
	v_mov_b32_e32 v33, v1
	v_lshl_add_u32 v35, v0, 3, 0x70
	v_mov_b32_e32 v31, 0
	v_mov_b32_e32 v32, v0
	s_mov_b32 s5, 0
.LBB77_33:                              ; =>This Inner Loop Header: Depth=1
	v_cmp_eq_u32_e64 s2, 1, v32
	v_cmp_eq_u32_e64 s3, 2, v32
	v_cndmask_b32_e64 v36, v3, v5, s2
	v_cndmask_b32_e64 v37, v2, v4, s2
	v_cmp_eq_u32_e64 s2, 3, v32
	v_cndmask_b32_e64 v36, v36, v7, s3
	v_cndmask_b32_e64 v37, v37, v6, s3
	;; [unrolled: 3-line block ×9, first 2 shown]
	ds_read_b64 v[36:37], v35
	v_cmp_eq_u32_e64 s2, 11, v32
	v_add_nc_u32_e32 v35, 8, v35
	v_cndmask_b32_e64 v38, v38, v23, s3
	v_cndmask_b32_e64 v39, v39, v22, s3
	v_cmp_eq_u32_e64 s3, 12, v32
	v_cndmask_b32_e64 v38, v38, v25, s2
	v_cndmask_b32_e64 v39, v39, v24, s2
	v_cmp_eq_u32_e64 s2, 13, v32
	v_cndmask_b32_e64 v38, v38, v27, s3
	v_cndmask_b32_e64 v40, v39, v26, s3
	;; [unrolled: 1-line block ×4, first 2 shown]
	v_add_co_u32 v32, s2, v32, 1
	v_add_co_ci_u32_e64 v33, null, 0, v33, s2
	s_waitcnt lgkmcnt(0)
	v_fma_f64 v[30:31], v[38:39], v[36:37], v[30:31]
	v_add_nc_u32_e32 v36, -1, v32
	v_cmp_lt_u32_e64 s2, 3, v36
	s_or_b32 s5, s2, s5
	s_andn2_b32 exec_lo, exec_lo, s5
	s_cbranch_execnz .LBB77_33
; %bb.34:
	s_or_b32 exec_lo, exec_lo, s5
	v_mov_b32_e32 v12, 0
	ds_read_b64 v[12:13], v12 offset:40
	s_waitcnt lgkmcnt(0)
	v_mul_f64 v[12:13], v[30:31], v[12:13]
.LBB77_35:
	s_or_b32 exec_lo, exec_lo, s4
	v_cmp_gt_u32_e64 s2, 6, v0
	s_barrier
	buffer_gl0_inv
	ds_write_b64 v34, v[14:15]
	s_waitcnt lgkmcnt(0)
	s_barrier
	buffer_gl0_inv
	s_and_saveexec_b32 s5, s2
	s_cbranch_execz .LBB77_39
; %bb.36:
	v_mov_b32_e32 v30, 0
	v_mov_b32_e32 v33, v1
	v_lshl_add_u32 v35, v0, 3, 0x70
	v_mov_b32_e32 v31, 0
	v_mov_b32_e32 v32, v0
	s_mov_b32 s8, 0
.LBB77_37:                              ; =>This Inner Loop Header: Depth=1
	v_cmp_eq_u32_e64 s3, 1, v32
	v_cmp_eq_u32_e64 s4, 2, v32
	v_cndmask_b32_e64 v36, v3, v5, s3
	v_cndmask_b32_e64 v37, v2, v4, s3
	v_cmp_eq_u32_e64 s3, 3, v32
	v_cndmask_b32_e64 v36, v36, v7, s4
	v_cndmask_b32_e64 v37, v37, v6, s4
	;; [unrolled: 3-line block ×9, first 2 shown]
	ds_read_b64 v[36:37], v35
	v_cmp_eq_u32_e64 s3, 11, v32
	v_add_nc_u32_e32 v35, 8, v35
	v_cndmask_b32_e64 v38, v38, v23, s4
	v_cndmask_b32_e64 v39, v39, v22, s4
	v_cmp_eq_u32_e64 s4, 12, v32
	v_cndmask_b32_e64 v38, v38, v25, s3
	v_cndmask_b32_e64 v39, v39, v24, s3
	v_cmp_eq_u32_e64 s3, 13, v32
	v_cndmask_b32_e64 v38, v38, v27, s4
	v_cndmask_b32_e64 v40, v39, v26, s4
	;; [unrolled: 1-line block ×4, first 2 shown]
	v_add_co_u32 v32, s3, v32, 1
	v_add_co_ci_u32_e64 v33, null, 0, v33, s3
	s_waitcnt lgkmcnt(0)
	v_fma_f64 v[30:31], v[38:39], v[36:37], v[30:31]
	v_add_nc_u32_e32 v36, -1, v32
	v_cmp_lt_u32_e64 s3, 4, v36
	s_or_b32 s8, s3, s8
	s_andn2_b32 exec_lo, exec_lo, s8
	s_cbranch_execnz .LBB77_37
; %bb.38:
	s_or_b32 exec_lo, exec_lo, s8
	v_mov_b32_e32 v14, 0
	ds_read_b64 v[14:15], v14 offset:48
	s_waitcnt lgkmcnt(0)
	v_mul_f64 v[14:15], v[30:31], v[14:15]
.LBB77_39:
	s_or_b32 exec_lo, exec_lo, s5
	s_mov_b32 s5, exec_lo
	s_barrier
	buffer_gl0_inv
	ds_write_b64 v34, v[16:17]
	s_waitcnt lgkmcnt(0)
	s_barrier
	buffer_gl0_inv
	v_cmpx_gt_u32_e32 7, v0
	s_cbranch_execz .LBB77_43
; %bb.40:
	v_mov_b32_e32 v30, 0
	v_mov_b32_e32 v33, v1
	v_lshl_add_u32 v35, v0, 3, 0x70
	v_mov_b32_e32 v31, 0
	v_mov_b32_e32 v32, v0
	s_mov_b32 s8, 0
.LBB77_41:                              ; =>This Inner Loop Header: Depth=1
	v_cmp_eq_u32_e64 s3, 1, v32
	v_cmp_eq_u32_e64 s4, 2, v32
	v_cndmask_b32_e64 v36, v3, v5, s3
	v_cndmask_b32_e64 v37, v2, v4, s3
	v_cmp_eq_u32_e64 s3, 3, v32
	v_cndmask_b32_e64 v36, v36, v7, s4
	v_cndmask_b32_e64 v37, v37, v6, s4
	;; [unrolled: 3-line block ×9, first 2 shown]
	ds_read_b64 v[36:37], v35
	v_cmp_eq_u32_e64 s3, 11, v32
	v_add_nc_u32_e32 v35, 8, v35
	v_cndmask_b32_e64 v38, v38, v23, s4
	v_cndmask_b32_e64 v39, v39, v22, s4
	v_cmp_eq_u32_e64 s4, 12, v32
	v_cndmask_b32_e64 v38, v38, v25, s3
	v_cndmask_b32_e64 v39, v39, v24, s3
	v_cmp_eq_u32_e64 s3, 13, v32
	v_cndmask_b32_e64 v38, v38, v27, s4
	v_cndmask_b32_e64 v40, v39, v26, s4
	;; [unrolled: 1-line block ×4, first 2 shown]
	v_add_co_u32 v32, s3, v32, 1
	v_add_co_ci_u32_e64 v33, null, 0, v33, s3
	s_waitcnt lgkmcnt(0)
	v_fma_f64 v[30:31], v[38:39], v[36:37], v[30:31]
	v_add_nc_u32_e32 v36, -1, v32
	v_cmp_lt_u32_e64 s3, 5, v36
	s_or_b32 s8, s3, s8
	s_andn2_b32 exec_lo, exec_lo, s8
	s_cbranch_execnz .LBB77_41
; %bb.42:
	s_or_b32 exec_lo, exec_lo, s8
	v_mov_b32_e32 v16, 0
	ds_read_b64 v[16:17], v16 offset:56
	s_waitcnt lgkmcnt(0)
	v_mul_f64 v[16:17], v[30:31], v[16:17]
.LBB77_43:
	s_or_b32 exec_lo, exec_lo, s5
	s_mov_b32 s5, exec_lo
	s_barrier
	buffer_gl0_inv
	ds_write_b64 v34, v[18:19]
	s_waitcnt lgkmcnt(0)
	s_barrier
	buffer_gl0_inv
	v_cmpx_gt_u32_e32 8, v0
	s_cbranch_execz .LBB77_59
; %bb.44:
	v_cmp_eq_u32_e64 s3, 1, v0
	v_cmp_eq_u32_e64 s4, 11, v0
	s_mov_b32 s8, exec_lo
	v_cndmask_b32_e64 v30, v3, v5, s3
	v_cndmask_b32_e64 v31, v2, v4, s3
	v_cmp_eq_u32_e64 s3, 2, v0
	v_cndmask_b32_e64 v30, v30, v7, s3
	v_cndmask_b32_e64 v31, v31, v6, s3
	v_cmp_eq_u32_e64 s3, 3, v0
	;; [unrolled: 3-line block ×9, first 2 shown]
	v_cndmask_b32_e64 v32, v30, v23, s3
	v_cndmask_b32_e64 v33, v31, v22, s3
	ds_read_b64 v[30:31], v34
	v_cmp_eq_u32_e64 s3, 12, v0
	v_cndmask_b32_e64 v32, v32, v25, s4
	v_cndmask_b32_e64 v33, v33, v24, s4
	;; [unrolled: 1-line block ×4, first 2 shown]
	v_cmp_eq_u32_e64 s3, 13, v0
	v_cndmask_b32_e64 v33, v32, v29, s3
	v_cndmask_b32_e64 v32, v35, v28, s3
	s_waitcnt lgkmcnt(0)
	v_fma_f64 v[30:31], v[32:33], v[30:31], 0
	v_cmpx_ne_u32_e32 7, v0
	s_cbranch_execz .LBB77_58
; %bb.45:
	v_add_nc_u32_e32 v35, 1, v0
	v_cmp_eq_u32_e64 s3, 1, v35
	v_cmp_eq_u32_e64 s4, 11, v35
	v_cndmask_b32_e64 v32, v3, v5, s3
	v_cndmask_b32_e64 v33, v2, v4, s3
	v_cmp_eq_u32_e64 s3, 2, v35
	v_cndmask_b32_e64 v32, v32, v7, s3
	v_cndmask_b32_e64 v33, v33, v6, s3
	;; [unrolled: 3-line block ×10, first 2 shown]
	ds_read_b64 v[32:33], v34 offset:8
	v_cmp_eq_u32_e64 s3, 12, v35
	v_cndmask_b32_e64 v36, v36, v25, s4
	v_cndmask_b32_e64 v37, v37, v24, s4
	;; [unrolled: 1-line block ×4, first 2 shown]
	v_cmp_eq_u32_e64 s3, 13, v35
	v_cndmask_b32_e64 v36, v36, v29, s3
	v_cndmask_b32_e64 v35, v37, v28, s3
	s_waitcnt lgkmcnt(0)
	v_fma_f64 v[30:31], v[35:36], v[32:33], v[30:31]
	s_and_saveexec_b32 s4, s2
	s_cbranch_execz .LBB77_57
; %bb.46:
	v_add_nc_u32_e32 v35, 2, v0
	s_mov_b32 s9, exec_lo
	v_cmp_eq_u32_e64 s2, 1, v35
	v_cmp_eq_u32_e64 s3, 11, v35
	v_cndmask_b32_e64 v32, v3, v5, s2
	v_cndmask_b32_e64 v33, v2, v4, s2
	v_cmp_eq_u32_e64 s2, 2, v35
	v_cndmask_b32_e64 v32, v32, v7, s2
	v_cndmask_b32_e64 v33, v33, v6, s2
	;; [unrolled: 3-line block ×10, first 2 shown]
	ds_read_b64 v[32:33], v34 offset:16
	v_cmp_eq_u32_e64 s2, 12, v35
	v_cndmask_b32_e64 v36, v36, v25, s3
	v_cndmask_b32_e64 v37, v37, v24, s3
	;; [unrolled: 1-line block ×4, first 2 shown]
	v_cmp_eq_u32_e64 s2, 13, v35
	v_cndmask_b32_e64 v36, v36, v29, s2
	v_cndmask_b32_e64 v35, v37, v28, s2
	s_waitcnt lgkmcnt(0)
	v_fma_f64 v[30:31], v[35:36], v[32:33], v[30:31]
	v_cmpx_ne_u32_e32 5, v0
	s_cbranch_execz .LBB77_56
; %bb.47:
	v_add_nc_u32_e32 v35, 3, v0
	v_cmp_eq_u32_e64 s2, 1, v35
	v_cmp_eq_u32_e64 s3, 11, v35
	v_cndmask_b32_e64 v32, v3, v5, s2
	v_cndmask_b32_e64 v33, v2, v4, s2
	v_cmp_eq_u32_e64 s2, 2, v35
	v_cndmask_b32_e64 v32, v32, v7, s2
	v_cndmask_b32_e64 v33, v33, v6, s2
	;; [unrolled: 3-line block ×10, first 2 shown]
	ds_read_b64 v[32:33], v34 offset:24
	v_cmp_eq_u32_e64 s2, 12, v35
	v_cndmask_b32_e64 v36, v36, v25, s3
	v_cndmask_b32_e64 v37, v37, v24, s3
	;; [unrolled: 1-line block ×4, first 2 shown]
	v_cmp_eq_u32_e64 s2, 13, v35
	v_cndmask_b32_e64 v36, v36, v29, s2
	v_cndmask_b32_e64 v35, v37, v28, s2
	s_waitcnt lgkmcnt(0)
	v_fma_f64 v[30:31], v[35:36], v[32:33], v[30:31]
	s_and_saveexec_b32 s3, s1
	s_cbranch_execz .LBB77_55
; %bb.48:
	v_or_b32_e32 v35, 4, v0
	s_mov_b32 s10, exec_lo
	v_cmp_eq_u32_e64 s1, 1, v35
	v_cmp_eq_u32_e64 s2, 11, v35
	v_cndmask_b32_e64 v32, v3, v5, s1
	v_cndmask_b32_e64 v33, v2, v4, s1
	v_cmp_eq_u32_e64 s1, 2, v35
	v_cndmask_b32_e64 v32, v32, v7, s1
	v_cndmask_b32_e64 v33, v33, v6, s1
	v_cmp_eq_u32_e64 s1, 3, v35
	v_cndmask_b32_e64 v32, v32, v9, s1
	v_cndmask_b32_e64 v33, v33, v8, s1
	v_cmp_eq_u32_e64 s1, 4, v35
	v_cndmask_b32_e64 v32, v32, v11, s1
	v_cndmask_b32_e64 v33, v33, v10, s1
	v_cmp_eq_u32_e64 s1, 5, v35
	v_cndmask_b32_e64 v32, v32, v13, s1
	v_cndmask_b32_e64 v33, v33, v12, s1
	v_cmp_eq_u32_e64 s1, 6, v35
	v_cndmask_b32_e64 v32, v32, v15, s1
	v_cndmask_b32_e64 v33, v33, v14, s1
	v_cmp_eq_u32_e64 s1, 7, v35
	v_cndmask_b32_e64 v32, v32, v17, s1
	v_cndmask_b32_e64 v33, v33, v16, s1
	v_cmp_eq_u32_e64 s1, 8, v35
	v_cndmask_b32_e64 v32, v32, v19, s1
	v_cndmask_b32_e64 v33, v33, v18, s1
	v_cmp_eq_u32_e64 s1, 9, v35
	v_cndmask_b32_e64 v32, v32, v21, s1
	v_cndmask_b32_e64 v33, v33, v20, s1
	v_cmp_eq_u32_e64 s1, 10, v35
	v_cndmask_b32_e64 v36, v32, v23, s1
	v_cndmask_b32_e64 v37, v33, v22, s1
	ds_read_b64 v[32:33], v34 offset:32
	v_cmp_eq_u32_e64 s1, 12, v35
	v_cndmask_b32_e64 v36, v36, v25, s2
	v_cndmask_b32_e64 v37, v37, v24, s2
	;; [unrolled: 1-line block ×4, first 2 shown]
	v_cmp_eq_u32_e64 s1, 13, v35
	v_cndmask_b32_e64 v36, v36, v29, s1
	v_cndmask_b32_e64 v35, v37, v28, s1
	s_waitcnt lgkmcnt(0)
	v_fma_f64 v[30:31], v[35:36], v[32:33], v[30:31]
	v_cmpx_ne_u32_e32 3, v0
	s_cbranch_execz .LBB77_54
; %bb.49:
	v_add_nc_u32_e32 v35, 5, v0
	v_cmp_eq_u32_e64 s1, 1, v35
	v_cmp_eq_u32_e64 s2, 11, v35
	v_cndmask_b32_e64 v32, v3, v5, s1
	v_cndmask_b32_e64 v33, v2, v4, s1
	v_cmp_eq_u32_e64 s1, 2, v35
	v_cndmask_b32_e64 v32, v32, v7, s1
	v_cndmask_b32_e64 v33, v33, v6, s1
	;; [unrolled: 3-line block ×10, first 2 shown]
	ds_read_b64 v[32:33], v34 offset:40
	v_cmp_eq_u32_e64 s1, 12, v35
	v_cndmask_b32_e64 v36, v36, v25, s2
	v_cndmask_b32_e64 v37, v37, v24, s2
	;; [unrolled: 1-line block ×4, first 2 shown]
	v_cmp_eq_u32_e64 s1, 13, v35
	v_cndmask_b32_e64 v36, v36, v29, s1
	v_cndmask_b32_e64 v35, v37, v28, s1
	s_waitcnt lgkmcnt(0)
	v_fma_f64 v[30:31], v[35:36], v[32:33], v[30:31]
	s_and_saveexec_b32 s2, vcc_lo
	s_cbranch_execz .LBB77_53
; %bb.50:
	v_or_b32_e32 v32, 6, v0
	v_cmp_eq_u32_e32 vcc_lo, 1, v32
	v_cmp_eq_u32_e64 s1, 11, v32
	v_cndmask_b32_e32 v33, v3, v5, vcc_lo
	v_cndmask_b32_e32 v35, v2, v4, vcc_lo
	v_cmp_eq_u32_e32 vcc_lo, 2, v32
	v_cndmask_b32_e32 v33, v33, v7, vcc_lo
	v_cndmask_b32_e32 v35, v35, v6, vcc_lo
	v_cmp_eq_u32_e32 vcc_lo, 3, v32
	v_cndmask_b32_e32 v33, v33, v9, vcc_lo
	v_cndmask_b32_e32 v35, v35, v8, vcc_lo
	v_cmp_eq_u32_e32 vcc_lo, 4, v32
	v_cndmask_b32_e32 v33, v33, v11, vcc_lo
	v_cndmask_b32_e32 v35, v35, v10, vcc_lo
	v_cmp_eq_u32_e32 vcc_lo, 5, v32
	v_cndmask_b32_e32 v33, v33, v13, vcc_lo
	v_cndmask_b32_e32 v35, v35, v12, vcc_lo
	v_cmp_eq_u32_e32 vcc_lo, 6, v32
	v_cndmask_b32_e32 v33, v33, v15, vcc_lo
	v_cndmask_b32_e32 v35, v35, v14, vcc_lo
	v_cmp_eq_u32_e32 vcc_lo, 7, v32
	v_cndmask_b32_e32 v33, v33, v17, vcc_lo
	v_cndmask_b32_e32 v35, v35, v16, vcc_lo
	v_cmp_eq_u32_e32 vcc_lo, 8, v32
	v_cndmask_b32_e32 v19, v33, v19, vcc_lo
	v_cndmask_b32_e32 v18, v35, v18, vcc_lo
	v_cmp_eq_u32_e32 vcc_lo, 9, v32
	v_cndmask_b32_e32 v19, v19, v21, vcc_lo
	v_cndmask_b32_e32 v18, v18, v20, vcc_lo
	v_cmp_eq_u32_e32 vcc_lo, 10, v32
	v_cndmask_b32_e32 v33, v19, v23, vcc_lo
	v_cndmask_b32_e32 v35, v18, v22, vcc_lo
	ds_read_b64 v[18:19], v34 offset:48
	v_cmp_eq_u32_e32 vcc_lo, 12, v32
	v_cndmask_b32_e64 v33, v33, v25, s1
	v_cndmask_b32_e64 v35, v35, v24, s1
	v_cndmask_b32_e32 v33, v33, v27, vcc_lo
	v_cndmask_b32_e32 v35, v35, v26, vcc_lo
	v_cmp_eq_u32_e32 vcc_lo, 13, v32
	v_cndmask_b32_e32 v33, v33, v29, vcc_lo
	v_cndmask_b32_e32 v32, v35, v28, vcc_lo
	s_waitcnt lgkmcnt(0)
	v_fma_f64 v[30:31], v[32:33], v[18:19], v[30:31]
	s_and_saveexec_b32 s1, s0
	s_cbranch_execz .LBB77_52
; %bb.51:
	ds_read_b64 v[18:19], v34 offset:56
	s_waitcnt lgkmcnt(0)
	v_fma_f64 v[30:31], v[16:17], v[18:19], v[30:31]
.LBB77_52:
	s_or_b32 exec_lo, exec_lo, s1
.LBB77_53:
	s_or_b32 exec_lo, exec_lo, s2
.LBB77_54:
	s_or_b32 exec_lo, exec_lo, s10
.LBB77_55:
	s_or_b32 exec_lo, exec_lo, s3
.LBB77_56:
	s_or_b32 exec_lo, exec_lo, s9
.LBB77_57:
	s_or_b32 exec_lo, exec_lo, s4
.LBB77_58:
	s_or_b32 exec_lo, exec_lo, s8
	v_mov_b32_e32 v18, 0
	ds_read_b64 v[18:19], v18 offset:64
	s_waitcnt lgkmcnt(0)
	v_mul_f64 v[18:19], v[30:31], v[18:19]
.LBB77_59:
	s_or_b32 exec_lo, exec_lo, s5
	s_mov_b32 s1, exec_lo
	s_barrier
	buffer_gl0_inv
	ds_write_b64 v34, v[20:21]
	s_waitcnt lgkmcnt(0)
	s_barrier
	buffer_gl0_inv
	v_cmpx_gt_u32_e32 9, v0
	s_cbranch_execz .LBB77_63
; %bb.60:
	v_mov_b32_e32 v30, 0
	v_mov_b32_e32 v33, v1
	v_lshl_add_u32 v35, v0, 3, 0x70
	v_mov_b32_e32 v31, 0
	v_mov_b32_e32 v32, v0
	s_mov_b32 s2, 0
.LBB77_61:                              ; =>This Inner Loop Header: Depth=1
	v_cmp_eq_u32_e32 vcc_lo, 1, v32
	v_cmp_eq_u32_e64 s0, 2, v32
	v_cndmask_b32_e32 v36, v3, v5, vcc_lo
	v_cndmask_b32_e32 v37, v2, v4, vcc_lo
	v_cmp_eq_u32_e32 vcc_lo, 3, v32
	v_cndmask_b32_e64 v36, v36, v7, s0
	v_cndmask_b32_e64 v37, v37, v6, s0
	v_cmp_eq_u32_e64 s0, 4, v32
	v_cndmask_b32_e32 v36, v36, v9, vcc_lo
	v_cndmask_b32_e32 v37, v37, v8, vcc_lo
	v_cmp_eq_u32_e32 vcc_lo, 5, v32
	v_cndmask_b32_e64 v36, v36, v11, s0
	v_cndmask_b32_e64 v37, v37, v10, s0
	;; [unrolled: 6-line block ×4, first 2 shown]
	v_cmp_eq_u32_e64 s0, 10, v32
	v_cndmask_b32_e32 v38, v36, v21, vcc_lo
	v_cndmask_b32_e32 v39, v37, v20, vcc_lo
	ds_read_b64 v[36:37], v35
	v_cmp_eq_u32_e32 vcc_lo, 11, v32
	v_add_nc_u32_e32 v35, 8, v35
	v_cndmask_b32_e64 v38, v38, v23, s0
	v_cndmask_b32_e64 v39, v39, v22, s0
	v_cmp_eq_u32_e64 s0, 12, v32
	v_cndmask_b32_e32 v38, v38, v25, vcc_lo
	v_cndmask_b32_e32 v39, v39, v24, vcc_lo
	v_cmp_eq_u32_e32 vcc_lo, 13, v32
	v_cndmask_b32_e64 v38, v38, v27, s0
	v_cndmask_b32_e64 v40, v39, v26, s0
	v_cndmask_b32_e32 v39, v38, v29, vcc_lo
	v_cndmask_b32_e32 v38, v40, v28, vcc_lo
	v_add_co_u32 v32, vcc_lo, v32, 1
	v_add_co_ci_u32_e64 v33, null, 0, v33, vcc_lo
	s_waitcnt lgkmcnt(0)
	v_fma_f64 v[30:31], v[38:39], v[36:37], v[30:31]
	v_add_nc_u32_e32 v36, -1, v32
	v_cmp_lt_u32_e32 vcc_lo, 7, v36
	s_or_b32 s2, vcc_lo, s2
	s_andn2_b32 exec_lo, exec_lo, s2
	s_cbranch_execnz .LBB77_61
; %bb.62:
	s_or_b32 exec_lo, exec_lo, s2
	v_mov_b32_e32 v20, 0
	ds_read_b64 v[20:21], v20 offset:72
	s_waitcnt lgkmcnt(0)
	v_mul_f64 v[20:21], v[30:31], v[20:21]
.LBB77_63:
	s_or_b32 exec_lo, exec_lo, s1
	s_mov_b32 s1, exec_lo
	s_barrier
	buffer_gl0_inv
	ds_write_b64 v34, v[22:23]
	s_waitcnt lgkmcnt(0)
	s_barrier
	buffer_gl0_inv
	v_cmpx_gt_u32_e32 10, v0
	s_cbranch_execz .LBB77_67
; %bb.64:
	v_mov_b32_e32 v30, 0
	v_mov_b32_e32 v33, v1
	v_lshl_add_u32 v35, v0, 3, 0x70
	v_mov_b32_e32 v31, 0
	v_mov_b32_e32 v32, v0
	s_mov_b32 s2, 0
.LBB77_65:                              ; =>This Inner Loop Header: Depth=1
	v_cmp_eq_u32_e32 vcc_lo, 1, v32
	v_cmp_eq_u32_e64 s0, 2, v32
	v_cndmask_b32_e32 v36, v3, v5, vcc_lo
	v_cndmask_b32_e32 v37, v2, v4, vcc_lo
	v_cmp_eq_u32_e32 vcc_lo, 3, v32
	v_cndmask_b32_e64 v36, v36, v7, s0
	v_cndmask_b32_e64 v37, v37, v6, s0
	v_cmp_eq_u32_e64 s0, 4, v32
	v_cndmask_b32_e32 v36, v36, v9, vcc_lo
	v_cndmask_b32_e32 v37, v37, v8, vcc_lo
	v_cmp_eq_u32_e32 vcc_lo, 5, v32
	v_cndmask_b32_e64 v36, v36, v11, s0
	v_cndmask_b32_e64 v37, v37, v10, s0
	;; [unrolled: 6-line block ×4, first 2 shown]
	v_cmp_eq_u32_e64 s0, 10, v32
	v_cndmask_b32_e32 v38, v36, v21, vcc_lo
	v_cndmask_b32_e32 v39, v37, v20, vcc_lo
	ds_read_b64 v[36:37], v35
	v_cmp_eq_u32_e32 vcc_lo, 11, v32
	v_add_nc_u32_e32 v35, 8, v35
	v_cndmask_b32_e64 v38, v38, v23, s0
	v_cndmask_b32_e64 v39, v39, v22, s0
	v_cmp_eq_u32_e64 s0, 12, v32
	v_cndmask_b32_e32 v38, v38, v25, vcc_lo
	v_cndmask_b32_e32 v39, v39, v24, vcc_lo
	v_cmp_eq_u32_e32 vcc_lo, 13, v32
	v_cndmask_b32_e64 v38, v38, v27, s0
	v_cndmask_b32_e64 v40, v39, v26, s0
	v_cndmask_b32_e32 v39, v38, v29, vcc_lo
	v_cndmask_b32_e32 v38, v40, v28, vcc_lo
	v_add_co_u32 v32, vcc_lo, v32, 1
	v_add_co_ci_u32_e64 v33, null, 0, v33, vcc_lo
	s_waitcnt lgkmcnt(0)
	v_fma_f64 v[30:31], v[38:39], v[36:37], v[30:31]
	v_add_nc_u32_e32 v36, -1, v32
	v_cmp_lt_u32_e32 vcc_lo, 8, v36
	s_or_b32 s2, vcc_lo, s2
	s_andn2_b32 exec_lo, exec_lo, s2
	s_cbranch_execnz .LBB77_65
; %bb.66:
	s_or_b32 exec_lo, exec_lo, s2
	v_mov_b32_e32 v22, 0
	ds_read_b64 v[22:23], v22 offset:80
	s_waitcnt lgkmcnt(0)
	v_mul_f64 v[22:23], v[30:31], v[22:23]
.LBB77_67:
	s_or_b32 exec_lo, exec_lo, s1
	s_mov_b32 s1, exec_lo
	s_barrier
	buffer_gl0_inv
	ds_write_b64 v34, v[24:25]
	s_waitcnt lgkmcnt(0)
	s_barrier
	buffer_gl0_inv
	v_cmpx_gt_u32_e32 11, v0
	s_cbranch_execz .LBB77_71
; %bb.68:
	v_mov_b32_e32 v30, 0
	v_mov_b32_e32 v33, v1
	v_lshl_add_u32 v35, v0, 3, 0x70
	v_mov_b32_e32 v31, 0
	v_mov_b32_e32 v32, v0
	s_mov_b32 s2, 0
.LBB77_69:                              ; =>This Inner Loop Header: Depth=1
	v_cmp_eq_u32_e32 vcc_lo, 1, v32
	v_cmp_eq_u32_e64 s0, 2, v32
	v_cndmask_b32_e32 v36, v3, v5, vcc_lo
	v_cndmask_b32_e32 v37, v2, v4, vcc_lo
	v_cmp_eq_u32_e32 vcc_lo, 3, v32
	v_cndmask_b32_e64 v36, v36, v7, s0
	v_cndmask_b32_e64 v37, v37, v6, s0
	v_cmp_eq_u32_e64 s0, 4, v32
	v_cndmask_b32_e32 v36, v36, v9, vcc_lo
	v_cndmask_b32_e32 v37, v37, v8, vcc_lo
	v_cmp_eq_u32_e32 vcc_lo, 5, v32
	v_cndmask_b32_e64 v36, v36, v11, s0
	v_cndmask_b32_e64 v37, v37, v10, s0
	;; [unrolled: 6-line block ×4, first 2 shown]
	v_cmp_eq_u32_e64 s0, 10, v32
	v_cndmask_b32_e32 v38, v36, v21, vcc_lo
	v_cndmask_b32_e32 v39, v37, v20, vcc_lo
	ds_read_b64 v[36:37], v35
	v_cmp_eq_u32_e32 vcc_lo, 11, v32
	v_add_nc_u32_e32 v35, 8, v35
	v_cndmask_b32_e64 v38, v38, v23, s0
	v_cndmask_b32_e64 v39, v39, v22, s0
	v_cmp_eq_u32_e64 s0, 12, v32
	v_cndmask_b32_e32 v38, v38, v25, vcc_lo
	v_cndmask_b32_e32 v39, v39, v24, vcc_lo
	v_cmp_eq_u32_e32 vcc_lo, 13, v32
	v_cndmask_b32_e64 v38, v38, v27, s0
	v_cndmask_b32_e64 v40, v39, v26, s0
	v_cndmask_b32_e32 v39, v38, v29, vcc_lo
	v_cndmask_b32_e32 v38, v40, v28, vcc_lo
	v_add_co_u32 v32, vcc_lo, v32, 1
	v_add_co_ci_u32_e64 v33, null, 0, v33, vcc_lo
	s_waitcnt lgkmcnt(0)
	v_fma_f64 v[30:31], v[38:39], v[36:37], v[30:31]
	v_add_nc_u32_e32 v36, -1, v32
	v_cmp_lt_u32_e32 vcc_lo, 9, v36
	s_or_b32 s2, vcc_lo, s2
	s_andn2_b32 exec_lo, exec_lo, s2
	s_cbranch_execnz .LBB77_69
; %bb.70:
	s_or_b32 exec_lo, exec_lo, s2
	v_mov_b32_e32 v24, 0
	ds_read_b64 v[24:25], v24 offset:88
	s_waitcnt lgkmcnt(0)
	v_mul_f64 v[24:25], v[30:31], v[24:25]
.LBB77_71:
	s_or_b32 exec_lo, exec_lo, s1
	s_mov_b32 s1, exec_lo
	s_barrier
	buffer_gl0_inv
	ds_write_b64 v34, v[26:27]
	s_waitcnt lgkmcnt(0)
	s_barrier
	buffer_gl0_inv
	v_cmpx_gt_u32_e32 12, v0
	s_cbranch_execz .LBB77_75
; %bb.72:
	v_mov_b32_e32 v30, 0
	v_mov_b32_e32 v33, v1
	v_lshl_add_u32 v35, v0, 3, 0x70
	v_mov_b32_e32 v31, 0
	v_mov_b32_e32 v32, v0
	s_mov_b32 s2, 0
.LBB77_73:                              ; =>This Inner Loop Header: Depth=1
	v_cmp_eq_u32_e32 vcc_lo, 1, v32
	v_cmp_eq_u32_e64 s0, 2, v32
	v_cndmask_b32_e32 v36, v3, v5, vcc_lo
	v_cndmask_b32_e32 v37, v2, v4, vcc_lo
	v_cmp_eq_u32_e32 vcc_lo, 3, v32
	v_cndmask_b32_e64 v36, v36, v7, s0
	v_cndmask_b32_e64 v37, v37, v6, s0
	v_cmp_eq_u32_e64 s0, 4, v32
	v_cndmask_b32_e32 v36, v36, v9, vcc_lo
	v_cndmask_b32_e32 v37, v37, v8, vcc_lo
	v_cmp_eq_u32_e32 vcc_lo, 5, v32
	v_cndmask_b32_e64 v36, v36, v11, s0
	v_cndmask_b32_e64 v37, v37, v10, s0
	;; [unrolled: 6-line block ×4, first 2 shown]
	v_cmp_eq_u32_e64 s0, 10, v32
	v_cndmask_b32_e32 v38, v36, v21, vcc_lo
	v_cndmask_b32_e32 v39, v37, v20, vcc_lo
	ds_read_b64 v[36:37], v35
	v_cmp_eq_u32_e32 vcc_lo, 11, v32
	v_add_nc_u32_e32 v35, 8, v35
	v_cndmask_b32_e64 v38, v38, v23, s0
	v_cndmask_b32_e64 v39, v39, v22, s0
	v_cmp_eq_u32_e64 s0, 12, v32
	v_cndmask_b32_e32 v38, v38, v25, vcc_lo
	v_cndmask_b32_e32 v39, v39, v24, vcc_lo
	v_cmp_eq_u32_e32 vcc_lo, 13, v32
	v_cndmask_b32_e64 v38, v38, v27, s0
	v_cndmask_b32_e64 v40, v39, v26, s0
	v_cndmask_b32_e32 v39, v38, v29, vcc_lo
	v_cndmask_b32_e32 v38, v40, v28, vcc_lo
	v_add_co_u32 v32, vcc_lo, v32, 1
	v_add_co_ci_u32_e64 v33, null, 0, v33, vcc_lo
	s_waitcnt lgkmcnt(0)
	v_fma_f64 v[30:31], v[38:39], v[36:37], v[30:31]
	v_add_nc_u32_e32 v36, -1, v32
	v_cmp_lt_u32_e32 vcc_lo, 10, v36
	s_or_b32 s2, vcc_lo, s2
	s_andn2_b32 exec_lo, exec_lo, s2
	s_cbranch_execnz .LBB77_73
; %bb.74:
	s_or_b32 exec_lo, exec_lo, s2
	v_mov_b32_e32 v26, 0
	ds_read_b64 v[26:27], v26 offset:96
	s_waitcnt lgkmcnt(0)
	v_mul_f64 v[26:27], v[30:31], v[26:27]
.LBB77_75:
	s_or_b32 exec_lo, exec_lo, s1
	s_mov_b32 s1, exec_lo
	s_barrier
	buffer_gl0_inv
	ds_write_b64 v34, v[28:29]
	s_waitcnt lgkmcnt(0)
	s_barrier
	buffer_gl0_inv
	v_cmpx_ne_u32_e32 13, v0
	s_cbranch_execz .LBB77_79
; %bb.76:
	v_mov_b32_e32 v30, 0
	v_mov_b32_e32 v33, v1
	v_lshl_add_u32 v34, v0, 3, 0x70
	v_mov_b32_e32 v31, 0
	v_mov_b32_e32 v32, v0
	s_mov_b32 s2, 0
.LBB77_77:                              ; =>This Inner Loop Header: Depth=1
	v_cmp_eq_u32_e32 vcc_lo, 1, v32
	v_cmp_eq_u32_e64 s0, 2, v32
	v_cndmask_b32_e32 v1, v3, v5, vcc_lo
	v_cndmask_b32_e32 v35, v2, v4, vcc_lo
	v_cmp_eq_u32_e32 vcc_lo, 3, v32
	v_cndmask_b32_e64 v1, v1, v7, s0
	v_cndmask_b32_e64 v35, v35, v6, s0
	v_cmp_eq_u32_e64 s0, 4, v32
	v_cndmask_b32_e32 v1, v1, v9, vcc_lo
	v_cndmask_b32_e32 v35, v35, v8, vcc_lo
	v_cmp_eq_u32_e32 vcc_lo, 5, v32
	v_cndmask_b32_e64 v1, v1, v11, s0
	v_cndmask_b32_e64 v35, v35, v10, s0
	;; [unrolled: 6-line block ×4, first 2 shown]
	v_cmp_eq_u32_e64 s0, 10, v32
	v_cndmask_b32_e32 v1, v1, v21, vcc_lo
	v_cndmask_b32_e32 v37, v35, v20, vcc_lo
	ds_read_b64 v[35:36], v34
	v_cmp_eq_u32_e32 vcc_lo, 11, v32
	v_add_nc_u32_e32 v34, 8, v34
	v_cndmask_b32_e64 v1, v1, v23, s0
	v_cndmask_b32_e64 v37, v37, v22, s0
	v_cmp_eq_u32_e64 s0, 12, v32
	v_cndmask_b32_e32 v1, v1, v25, vcc_lo
	v_cndmask_b32_e32 v37, v37, v24, vcc_lo
	v_cmp_eq_u32_e32 vcc_lo, 13, v32
	v_cndmask_b32_e64 v1, v1, v27, s0
	v_cndmask_b32_e64 v37, v37, v26, s0
	v_cndmask_b32_e32 v38, v1, v29, vcc_lo
	v_cndmask_b32_e32 v37, v37, v28, vcc_lo
	v_add_co_u32 v32, vcc_lo, v32, 1
	v_add_co_ci_u32_e64 v33, null, 0, v33, vcc_lo
	s_waitcnt lgkmcnt(0)
	v_fma_f64 v[30:31], v[37:38], v[35:36], v[30:31]
	v_add_nc_u32_e32 v1, -1, v32
	v_cmp_lt_u32_e32 vcc_lo, 11, v1
	s_or_b32 s2, vcc_lo, s2
	s_andn2_b32 exec_lo, exec_lo, s2
	s_cbranch_execnz .LBB77_77
; %bb.78:
	s_or_b32 exec_lo, exec_lo, s2
	v_mov_b32_e32 v1, 0
	ds_read_b64 v[28:29], v1 offset:104
	s_waitcnt lgkmcnt(0)
	v_mul_f64 v[28:29], v[30:31], v[28:29]
.LBB77_79:
	s_or_b32 exec_lo, exec_lo, s1
	s_barrier
	buffer_gl0_inv
	s_cbranch_execnz .LBB77_15
	s_branch .LBB77_16
.LBB77_80:
	v_lshl_add_u32 v1, v0, 3, 0x70
	s_mov_b32 s0, exec_lo
	v_cmpx_eq_u32_e32 13, v0
	s_cbranch_execz .LBB77_82
; %bb.81:
	v_mov_b32_e32 v54, 0
	s_waitcnt lgkmcnt(13)
	v_mov_b32_e32 v30, v2
	s_waitcnt lgkmcnt(11)
	v_mov_b32_e32 v34, v6
	v_mov_b32_e32 v35, v7
	s_waitcnt lgkmcnt(10)
	v_mov_b32_e32 v36, v8
	;; [unrolled: 3-line block ×10, first 2 shown]
	v_mov_b32_e32 v53, v25
	v_mov_b32_e32 v55, v54
	s_waitcnt lgkmcnt(0)
	v_mov_b32_e32 v56, v28
	v_mov_b32_e32 v57, v29
	;; [unrolled: 1-line block ×5, first 2 shown]
	ds_write_b64 v1, v[26:27]
	v_mov_b32_e32 v2, v30
	v_mov_b32_e32 v3, v31
	;; [unrolled: 1-line block ×32, first 2 shown]
.LBB77_82:
	s_or_b32 exec_lo, exec_lo, s0
	v_mov_b32_e32 v52, 0
	s_waitcnt lgkmcnt(0)
	s_waitcnt_vscnt null, 0x0
	s_barrier
	buffer_gl0_inv
	s_mov_b32 s0, exec_lo
	ds_read_b64 v[30:31], v52 offset:216
	s_waitcnt lgkmcnt(0)
	v_fma_f64 v[30:31], v[28:29], v[30:31], 0
	v_add_f64 v[26:27], v[26:27], -v[30:31]
	v_cmpx_lt_u32_e32 11, v0
	s_cbranch_execz .LBB77_84
; %bb.83:
	v_mov_b32_e32 v30, v2
	v_mov_b32_e32 v34, v6
	;; [unrolled: 1-line block ×27, first 2 shown]
	ds_write_b64 v1, v[24:25]
	v_mov_b32_e32 v2, v30
	v_mov_b32_e32 v3, v31
	v_mov_b32_e32 v4, v32
	v_mov_b32_e32 v5, v33
	v_mov_b32_e32 v6, v34
	v_mov_b32_e32 v7, v35
	v_mov_b32_e32 v8, v36
	v_mov_b32_e32 v9, v37
	v_mov_b32_e32 v10, v38
	v_mov_b32_e32 v11, v39
	v_mov_b32_e32 v12, v40
	v_mov_b32_e32 v13, v41
	v_mov_b32_e32 v14, v42
	v_mov_b32_e32 v15, v43
	v_mov_b32_e32 v16, v44
	v_mov_b32_e32 v17, v45
	v_mov_b32_e32 v18, v46
	v_mov_b32_e32 v19, v47
	v_mov_b32_e32 v20, v48
	v_mov_b32_e32 v21, v49
	v_mov_b32_e32 v22, v50
	v_mov_b32_e32 v23, v51
	v_mov_b32_e32 v24, v52
	v_mov_b32_e32 v25, v53
	v_mov_b32_e32 v26, v54
	v_mov_b32_e32 v27, v55
	v_mov_b32_e32 v28, v56
	v_mov_b32_e32 v29, v57
	v_mov_b32_e32 v30, v58
	v_mov_b32_e32 v31, v59
	v_mov_b32_e32 v32, v60
	v_mov_b32_e32 v33, v61
.LBB77_84:
	s_or_b32 exec_lo, exec_lo, s0
	s_waitcnt lgkmcnt(0)
	s_barrier
	buffer_gl0_inv
	ds_read_b128 v[30:33], v52 offset:208
	s_mov_b32 s0, exec_lo
	s_waitcnt lgkmcnt(0)
	v_fma_f64 v[30:31], v[26:27], v[30:31], 0
	v_fma_f64 v[30:31], v[28:29], v[32:33], v[30:31]
	v_add_f64 v[24:25], v[24:25], -v[30:31]
	v_cmpx_lt_u32_e32 10, v0
	s_cbranch_execz .LBB77_86
; %bb.85:
	v_mov_b32_e32 v50, 0
	v_mov_b32_e32 v30, v2
	;; [unrolled: 1-line block ×28, first 2 shown]
	ds_write_b64 v1, v[22:23]
	v_mov_b32_e32 v2, v30
	v_mov_b32_e32 v3, v31
	;; [unrolled: 1-line block ×32, first 2 shown]
.LBB77_86:
	s_or_b32 exec_lo, exec_lo, s0
	v_mov_b32_e32 v48, 0
	s_waitcnt lgkmcnt(0)
	s_barrier
	buffer_gl0_inv
	s_mov_b32 s0, exec_lo
	ds_read2_b64 v[30:33], v48 offset0:25 offset1:26
	ds_read_b64 v[34:35], v48 offset:216
	s_waitcnt lgkmcnt(1)
	v_fma_f64 v[30:31], v[24:25], v[30:31], 0
	v_fma_f64 v[30:31], v[26:27], v[32:33], v[30:31]
	s_waitcnt lgkmcnt(0)
	v_fma_f64 v[30:31], v[28:29], v[34:35], v[30:31]
	v_add_f64 v[22:23], v[22:23], -v[30:31]
	v_cmpx_lt_u32_e32 9, v0
	s_cbranch_execz .LBB77_88
; %bb.87:
	v_mov_b32_e32 v30, v2
	v_mov_b32_e32 v34, v6
	;; [unrolled: 1-line block ×27, first 2 shown]
	ds_write_b64 v1, v[20:21]
	v_mov_b32_e32 v2, v30
	v_mov_b32_e32 v3, v31
	;; [unrolled: 1-line block ×32, first 2 shown]
.LBB77_88:
	s_or_b32 exec_lo, exec_lo, s0
	s_waitcnt lgkmcnt(0)
	s_barrier
	buffer_gl0_inv
	ds_read_b128 v[30:33], v48 offset:192
	ds_read_b128 v[34:37], v48 offset:208
	s_mov_b32 s0, exec_lo
	s_waitcnt lgkmcnt(1)
	v_fma_f64 v[30:31], v[22:23], v[30:31], 0
	v_fma_f64 v[30:31], v[24:25], v[32:33], v[30:31]
	s_waitcnt lgkmcnt(0)
	v_fma_f64 v[30:31], v[26:27], v[34:35], v[30:31]
	v_fma_f64 v[30:31], v[28:29], v[36:37], v[30:31]
	v_add_f64 v[20:21], v[20:21], -v[30:31]
	v_cmpx_lt_u32_e32 8, v0
	s_cbranch_execz .LBB77_90
; %bb.89:
	v_mov_b32_e32 v46, 0
	v_mov_b32_e32 v30, v2
	;; [unrolled: 1-line block ×28, first 2 shown]
	ds_write_b64 v1, v[18:19]
	v_mov_b32_e32 v2, v30
	v_mov_b32_e32 v3, v31
	;; [unrolled: 1-line block ×32, first 2 shown]
.LBB77_90:
	s_or_b32 exec_lo, exec_lo, s0
	v_mov_b32_e32 v44, 0
	s_waitcnt lgkmcnt(0)
	s_barrier
	buffer_gl0_inv
	s_mov_b32 s0, exec_lo
	ds_read2_b64 v[30:33], v44 offset0:23 offset1:24
	ds_read2_b64 v[34:37], v44 offset0:25 offset1:26
	s_waitcnt lgkmcnt(1)
	v_fma_f64 v[30:31], v[20:21], v[30:31], 0
	v_fma_f64 v[30:31], v[22:23], v[32:33], v[30:31]
	ds_read_b64 v[32:33], v44 offset:216
	s_waitcnt lgkmcnt(1)
	v_fma_f64 v[30:31], v[24:25], v[34:35], v[30:31]
	v_fma_f64 v[30:31], v[26:27], v[36:37], v[30:31]
	s_waitcnt lgkmcnt(0)
	v_fma_f64 v[30:31], v[28:29], v[32:33], v[30:31]
	v_add_f64 v[18:19], v[18:19], -v[30:31]
	v_cmpx_lt_u32_e32 7, v0
	s_cbranch_execz .LBB77_92
; %bb.91:
	v_mov_b32_e32 v30, v2
	v_mov_b32_e32 v34, v6
	v_mov_b32_e32 v35, v7
	v_mov_b32_e32 v36, v8
	v_mov_b32_e32 v37, v9
	v_mov_b32_e32 v38, v10
	v_mov_b32_e32 v39, v11
	v_mov_b32_e32 v40, v12
	v_mov_b32_e32 v41, v13
	v_mov_b32_e32 v42, v14
	v_mov_b32_e32 v43, v15
	v_mov_b32_e32 v45, v44
	v_mov_b32_e32 v46, v18
	v_mov_b32_e32 v47, v19
	v_mov_b32_e32 v48, v20
	v_mov_b32_e32 v49, v21
	v_mov_b32_e32 v50, v22
	v_mov_b32_e32 v51, v23
	v_mov_b32_e32 v52, v24
	v_mov_b32_e32 v53, v25
	v_mov_b32_e32 v54, v26
	v_mov_b32_e32 v55, v27
	v_mov_b32_e32 v56, v28
	v_mov_b32_e32 v57, v29
	v_mov_b32_e32 v31, v3
	v_mov_b32_e32 v32, v4
	v_mov_b32_e32 v33, v5
	ds_write_b64 v1, v[16:17]
	v_mov_b32_e32 v2, v30
	v_mov_b32_e32 v3, v31
	;; [unrolled: 1-line block ×32, first 2 shown]
.LBB77_92:
	s_or_b32 exec_lo, exec_lo, s0
	s_waitcnt lgkmcnt(0)
	s_barrier
	buffer_gl0_inv
	ds_read_b128 v[30:33], v44 offset:176
	ds_read_b128 v[34:37], v44 offset:192
	s_mov_b32 s0, exec_lo
	s_waitcnt lgkmcnt(1)
	v_fma_f64 v[30:31], v[18:19], v[30:31], 0
	v_fma_f64 v[30:31], v[20:21], v[32:33], v[30:31]
	s_waitcnt lgkmcnt(0)
	v_fma_f64 v[30:31], v[22:23], v[34:35], v[30:31]
	v_fma_f64 v[34:35], v[24:25], v[36:37], v[30:31]
	ds_read_b128 v[30:33], v44 offset:208
	s_waitcnt lgkmcnt(0)
	v_fma_f64 v[30:31], v[26:27], v[30:31], v[34:35]
	v_fma_f64 v[30:31], v[28:29], v[32:33], v[30:31]
	v_add_f64 v[16:17], v[16:17], -v[30:31]
	v_cmpx_lt_u32_e32 6, v0
	s_cbranch_execz .LBB77_94
; %bb.93:
	v_mov_b32_e32 v42, 0
	v_mov_b32_e32 v30, v2
	;; [unrolled: 1-line block ×28, first 2 shown]
	ds_write_b64 v1, v[14:15]
	v_mov_b32_e32 v2, v30
	v_mov_b32_e32 v3, v31
	;; [unrolled: 1-line block ×32, first 2 shown]
.LBB77_94:
	s_or_b32 exec_lo, exec_lo, s0
	v_mov_b32_e32 v40, 0
	s_waitcnt lgkmcnt(0)
	s_barrier
	buffer_gl0_inv
	s_mov_b32 s0, exec_lo
	ds_read2_b64 v[30:33], v40 offset0:21 offset1:22
	ds_read2_b64 v[34:37], v40 offset0:23 offset1:24
	s_waitcnt lgkmcnt(1)
	v_fma_f64 v[30:31], v[16:17], v[30:31], 0
	v_fma_f64 v[30:31], v[18:19], v[32:33], v[30:31]
	s_waitcnt lgkmcnt(0)
	v_fma_f64 v[30:31], v[20:21], v[34:35], v[30:31]
	v_fma_f64 v[34:35], v[22:23], v[36:37], v[30:31]
	ds_read2_b64 v[30:33], v40 offset0:25 offset1:26
	ds_read_b64 v[36:37], v40 offset:216
	s_waitcnt lgkmcnt(1)
	v_fma_f64 v[30:31], v[24:25], v[30:31], v[34:35]
	v_fma_f64 v[30:31], v[26:27], v[32:33], v[30:31]
	s_waitcnt lgkmcnt(0)
	v_fma_f64 v[30:31], v[28:29], v[36:37], v[30:31]
	v_add_f64 v[14:15], v[14:15], -v[30:31]
	v_cmpx_lt_u32_e32 5, v0
	s_cbranch_execz .LBB77_96
; %bb.95:
	v_mov_b32_e32 v30, v2
	v_mov_b32_e32 v34, v6
	;; [unrolled: 1-line block ×27, first 2 shown]
	ds_write_b64 v1, v[12:13]
	v_mov_b32_e32 v2, v30
	v_mov_b32_e32 v3, v31
	;; [unrolled: 1-line block ×32, first 2 shown]
.LBB77_96:
	s_or_b32 exec_lo, exec_lo, s0
	s_waitcnt lgkmcnt(0)
	s_barrier
	buffer_gl0_inv
	ds_read_b128 v[30:33], v40 offset:160
	ds_read_b128 v[34:37], v40 offset:176
	s_mov_b32 s0, exec_lo
	s_waitcnt lgkmcnt(1)
	v_fma_f64 v[30:31], v[14:15], v[30:31], 0
	v_fma_f64 v[30:31], v[16:17], v[32:33], v[30:31]
	s_waitcnt lgkmcnt(0)
	v_fma_f64 v[30:31], v[18:19], v[34:35], v[30:31]
	v_fma_f64 v[38:39], v[20:21], v[36:37], v[30:31]
	ds_read_b128 v[30:33], v40 offset:192
	ds_read_b128 v[34:37], v40 offset:208
	s_waitcnt lgkmcnt(1)
	v_fma_f64 v[30:31], v[22:23], v[30:31], v[38:39]
	v_fma_f64 v[30:31], v[24:25], v[32:33], v[30:31]
	s_waitcnt lgkmcnt(0)
	v_fma_f64 v[30:31], v[26:27], v[34:35], v[30:31]
	v_fma_f64 v[30:31], v[28:29], v[36:37], v[30:31]
	v_add_f64 v[12:13], v[12:13], -v[30:31]
	v_cmpx_lt_u32_e32 4, v0
	s_cbranch_execz .LBB77_98
; %bb.97:
	v_mov_b32_e32 v38, 0
	v_mov_b32_e32 v30, v2
	;; [unrolled: 1-line block ×28, first 2 shown]
	ds_write_b64 v1, v[10:11]
	v_mov_b32_e32 v2, v30
	v_mov_b32_e32 v3, v31
	;; [unrolled: 1-line block ×32, first 2 shown]
.LBB77_98:
	s_or_b32 exec_lo, exec_lo, s0
	v_mov_b32_e32 v36, 0
	s_waitcnt lgkmcnt(0)
	s_barrier
	buffer_gl0_inv
	s_mov_b32 s0, exec_lo
	ds_read2_b64 v[30:33], v36 offset0:19 offset1:20
	ds_read2_b64 v[37:40], v36 offset0:21 offset1:22
	s_waitcnt lgkmcnt(1)
	v_fma_f64 v[30:31], v[12:13], v[30:31], 0
	v_fma_f64 v[30:31], v[14:15], v[32:33], v[30:31]
	s_waitcnt lgkmcnt(0)
	v_fma_f64 v[30:31], v[16:17], v[37:38], v[30:31]
	v_fma_f64 v[34:35], v[18:19], v[39:40], v[30:31]
	ds_read2_b64 v[30:33], v36 offset0:23 offset1:24
	ds_read2_b64 v[37:40], v36 offset0:25 offset1:26
	s_waitcnt lgkmcnt(1)
	v_fma_f64 v[30:31], v[20:21], v[30:31], v[34:35]
	v_fma_f64 v[30:31], v[22:23], v[32:33], v[30:31]
	ds_read_b64 v[32:33], v36 offset:216
	s_waitcnt lgkmcnt(1)
	v_fma_f64 v[30:31], v[24:25], v[37:38], v[30:31]
	v_fma_f64 v[30:31], v[26:27], v[39:40], v[30:31]
	s_waitcnt lgkmcnt(0)
	v_fma_f64 v[30:31], v[28:29], v[32:33], v[30:31]
	v_add_f64 v[10:11], v[10:11], -v[30:31]
	v_cmpx_lt_u32_e32 3, v0
	s_cbranch_execz .LBB77_100
; %bb.99:
	v_mov_b32_e32 v30, v2
	v_mov_b32_e32 v34, v6
	v_mov_b32_e32 v35, v7
	v_mov_b32_e32 v37, v36
	v_mov_b32_e32 v38, v10
	v_mov_b32_e32 v39, v11
	v_mov_b32_e32 v40, v12
	v_mov_b32_e32 v41, v13
	v_mov_b32_e32 v42, v14
	v_mov_b32_e32 v43, v15
	v_mov_b32_e32 v44, v16
	v_mov_b32_e32 v45, v17
	v_mov_b32_e32 v46, v18
	v_mov_b32_e32 v47, v19
	v_mov_b32_e32 v48, v20
	v_mov_b32_e32 v49, v21
	v_mov_b32_e32 v50, v22
	v_mov_b32_e32 v51, v23
	v_mov_b32_e32 v52, v24
	v_mov_b32_e32 v53, v25
	v_mov_b32_e32 v54, v26
	v_mov_b32_e32 v55, v27
	v_mov_b32_e32 v56, v28
	v_mov_b32_e32 v57, v29
	v_mov_b32_e32 v31, v3
	v_mov_b32_e32 v32, v4
	v_mov_b32_e32 v33, v5
	v_mov_b32_e32 v58, v8
	v_mov_b32_e32 v59, v9
	v_mov_b32_e32 v2, v30
	v_mov_b32_e32 v3, v31
	v_mov_b32_e32 v4, v32
	v_mov_b32_e32 v5, v33
	v_mov_b32_e32 v6, v34
	v_mov_b32_e32 v7, v35
	v_mov_b32_e32 v8, v36
	v_mov_b32_e32 v9, v37
	v_mov_b32_e32 v10, v38
	v_mov_b32_e32 v11, v39
	v_mov_b32_e32 v12, v40
	v_mov_b32_e32 v13, v41
	v_mov_b32_e32 v14, v42
	v_mov_b32_e32 v15, v43
	v_mov_b32_e32 v16, v44
	v_mov_b32_e32 v17, v45
	v_mov_b32_e32 v18, v46
	v_mov_b32_e32 v19, v47
	v_mov_b32_e32 v20, v48
	v_mov_b32_e32 v21, v49
	v_mov_b32_e32 v22, v50
	v_mov_b32_e32 v23, v51
	v_mov_b32_e32 v24, v52
	v_mov_b32_e32 v25, v53
	v_mov_b32_e32 v26, v54
	v_mov_b32_e32 v27, v55
	v_mov_b32_e32 v28, v56
	v_mov_b32_e32 v29, v57
	v_mov_b32_e32 v30, v58
	v_mov_b32_e32 v31, v59
	v_mov_b32_e32 v32, v60
	v_mov_b32_e32 v33, v61
	ds_write_b64 v1, v[58:59]
.LBB77_100:
	s_or_b32 exec_lo, exec_lo, s0
	s_waitcnt lgkmcnt(0)
	s_barrier
	buffer_gl0_inv
	ds_read_b128 v[30:33], v36 offset:144
	ds_read_b128 v[37:40], v36 offset:160
	s_mov_b32 s0, exec_lo
	s_waitcnt lgkmcnt(1)
	v_fma_f64 v[30:31], v[10:11], v[30:31], 0
	v_fma_f64 v[30:31], v[12:13], v[32:33], v[30:31]
	s_waitcnt lgkmcnt(0)
	v_fma_f64 v[30:31], v[14:15], v[37:38], v[30:31]
	v_fma_f64 v[34:35], v[16:17], v[39:40], v[30:31]
	ds_read_b128 v[30:33], v36 offset:176
	ds_read_b128 v[37:40], v36 offset:192
	s_waitcnt lgkmcnt(1)
	v_fma_f64 v[30:31], v[18:19], v[30:31], v[34:35]
	v_fma_f64 v[30:31], v[20:21], v[32:33], v[30:31]
	s_waitcnt lgkmcnt(0)
	v_fma_f64 v[30:31], v[22:23], v[37:38], v[30:31]
	v_fma_f64 v[34:35], v[24:25], v[39:40], v[30:31]
	ds_read_b128 v[30:33], v36 offset:208
	s_waitcnt lgkmcnt(0)
	v_fma_f64 v[30:31], v[26:27], v[30:31], v[34:35]
	v_fma_f64 v[30:31], v[28:29], v[32:33], v[30:31]
	v_add_f64 v[8:9], v[8:9], -v[30:31]
	v_cmpx_lt_u32_e32 2, v0
	s_cbranch_execz .LBB77_102
; %bb.101:
	v_mov_b32_e32 v34, 0
	v_mov_b32_e32 v30, v2
	;; [unrolled: 1-line block ×62, first 2 shown]
	ds_write_b64 v1, v[58:59]
.LBB77_102:
	s_or_b32 exec_lo, exec_lo, s0
	v_mov_b32_e32 v34, 0
	s_waitcnt lgkmcnt(0)
	s_barrier
	buffer_gl0_inv
	s_mov_b32 s0, exec_lo
	ds_read2_b64 v[30:33], v34 offset0:17 offset1:18
	ds_read2_b64 v[35:38], v34 offset0:19 offset1:20
	s_waitcnt lgkmcnt(1)
	v_fma_f64 v[30:31], v[8:9], v[30:31], 0
	v_fma_f64 v[30:31], v[10:11], v[32:33], v[30:31]
	s_waitcnt lgkmcnt(0)
	v_fma_f64 v[30:31], v[12:13], v[35:36], v[30:31]
	v_fma_f64 v[39:40], v[14:15], v[37:38], v[30:31]
	ds_read2_b64 v[30:33], v34 offset0:21 offset1:22
	ds_read2_b64 v[35:38], v34 offset0:23 offset1:24
	s_waitcnt lgkmcnt(1)
	v_fma_f64 v[30:31], v[16:17], v[30:31], v[39:40]
	v_fma_f64 v[30:31], v[18:19], v[32:33], v[30:31]
	s_waitcnt lgkmcnt(0)
	v_fma_f64 v[30:31], v[20:21], v[35:36], v[30:31]
	v_fma_f64 v[35:36], v[22:23], v[37:38], v[30:31]
	ds_read2_b64 v[30:33], v34 offset0:25 offset1:26
	ds_read_b64 v[37:38], v34 offset:216
	s_waitcnt lgkmcnt(1)
	v_fma_f64 v[30:31], v[24:25], v[30:31], v[35:36]
	v_fma_f64 v[30:31], v[26:27], v[32:33], v[30:31]
	s_waitcnt lgkmcnt(0)
	v_fma_f64 v[30:31], v[28:29], v[37:38], v[30:31]
	v_add_f64 v[6:7], v[6:7], -v[30:31]
	v_cmpx_lt_u32_e32 1, v0
	s_cbranch_execz .LBB77_104
; %bb.103:
	v_mov_b32_e32 v32, v2
	v_mov_b32_e32 v35, v34
	;; [unrolled: 1-line block ×61, first 2 shown]
	ds_write_b64 v1, v[88:89]
.LBB77_104:
	s_or_b32 exec_lo, exec_lo, s0
	s_waitcnt lgkmcnt(0)
	s_barrier
	buffer_gl0_inv
	ds_read_b128 v[30:33], v34 offset:128
	ds_read_b128 v[35:38], v34 offset:144
	s_mov_b32 s0, exec_lo
	s_waitcnt lgkmcnt(1)
	v_fma_f64 v[30:31], v[6:7], v[30:31], 0
	v_fma_f64 v[30:31], v[8:9], v[32:33], v[30:31]
	s_waitcnt lgkmcnt(0)
	v_fma_f64 v[30:31], v[10:11], v[35:36], v[30:31]
	v_fma_f64 v[39:40], v[12:13], v[37:38], v[30:31]
	ds_read_b128 v[30:33], v34 offset:160
	ds_read_b128 v[35:38], v34 offset:176
	s_waitcnt lgkmcnt(1)
	v_fma_f64 v[30:31], v[14:15], v[30:31], v[39:40]
	v_fma_f64 v[30:31], v[16:17], v[32:33], v[30:31]
	s_waitcnt lgkmcnt(0)
	v_fma_f64 v[30:31], v[18:19], v[35:36], v[30:31]
	v_fma_f64 v[38:39], v[20:21], v[37:38], v[30:31]
	ds_read_b128 v[30:33], v34 offset:192
	ds_read_b128 v[34:37], v34 offset:208
	s_waitcnt lgkmcnt(1)
	v_fma_f64 v[30:31], v[22:23], v[30:31], v[38:39]
	v_fma_f64 v[30:31], v[24:25], v[32:33], v[30:31]
	s_waitcnt lgkmcnt(0)
	v_fma_f64 v[30:31], v[26:27], v[34:35], v[30:31]
	v_fma_f64 v[30:31], v[28:29], v[36:37], v[30:31]
	v_add_f64 v[4:5], v[4:5], -v[30:31]
	v_cmpx_ne_u32_e32 0, v0
	s_cbranch_execz .LBB77_106
; %bb.105:
	v_mov_b32_e32 v30, 0
	v_mov_b32_e32 v34, v6
	;; [unrolled: 1-line block ×62, first 2 shown]
	ds_write_b64 v1, v[58:59]
.LBB77_106:
	s_or_b32 exec_lo, exec_lo, s0
	v_mov_b32_e32 v0, 0
	s_waitcnt lgkmcnt(0)
	s_barrier
	buffer_gl0_inv
	s_and_b32 vcc_lo, exec_lo, s22
	ds_read2_b64 v[30:33], v0 offset0:15 offset1:16
	ds_read2_b64 v[34:37], v0 offset0:17 offset1:18
	s_waitcnt lgkmcnt(1)
	v_fma_f64 v[30:31], v[4:5], v[30:31], 0
	v_fma_f64 v[30:31], v[6:7], v[32:33], v[30:31]
	s_waitcnt lgkmcnt(0)
	v_fma_f64 v[30:31], v[8:9], v[34:35], v[30:31]
	v_fma_f64 v[38:39], v[10:11], v[36:37], v[30:31]
	ds_read2_b64 v[30:33], v0 offset0:19 offset1:20
	ds_read2_b64 v[34:37], v0 offset0:21 offset1:22
	s_waitcnt lgkmcnt(1)
	v_fma_f64 v[30:31], v[12:13], v[30:31], v[38:39]
	v_fma_f64 v[30:31], v[14:15], v[32:33], v[30:31]
	s_waitcnt lgkmcnt(0)
	v_fma_f64 v[30:31], v[16:17], v[34:35], v[30:31]
	v_fma_f64 v[38:39], v[18:19], v[36:37], v[30:31]
	ds_read2_b64 v[30:33], v0 offset0:23 offset1:24
	ds_read2_b64 v[34:37], v0 offset0:25 offset1:26
	s_waitcnt lgkmcnt(1)
	v_fma_f64 v[30:31], v[20:21], v[30:31], v[38:39]
	v_fma_f64 v[30:31], v[22:23], v[32:33], v[30:31]
	ds_read_b64 v[32:33], v0 offset:216
	s_waitcnt lgkmcnt(1)
	v_fma_f64 v[30:31], v[24:25], v[34:35], v[30:31]
	v_fma_f64 v[30:31], v[26:27], v[36:37], v[30:31]
	s_waitcnt lgkmcnt(0)
	v_fma_f64 v[30:31], v[28:29], v[32:33], v[30:31]
	v_add_f64 v[2:3], v[2:3], -v[30:31]
	s_cbranch_vccz .LBB77_133
; %bb.107:
	global_load_dword v0, v0, s[20:21] offset:48
	s_waitcnt vmcnt(0)
	v_readfirstlane_b32 s0, v0
	s_add_i32 s0, s0, -1
	s_cmp_lg_u32 s0, 12
	s_cbranch_scc0 .LBB77_109
; %bb.108:
	s_lshl_b32 m0, s0, 1
	v_movrels_b32_e32 v0, v2
	v_movrels_b32_e32 v1, v3
	v_mov_b32_e32 v59, v33
	v_mov_b32_e32 v58, v32
	;; [unrolled: 1-line block ×34, first 2 shown]
	v_movreld_b32_e32 v28, v26
	v_movreld_b32_e32 v29, v27
	v_mov_b32_e32 v2, v28
	v_mov_b32_e32 v3, v29
	;; [unrolled: 1-line block ×32, first 2 shown]
.LBB77_109:
	v_mov_b32_e32 v0, 0
	global_load_dword v1, v0, s[20:21] offset:44
	s_waitcnt vmcnt(0)
	v_readfirstlane_b32 s0, v1
	s_add_i32 s0, s0, -1
	s_cmp_eq_u32 s0, 11
	s_cbranch_scc1 .LBB77_111
; %bb.110:
	s_lshl_b32 m0, s0, 1
	v_movrels_b32_e32 v1, v2
	v_movrels_b32_e32 v58, v3
	v_mov_b32_e32 v57, v33
	v_mov_b32_e32 v56, v32
	;; [unrolled: 1-line block ×34, first 2 shown]
	v_movreld_b32_e32 v26, v24
	v_movreld_b32_e32 v27, v25
	v_mov_b32_e32 v2, v26
	v_mov_b32_e32 v3, v27
	;; [unrolled: 1-line block ×32, first 2 shown]
.LBB77_111:
	global_load_dword v0, v0, s[20:21] offset:40
	s_waitcnt vmcnt(0)
	v_readfirstlane_b32 s0, v0
	s_add_i32 s0, s0, -1
	s_cmp_eq_u32 s0, 10
	s_cbranch_scc1 .LBB77_113
; %bb.112:
	s_lshl_b32 m0, s0, 1
	v_movrels_b32_e32 v0, v2
	v_movrels_b32_e32 v1, v3
	v_mov_b32_e32 v55, v33
	v_mov_b32_e32 v54, v32
	v_mov_b32_e32 v53, v31
	v_mov_b32_e32 v52, v30
	v_mov_b32_e32 v51, v29
	v_mov_b32_e32 v50, v28
	v_mov_b32_e32 v49, v27
	v_mov_b32_e32 v48, v26
	v_mov_b32_e32 v47, v25
	v_mov_b32_e32 v46, v24
	v_mov_b32_e32 v45, v23
	v_mov_b32_e32 v44, v22
	v_mov_b32_e32 v43, v21
	v_mov_b32_e32 v42, v20
	v_mov_b32_e32 v41, v19
	v_mov_b32_e32 v40, v18
	v_mov_b32_e32 v39, v17
	v_mov_b32_e32 v38, v16
	v_mov_b32_e32 v37, v15
	v_mov_b32_e32 v36, v14
	v_mov_b32_e32 v35, v13
	v_mov_b32_e32 v34, v12
	v_mov_b32_e32 v33, v11
	v_mov_b32_e32 v32, v10
	v_mov_b32_e32 v31, v9
	v_mov_b32_e32 v30, v8
	v_mov_b32_e32 v29, v7
	v_mov_b32_e32 v28, v6
	v_mov_b32_e32 v27, v5
	v_mov_b32_e32 v26, v4
	v_mov_b32_e32 v25, v3
	v_mov_b32_e32 v24, v2
	v_mov_b32_e32 v44, v0
	v_mov_b32_e32 v45, v1
	v_movreld_b32_e32 v24, v22
	v_movreld_b32_e32 v25, v23
	v_mov_b32_e32 v2, v24
	v_mov_b32_e32 v3, v25
	v_mov_b32_e32 v4, v26
	v_mov_b32_e32 v5, v27
	v_mov_b32_e32 v6, v28
	v_mov_b32_e32 v7, v29
	v_mov_b32_e32 v8, v30
	v_mov_b32_e32 v9, v31
	v_mov_b32_e32 v10, v32
	v_mov_b32_e32 v11, v33
	v_mov_b32_e32 v12, v34
	v_mov_b32_e32 v13, v35
	v_mov_b32_e32 v14, v36
	v_mov_b32_e32 v15, v37
	v_mov_b32_e32 v16, v38
	v_mov_b32_e32 v17, v39
	v_mov_b32_e32 v18, v40
	v_mov_b32_e32 v19, v41
	v_mov_b32_e32 v20, v42
	v_mov_b32_e32 v21, v43
	v_mov_b32_e32 v22, v44
	v_mov_b32_e32 v23, v45
	v_mov_b32_e32 v24, v46
	v_mov_b32_e32 v25, v47
	v_mov_b32_e32 v26, v48
	v_mov_b32_e32 v27, v49
	v_mov_b32_e32 v28, v50
	v_mov_b32_e32 v29, v51
	v_mov_b32_e32 v30, v52
	v_mov_b32_e32 v31, v53
	v_mov_b32_e32 v32, v54
	v_mov_b32_e32 v33, v55
.LBB77_113:
	v_mov_b32_e32 v0, 0
	global_load_dword v1, v0, s[20:21] offset:36
	s_waitcnt vmcnt(0)
	v_readfirstlane_b32 s0, v1
	s_add_i32 s0, s0, -1
	s_cmp_eq_u32 s0, 9
	s_cbranch_scc1 .LBB77_115
; %bb.114:
	s_lshl_b32 m0, s0, 1
	v_movrels_b32_e32 v1, v2
	v_movrels_b32_e32 v54, v3
	v_mov_b32_e32 v53, v33
	v_mov_b32_e32 v52, v32
	v_mov_b32_e32 v51, v31
	v_mov_b32_e32 v50, v30
	v_mov_b32_e32 v49, v29
	v_mov_b32_e32 v48, v28
	v_mov_b32_e32 v47, v27
	v_mov_b32_e32 v46, v26
	v_mov_b32_e32 v45, v25
	v_mov_b32_e32 v44, v24
	v_mov_b32_e32 v43, v23
	v_mov_b32_e32 v42, v22
	v_mov_b32_e32 v41, v21
	v_mov_b32_e32 v40, v20
	v_mov_b32_e32 v39, v19
	v_mov_b32_e32 v38, v18
	v_mov_b32_e32 v37, v17
	v_mov_b32_e32 v36, v16
	v_mov_b32_e32 v35, v15
	v_mov_b32_e32 v34, v14
	v_mov_b32_e32 v33, v13
	v_mov_b32_e32 v32, v12
	v_mov_b32_e32 v31, v11
	v_mov_b32_e32 v30, v10
	v_mov_b32_e32 v29, v9
	v_mov_b32_e32 v28, v8
	v_mov_b32_e32 v27, v7
	v_mov_b32_e32 v26, v6
	v_mov_b32_e32 v25, v5
	v_mov_b32_e32 v24, v4
	v_mov_b32_e32 v23, v3
	v_mov_b32_e32 v22, v2
	v_mov_b32_e32 v40, v1
	v_mov_b32_e32 v41, v54
	v_movreld_b32_e32 v22, v20
	v_movreld_b32_e32 v23, v21
	v_mov_b32_e32 v2, v22
	v_mov_b32_e32 v3, v23
	;; [unrolled: 1-line block ×32, first 2 shown]
.LBB77_115:
	global_load_dword v0, v0, s[20:21] offset:32
	s_waitcnt vmcnt(0)
	v_readfirstlane_b32 s0, v0
	s_add_i32 s0, s0, -1
	s_cmp_eq_u32 s0, 8
	s_cbranch_scc1 .LBB77_117
; %bb.116:
	s_lshl_b32 m0, s0, 1
	v_movrels_b32_e32 v0, v2
	v_movrels_b32_e32 v1, v3
	v_mov_b32_e32 v51, v33
	v_mov_b32_e32 v50, v32
	;; [unrolled: 1-line block ×34, first 2 shown]
	v_movreld_b32_e32 v20, v18
	v_movreld_b32_e32 v21, v19
	v_mov_b32_e32 v2, v20
	v_mov_b32_e32 v3, v21
	;; [unrolled: 1-line block ×32, first 2 shown]
.LBB77_117:
	v_mov_b32_e32 v0, 0
	global_load_dword v1, v0, s[20:21] offset:28
	s_waitcnt vmcnt(0)
	v_readfirstlane_b32 s0, v1
	s_add_i32 s0, s0, -1
	s_cmp_eq_u32 s0, 7
	s_cbranch_scc1 .LBB77_119
; %bb.118:
	s_lshl_b32 m0, s0, 1
	v_movrels_b32_e32 v1, v2
	v_movrels_b32_e32 v50, v3
	v_mov_b32_e32 v49, v33
	v_mov_b32_e32 v48, v32
	;; [unrolled: 1-line block ×34, first 2 shown]
	v_movreld_b32_e32 v18, v16
	v_movreld_b32_e32 v19, v17
	v_mov_b32_e32 v2, v18
	v_mov_b32_e32 v3, v19
	;; [unrolled: 1-line block ×32, first 2 shown]
.LBB77_119:
	global_load_dword v0, v0, s[20:21] offset:24
	s_waitcnt vmcnt(0)
	v_readfirstlane_b32 s0, v0
	s_add_i32 s0, s0, -1
	s_cmp_eq_u32 s0, 6
	s_cbranch_scc1 .LBB77_121
; %bb.120:
	s_lshl_b32 m0, s0, 1
	v_movrels_b32_e32 v0, v2
	v_movrels_b32_e32 v1, v3
	v_mov_b32_e32 v47, v33
	v_mov_b32_e32 v46, v32
	;; [unrolled: 1-line block ×34, first 2 shown]
	v_movreld_b32_e32 v16, v14
	v_movreld_b32_e32 v17, v15
	v_mov_b32_e32 v2, v16
	v_mov_b32_e32 v3, v17
	;; [unrolled: 1-line block ×32, first 2 shown]
.LBB77_121:
	v_mov_b32_e32 v0, 0
	global_load_dword v1, v0, s[20:21] offset:20
	s_waitcnt vmcnt(0)
	v_readfirstlane_b32 s0, v1
	s_add_i32 s0, s0, -1
	s_cmp_eq_u32 s0, 5
	s_cbranch_scc1 .LBB77_123
; %bb.122:
	s_lshl_b32 m0, s0, 1
	v_movrels_b32_e32 v1, v2
	v_movrels_b32_e32 v46, v3
	v_mov_b32_e32 v45, v33
	v_mov_b32_e32 v44, v32
	;; [unrolled: 1-line block ×34, first 2 shown]
	v_movreld_b32_e32 v14, v12
	v_movreld_b32_e32 v15, v13
	v_mov_b32_e32 v2, v14
	v_mov_b32_e32 v3, v15
	;; [unrolled: 1-line block ×32, first 2 shown]
.LBB77_123:
	global_load_dword v0, v0, s[20:21] offset:16
	s_waitcnt vmcnt(0)
	v_readfirstlane_b32 s0, v0
	s_add_i32 s0, s0, -1
	s_cmp_eq_u32 s0, 4
	s_cbranch_scc1 .LBB77_125
; %bb.124:
	s_lshl_b32 m0, s0, 1
	v_movrels_b32_e32 v0, v2
	v_movrels_b32_e32 v1, v3
	v_mov_b32_e32 v43, v33
	v_mov_b32_e32 v42, v32
	;; [unrolled: 1-line block ×34, first 2 shown]
	v_movreld_b32_e32 v12, v10
	v_movreld_b32_e32 v13, v11
	v_mov_b32_e32 v2, v12
	v_mov_b32_e32 v3, v13
	;; [unrolled: 1-line block ×32, first 2 shown]
.LBB77_125:
	v_mov_b32_e32 v0, 0
	global_load_dword v1, v0, s[20:21] offset:12
	s_waitcnt vmcnt(0)
	v_readfirstlane_b32 s0, v1
	s_add_i32 s0, s0, -1
	s_cmp_eq_u32 s0, 3
	s_cbranch_scc1 .LBB77_127
; %bb.126:
	s_lshl_b32 m0, s0, 1
	v_movrels_b32_e32 v1, v2
	v_movrels_b32_e32 v42, v3
	v_mov_b32_e32 v41, v33
	v_mov_b32_e32 v40, v32
	;; [unrolled: 1-line block ×34, first 2 shown]
	v_movreld_b32_e32 v10, v8
	v_movreld_b32_e32 v11, v9
	v_mov_b32_e32 v2, v10
	v_mov_b32_e32 v3, v11
	v_mov_b32_e32 v4, v12
	v_mov_b32_e32 v5, v13
	v_mov_b32_e32 v6, v14
	v_mov_b32_e32 v7, v15
	v_mov_b32_e32 v8, v16
	v_mov_b32_e32 v9, v17
	v_mov_b32_e32 v10, v18
	v_mov_b32_e32 v11, v19
	v_mov_b32_e32 v12, v20
	v_mov_b32_e32 v13, v21
	v_mov_b32_e32 v14, v22
	v_mov_b32_e32 v15, v23
	v_mov_b32_e32 v16, v24
	v_mov_b32_e32 v17, v25
	v_mov_b32_e32 v18, v26
	v_mov_b32_e32 v19, v27
	v_mov_b32_e32 v20, v28
	v_mov_b32_e32 v21, v29
	v_mov_b32_e32 v22, v30
	v_mov_b32_e32 v23, v31
	v_mov_b32_e32 v24, v32
	v_mov_b32_e32 v25, v33
	v_mov_b32_e32 v26, v34
	v_mov_b32_e32 v27, v35
	v_mov_b32_e32 v28, v36
	v_mov_b32_e32 v29, v37
	v_mov_b32_e32 v30, v38
	v_mov_b32_e32 v31, v39
	v_mov_b32_e32 v32, v40
	v_mov_b32_e32 v33, v41
.LBB77_127:
	global_load_dword v0, v0, s[20:21] offset:8
	s_waitcnt vmcnt(0)
	v_readfirstlane_b32 s0, v0
	s_add_i32 s0, s0, -1
	s_cmp_eq_u32 s0, 2
	s_cbranch_scc1 .LBB77_129
; %bb.128:
	s_lshl_b32 m0, s0, 1
	v_movrels_b32_e32 v0, v2
	v_movrels_b32_e32 v1, v3
	v_mov_b32_e32 v39, v33
	v_mov_b32_e32 v38, v32
	;; [unrolled: 1-line block ×34, first 2 shown]
	v_movreld_b32_e32 v8, v6
	v_movreld_b32_e32 v9, v7
	v_mov_b32_e32 v2, v8
	v_mov_b32_e32 v3, v9
	;; [unrolled: 1-line block ×32, first 2 shown]
.LBB77_129:
	v_mov_b32_e32 v0, 0
	global_load_dword v1, v0, s[20:21] offset:4
	s_waitcnt vmcnt(0)
	v_readfirstlane_b32 s0, v1
	s_add_i32 s0, s0, -1
	s_cmp_eq_u32 s0, 1
	s_cbranch_scc1 .LBB77_131
; %bb.130:
	s_lshl_b32 m0, s0, 1
	v_movrels_b32_e32 v1, v2
	v_movrels_b32_e32 v38, v3
	v_mov_b32_e32 v37, v33
	v_mov_b32_e32 v36, v32
	;; [unrolled: 1-line block ×34, first 2 shown]
	v_movreld_b32_e32 v6, v4
	v_movreld_b32_e32 v7, v5
	v_mov_b32_e32 v2, v6
	v_mov_b32_e32 v3, v7
	;; [unrolled: 1-line block ×32, first 2 shown]
.LBB77_131:
	global_load_dword v0, v0, s[20:21]
	s_waitcnt vmcnt(0)
	v_readfirstlane_b32 s0, v0
	s_add_i32 s0, s0, -1
	s_cmp_eq_u32 s0, 0
	s_cbranch_scc1 .LBB77_133
; %bb.132:
	s_lshl_b32 m0, s0, 1
	v_movrels_b32_e32 v0, v2
	v_movrels_b32_e32 v1, v3
	v_mov_b32_e32 v35, v33
	v_mov_b32_e32 v34, v32
	;; [unrolled: 1-line block ×34, first 2 shown]
	v_movreld_b32_e32 v4, v2
	v_movreld_b32_e32 v5, v3
	v_mov_b32_e32 v2, v4
	v_mov_b32_e32 v3, v5
	v_mov_b32_e32 v4, v6
	v_mov_b32_e32 v5, v7
	v_mov_b32_e32 v6, v8
	v_mov_b32_e32 v7, v9
	v_mov_b32_e32 v8, v10
	v_mov_b32_e32 v9, v11
	v_mov_b32_e32 v10, v12
	v_mov_b32_e32 v11, v13
	v_mov_b32_e32 v12, v14
	v_mov_b32_e32 v13, v15
	v_mov_b32_e32 v14, v16
	v_mov_b32_e32 v15, v17
	v_mov_b32_e32 v16, v18
	v_mov_b32_e32 v17, v19
	v_mov_b32_e32 v18, v20
	v_mov_b32_e32 v19, v21
	v_mov_b32_e32 v20, v22
	v_mov_b32_e32 v21, v23
	v_mov_b32_e32 v22, v24
	v_mov_b32_e32 v23, v25
	v_mov_b32_e32 v24, v26
	v_mov_b32_e32 v25, v27
	v_mov_b32_e32 v26, v28
	v_mov_b32_e32 v27, v29
	v_mov_b32_e32 v28, v30
	v_mov_b32_e32 v29, v31
	v_mov_b32_e32 v30, v32
	v_mov_b32_e32 v31, v33
	v_mov_b32_e32 v32, v34
	v_mov_b32_e32 v33, v35
.LBB77_133:
	v_mov_b32_e32 v0, v2
	v_mov_b32_e32 v1, v3
	;; [unrolled: 1-line block ×8, first 2 shown]
	flat_store_dwordx2 v[60:61], v[0:1]
	flat_store_dwordx2 v[62:63], v[2:3]
	;; [unrolled: 1-line block ×4, first 2 shown]
	v_mov_b32_e32 v0, v10
	v_mov_b32_e32 v1, v11
	;; [unrolled: 1-line block ×10, first 2 shown]
	flat_store_dwordx2 v[66:67], v[0:1]
	flat_store_dwordx2 v[70:71], v[2:3]
	;; [unrolled: 1-line block ×5, first 2 shown]
	v_mov_b32_e32 v0, v20
	v_mov_b32_e32 v1, v21
	;; [unrolled: 1-line block ×10, first 2 shown]
	flat_store_dwordx2 v[76:77], v[0:1]
	flat_store_dwordx2 v[80:81], v[2:3]
	;; [unrolled: 1-line block ×5, first 2 shown]
	s_endpgm
	.section	.rodata,"a",@progbits
	.p2align	6, 0x0
	.amdhsa_kernel _ZN9rocsolver6v33100L18getri_kernel_smallILi14EdPKPdEEvT1_iilPiilS6_bb
		.amdhsa_group_segment_fixed_size 232
		.amdhsa_private_segment_fixed_size 0
		.amdhsa_kernarg_size 60
		.amdhsa_user_sgpr_count 6
		.amdhsa_user_sgpr_private_segment_buffer 1
		.amdhsa_user_sgpr_dispatch_ptr 0
		.amdhsa_user_sgpr_queue_ptr 0
		.amdhsa_user_sgpr_kernarg_segment_ptr 1
		.amdhsa_user_sgpr_dispatch_id 0
		.amdhsa_user_sgpr_flat_scratch_init 0
		.amdhsa_user_sgpr_private_segment_size 0
		.amdhsa_wavefront_size32 1
		.amdhsa_uses_dynamic_stack 0
		.amdhsa_system_sgpr_private_segment_wavefront_offset 0
		.amdhsa_system_sgpr_workgroup_id_x 1
		.amdhsa_system_sgpr_workgroup_id_y 0
		.amdhsa_system_sgpr_workgroup_id_z 0
		.amdhsa_system_sgpr_workgroup_info 0
		.amdhsa_system_vgpr_workitem_id 0
		.amdhsa_next_free_vgpr 90
		.amdhsa_next_free_sgpr 23
		.amdhsa_reserve_vcc 1
		.amdhsa_reserve_flat_scratch 1
		.amdhsa_float_round_mode_32 0
		.amdhsa_float_round_mode_16_64 0
		.amdhsa_float_denorm_mode_32 3
		.amdhsa_float_denorm_mode_16_64 3
		.amdhsa_dx10_clamp 1
		.amdhsa_ieee_mode 1
		.amdhsa_fp16_overflow 0
		.amdhsa_workgroup_processor_mode 1
		.amdhsa_memory_ordered 1
		.amdhsa_forward_progress 1
		.amdhsa_shared_vgpr_count 0
		.amdhsa_exception_fp_ieee_invalid_op 0
		.amdhsa_exception_fp_denorm_src 0
		.amdhsa_exception_fp_ieee_div_zero 0
		.amdhsa_exception_fp_ieee_overflow 0
		.amdhsa_exception_fp_ieee_underflow 0
		.amdhsa_exception_fp_ieee_inexact 0
		.amdhsa_exception_int_div_zero 0
	.end_amdhsa_kernel
	.section	.text._ZN9rocsolver6v33100L18getri_kernel_smallILi14EdPKPdEEvT1_iilPiilS6_bb,"axG",@progbits,_ZN9rocsolver6v33100L18getri_kernel_smallILi14EdPKPdEEvT1_iilPiilS6_bb,comdat
.Lfunc_end77:
	.size	_ZN9rocsolver6v33100L18getri_kernel_smallILi14EdPKPdEEvT1_iilPiilS6_bb, .Lfunc_end77-_ZN9rocsolver6v33100L18getri_kernel_smallILi14EdPKPdEEvT1_iilPiilS6_bb
                                        ; -- End function
	.set _ZN9rocsolver6v33100L18getri_kernel_smallILi14EdPKPdEEvT1_iilPiilS6_bb.num_vgpr, 90
	.set _ZN9rocsolver6v33100L18getri_kernel_smallILi14EdPKPdEEvT1_iilPiilS6_bb.num_agpr, 0
	.set _ZN9rocsolver6v33100L18getri_kernel_smallILi14EdPKPdEEvT1_iilPiilS6_bb.numbered_sgpr, 23
	.set _ZN9rocsolver6v33100L18getri_kernel_smallILi14EdPKPdEEvT1_iilPiilS6_bb.num_named_barrier, 0
	.set _ZN9rocsolver6v33100L18getri_kernel_smallILi14EdPKPdEEvT1_iilPiilS6_bb.private_seg_size, 0
	.set _ZN9rocsolver6v33100L18getri_kernel_smallILi14EdPKPdEEvT1_iilPiilS6_bb.uses_vcc, 1
	.set _ZN9rocsolver6v33100L18getri_kernel_smallILi14EdPKPdEEvT1_iilPiilS6_bb.uses_flat_scratch, 1
	.set _ZN9rocsolver6v33100L18getri_kernel_smallILi14EdPKPdEEvT1_iilPiilS6_bb.has_dyn_sized_stack, 0
	.set _ZN9rocsolver6v33100L18getri_kernel_smallILi14EdPKPdEEvT1_iilPiilS6_bb.has_recursion, 0
	.set _ZN9rocsolver6v33100L18getri_kernel_smallILi14EdPKPdEEvT1_iilPiilS6_bb.has_indirect_call, 0
	.section	.AMDGPU.csdata,"",@progbits
; Kernel info:
; codeLenInByte = 18516
; TotalNumSgprs: 25
; NumVgprs: 90
; ScratchSize: 0
; MemoryBound: 0
; FloatMode: 240
; IeeeMode: 1
; LDSByteSize: 232 bytes/workgroup (compile time only)
; SGPRBlocks: 0
; VGPRBlocks: 11
; NumSGPRsForWavesPerEU: 25
; NumVGPRsForWavesPerEU: 90
; Occupancy: 10
; WaveLimiterHint : 1
; COMPUTE_PGM_RSRC2:SCRATCH_EN: 0
; COMPUTE_PGM_RSRC2:USER_SGPR: 6
; COMPUTE_PGM_RSRC2:TRAP_HANDLER: 0
; COMPUTE_PGM_RSRC2:TGID_X_EN: 1
; COMPUTE_PGM_RSRC2:TGID_Y_EN: 0
; COMPUTE_PGM_RSRC2:TGID_Z_EN: 0
; COMPUTE_PGM_RSRC2:TIDIG_COMP_CNT: 0
	.section	.text._ZN9rocsolver6v33100L18getri_kernel_smallILi15EdPKPdEEvT1_iilPiilS6_bb,"axG",@progbits,_ZN9rocsolver6v33100L18getri_kernel_smallILi15EdPKPdEEvT1_iilPiilS6_bb,comdat
	.globl	_ZN9rocsolver6v33100L18getri_kernel_smallILi15EdPKPdEEvT1_iilPiilS6_bb ; -- Begin function _ZN9rocsolver6v33100L18getri_kernel_smallILi15EdPKPdEEvT1_iilPiilS6_bb
	.p2align	8
	.type	_ZN9rocsolver6v33100L18getri_kernel_smallILi15EdPKPdEEvT1_iilPiilS6_bb,@function
_ZN9rocsolver6v33100L18getri_kernel_smallILi15EdPKPdEEvT1_iilPiilS6_bb: ; @_ZN9rocsolver6v33100L18getri_kernel_smallILi15EdPKPdEEvT1_iilPiilS6_bb
; %bb.0:
	s_mov_b32 s0, exec_lo
	v_cmpx_gt_u32_e32 15, v0
	s_cbranch_execz .LBB78_16
; %bb.1:
	s_clause 0x2
	s_load_dword s8, s[4:5], 0x38
	s_load_dwordx2 s[0:1], s[4:5], 0x0
	s_load_dwordx4 s[16:19], s[4:5], 0x28
                                        ; implicit-def: $sgpr20_sgpr21
	s_waitcnt lgkmcnt(0)
	s_bitcmp1_b32 s8, 8
	s_cselect_b32 s22, -1, 0
	s_ashr_i32 s7, s6, 31
	s_lshl_b64 s[2:3], s[6:7], 3
	s_add_u32 s0, s0, s2
	s_addc_u32 s1, s1, s3
	s_load_dwordx2 s[2:3], s[0:1], 0x0
	s_bfe_u32 s0, s8, 0x10008
	s_cmp_eq_u32 s0, 0
	s_cbranch_scc1 .LBB78_3
; %bb.2:
	s_clause 0x1
	s_load_dword s0, s[4:5], 0x20
	s_load_dwordx2 s[8:9], s[4:5], 0x18
	s_mul_i32 s1, s16, s7
	s_mul_hi_u32 s10, s16, s6
	s_mul_i32 s11, s17, s6
	s_add_i32 s1, s10, s1
	s_mul_i32 s10, s16, s6
	s_add_i32 s11, s1, s11
	s_lshl_b64 s[10:11], s[10:11], 2
	s_waitcnt lgkmcnt(0)
	s_ashr_i32 s1, s0, 31
	s_add_u32 s8, s8, s10
	s_addc_u32 s9, s9, s11
	s_lshl_b64 s[0:1], s[0:1], 2
	s_add_u32 s20, s8, s0
	s_addc_u32 s21, s9, s1
.LBB78_3:
	s_clause 0x1
	s_load_dwordx2 s[0:1], s[4:5], 0x8
	s_load_dword s4, s[4:5], 0x38
	v_lshlrev_b32_e32 v34, 3, v0
	s_waitcnt lgkmcnt(0)
	v_add3_u32 v1, s1, s1, v0
	s_ashr_i32 s9, s0, 31
	s_mov_b32 s8, s0
	s_mov_b32 s10, s1
	s_lshl_b64 s[8:9], s[8:9], 3
	v_add_nc_u32_e32 v3, s1, v1
	v_ashrrev_i32_e32 v2, 31, v1
	s_add_u32 s0, s2, s8
	s_addc_u32 s5, s3, s9
	v_add_co_u32 v64, s2, s0, v34
	v_add_nc_u32_e32 v5, s1, v3
	s_ashr_i32 s11, s1, 31
	v_lshlrev_b64 v[1:2], 3, v[1:2]
	v_ashrrev_i32_e32 v4, 31, v3
	v_add_co_ci_u32_e64 v65, null, s5, 0, s2
	s_lshl_b64 s[2:3], s[10:11], 3
	v_ashrrev_i32_e32 v6, 31, v5
	v_add_nc_u32_e32 v7, s1, v5
	v_add_co_u32 v66, vcc_lo, v64, s2
	v_lshlrev_b64 v[3:4], 3, v[3:4]
	v_add_co_ci_u32_e64 v67, null, s3, v65, vcc_lo
	v_add_co_u32 v68, vcc_lo, s0, v1
	v_add_co_ci_u32_e64 v69, null, s5, v2, vcc_lo
	v_lshlrev_b64 v[1:2], 3, v[5:6]
	v_ashrrev_i32_e32 v8, 31, v7
	v_add_nc_u32_e32 v5, s1, v7
	v_add_co_u32 v70, vcc_lo, s0, v3
	v_add_co_ci_u32_e64 v71, null, s5, v4, vcc_lo
	v_lshlrev_b64 v[3:4], 3, v[7:8]
	v_ashrrev_i32_e32 v6, 31, v5
	v_add_nc_u32_e32 v7, s1, v5
	;; [unrolled: 5-line block ×8, first 2 shown]
	v_add_co_u32 v82, vcc_lo, s0, v1
	v_add_co_ci_u32_e64 v83, null, s5, v2, vcc_lo
	v_lshlrev_b64 v[1:2], 3, v[5:6]
	v_add_nc_u32_e32 v5, s1, v7
	v_ashrrev_i32_e32 v8, 31, v7
	v_add_co_u32 v86, vcc_lo, s0, v3
	v_add_co_ci_u32_e64 v87, null, s5, v4, vcc_lo
	v_ashrrev_i32_e32 v6, 31, v5
	v_lshlrev_b64 v[3:4], 3, v[7:8]
	v_add_co_u32 v88, vcc_lo, s0, v1
	v_add_co_ci_u32_e64 v89, null, s5, v2, vcc_lo
	v_lshlrev_b64 v[1:2], 3, v[5:6]
	v_add_co_u32 v90, vcc_lo, s0, v3
	v_add_co_ci_u32_e64 v91, null, s5, v4, vcc_lo
	s_bitcmp0_b32 s4, 0
	v_add_co_u32 v92, vcc_lo, s0, v1
	v_add_co_ci_u32_e64 v93, null, s5, v2, vcc_lo
	s_clause 0xe
	flat_load_dwordx2 v[2:3], v[64:65]
	flat_load_dwordx2 v[4:5], v[66:67]
	;; [unrolled: 1-line block ×15, first 2 shown]
	v_mov_b32_e32 v1, 0
	s_mov_b32 s0, -1
	s_cbranch_scc1 .LBB78_14
; %bb.4:
	v_cmp_eq_u32_e64 s0, 0, v0
	s_and_saveexec_b32 s1, s0
; %bb.5:
	v_mov_b32_e32 v32, 0
	ds_write_b32 v32, v32 offset:120
; %bb.6:
	s_or_b32 exec_lo, exec_lo, s1
	v_cmp_eq_u32_e32 vcc_lo, 1, v0
	s_mov_b32 s2, exec_lo
	s_waitcnt vmcnt(0) lgkmcnt(0)
	s_barrier
	buffer_gl0_inv
	v_cndmask_b32_e32 v32, v3, v5, vcc_lo
	v_cndmask_b32_e32 v33, v2, v4, vcc_lo
	v_cmp_eq_u32_e32 vcc_lo, 2, v0
	v_cndmask_b32_e32 v32, v32, v7, vcc_lo
	v_cndmask_b32_e32 v33, v33, v6, vcc_lo
	v_cmp_eq_u32_e32 vcc_lo, 3, v0
	;; [unrolled: 3-line block ×13, first 2 shown]
	v_cndmask_b32_e32 v33, v32, v31, vcc_lo
	v_cndmask_b32_e32 v32, v35, v30, vcc_lo
	v_cmpx_eq_f64_e32 0, v[32:33]
	s_cbranch_execz .LBB78_10
; %bb.7:
	v_mov_b32_e32 v35, 0
	s_mov_b32 s3, 0
	ds_read_b32 v36, v35 offset:120
	s_waitcnt lgkmcnt(0)
	v_readfirstlane_b32 s1, v36
	v_add_nc_u32_e32 v36, 1, v0
	s_cmp_eq_u32 s1, 0
	v_cmp_gt_i32_e32 vcc_lo, s1, v36
	s_cselect_b32 s4, -1, 0
	s_or_b32 s4, s4, vcc_lo
	s_and_b32 exec_lo, exec_lo, s4
	s_cbranch_execz .LBB78_10
; %bb.8:
	v_mov_b32_e32 v37, s1
.LBB78_9:                               ; =>This Inner Loop Header: Depth=1
	ds_cmpst_rtn_b32 v37, v35, v37, v36 offset:120
	s_waitcnt lgkmcnt(0)
	v_cmp_ne_u32_e32 vcc_lo, 0, v37
	v_cmp_le_i32_e64 s1, v37, v36
	s_and_b32 s1, vcc_lo, s1
	s_and_b32 s1, exec_lo, s1
	s_or_b32 s3, s1, s3
	s_andn2_b32 exec_lo, exec_lo, s3
	s_cbranch_execnz .LBB78_9
.LBB78_10:
	s_or_b32 exec_lo, exec_lo, s2
	v_mov_b32_e32 v35, 0
	s_barrier
	buffer_gl0_inv
	ds_read_b32 v36, v35 offset:120
	s_and_saveexec_b32 s1, s0
	s_cbranch_execz .LBB78_12
; %bb.11:
	s_lshl_b64 s[2:3], s[6:7], 2
	s_add_u32 s2, s18, s2
	s_addc_u32 s3, s19, s3
	s_waitcnt lgkmcnt(0)
	global_store_dword v35, v36, s[2:3]
.LBB78_12:
	s_or_b32 exec_lo, exec_lo, s1
	s_waitcnt lgkmcnt(0)
	v_cmp_ne_u32_e32 vcc_lo, 0, v36
	s_cbranch_vccz .LBB78_17
; %bb.13:
	s_mov_b32 s0, 0
                                        ; implicit-def: $vgpr2_vgpr3_vgpr4_vgpr5_vgpr6_vgpr7_vgpr8_vgpr9_vgpr10_vgpr11_vgpr12_vgpr13_vgpr14_vgpr15_vgpr16_vgpr17_vgpr18_vgpr19_vgpr20_vgpr21_vgpr22_vgpr23_vgpr24_vgpr25_vgpr26_vgpr27_vgpr28_vgpr29_vgpr30_vgpr31_vgpr32_vgpr33
.LBB78_14:
	s_and_b32 vcc_lo, exec_lo, s0
	s_cbranch_vccz .LBB78_16
.LBB78_15:
	s_lshl_b64 s[0:1], s[6:7], 2
	v_mov_b32_e32 v1, 0
	s_add_u32 s0, s18, s0
	s_addc_u32 s1, s19, s1
	global_load_dword v1, v1, s[0:1]
	s_waitcnt vmcnt(0)
	v_cmp_ne_u32_e32 vcc_lo, 0, v1
	s_cbranch_vccz .LBB78_84
.LBB78_16:
	s_endpgm
.LBB78_17:
	v_div_scale_f64 v[35:36], null, v[32:33], v[32:33], 1.0
	v_div_scale_f64 v[41:42], vcc_lo, 1.0, v[32:33], 1.0
	v_cmp_eq_u32_e64 s1, 13, v0
	v_cmp_eq_u32_e64 s2, 12, v0
	;; [unrolled: 1-line block ×14, first 2 shown]
	v_rcp_f64_e32 v[37:38], v[35:36]
	v_fma_f64 v[39:40], -v[35:36], v[37:38], 1.0
	v_fma_f64 v[37:38], v[37:38], v[39:40], v[37:38]
	v_fma_f64 v[39:40], -v[35:36], v[37:38], 1.0
	v_fma_f64 v[37:38], v[37:38], v[39:40], v[37:38]
	v_mul_f64 v[39:40], v[41:42], v[37:38]
	v_fma_f64 v[35:36], -v[35:36], v[39:40], v[41:42]
	v_div_fmas_f64 v[35:36], v[35:36], v[37:38], v[39:40]
	v_cmp_eq_u32_e32 vcc_lo, 14, v0
	v_div_fixup_f64 v[32:33], v[35:36], v[32:33], 1.0
	v_add_nc_u32_e32 v36, 0x80, v34
	v_cndmask_b32_e32 v31, v31, v33, vcc_lo
	v_cndmask_b32_e32 v30, v30, v32, vcc_lo
	v_cndmask_b32_e64 v29, v29, v33, s1
	v_cndmask_b32_e64 v28, v28, v32, s1
	;; [unrolled: 1-line block ×24, first 2 shown]
	v_xor_b32_e32 v38, 0x80000000, v33
	v_mov_b32_e32 v37, v32
	v_cndmask_b32_e64 v7, v7, v33, s14
	v_cndmask_b32_e64 v6, v6, v32, s14
	;; [unrolled: 1-line block ×4, first 2 shown]
	ds_write2_b64 v34, v[37:38], v[4:5] offset1:16
	s_waitcnt lgkmcnt(0)
	s_waitcnt_vscnt null, 0x0
	s_barrier
	buffer_gl0_inv
	s_and_saveexec_b32 s1, s0
	s_cbranch_execz .LBB78_19
; %bb.18:
	ds_read_b64 v[4:5], v36
	v_mov_b32_e32 v34, 0
	ds_read_b64 v[34:35], v34 offset:8
	s_waitcnt lgkmcnt(1)
	v_fma_f64 v[4:5], v[32:33], v[4:5], 0
	s_waitcnt lgkmcnt(0)
	v_mul_f64 v[4:5], v[4:5], v[34:35]
.LBB78_19:
	s_or_b32 exec_lo, exec_lo, s1
	v_cmp_gt_u32_e32 vcc_lo, 2, v0
	s_barrier
	buffer_gl0_inv
	ds_write_b64 v36, v[6:7]
	s_waitcnt lgkmcnt(0)
	s_barrier
	buffer_gl0_inv
	s_and_saveexec_b32 s3, vcc_lo
	s_cbranch_execz .LBB78_23
; %bb.20:
	v_cmp_eq_u32_e64 s1, 1, v0
	v_cmp_eq_u32_e64 s2, 12, v0
	v_cndmask_b32_e64 v32, v3, v5, s1
	v_cndmask_b32_e64 v33, v2, v4, s1
	v_cmp_eq_u32_e64 s1, 2, v0
	v_cndmask_b32_e64 v7, v32, v7, s1
	v_cndmask_b32_e64 v6, v33, v6, s1
	v_cmp_eq_u32_e64 s1, 3, v0
	v_cndmask_b32_e64 v7, v7, v9, s1
	v_cndmask_b32_e64 v6, v6, v8, s1
	v_cmp_eq_u32_e64 s1, 4, v0
	v_cndmask_b32_e64 v7, v7, v11, s1
	v_cndmask_b32_e64 v6, v6, v10, s1
	v_cmp_eq_u32_e64 s1, 5, v0
	v_cndmask_b32_e64 v7, v7, v13, s1
	v_cndmask_b32_e64 v6, v6, v12, s1
	v_cmp_eq_u32_e64 s1, 6, v0
	v_cndmask_b32_e64 v7, v7, v15, s1
	v_cndmask_b32_e64 v6, v6, v14, s1
	v_cmp_eq_u32_e64 s1, 7, v0
	v_cndmask_b32_e64 v7, v7, v17, s1
	v_cndmask_b32_e64 v6, v6, v16, s1
	v_cmp_eq_u32_e64 s1, 8, v0
	v_cndmask_b32_e64 v7, v7, v19, s1
	v_cndmask_b32_e64 v6, v6, v18, s1
	v_cmp_eq_u32_e64 s1, 9, v0
	v_cndmask_b32_e64 v7, v7, v21, s1
	v_cndmask_b32_e64 v6, v6, v20, s1
	v_cmp_eq_u32_e64 s1, 10, v0
	v_cndmask_b32_e64 v7, v7, v23, s1
	v_cndmask_b32_e64 v6, v6, v22, s1
	v_cmp_eq_u32_e64 s1, 11, v0
	v_cndmask_b32_e64 v32, v7, v25, s1
	v_cndmask_b32_e64 v33, v6, v24, s1
	ds_read_b64 v[6:7], v36
	v_cmp_eq_u32_e64 s1, 13, v0
	v_cndmask_b32_e64 v32, v32, v27, s2
	v_cndmask_b32_e64 v33, v33, v26, s2
	;; [unrolled: 1-line block ×4, first 2 shown]
	v_cmp_eq_u32_e64 s1, 14, v0
	v_cndmask_b32_e64 v33, v32, v31, s1
	v_cndmask_b32_e64 v32, v34, v30, s1
	s_waitcnt lgkmcnt(0)
	v_fma_f64 v[6:7], v[32:33], v[6:7], 0
	s_and_saveexec_b32 s1, s0
	s_cbranch_execz .LBB78_22
; %bb.21:
	v_mov_b32_e32 v32, 0
	ds_read_b64 v[32:33], v32 offset:136
	s_waitcnt lgkmcnt(0)
	v_fma_f64 v[6:7], v[4:5], v[32:33], v[6:7]
.LBB78_22:
	s_or_b32 exec_lo, exec_lo, s1
	v_mov_b32_e32 v32, 0
	ds_read_b64 v[32:33], v32 offset:16
	s_waitcnt lgkmcnt(0)
	v_mul_f64 v[6:7], v[6:7], v[32:33]
.LBB78_23:
	s_or_b32 exec_lo, exec_lo, s3
	s_mov_b32 s3, exec_lo
	s_barrier
	buffer_gl0_inv
	ds_write_b64 v36, v[8:9]
	s_waitcnt lgkmcnt(0)
	s_barrier
	buffer_gl0_inv
	v_cmpx_gt_u32_e32 3, v0
	s_cbranch_execz .LBB78_27
; %bb.24:
	v_mov_b32_e32 v32, 0
	v_mov_b32_e32 v35, v1
	v_lshl_add_u32 v37, v0, 3, 0x80
	v_mov_b32_e32 v33, 0
	v_mov_b32_e32 v34, v0
	s_mov_b32 s4, 0
.LBB78_25:                              ; =>This Inner Loop Header: Depth=1
	v_cmp_eq_u32_e64 s1, 1, v34
	v_cmp_eq_u32_e64 s2, 2, v34
	v_cndmask_b32_e64 v38, v3, v5, s1
	v_cndmask_b32_e64 v39, v2, v4, s1
	v_cmp_eq_u32_e64 s1, 3, v34
	v_cndmask_b32_e64 v38, v38, v7, s2
	v_cndmask_b32_e64 v39, v39, v6, s2
	;; [unrolled: 3-line block ×10, first 2 shown]
	ds_read_b64 v[38:39], v37
	v_cmp_eq_u32_e64 s2, 12, v34
	v_add_nc_u32_e32 v37, 8, v37
	v_cndmask_b32_e64 v40, v40, v25, s1
	v_cndmask_b32_e64 v41, v41, v24, s1
	v_cmp_eq_u32_e64 s1, 13, v34
	v_cndmask_b32_e64 v40, v40, v27, s2
	v_cndmask_b32_e64 v41, v41, v26, s2
	v_cmp_eq_u32_e64 s2, 14, v34
	v_cndmask_b32_e64 v40, v40, v29, s1
	v_cndmask_b32_e64 v42, v41, v28, s1
	v_add_co_u32 v34, s1, v34, 1
	v_add_co_ci_u32_e64 v35, null, 0, v35, s1
	v_cndmask_b32_e64 v41, v40, v31, s2
	v_cndmask_b32_e64 v40, v42, v30, s2
	s_waitcnt lgkmcnt(0)
	v_fma_f64 v[32:33], v[40:41], v[38:39], v[32:33]
	v_add_nc_u32_e32 v38, -1, v34
	v_cmp_lt_u32_e64 s1, 1, v38
	s_or_b32 s4, s1, s4
	s_andn2_b32 exec_lo, exec_lo, s4
	s_cbranch_execnz .LBB78_25
; %bb.26:
	s_or_b32 exec_lo, exec_lo, s4
	v_mov_b32_e32 v8, 0
	ds_read_b64 v[8:9], v8 offset:24
	s_waitcnt lgkmcnt(0)
	v_mul_f64 v[8:9], v[32:33], v[8:9]
.LBB78_27:
	s_or_b32 exec_lo, exec_lo, s3
	v_cmp_gt_u32_e64 s1, 4, v0
	s_barrier
	buffer_gl0_inv
	ds_write_b64 v36, v[10:11]
	s_waitcnt lgkmcnt(0)
	s_barrier
	buffer_gl0_inv
	s_and_saveexec_b32 s4, s1
	s_cbranch_execz .LBB78_31
; %bb.28:
	v_mov_b32_e32 v32, 0
	v_mov_b32_e32 v35, v1
	v_lshl_add_u32 v37, v0, 3, 0x80
	v_mov_b32_e32 v33, 0
	v_mov_b32_e32 v34, v0
	s_mov_b32 s5, 0
.LBB78_29:                              ; =>This Inner Loop Header: Depth=1
	v_cmp_eq_u32_e64 s2, 1, v34
	v_cmp_eq_u32_e64 s3, 2, v34
	v_cndmask_b32_e64 v38, v3, v5, s2
	v_cndmask_b32_e64 v39, v2, v4, s2
	v_cmp_eq_u32_e64 s2, 3, v34
	v_cndmask_b32_e64 v38, v38, v7, s3
	v_cndmask_b32_e64 v39, v39, v6, s3
	;; [unrolled: 3-line block ×10, first 2 shown]
	ds_read_b64 v[38:39], v37
	v_cmp_eq_u32_e64 s3, 12, v34
	v_add_nc_u32_e32 v37, 8, v37
	v_cndmask_b32_e64 v40, v40, v25, s2
	v_cndmask_b32_e64 v41, v41, v24, s2
	v_cmp_eq_u32_e64 s2, 13, v34
	v_cndmask_b32_e64 v40, v40, v27, s3
	v_cndmask_b32_e64 v41, v41, v26, s3
	v_cmp_eq_u32_e64 s3, 14, v34
	v_cndmask_b32_e64 v40, v40, v29, s2
	v_cndmask_b32_e64 v42, v41, v28, s2
	v_add_co_u32 v34, s2, v34, 1
	v_add_co_ci_u32_e64 v35, null, 0, v35, s2
	v_cndmask_b32_e64 v41, v40, v31, s3
	v_cndmask_b32_e64 v40, v42, v30, s3
	s_waitcnt lgkmcnt(0)
	v_fma_f64 v[32:33], v[40:41], v[38:39], v[32:33]
	v_add_nc_u32_e32 v38, -1, v34
	v_cmp_lt_u32_e64 s2, 2, v38
	s_or_b32 s5, s2, s5
	s_andn2_b32 exec_lo, exec_lo, s5
	s_cbranch_execnz .LBB78_29
; %bb.30:
	s_or_b32 exec_lo, exec_lo, s5
	v_mov_b32_e32 v10, 0
	ds_read_b64 v[10:11], v10 offset:32
	s_waitcnt lgkmcnt(0)
	v_mul_f64 v[10:11], v[32:33], v[10:11]
.LBB78_31:
	s_or_b32 exec_lo, exec_lo, s4
	s_mov_b32 s4, exec_lo
	s_barrier
	buffer_gl0_inv
	ds_write_b64 v36, v[12:13]
	s_waitcnt lgkmcnt(0)
	s_barrier
	buffer_gl0_inv
	v_cmpx_gt_u32_e32 5, v0
	s_cbranch_execz .LBB78_35
; %bb.32:
	v_mov_b32_e32 v32, 0
	v_mov_b32_e32 v35, v1
	v_lshl_add_u32 v37, v0, 3, 0x80
	v_mov_b32_e32 v33, 0
	v_mov_b32_e32 v34, v0
	s_mov_b32 s5, 0
.LBB78_33:                              ; =>This Inner Loop Header: Depth=1
	v_cmp_eq_u32_e64 s2, 1, v34
	v_cmp_eq_u32_e64 s3, 2, v34
	v_cndmask_b32_e64 v38, v3, v5, s2
	v_cndmask_b32_e64 v39, v2, v4, s2
	v_cmp_eq_u32_e64 s2, 3, v34
	v_cndmask_b32_e64 v38, v38, v7, s3
	v_cndmask_b32_e64 v39, v39, v6, s3
	;; [unrolled: 3-line block ×10, first 2 shown]
	ds_read_b64 v[38:39], v37
	v_cmp_eq_u32_e64 s3, 12, v34
	v_add_nc_u32_e32 v37, 8, v37
	v_cndmask_b32_e64 v40, v40, v25, s2
	v_cndmask_b32_e64 v41, v41, v24, s2
	v_cmp_eq_u32_e64 s2, 13, v34
	v_cndmask_b32_e64 v40, v40, v27, s3
	v_cndmask_b32_e64 v41, v41, v26, s3
	v_cmp_eq_u32_e64 s3, 14, v34
	v_cndmask_b32_e64 v40, v40, v29, s2
	v_cndmask_b32_e64 v42, v41, v28, s2
	v_add_co_u32 v34, s2, v34, 1
	v_add_co_ci_u32_e64 v35, null, 0, v35, s2
	v_cndmask_b32_e64 v41, v40, v31, s3
	v_cndmask_b32_e64 v40, v42, v30, s3
	s_waitcnt lgkmcnt(0)
	v_fma_f64 v[32:33], v[40:41], v[38:39], v[32:33]
	v_add_nc_u32_e32 v38, -1, v34
	v_cmp_lt_u32_e64 s2, 3, v38
	s_or_b32 s5, s2, s5
	s_andn2_b32 exec_lo, exec_lo, s5
	s_cbranch_execnz .LBB78_33
; %bb.34:
	s_or_b32 exec_lo, exec_lo, s5
	v_mov_b32_e32 v12, 0
	ds_read_b64 v[12:13], v12 offset:40
	s_waitcnt lgkmcnt(0)
	v_mul_f64 v[12:13], v[32:33], v[12:13]
.LBB78_35:
	s_or_b32 exec_lo, exec_lo, s4
	v_cmp_gt_u32_e64 s2, 6, v0
	s_barrier
	buffer_gl0_inv
	ds_write_b64 v36, v[14:15]
	s_waitcnt lgkmcnt(0)
	s_barrier
	buffer_gl0_inv
	s_and_saveexec_b32 s5, s2
	s_cbranch_execz .LBB78_39
; %bb.36:
	v_mov_b32_e32 v32, 0
	v_mov_b32_e32 v35, v1
	v_lshl_add_u32 v37, v0, 3, 0x80
	v_mov_b32_e32 v33, 0
	v_mov_b32_e32 v34, v0
	s_mov_b32 s8, 0
.LBB78_37:                              ; =>This Inner Loop Header: Depth=1
	v_cmp_eq_u32_e64 s3, 1, v34
	v_cmp_eq_u32_e64 s4, 2, v34
	v_cndmask_b32_e64 v38, v3, v5, s3
	v_cndmask_b32_e64 v39, v2, v4, s3
	v_cmp_eq_u32_e64 s3, 3, v34
	v_cndmask_b32_e64 v38, v38, v7, s4
	v_cndmask_b32_e64 v39, v39, v6, s4
	;; [unrolled: 3-line block ×10, first 2 shown]
	ds_read_b64 v[38:39], v37
	v_cmp_eq_u32_e64 s4, 12, v34
	v_add_nc_u32_e32 v37, 8, v37
	v_cndmask_b32_e64 v40, v40, v25, s3
	v_cndmask_b32_e64 v41, v41, v24, s3
	v_cmp_eq_u32_e64 s3, 13, v34
	v_cndmask_b32_e64 v40, v40, v27, s4
	v_cndmask_b32_e64 v41, v41, v26, s4
	v_cmp_eq_u32_e64 s4, 14, v34
	v_cndmask_b32_e64 v40, v40, v29, s3
	v_cndmask_b32_e64 v42, v41, v28, s3
	v_add_co_u32 v34, s3, v34, 1
	v_add_co_ci_u32_e64 v35, null, 0, v35, s3
	v_cndmask_b32_e64 v41, v40, v31, s4
	v_cndmask_b32_e64 v40, v42, v30, s4
	s_waitcnt lgkmcnt(0)
	v_fma_f64 v[32:33], v[40:41], v[38:39], v[32:33]
	v_add_nc_u32_e32 v38, -1, v34
	v_cmp_lt_u32_e64 s3, 4, v38
	s_or_b32 s8, s3, s8
	s_andn2_b32 exec_lo, exec_lo, s8
	s_cbranch_execnz .LBB78_37
; %bb.38:
	s_or_b32 exec_lo, exec_lo, s8
	v_mov_b32_e32 v14, 0
	ds_read_b64 v[14:15], v14 offset:48
	s_waitcnt lgkmcnt(0)
	v_mul_f64 v[14:15], v[32:33], v[14:15]
.LBB78_39:
	s_or_b32 exec_lo, exec_lo, s5
	s_mov_b32 s5, exec_lo
	s_barrier
	buffer_gl0_inv
	ds_write_b64 v36, v[16:17]
	s_waitcnt lgkmcnt(0)
	s_barrier
	buffer_gl0_inv
	v_cmpx_gt_u32_e32 7, v0
	s_cbranch_execz .LBB78_43
; %bb.40:
	v_mov_b32_e32 v32, 0
	v_mov_b32_e32 v35, v1
	v_lshl_add_u32 v37, v0, 3, 0x80
	v_mov_b32_e32 v33, 0
	v_mov_b32_e32 v34, v0
	s_mov_b32 s8, 0
.LBB78_41:                              ; =>This Inner Loop Header: Depth=1
	v_cmp_eq_u32_e64 s3, 1, v34
	v_cmp_eq_u32_e64 s4, 2, v34
	v_cndmask_b32_e64 v38, v3, v5, s3
	v_cndmask_b32_e64 v39, v2, v4, s3
	v_cmp_eq_u32_e64 s3, 3, v34
	v_cndmask_b32_e64 v38, v38, v7, s4
	v_cndmask_b32_e64 v39, v39, v6, s4
	;; [unrolled: 3-line block ×10, first 2 shown]
	ds_read_b64 v[38:39], v37
	v_cmp_eq_u32_e64 s4, 12, v34
	v_add_nc_u32_e32 v37, 8, v37
	v_cndmask_b32_e64 v40, v40, v25, s3
	v_cndmask_b32_e64 v41, v41, v24, s3
	v_cmp_eq_u32_e64 s3, 13, v34
	v_cndmask_b32_e64 v40, v40, v27, s4
	v_cndmask_b32_e64 v41, v41, v26, s4
	v_cmp_eq_u32_e64 s4, 14, v34
	v_cndmask_b32_e64 v40, v40, v29, s3
	v_cndmask_b32_e64 v42, v41, v28, s3
	v_add_co_u32 v34, s3, v34, 1
	v_add_co_ci_u32_e64 v35, null, 0, v35, s3
	v_cndmask_b32_e64 v41, v40, v31, s4
	v_cndmask_b32_e64 v40, v42, v30, s4
	s_waitcnt lgkmcnt(0)
	v_fma_f64 v[32:33], v[40:41], v[38:39], v[32:33]
	v_add_nc_u32_e32 v38, -1, v34
	v_cmp_lt_u32_e64 s3, 5, v38
	s_or_b32 s8, s3, s8
	s_andn2_b32 exec_lo, exec_lo, s8
	s_cbranch_execnz .LBB78_41
; %bb.42:
	s_or_b32 exec_lo, exec_lo, s8
	v_mov_b32_e32 v16, 0
	ds_read_b64 v[16:17], v16 offset:56
	s_waitcnt lgkmcnt(0)
	v_mul_f64 v[16:17], v[32:33], v[16:17]
.LBB78_43:
	s_or_b32 exec_lo, exec_lo, s5
	s_mov_b32 s5, exec_lo
	s_barrier
	buffer_gl0_inv
	ds_write_b64 v36, v[18:19]
	s_waitcnt lgkmcnt(0)
	s_barrier
	buffer_gl0_inv
	v_cmpx_gt_u32_e32 8, v0
	s_cbranch_execz .LBB78_59
; %bb.44:
	v_cmp_eq_u32_e64 s3, 1, v0
	v_cmp_eq_u32_e64 s4, 12, v0
	s_mov_b32 s8, exec_lo
	v_cndmask_b32_e64 v32, v3, v5, s3
	v_cndmask_b32_e64 v33, v2, v4, s3
	v_cmp_eq_u32_e64 s3, 2, v0
	v_cndmask_b32_e64 v32, v32, v7, s3
	v_cndmask_b32_e64 v33, v33, v6, s3
	v_cmp_eq_u32_e64 s3, 3, v0
	;; [unrolled: 3-line block ×10, first 2 shown]
	v_cndmask_b32_e64 v34, v32, v25, s3
	v_cndmask_b32_e64 v35, v33, v24, s3
	ds_read_b64 v[32:33], v36
	v_cmp_eq_u32_e64 s3, 13, v0
	v_cndmask_b32_e64 v34, v34, v27, s4
	v_cndmask_b32_e64 v35, v35, v26, s4
	;; [unrolled: 1-line block ×4, first 2 shown]
	v_cmp_eq_u32_e64 s3, 14, v0
	v_cndmask_b32_e64 v35, v34, v31, s3
	v_cndmask_b32_e64 v34, v37, v30, s3
	s_waitcnt lgkmcnt(0)
	v_fma_f64 v[32:33], v[34:35], v[32:33], 0
	v_cmpx_ne_u32_e32 7, v0
	s_cbranch_execz .LBB78_58
; %bb.45:
	v_add_nc_u32_e32 v37, 1, v0
	v_cmp_eq_u32_e64 s3, 1, v37
	v_cmp_eq_u32_e64 s4, 12, v37
	v_cndmask_b32_e64 v34, v3, v5, s3
	v_cndmask_b32_e64 v35, v2, v4, s3
	v_cmp_eq_u32_e64 s3, 2, v37
	v_cndmask_b32_e64 v34, v34, v7, s3
	v_cndmask_b32_e64 v35, v35, v6, s3
	v_cmp_eq_u32_e64 s3, 3, v37
	v_cndmask_b32_e64 v34, v34, v9, s3
	v_cndmask_b32_e64 v35, v35, v8, s3
	v_cmp_eq_u32_e64 s3, 4, v37
	v_cndmask_b32_e64 v34, v34, v11, s3
	v_cndmask_b32_e64 v35, v35, v10, s3
	v_cmp_eq_u32_e64 s3, 5, v37
	v_cndmask_b32_e64 v34, v34, v13, s3
	v_cndmask_b32_e64 v35, v35, v12, s3
	v_cmp_eq_u32_e64 s3, 6, v37
	v_cndmask_b32_e64 v34, v34, v15, s3
	v_cndmask_b32_e64 v35, v35, v14, s3
	v_cmp_eq_u32_e64 s3, 7, v37
	v_cndmask_b32_e64 v34, v34, v17, s3
	v_cndmask_b32_e64 v35, v35, v16, s3
	v_cmp_eq_u32_e64 s3, 8, v37
	v_cndmask_b32_e64 v34, v34, v19, s3
	v_cndmask_b32_e64 v35, v35, v18, s3
	v_cmp_eq_u32_e64 s3, 9, v37
	v_cndmask_b32_e64 v34, v34, v21, s3
	v_cndmask_b32_e64 v35, v35, v20, s3
	v_cmp_eq_u32_e64 s3, 10, v37
	v_cndmask_b32_e64 v34, v34, v23, s3
	v_cndmask_b32_e64 v35, v35, v22, s3
	v_cmp_eq_u32_e64 s3, 11, v37
	v_cndmask_b32_e64 v38, v34, v25, s3
	v_cndmask_b32_e64 v39, v35, v24, s3
	ds_read_b64 v[34:35], v36 offset:8
	v_cmp_eq_u32_e64 s3, 13, v37
	v_cndmask_b32_e64 v38, v38, v27, s4
	v_cndmask_b32_e64 v39, v39, v26, s4
	v_cndmask_b32_e64 v38, v38, v29, s3
	v_cndmask_b32_e64 v39, v39, v28, s3
	v_cmp_eq_u32_e64 s3, 14, v37
	v_cndmask_b32_e64 v38, v38, v31, s3
	v_cndmask_b32_e64 v37, v39, v30, s3
	s_waitcnt lgkmcnt(0)
	v_fma_f64 v[32:33], v[37:38], v[34:35], v[32:33]
	s_and_saveexec_b32 s4, s2
	s_cbranch_execz .LBB78_57
; %bb.46:
	v_add_nc_u32_e32 v37, 2, v0
	s_mov_b32 s9, exec_lo
	v_cmp_eq_u32_e64 s2, 1, v37
	v_cmp_eq_u32_e64 s3, 12, v37
	v_cndmask_b32_e64 v34, v3, v5, s2
	v_cndmask_b32_e64 v35, v2, v4, s2
	v_cmp_eq_u32_e64 s2, 2, v37
	v_cndmask_b32_e64 v34, v34, v7, s2
	v_cndmask_b32_e64 v35, v35, v6, s2
	;; [unrolled: 3-line block ×11, first 2 shown]
	ds_read_b64 v[34:35], v36 offset:16
	v_cmp_eq_u32_e64 s2, 13, v37
	v_cndmask_b32_e64 v38, v38, v27, s3
	v_cndmask_b32_e64 v39, v39, v26, s3
	;; [unrolled: 1-line block ×4, first 2 shown]
	v_cmp_eq_u32_e64 s2, 14, v37
	v_cndmask_b32_e64 v38, v38, v31, s2
	v_cndmask_b32_e64 v37, v39, v30, s2
	s_waitcnt lgkmcnt(0)
	v_fma_f64 v[32:33], v[37:38], v[34:35], v[32:33]
	v_cmpx_ne_u32_e32 5, v0
	s_cbranch_execz .LBB78_56
; %bb.47:
	v_add_nc_u32_e32 v37, 3, v0
	v_cmp_eq_u32_e64 s2, 1, v37
	v_cmp_eq_u32_e64 s3, 12, v37
	v_cndmask_b32_e64 v34, v3, v5, s2
	v_cndmask_b32_e64 v35, v2, v4, s2
	v_cmp_eq_u32_e64 s2, 2, v37
	v_cndmask_b32_e64 v34, v34, v7, s2
	v_cndmask_b32_e64 v35, v35, v6, s2
	;; [unrolled: 3-line block ×11, first 2 shown]
	ds_read_b64 v[34:35], v36 offset:24
	v_cmp_eq_u32_e64 s2, 13, v37
	v_cndmask_b32_e64 v38, v38, v27, s3
	v_cndmask_b32_e64 v39, v39, v26, s3
	;; [unrolled: 1-line block ×4, first 2 shown]
	v_cmp_eq_u32_e64 s2, 14, v37
	v_cndmask_b32_e64 v38, v38, v31, s2
	v_cndmask_b32_e64 v37, v39, v30, s2
	s_waitcnt lgkmcnt(0)
	v_fma_f64 v[32:33], v[37:38], v[34:35], v[32:33]
	s_and_saveexec_b32 s3, s1
	s_cbranch_execz .LBB78_55
; %bb.48:
	v_or_b32_e32 v37, 4, v0
	s_mov_b32 s10, exec_lo
	v_cmp_eq_u32_e64 s1, 1, v37
	v_cmp_eq_u32_e64 s2, 12, v37
	v_cndmask_b32_e64 v34, v3, v5, s1
	v_cndmask_b32_e64 v35, v2, v4, s1
	v_cmp_eq_u32_e64 s1, 2, v37
	v_cndmask_b32_e64 v34, v34, v7, s1
	v_cndmask_b32_e64 v35, v35, v6, s1
	;; [unrolled: 3-line block ×11, first 2 shown]
	ds_read_b64 v[34:35], v36 offset:32
	v_cmp_eq_u32_e64 s1, 13, v37
	v_cndmask_b32_e64 v38, v38, v27, s2
	v_cndmask_b32_e64 v39, v39, v26, s2
	v_cndmask_b32_e64 v38, v38, v29, s1
	v_cndmask_b32_e64 v39, v39, v28, s1
	v_cmp_eq_u32_e64 s1, 14, v37
	v_cndmask_b32_e64 v38, v38, v31, s1
	v_cndmask_b32_e64 v37, v39, v30, s1
	s_waitcnt lgkmcnt(0)
	v_fma_f64 v[32:33], v[37:38], v[34:35], v[32:33]
	v_cmpx_ne_u32_e32 3, v0
	s_cbranch_execz .LBB78_54
; %bb.49:
	v_add_nc_u32_e32 v37, 5, v0
	v_cmp_eq_u32_e64 s1, 1, v37
	v_cmp_eq_u32_e64 s2, 12, v37
	v_cndmask_b32_e64 v34, v3, v5, s1
	v_cndmask_b32_e64 v35, v2, v4, s1
	v_cmp_eq_u32_e64 s1, 2, v37
	v_cndmask_b32_e64 v34, v34, v7, s1
	v_cndmask_b32_e64 v35, v35, v6, s1
	;; [unrolled: 3-line block ×11, first 2 shown]
	ds_read_b64 v[34:35], v36 offset:40
	v_cmp_eq_u32_e64 s1, 13, v37
	v_cndmask_b32_e64 v38, v38, v27, s2
	v_cndmask_b32_e64 v39, v39, v26, s2
	;; [unrolled: 1-line block ×4, first 2 shown]
	v_cmp_eq_u32_e64 s1, 14, v37
	v_cndmask_b32_e64 v38, v38, v31, s1
	v_cndmask_b32_e64 v37, v39, v30, s1
	s_waitcnt lgkmcnt(0)
	v_fma_f64 v[32:33], v[37:38], v[34:35], v[32:33]
	s_and_saveexec_b32 s2, vcc_lo
	s_cbranch_execz .LBB78_53
; %bb.50:
	v_or_b32_e32 v34, 6, v0
	v_cmp_eq_u32_e32 vcc_lo, 1, v34
	v_cmp_eq_u32_e64 s1, 12, v34
	v_cndmask_b32_e32 v35, v3, v5, vcc_lo
	v_cndmask_b32_e32 v37, v2, v4, vcc_lo
	v_cmp_eq_u32_e32 vcc_lo, 2, v34
	v_cndmask_b32_e32 v35, v35, v7, vcc_lo
	v_cndmask_b32_e32 v37, v37, v6, vcc_lo
	v_cmp_eq_u32_e32 vcc_lo, 3, v34
	;; [unrolled: 3-line block ×10, first 2 shown]
	v_cndmask_b32_e32 v35, v19, v25, vcc_lo
	v_cndmask_b32_e32 v37, v18, v24, vcc_lo
	ds_read_b64 v[18:19], v36 offset:48
	v_cmp_eq_u32_e32 vcc_lo, 13, v34
	v_cndmask_b32_e64 v35, v35, v27, s1
	v_cndmask_b32_e64 v37, v37, v26, s1
	v_cndmask_b32_e32 v35, v35, v29, vcc_lo
	v_cndmask_b32_e32 v37, v37, v28, vcc_lo
	v_cmp_eq_u32_e32 vcc_lo, 14, v34
	v_cndmask_b32_e32 v35, v35, v31, vcc_lo
	v_cndmask_b32_e32 v34, v37, v30, vcc_lo
	s_waitcnt lgkmcnt(0)
	v_fma_f64 v[32:33], v[34:35], v[18:19], v[32:33]
	s_and_saveexec_b32 s1, s0
	s_cbranch_execz .LBB78_52
; %bb.51:
	ds_read_b64 v[18:19], v36 offset:56
	s_waitcnt lgkmcnt(0)
	v_fma_f64 v[32:33], v[16:17], v[18:19], v[32:33]
.LBB78_52:
	s_or_b32 exec_lo, exec_lo, s1
.LBB78_53:
	s_or_b32 exec_lo, exec_lo, s2
.LBB78_54:
	s_or_b32 exec_lo, exec_lo, s10
.LBB78_55:
	s_or_b32 exec_lo, exec_lo, s3
.LBB78_56:
	s_or_b32 exec_lo, exec_lo, s9
.LBB78_57:
	s_or_b32 exec_lo, exec_lo, s4
.LBB78_58:
	s_or_b32 exec_lo, exec_lo, s8
	v_mov_b32_e32 v18, 0
	ds_read_b64 v[18:19], v18 offset:64
	s_waitcnt lgkmcnt(0)
	v_mul_f64 v[18:19], v[32:33], v[18:19]
.LBB78_59:
	s_or_b32 exec_lo, exec_lo, s5
	s_mov_b32 s1, exec_lo
	s_barrier
	buffer_gl0_inv
	ds_write_b64 v36, v[20:21]
	s_waitcnt lgkmcnt(0)
	s_barrier
	buffer_gl0_inv
	v_cmpx_gt_u32_e32 9, v0
	s_cbranch_execz .LBB78_63
; %bb.60:
	v_mov_b32_e32 v32, 0
	v_mov_b32_e32 v35, v1
	v_lshl_add_u32 v37, v0, 3, 0x80
	v_mov_b32_e32 v33, 0
	v_mov_b32_e32 v34, v0
	s_mov_b32 s2, 0
.LBB78_61:                              ; =>This Inner Loop Header: Depth=1
	v_cmp_eq_u32_e32 vcc_lo, 1, v34
	v_cmp_eq_u32_e64 s0, 2, v34
	v_cndmask_b32_e32 v38, v3, v5, vcc_lo
	v_cndmask_b32_e32 v39, v2, v4, vcc_lo
	v_cmp_eq_u32_e32 vcc_lo, 3, v34
	v_cndmask_b32_e64 v38, v38, v7, s0
	v_cndmask_b32_e64 v39, v39, v6, s0
	v_cmp_eq_u32_e64 s0, 4, v34
	v_cndmask_b32_e32 v38, v38, v9, vcc_lo
	v_cndmask_b32_e32 v39, v39, v8, vcc_lo
	v_cmp_eq_u32_e32 vcc_lo, 5, v34
	v_cndmask_b32_e64 v38, v38, v11, s0
	v_cndmask_b32_e64 v39, v39, v10, s0
	;; [unrolled: 6-line block ×5, first 2 shown]
	ds_read_b64 v[38:39], v37
	v_cmp_eq_u32_e64 s0, 12, v34
	v_add_nc_u32_e32 v37, 8, v37
	v_cndmask_b32_e32 v40, v40, v25, vcc_lo
	v_cndmask_b32_e32 v41, v41, v24, vcc_lo
	v_cmp_eq_u32_e32 vcc_lo, 13, v34
	v_cndmask_b32_e64 v40, v40, v27, s0
	v_cndmask_b32_e64 v41, v41, v26, s0
	v_cmp_eq_u32_e64 s0, 14, v34
	v_cndmask_b32_e32 v40, v40, v29, vcc_lo
	v_cndmask_b32_e32 v42, v41, v28, vcc_lo
	v_add_co_u32 v34, vcc_lo, v34, 1
	v_add_co_ci_u32_e64 v35, null, 0, v35, vcc_lo
	v_cndmask_b32_e64 v41, v40, v31, s0
	v_cndmask_b32_e64 v40, v42, v30, s0
	s_waitcnt lgkmcnt(0)
	v_fma_f64 v[32:33], v[40:41], v[38:39], v[32:33]
	v_add_nc_u32_e32 v38, -1, v34
	v_cmp_lt_u32_e32 vcc_lo, 7, v38
	s_or_b32 s2, vcc_lo, s2
	s_andn2_b32 exec_lo, exec_lo, s2
	s_cbranch_execnz .LBB78_61
; %bb.62:
	s_or_b32 exec_lo, exec_lo, s2
	v_mov_b32_e32 v20, 0
	ds_read_b64 v[20:21], v20 offset:72
	s_waitcnt lgkmcnt(0)
	v_mul_f64 v[20:21], v[32:33], v[20:21]
.LBB78_63:
	s_or_b32 exec_lo, exec_lo, s1
	s_mov_b32 s1, exec_lo
	s_barrier
	buffer_gl0_inv
	ds_write_b64 v36, v[22:23]
	s_waitcnt lgkmcnt(0)
	s_barrier
	buffer_gl0_inv
	v_cmpx_gt_u32_e32 10, v0
	s_cbranch_execz .LBB78_67
; %bb.64:
	v_mov_b32_e32 v32, 0
	v_mov_b32_e32 v35, v1
	v_lshl_add_u32 v37, v0, 3, 0x80
	v_mov_b32_e32 v33, 0
	v_mov_b32_e32 v34, v0
	s_mov_b32 s2, 0
.LBB78_65:                              ; =>This Inner Loop Header: Depth=1
	v_cmp_eq_u32_e32 vcc_lo, 1, v34
	v_cmp_eq_u32_e64 s0, 2, v34
	v_cndmask_b32_e32 v38, v3, v5, vcc_lo
	v_cndmask_b32_e32 v39, v2, v4, vcc_lo
	v_cmp_eq_u32_e32 vcc_lo, 3, v34
	v_cndmask_b32_e64 v38, v38, v7, s0
	v_cndmask_b32_e64 v39, v39, v6, s0
	v_cmp_eq_u32_e64 s0, 4, v34
	v_cndmask_b32_e32 v38, v38, v9, vcc_lo
	v_cndmask_b32_e32 v39, v39, v8, vcc_lo
	v_cmp_eq_u32_e32 vcc_lo, 5, v34
	v_cndmask_b32_e64 v38, v38, v11, s0
	v_cndmask_b32_e64 v39, v39, v10, s0
	;; [unrolled: 6-line block ×5, first 2 shown]
	ds_read_b64 v[38:39], v37
	v_cmp_eq_u32_e64 s0, 12, v34
	v_add_nc_u32_e32 v37, 8, v37
	v_cndmask_b32_e32 v40, v40, v25, vcc_lo
	v_cndmask_b32_e32 v41, v41, v24, vcc_lo
	v_cmp_eq_u32_e32 vcc_lo, 13, v34
	v_cndmask_b32_e64 v40, v40, v27, s0
	v_cndmask_b32_e64 v41, v41, v26, s0
	v_cmp_eq_u32_e64 s0, 14, v34
	v_cndmask_b32_e32 v40, v40, v29, vcc_lo
	v_cndmask_b32_e32 v42, v41, v28, vcc_lo
	v_add_co_u32 v34, vcc_lo, v34, 1
	v_add_co_ci_u32_e64 v35, null, 0, v35, vcc_lo
	v_cndmask_b32_e64 v41, v40, v31, s0
	v_cndmask_b32_e64 v40, v42, v30, s0
	s_waitcnt lgkmcnt(0)
	v_fma_f64 v[32:33], v[40:41], v[38:39], v[32:33]
	v_add_nc_u32_e32 v38, -1, v34
	v_cmp_lt_u32_e32 vcc_lo, 8, v38
	s_or_b32 s2, vcc_lo, s2
	s_andn2_b32 exec_lo, exec_lo, s2
	s_cbranch_execnz .LBB78_65
; %bb.66:
	s_or_b32 exec_lo, exec_lo, s2
	v_mov_b32_e32 v22, 0
	ds_read_b64 v[22:23], v22 offset:80
	s_waitcnt lgkmcnt(0)
	v_mul_f64 v[22:23], v[32:33], v[22:23]
.LBB78_67:
	s_or_b32 exec_lo, exec_lo, s1
	s_mov_b32 s1, exec_lo
	s_barrier
	buffer_gl0_inv
	ds_write_b64 v36, v[24:25]
	s_waitcnt lgkmcnt(0)
	s_barrier
	buffer_gl0_inv
	v_cmpx_gt_u32_e32 11, v0
	s_cbranch_execz .LBB78_71
; %bb.68:
	v_mov_b32_e32 v32, 0
	v_mov_b32_e32 v35, v1
	v_lshl_add_u32 v37, v0, 3, 0x80
	v_mov_b32_e32 v33, 0
	v_mov_b32_e32 v34, v0
	s_mov_b32 s2, 0
.LBB78_69:                              ; =>This Inner Loop Header: Depth=1
	v_cmp_eq_u32_e32 vcc_lo, 1, v34
	v_cmp_eq_u32_e64 s0, 2, v34
	v_cndmask_b32_e32 v38, v3, v5, vcc_lo
	v_cndmask_b32_e32 v39, v2, v4, vcc_lo
	v_cmp_eq_u32_e32 vcc_lo, 3, v34
	v_cndmask_b32_e64 v38, v38, v7, s0
	v_cndmask_b32_e64 v39, v39, v6, s0
	v_cmp_eq_u32_e64 s0, 4, v34
	v_cndmask_b32_e32 v38, v38, v9, vcc_lo
	v_cndmask_b32_e32 v39, v39, v8, vcc_lo
	v_cmp_eq_u32_e32 vcc_lo, 5, v34
	v_cndmask_b32_e64 v38, v38, v11, s0
	v_cndmask_b32_e64 v39, v39, v10, s0
	v_cmp_eq_u32_e64 s0, 6, v34
	v_cndmask_b32_e32 v38, v38, v13, vcc_lo
	v_cndmask_b32_e32 v39, v39, v12, vcc_lo
	v_cmp_eq_u32_e32 vcc_lo, 7, v34
	v_cndmask_b32_e64 v38, v38, v15, s0
	v_cndmask_b32_e64 v39, v39, v14, s0
	v_cmp_eq_u32_e64 s0, 8, v34
	v_cndmask_b32_e32 v38, v38, v17, vcc_lo
	v_cndmask_b32_e32 v39, v39, v16, vcc_lo
	v_cmp_eq_u32_e32 vcc_lo, 9, v34
	v_cndmask_b32_e64 v38, v38, v19, s0
	v_cndmask_b32_e64 v39, v39, v18, s0
	v_cmp_eq_u32_e64 s0, 10, v34
	v_cndmask_b32_e32 v38, v38, v21, vcc_lo
	v_cndmask_b32_e32 v39, v39, v20, vcc_lo
	v_cmp_eq_u32_e32 vcc_lo, 11, v34
	v_cndmask_b32_e64 v40, v38, v23, s0
	v_cndmask_b32_e64 v41, v39, v22, s0
	ds_read_b64 v[38:39], v37
	v_cmp_eq_u32_e64 s0, 12, v34
	v_add_nc_u32_e32 v37, 8, v37
	v_cndmask_b32_e32 v40, v40, v25, vcc_lo
	v_cndmask_b32_e32 v41, v41, v24, vcc_lo
	v_cmp_eq_u32_e32 vcc_lo, 13, v34
	v_cndmask_b32_e64 v40, v40, v27, s0
	v_cndmask_b32_e64 v41, v41, v26, s0
	v_cmp_eq_u32_e64 s0, 14, v34
	v_cndmask_b32_e32 v40, v40, v29, vcc_lo
	v_cndmask_b32_e32 v42, v41, v28, vcc_lo
	v_add_co_u32 v34, vcc_lo, v34, 1
	v_add_co_ci_u32_e64 v35, null, 0, v35, vcc_lo
	v_cndmask_b32_e64 v41, v40, v31, s0
	v_cndmask_b32_e64 v40, v42, v30, s0
	s_waitcnt lgkmcnt(0)
	v_fma_f64 v[32:33], v[40:41], v[38:39], v[32:33]
	v_add_nc_u32_e32 v38, -1, v34
	v_cmp_lt_u32_e32 vcc_lo, 9, v38
	s_or_b32 s2, vcc_lo, s2
	s_andn2_b32 exec_lo, exec_lo, s2
	s_cbranch_execnz .LBB78_69
; %bb.70:
	s_or_b32 exec_lo, exec_lo, s2
	v_mov_b32_e32 v24, 0
	ds_read_b64 v[24:25], v24 offset:88
	s_waitcnt lgkmcnt(0)
	v_mul_f64 v[24:25], v[32:33], v[24:25]
.LBB78_71:
	s_or_b32 exec_lo, exec_lo, s1
	s_mov_b32 s1, exec_lo
	s_barrier
	buffer_gl0_inv
	ds_write_b64 v36, v[26:27]
	s_waitcnt lgkmcnt(0)
	s_barrier
	buffer_gl0_inv
	v_cmpx_gt_u32_e32 12, v0
	s_cbranch_execz .LBB78_75
; %bb.72:
	v_mov_b32_e32 v32, 0
	v_mov_b32_e32 v35, v1
	v_lshl_add_u32 v37, v0, 3, 0x80
	v_mov_b32_e32 v33, 0
	v_mov_b32_e32 v34, v0
	s_mov_b32 s2, 0
.LBB78_73:                              ; =>This Inner Loop Header: Depth=1
	v_cmp_eq_u32_e32 vcc_lo, 1, v34
	v_cmp_eq_u32_e64 s0, 2, v34
	v_cndmask_b32_e32 v38, v3, v5, vcc_lo
	v_cndmask_b32_e32 v39, v2, v4, vcc_lo
	v_cmp_eq_u32_e32 vcc_lo, 3, v34
	v_cndmask_b32_e64 v38, v38, v7, s0
	v_cndmask_b32_e64 v39, v39, v6, s0
	v_cmp_eq_u32_e64 s0, 4, v34
	v_cndmask_b32_e32 v38, v38, v9, vcc_lo
	v_cndmask_b32_e32 v39, v39, v8, vcc_lo
	v_cmp_eq_u32_e32 vcc_lo, 5, v34
	v_cndmask_b32_e64 v38, v38, v11, s0
	v_cndmask_b32_e64 v39, v39, v10, s0
	;; [unrolled: 6-line block ×5, first 2 shown]
	ds_read_b64 v[38:39], v37
	v_cmp_eq_u32_e64 s0, 12, v34
	v_add_nc_u32_e32 v37, 8, v37
	v_cndmask_b32_e32 v40, v40, v25, vcc_lo
	v_cndmask_b32_e32 v41, v41, v24, vcc_lo
	v_cmp_eq_u32_e32 vcc_lo, 13, v34
	v_cndmask_b32_e64 v40, v40, v27, s0
	v_cndmask_b32_e64 v41, v41, v26, s0
	v_cmp_eq_u32_e64 s0, 14, v34
	v_cndmask_b32_e32 v40, v40, v29, vcc_lo
	v_cndmask_b32_e32 v42, v41, v28, vcc_lo
	v_add_co_u32 v34, vcc_lo, v34, 1
	v_add_co_ci_u32_e64 v35, null, 0, v35, vcc_lo
	v_cndmask_b32_e64 v41, v40, v31, s0
	v_cndmask_b32_e64 v40, v42, v30, s0
	s_waitcnt lgkmcnt(0)
	v_fma_f64 v[32:33], v[40:41], v[38:39], v[32:33]
	v_add_nc_u32_e32 v38, -1, v34
	v_cmp_lt_u32_e32 vcc_lo, 10, v38
	s_or_b32 s2, vcc_lo, s2
	s_andn2_b32 exec_lo, exec_lo, s2
	s_cbranch_execnz .LBB78_73
; %bb.74:
	s_or_b32 exec_lo, exec_lo, s2
	v_mov_b32_e32 v26, 0
	ds_read_b64 v[26:27], v26 offset:96
	s_waitcnt lgkmcnt(0)
	v_mul_f64 v[26:27], v[32:33], v[26:27]
.LBB78_75:
	s_or_b32 exec_lo, exec_lo, s1
	s_mov_b32 s1, exec_lo
	s_barrier
	buffer_gl0_inv
	ds_write_b64 v36, v[28:29]
	s_waitcnt lgkmcnt(0)
	s_barrier
	buffer_gl0_inv
	v_cmpx_gt_u32_e32 13, v0
	s_cbranch_execz .LBB78_79
; %bb.76:
	v_mov_b32_e32 v32, 0
	v_mov_b32_e32 v35, v1
	v_lshl_add_u32 v37, v0, 3, 0x80
	v_mov_b32_e32 v33, 0
	v_mov_b32_e32 v34, v0
	s_mov_b32 s2, 0
.LBB78_77:                              ; =>This Inner Loop Header: Depth=1
	v_cmp_eq_u32_e32 vcc_lo, 1, v34
	v_cmp_eq_u32_e64 s0, 2, v34
	v_cndmask_b32_e32 v38, v3, v5, vcc_lo
	v_cndmask_b32_e32 v39, v2, v4, vcc_lo
	v_cmp_eq_u32_e32 vcc_lo, 3, v34
	v_cndmask_b32_e64 v38, v38, v7, s0
	v_cndmask_b32_e64 v39, v39, v6, s0
	v_cmp_eq_u32_e64 s0, 4, v34
	v_cndmask_b32_e32 v38, v38, v9, vcc_lo
	v_cndmask_b32_e32 v39, v39, v8, vcc_lo
	v_cmp_eq_u32_e32 vcc_lo, 5, v34
	v_cndmask_b32_e64 v38, v38, v11, s0
	v_cndmask_b32_e64 v39, v39, v10, s0
	;; [unrolled: 6-line block ×5, first 2 shown]
	ds_read_b64 v[38:39], v37
	v_cmp_eq_u32_e64 s0, 12, v34
	v_add_nc_u32_e32 v37, 8, v37
	v_cndmask_b32_e32 v40, v40, v25, vcc_lo
	v_cndmask_b32_e32 v41, v41, v24, vcc_lo
	v_cmp_eq_u32_e32 vcc_lo, 13, v34
	v_cndmask_b32_e64 v40, v40, v27, s0
	v_cndmask_b32_e64 v41, v41, v26, s0
	v_cmp_eq_u32_e64 s0, 14, v34
	v_cndmask_b32_e32 v40, v40, v29, vcc_lo
	v_cndmask_b32_e32 v42, v41, v28, vcc_lo
	v_add_co_u32 v34, vcc_lo, v34, 1
	v_add_co_ci_u32_e64 v35, null, 0, v35, vcc_lo
	v_cndmask_b32_e64 v41, v40, v31, s0
	v_cndmask_b32_e64 v40, v42, v30, s0
	s_waitcnt lgkmcnt(0)
	v_fma_f64 v[32:33], v[40:41], v[38:39], v[32:33]
	v_add_nc_u32_e32 v38, -1, v34
	v_cmp_lt_u32_e32 vcc_lo, 11, v38
	s_or_b32 s2, vcc_lo, s2
	s_andn2_b32 exec_lo, exec_lo, s2
	s_cbranch_execnz .LBB78_77
; %bb.78:
	s_or_b32 exec_lo, exec_lo, s2
	v_mov_b32_e32 v28, 0
	ds_read_b64 v[28:29], v28 offset:104
	s_waitcnt lgkmcnt(0)
	v_mul_f64 v[28:29], v[32:33], v[28:29]
.LBB78_79:
	s_or_b32 exec_lo, exec_lo, s1
	s_mov_b32 s1, exec_lo
	s_barrier
	buffer_gl0_inv
	ds_write_b64 v36, v[30:31]
	s_waitcnt lgkmcnt(0)
	s_barrier
	buffer_gl0_inv
	v_cmpx_ne_u32_e32 14, v0
	s_cbranch_execz .LBB78_83
; %bb.80:
	v_mov_b32_e32 v32, 0
	v_mov_b32_e32 v35, v1
	v_lshl_add_u32 v36, v0, 3, 0x80
	v_mov_b32_e32 v33, 0
	v_mov_b32_e32 v34, v0
	s_mov_b32 s2, 0
.LBB78_81:                              ; =>This Inner Loop Header: Depth=1
	v_cmp_eq_u32_e32 vcc_lo, 1, v34
	v_cmp_eq_u32_e64 s0, 2, v34
	v_cndmask_b32_e32 v1, v3, v5, vcc_lo
	v_cndmask_b32_e32 v37, v2, v4, vcc_lo
	v_cmp_eq_u32_e32 vcc_lo, 3, v34
	v_cndmask_b32_e64 v1, v1, v7, s0
	v_cndmask_b32_e64 v37, v37, v6, s0
	v_cmp_eq_u32_e64 s0, 4, v34
	v_cndmask_b32_e32 v1, v1, v9, vcc_lo
	v_cndmask_b32_e32 v37, v37, v8, vcc_lo
	v_cmp_eq_u32_e32 vcc_lo, 5, v34
	v_cndmask_b32_e64 v1, v1, v11, s0
	v_cndmask_b32_e64 v37, v37, v10, s0
	v_cmp_eq_u32_e64 s0, 6, v34
	v_cndmask_b32_e32 v1, v1, v13, vcc_lo
	v_cndmask_b32_e32 v37, v37, v12, vcc_lo
	v_cmp_eq_u32_e32 vcc_lo, 7, v34
	v_cndmask_b32_e64 v1, v1, v15, s0
	v_cndmask_b32_e64 v37, v37, v14, s0
	v_cmp_eq_u32_e64 s0, 8, v34
	v_cndmask_b32_e32 v1, v1, v17, vcc_lo
	v_cndmask_b32_e32 v37, v37, v16, vcc_lo
	v_cmp_eq_u32_e32 vcc_lo, 9, v34
	v_cndmask_b32_e64 v1, v1, v19, s0
	v_cndmask_b32_e64 v37, v37, v18, s0
	v_cmp_eq_u32_e64 s0, 10, v34
	v_cndmask_b32_e32 v1, v1, v21, vcc_lo
	v_cndmask_b32_e32 v37, v37, v20, vcc_lo
	v_cmp_eq_u32_e32 vcc_lo, 11, v34
	v_cndmask_b32_e64 v1, v1, v23, s0
	v_cndmask_b32_e64 v39, v37, v22, s0
	ds_read_b64 v[37:38], v36
	v_cmp_eq_u32_e64 s0, 12, v34
	v_add_nc_u32_e32 v36, 8, v36
	v_cndmask_b32_e32 v1, v1, v25, vcc_lo
	v_cndmask_b32_e32 v39, v39, v24, vcc_lo
	v_cmp_eq_u32_e32 vcc_lo, 13, v34
	v_cndmask_b32_e64 v1, v1, v27, s0
	v_cndmask_b32_e64 v39, v39, v26, s0
	v_cmp_eq_u32_e64 s0, 14, v34
	v_cndmask_b32_e32 v1, v1, v29, vcc_lo
	v_cndmask_b32_e32 v39, v39, v28, vcc_lo
	v_add_co_u32 v34, vcc_lo, v34, 1
	v_add_co_ci_u32_e64 v35, null, 0, v35, vcc_lo
	v_cndmask_b32_e64 v40, v1, v31, s0
	v_cndmask_b32_e64 v39, v39, v30, s0
	v_add_nc_u32_e32 v1, -1, v34
	s_waitcnt lgkmcnt(0)
	v_fma_f64 v[32:33], v[39:40], v[37:38], v[32:33]
	v_cmp_lt_u32_e32 vcc_lo, 12, v1
	s_or_b32 s2, vcc_lo, s2
	s_andn2_b32 exec_lo, exec_lo, s2
	s_cbranch_execnz .LBB78_81
; %bb.82:
	s_or_b32 exec_lo, exec_lo, s2
	v_mov_b32_e32 v1, 0
	ds_read_b64 v[30:31], v1 offset:112
	s_waitcnt lgkmcnt(0)
	v_mul_f64 v[30:31], v[32:33], v[30:31]
.LBB78_83:
	s_or_b32 exec_lo, exec_lo, s1
	s_barrier
	buffer_gl0_inv
	s_cbranch_execnz .LBB78_15
	s_branch .LBB78_16
.LBB78_84:
	v_lshl_add_u32 v1, v0, 3, 0x80
	s_mov_b32 s0, exec_lo
	v_cmpx_eq_u32_e32 14, v0
	s_cbranch_execz .LBB78_86
; %bb.85:
	v_mov_b32_e32 v58, 0
	s_waitcnt lgkmcnt(14)
	v_mov_b32_e32 v32, v2
	s_waitcnt lgkmcnt(13)
	v_mov_b32_e32 v34, v4
	v_mov_b32_e32 v35, v5
	s_waitcnt lgkmcnt(12)
	v_mov_b32_e32 v36, v6
	;; [unrolled: 3-line block ×12, first 2 shown]
	v_mov_b32_e32 v57, v27
	v_mov_b32_e32 v59, v58
	s_waitcnt lgkmcnt(0)
	v_mov_b32_e32 v60, v30
	v_mov_b32_e32 v61, v31
	;; [unrolled: 1-line block ×3, first 2 shown]
	ds_write_b64 v1, v[28:29]
	v_mov_b32_e32 v2, v32
	v_mov_b32_e32 v3, v33
	v_mov_b32_e32 v4, v34
	v_mov_b32_e32 v5, v35
	v_mov_b32_e32 v6, v36
	v_mov_b32_e32 v7, v37
	v_mov_b32_e32 v8, v38
	v_mov_b32_e32 v9, v39
	v_mov_b32_e32 v10, v40
	v_mov_b32_e32 v11, v41
	v_mov_b32_e32 v12, v42
	v_mov_b32_e32 v13, v43
	v_mov_b32_e32 v14, v44
	v_mov_b32_e32 v15, v45
	v_mov_b32_e32 v16, v46
	v_mov_b32_e32 v17, v47
	v_mov_b32_e32 v18, v48
	v_mov_b32_e32 v19, v49
	v_mov_b32_e32 v20, v50
	v_mov_b32_e32 v21, v51
	v_mov_b32_e32 v22, v52
	v_mov_b32_e32 v23, v53
	v_mov_b32_e32 v24, v54
	v_mov_b32_e32 v25, v55
	v_mov_b32_e32 v26, v56
	v_mov_b32_e32 v27, v57
	v_mov_b32_e32 v28, v58
	v_mov_b32_e32 v29, v59
	v_mov_b32_e32 v30, v60
	v_mov_b32_e32 v31, v61
	v_mov_b32_e32 v32, v62
	v_mov_b32_e32 v33, v63
.LBB78_86:
	s_or_b32 exec_lo, exec_lo, s0
	v_mov_b32_e32 v56, 0
	s_waitcnt lgkmcnt(0)
	s_waitcnt_vscnt null, 0x0
	s_barrier
	buffer_gl0_inv
	s_mov_b32 s0, exec_lo
	ds_read_b64 v[32:33], v56 offset:240
	s_waitcnt lgkmcnt(0)
	v_fma_f64 v[32:33], v[30:31], v[32:33], 0
	v_add_f64 v[28:29], v[28:29], -v[32:33]
	v_cmpx_lt_u32_e32 12, v0
	s_cbranch_execz .LBB78_88
; %bb.87:
	v_mov_b32_e32 v32, v2
	v_mov_b32_e32 v34, v4
	;; [unrolled: 1-line block ×29, first 2 shown]
	ds_write_b64 v1, v[26:27]
	v_mov_b32_e32 v2, v32
	v_mov_b32_e32 v3, v33
	;; [unrolled: 1-line block ×32, first 2 shown]
.LBB78_88:
	s_or_b32 exec_lo, exec_lo, s0
	s_waitcnt lgkmcnt(0)
	s_barrier
	buffer_gl0_inv
	ds_read2_b64 v[32:35], v56 offset0:29 offset1:30
	s_mov_b32 s0, exec_lo
	s_waitcnt lgkmcnt(0)
	v_fma_f64 v[32:33], v[28:29], v[32:33], 0
	v_fma_f64 v[32:33], v[30:31], v[34:35], v[32:33]
	v_add_f64 v[26:27], v[26:27], -v[32:33]
	v_cmpx_lt_u32_e32 11, v0
	s_cbranch_execz .LBB78_90
; %bb.89:
	v_mov_b32_e32 v54, 0
	v_mov_b32_e32 v32, v2
	;; [unrolled: 1-line block ×30, first 2 shown]
	ds_write_b64 v1, v[24:25]
	v_mov_b32_e32 v2, v32
	v_mov_b32_e32 v3, v33
	v_mov_b32_e32 v4, v34
	v_mov_b32_e32 v5, v35
	v_mov_b32_e32 v6, v36
	v_mov_b32_e32 v7, v37
	v_mov_b32_e32 v8, v38
	v_mov_b32_e32 v9, v39
	v_mov_b32_e32 v10, v40
	v_mov_b32_e32 v11, v41
	v_mov_b32_e32 v12, v42
	v_mov_b32_e32 v13, v43
	v_mov_b32_e32 v14, v44
	v_mov_b32_e32 v15, v45
	v_mov_b32_e32 v16, v46
	v_mov_b32_e32 v17, v47
	v_mov_b32_e32 v18, v48
	v_mov_b32_e32 v19, v49
	v_mov_b32_e32 v20, v50
	v_mov_b32_e32 v21, v51
	v_mov_b32_e32 v22, v52
	v_mov_b32_e32 v23, v53
	v_mov_b32_e32 v24, v54
	v_mov_b32_e32 v25, v55
	v_mov_b32_e32 v26, v56
	v_mov_b32_e32 v27, v57
	v_mov_b32_e32 v28, v58
	v_mov_b32_e32 v29, v59
	v_mov_b32_e32 v30, v60
	v_mov_b32_e32 v31, v61
	v_mov_b32_e32 v32, v62
	v_mov_b32_e32 v33, v63
.LBB78_90:
	s_or_b32 exec_lo, exec_lo, s0
	v_mov_b32_e32 v52, 0
	s_waitcnt lgkmcnt(0)
	s_barrier
	buffer_gl0_inv
	s_mov_b32 s0, exec_lo
	ds_read_b128 v[32:35], v52 offset:224
	ds_read_b64 v[36:37], v52 offset:240
	s_waitcnt lgkmcnt(1)
	v_fma_f64 v[32:33], v[26:27], v[32:33], 0
	v_fma_f64 v[32:33], v[28:29], v[34:35], v[32:33]
	s_waitcnt lgkmcnt(0)
	v_fma_f64 v[32:33], v[30:31], v[36:37], v[32:33]
	v_add_f64 v[24:25], v[24:25], -v[32:33]
	v_cmpx_lt_u32_e32 10, v0
	s_cbranch_execz .LBB78_92
; %bb.91:
	v_mov_b32_e32 v32, v2
	v_mov_b32_e32 v34, v4
	;; [unrolled: 1-line block ×29, first 2 shown]
	ds_write_b64 v1, v[22:23]
	v_mov_b32_e32 v2, v32
	v_mov_b32_e32 v3, v33
	;; [unrolled: 1-line block ×32, first 2 shown]
.LBB78_92:
	s_or_b32 exec_lo, exec_lo, s0
	s_waitcnt lgkmcnt(0)
	s_barrier
	buffer_gl0_inv
	ds_read2_b64 v[32:35], v52 offset0:27 offset1:28
	ds_read2_b64 v[36:39], v52 offset0:29 offset1:30
	s_mov_b32 s0, exec_lo
	s_waitcnt lgkmcnt(1)
	v_fma_f64 v[32:33], v[24:25], v[32:33], 0
	v_fma_f64 v[32:33], v[26:27], v[34:35], v[32:33]
	s_waitcnt lgkmcnt(0)
	v_fma_f64 v[32:33], v[28:29], v[36:37], v[32:33]
	v_fma_f64 v[32:33], v[30:31], v[38:39], v[32:33]
	v_add_f64 v[22:23], v[22:23], -v[32:33]
	v_cmpx_lt_u32_e32 9, v0
	s_cbranch_execz .LBB78_94
; %bb.93:
	v_mov_b32_e32 v50, 0
	v_mov_b32_e32 v32, v2
	;; [unrolled: 1-line block ×30, first 2 shown]
	ds_write_b64 v1, v[20:21]
	v_mov_b32_e32 v2, v32
	v_mov_b32_e32 v3, v33
	;; [unrolled: 1-line block ×32, first 2 shown]
.LBB78_94:
	s_or_b32 exec_lo, exec_lo, s0
	v_mov_b32_e32 v48, 0
	s_waitcnt lgkmcnt(0)
	s_barrier
	buffer_gl0_inv
	s_mov_b32 s0, exec_lo
	ds_read_b128 v[32:35], v48 offset:208
	ds_read_b128 v[36:39], v48 offset:224
	s_waitcnt lgkmcnt(1)
	v_fma_f64 v[32:33], v[22:23], v[32:33], 0
	v_fma_f64 v[32:33], v[24:25], v[34:35], v[32:33]
	ds_read_b64 v[34:35], v48 offset:240
	s_waitcnt lgkmcnt(1)
	v_fma_f64 v[32:33], v[26:27], v[36:37], v[32:33]
	v_fma_f64 v[32:33], v[28:29], v[38:39], v[32:33]
	s_waitcnt lgkmcnt(0)
	v_fma_f64 v[32:33], v[30:31], v[34:35], v[32:33]
	v_add_f64 v[20:21], v[20:21], -v[32:33]
	v_cmpx_lt_u32_e32 8, v0
	s_cbranch_execz .LBB78_96
; %bb.95:
	v_mov_b32_e32 v32, v2
	v_mov_b32_e32 v34, v4
	;; [unrolled: 1-line block ×29, first 2 shown]
	ds_write_b64 v1, v[18:19]
	v_mov_b32_e32 v2, v32
	v_mov_b32_e32 v3, v33
	;; [unrolled: 1-line block ×32, first 2 shown]
.LBB78_96:
	s_or_b32 exec_lo, exec_lo, s0
	s_waitcnt lgkmcnt(0)
	s_barrier
	buffer_gl0_inv
	ds_read2_b64 v[32:35], v48 offset0:25 offset1:26
	ds_read2_b64 v[36:39], v48 offset0:27 offset1:28
	s_mov_b32 s0, exec_lo
	s_waitcnt lgkmcnt(1)
	v_fma_f64 v[32:33], v[20:21], v[32:33], 0
	v_fma_f64 v[32:33], v[22:23], v[34:35], v[32:33]
	s_waitcnt lgkmcnt(0)
	v_fma_f64 v[32:33], v[24:25], v[36:37], v[32:33]
	v_fma_f64 v[36:37], v[26:27], v[38:39], v[32:33]
	ds_read2_b64 v[32:35], v48 offset0:29 offset1:30
	s_waitcnt lgkmcnt(0)
	v_fma_f64 v[32:33], v[28:29], v[32:33], v[36:37]
	v_fma_f64 v[32:33], v[30:31], v[34:35], v[32:33]
	v_add_f64 v[18:19], v[18:19], -v[32:33]
	v_cmpx_lt_u32_e32 7, v0
	s_cbranch_execz .LBB78_98
; %bb.97:
	v_mov_b32_e32 v46, 0
	v_mov_b32_e32 v32, v2
	;; [unrolled: 1-line block ×30, first 2 shown]
	ds_write_b64 v1, v[16:17]
	v_mov_b32_e32 v2, v32
	v_mov_b32_e32 v3, v33
	;; [unrolled: 1-line block ×32, first 2 shown]
.LBB78_98:
	s_or_b32 exec_lo, exec_lo, s0
	v_mov_b32_e32 v44, 0
	s_waitcnt lgkmcnt(0)
	s_barrier
	buffer_gl0_inv
	s_mov_b32 s0, exec_lo
	ds_read_b128 v[32:35], v44 offset:192
	ds_read_b128 v[36:39], v44 offset:208
	s_waitcnt lgkmcnt(1)
	v_fma_f64 v[32:33], v[18:19], v[32:33], 0
	v_fma_f64 v[32:33], v[20:21], v[34:35], v[32:33]
	s_waitcnt lgkmcnt(0)
	v_fma_f64 v[32:33], v[22:23], v[36:37], v[32:33]
	v_fma_f64 v[36:37], v[24:25], v[38:39], v[32:33]
	ds_read_b128 v[32:35], v44 offset:224
	ds_read_b64 v[38:39], v44 offset:240
	s_waitcnt lgkmcnt(1)
	v_fma_f64 v[32:33], v[26:27], v[32:33], v[36:37]
	v_fma_f64 v[32:33], v[28:29], v[34:35], v[32:33]
	s_waitcnt lgkmcnt(0)
	v_fma_f64 v[32:33], v[30:31], v[38:39], v[32:33]
	v_add_f64 v[16:17], v[16:17], -v[32:33]
	v_cmpx_lt_u32_e32 6, v0
	s_cbranch_execz .LBB78_100
; %bb.99:
	v_mov_b32_e32 v32, v2
	v_mov_b32_e32 v34, v4
	;; [unrolled: 1-line block ×29, first 2 shown]
	ds_write_b64 v1, v[14:15]
	v_mov_b32_e32 v2, v32
	v_mov_b32_e32 v3, v33
	;; [unrolled: 1-line block ×32, first 2 shown]
.LBB78_100:
	s_or_b32 exec_lo, exec_lo, s0
	s_waitcnt lgkmcnt(0)
	s_barrier
	buffer_gl0_inv
	ds_read2_b64 v[32:35], v44 offset0:23 offset1:24
	ds_read2_b64 v[36:39], v44 offset0:25 offset1:26
	s_mov_b32 s0, exec_lo
	s_waitcnt lgkmcnt(1)
	v_fma_f64 v[32:33], v[16:17], v[32:33], 0
	v_fma_f64 v[32:33], v[18:19], v[34:35], v[32:33]
	s_waitcnt lgkmcnt(0)
	v_fma_f64 v[32:33], v[20:21], v[36:37], v[32:33]
	v_fma_f64 v[40:41], v[22:23], v[38:39], v[32:33]
	ds_read2_b64 v[32:35], v44 offset0:27 offset1:28
	ds_read2_b64 v[36:39], v44 offset0:29 offset1:30
	s_waitcnt lgkmcnt(1)
	v_fma_f64 v[32:33], v[24:25], v[32:33], v[40:41]
	v_fma_f64 v[32:33], v[26:27], v[34:35], v[32:33]
	s_waitcnt lgkmcnt(0)
	v_fma_f64 v[32:33], v[28:29], v[36:37], v[32:33]
	v_fma_f64 v[32:33], v[30:31], v[38:39], v[32:33]
	v_add_f64 v[14:15], v[14:15], -v[32:33]
	v_cmpx_lt_u32_e32 5, v0
	s_cbranch_execz .LBB78_102
; %bb.101:
	v_mov_b32_e32 v42, 0
	v_mov_b32_e32 v32, v2
	;; [unrolled: 1-line block ×64, first 2 shown]
	ds_write_b64 v1, v[62:63]
.LBB78_102:
	s_or_b32 exec_lo, exec_lo, s0
	v_mov_b32_e32 v40, 0
	s_waitcnt lgkmcnt(0)
	s_barrier
	buffer_gl0_inv
	s_mov_b32 s0, exec_lo
	ds_read_b128 v[32:35], v40 offset:176
	ds_read_b128 v[36:39], v40 offset:192
	s_waitcnt lgkmcnt(1)
	v_fma_f64 v[32:33], v[14:15], v[32:33], 0
	v_fma_f64 v[32:33], v[16:17], v[34:35], v[32:33]
	s_waitcnt lgkmcnt(0)
	v_fma_f64 v[32:33], v[18:19], v[36:37], v[32:33]
	v_fma_f64 v[41:42], v[20:21], v[38:39], v[32:33]
	ds_read_b128 v[32:35], v40 offset:208
	ds_read_b128 v[36:39], v40 offset:224
	s_waitcnt lgkmcnt(1)
	v_fma_f64 v[32:33], v[22:23], v[32:33], v[41:42]
	v_fma_f64 v[32:33], v[24:25], v[34:35], v[32:33]
	ds_read_b64 v[34:35], v40 offset:240
	s_waitcnt lgkmcnt(1)
	v_fma_f64 v[32:33], v[26:27], v[36:37], v[32:33]
	v_fma_f64 v[32:33], v[28:29], v[38:39], v[32:33]
	s_waitcnt lgkmcnt(0)
	v_fma_f64 v[32:33], v[30:31], v[34:35], v[32:33]
	v_add_f64 v[12:13], v[12:13], -v[32:33]
	v_cmpx_lt_u32_e32 4, v0
	s_cbranch_execz .LBB78_104
; %bb.103:
	v_mov_b32_e32 v32, v2
	v_mov_b32_e32 v34, v4
	;; [unrolled: 1-line block ×63, first 2 shown]
	ds_write_b64 v1, v[62:63]
.LBB78_104:
	s_or_b32 exec_lo, exec_lo, s0
	s_waitcnt lgkmcnt(0)
	s_barrier
	buffer_gl0_inv
	ds_read2_b64 v[32:35], v40 offset0:21 offset1:22
	ds_read2_b64 v[36:39], v40 offset0:23 offset1:24
	s_mov_b32 s0, exec_lo
	s_waitcnt lgkmcnt(1)
	v_fma_f64 v[32:33], v[12:13], v[32:33], 0
	v_fma_f64 v[32:33], v[14:15], v[34:35], v[32:33]
	s_waitcnt lgkmcnt(0)
	v_fma_f64 v[32:33], v[16:17], v[36:37], v[32:33]
	v_fma_f64 v[41:42], v[18:19], v[38:39], v[32:33]
	ds_read2_b64 v[32:35], v40 offset0:25 offset1:26
	ds_read2_b64 v[36:39], v40 offset0:27 offset1:28
	s_waitcnt lgkmcnt(1)
	v_fma_f64 v[32:33], v[20:21], v[32:33], v[41:42]
	v_fma_f64 v[32:33], v[22:23], v[34:35], v[32:33]
	s_waitcnt lgkmcnt(0)
	v_fma_f64 v[32:33], v[24:25], v[36:37], v[32:33]
	v_fma_f64 v[36:37], v[26:27], v[38:39], v[32:33]
	ds_read2_b64 v[32:35], v40 offset0:29 offset1:30
	s_waitcnt lgkmcnt(0)
	v_fma_f64 v[32:33], v[28:29], v[32:33], v[36:37]
	v_fma_f64 v[32:33], v[30:31], v[34:35], v[32:33]
	v_add_f64 v[10:11], v[10:11], -v[32:33]
	v_cmpx_lt_u32_e32 3, v0
	s_cbranch_execz .LBB78_106
; %bb.105:
	v_mov_b32_e32 v38, 0
	v_mov_b32_e32 v32, v2
	;; [unrolled: 1-line block ×64, first 2 shown]
	ds_write_b64 v1, v[62:63]
.LBB78_106:
	s_or_b32 exec_lo, exec_lo, s0
	v_mov_b32_e32 v36, 0
	s_waitcnt lgkmcnt(0)
	s_barrier
	buffer_gl0_inv
	s_mov_b32 s0, exec_lo
	ds_read_b128 v[32:35], v36 offset:160
	ds_read_b128 v[37:40], v36 offset:176
	s_waitcnt lgkmcnt(1)
	v_fma_f64 v[32:33], v[10:11], v[32:33], 0
	v_fma_f64 v[32:33], v[12:13], v[34:35], v[32:33]
	s_waitcnt lgkmcnt(0)
	v_fma_f64 v[32:33], v[14:15], v[37:38], v[32:33]
	v_fma_f64 v[41:42], v[16:17], v[39:40], v[32:33]
	ds_read_b128 v[32:35], v36 offset:192
	ds_read_b128 v[37:40], v36 offset:208
	s_waitcnt lgkmcnt(1)
	v_fma_f64 v[32:33], v[18:19], v[32:33], v[41:42]
	v_fma_f64 v[32:33], v[20:21], v[34:35], v[32:33]
	s_waitcnt lgkmcnt(0)
	v_fma_f64 v[32:33], v[22:23], v[37:38], v[32:33]
	v_fma_f64 v[37:38], v[24:25], v[39:40], v[32:33]
	ds_read_b128 v[32:35], v36 offset:224
	ds_read_b64 v[39:40], v36 offset:240
	s_waitcnt lgkmcnt(1)
	v_fma_f64 v[32:33], v[26:27], v[32:33], v[37:38]
	v_fma_f64 v[32:33], v[28:29], v[34:35], v[32:33]
	s_waitcnt lgkmcnt(0)
	v_fma_f64 v[32:33], v[30:31], v[39:40], v[32:33]
	v_add_f64 v[8:9], v[8:9], -v[32:33]
	v_cmpx_lt_u32_e32 2, v0
	s_cbranch_execz .LBB78_108
; %bb.107:
	v_mov_b32_e32 v32, v2
	v_mov_b32_e32 v34, v4
	;; [unrolled: 1-line block ×63, first 2 shown]
	ds_write_b64 v1, v[62:63]
.LBB78_108:
	s_or_b32 exec_lo, exec_lo, s0
	s_waitcnt lgkmcnt(0)
	s_barrier
	buffer_gl0_inv
	ds_read2_b64 v[32:35], v36 offset0:19 offset1:20
	ds_read2_b64 v[37:40], v36 offset0:21 offset1:22
	s_mov_b32 s0, exec_lo
	s_waitcnt lgkmcnt(1)
	v_fma_f64 v[32:33], v[8:9], v[32:33], 0
	v_fma_f64 v[32:33], v[10:11], v[34:35], v[32:33]
	s_waitcnt lgkmcnt(0)
	v_fma_f64 v[32:33], v[12:13], v[37:38], v[32:33]
	v_fma_f64 v[41:42], v[14:15], v[39:40], v[32:33]
	ds_read2_b64 v[32:35], v36 offset0:23 offset1:24
	ds_read2_b64 v[37:40], v36 offset0:25 offset1:26
	s_waitcnt lgkmcnt(1)
	v_fma_f64 v[32:33], v[16:17], v[32:33], v[41:42]
	v_fma_f64 v[32:33], v[18:19], v[34:35], v[32:33]
	s_waitcnt lgkmcnt(0)
	v_fma_f64 v[32:33], v[20:21], v[37:38], v[32:33]
	v_fma_f64 v[40:41], v[22:23], v[39:40], v[32:33]
	ds_read2_b64 v[32:35], v36 offset0:27 offset1:28
	ds_read2_b64 v[36:39], v36 offset0:29 offset1:30
	s_waitcnt lgkmcnt(1)
	v_fma_f64 v[32:33], v[24:25], v[32:33], v[40:41]
	v_fma_f64 v[32:33], v[26:27], v[34:35], v[32:33]
	s_waitcnt lgkmcnt(0)
	v_fma_f64 v[32:33], v[28:29], v[36:37], v[32:33]
	v_fma_f64 v[32:33], v[30:31], v[38:39], v[32:33]
	v_add_f64 v[6:7], v[6:7], -v[32:33]
	v_cmpx_lt_u32_e32 1, v0
	s_cbranch_execz .LBB78_110
; %bb.109:
	v_mov_b32_e32 v34, 0
	v_mov_b32_e32 v32, v2
	v_mov_b32_e32 v36, v6
	v_mov_b32_e32 v37, v7
	v_mov_b32_e32 v38, v8
	v_mov_b32_e32 v35, v34
	v_mov_b32_e32 v39, v9
	v_mov_b32_e32 v40, v10
	v_mov_b32_e32 v41, v11
	v_mov_b32_e32 v42, v12
	v_mov_b32_e32 v43, v13
	v_mov_b32_e32 v44, v14
	v_mov_b32_e32 v45, v15
	v_mov_b32_e32 v46, v16
	v_mov_b32_e32 v47, v17
	v_mov_b32_e32 v48, v18
	v_mov_b32_e32 v49, v19
	v_mov_b32_e32 v50, v20
	v_mov_b32_e32 v51, v21
	v_mov_b32_e32 v52, v22
	v_mov_b32_e32 v53, v23
	v_mov_b32_e32 v54, v24
	v_mov_b32_e32 v55, v25
	v_mov_b32_e32 v56, v26
	v_mov_b32_e32 v57, v27
	v_mov_b32_e32 v58, v28
	v_mov_b32_e32 v59, v29
	v_mov_b32_e32 v60, v30
	v_mov_b32_e32 v61, v31
	v_mov_b32_e32 v33, v3
	v_mov_b32_e32 v62, v4
	v_mov_b32_e32 v63, v5
	v_mov_b32_e32 v2, v32
	v_mov_b32_e32 v3, v33
	v_mov_b32_e32 v4, v34
	v_mov_b32_e32 v5, v35
	v_mov_b32_e32 v6, v36
	v_mov_b32_e32 v7, v37
	v_mov_b32_e32 v8, v38
	v_mov_b32_e32 v9, v39
	v_mov_b32_e32 v10, v40
	v_mov_b32_e32 v11, v41
	v_mov_b32_e32 v12, v42
	v_mov_b32_e32 v13, v43
	v_mov_b32_e32 v14, v44
	v_mov_b32_e32 v15, v45
	v_mov_b32_e32 v16, v46
	v_mov_b32_e32 v17, v47
	v_mov_b32_e32 v18, v48
	v_mov_b32_e32 v19, v49
	v_mov_b32_e32 v20, v50
	v_mov_b32_e32 v21, v51
	v_mov_b32_e32 v22, v52
	v_mov_b32_e32 v23, v53
	v_mov_b32_e32 v24, v54
	v_mov_b32_e32 v25, v55
	v_mov_b32_e32 v26, v56
	v_mov_b32_e32 v27, v57
	v_mov_b32_e32 v28, v58
	v_mov_b32_e32 v29, v59
	v_mov_b32_e32 v30, v60
	v_mov_b32_e32 v31, v61
	v_mov_b32_e32 v32, v62
	v_mov_b32_e32 v33, v63
	ds_write_b64 v1, v[62:63]
.LBB78_110:
	s_or_b32 exec_lo, exec_lo, s0
	v_mov_b32_e32 v34, 0
	s_waitcnt lgkmcnt(0)
	s_barrier
	buffer_gl0_inv
	s_mov_b32 s0, exec_lo
	ds_read_b128 v[35:38], v34 offset:144
	ds_read_b128 v[39:42], v34 offset:160
	s_waitcnt lgkmcnt(1)
	v_fma_f64 v[32:33], v[6:7], v[35:36], 0
	v_fma_f64 v[32:33], v[8:9], v[37:38], v[32:33]
	s_waitcnt lgkmcnt(0)
	v_fma_f64 v[32:33], v[10:11], v[39:40], v[32:33]
	v_fma_f64 v[32:33], v[12:13], v[41:42], v[32:33]
	ds_read_b128 v[35:38], v34 offset:176
	ds_read_b128 v[39:42], v34 offset:192
	s_waitcnt lgkmcnt(1)
	v_fma_f64 v[32:33], v[14:15], v[35:36], v[32:33]
	v_fma_f64 v[32:33], v[16:17], v[37:38], v[32:33]
	s_waitcnt lgkmcnt(0)
	v_fma_f64 v[32:33], v[18:19], v[39:40], v[32:33]
	v_fma_f64 v[32:33], v[20:21], v[41:42], v[32:33]
	ds_read_b128 v[35:38], v34 offset:208
	ds_read_b128 v[39:42], v34 offset:224
	s_waitcnt lgkmcnt(1)
	v_fma_f64 v[32:33], v[22:23], v[35:36], v[32:33]
	ds_read_b64 v[35:36], v34 offset:240
	v_fma_f64 v[32:33], v[24:25], v[37:38], v[32:33]
	s_waitcnt lgkmcnt(1)
	v_fma_f64 v[32:33], v[26:27], v[39:40], v[32:33]
	v_fma_f64 v[32:33], v[28:29], v[41:42], v[32:33]
	s_waitcnt lgkmcnt(0)
	v_fma_f64 v[32:33], v[30:31], v[35:36], v[32:33]
	v_add_f64 v[4:5], v[4:5], -v[32:33]
	v_cmpx_ne_u32_e32 0, v0
	s_cbranch_execz .LBB78_112
; %bb.111:
	v_mov_b32_e32 v35, v34
	v_mov_b32_e32 v36, v4
	;; [unrolled: 1-line block ×63, first 2 shown]
	ds_write_b64 v1, v[94:95]
.LBB78_112:
	s_or_b32 exec_lo, exec_lo, s0
	s_waitcnt lgkmcnt(0)
	s_barrier
	buffer_gl0_inv
	ds_read2_b64 v[35:38], v34 offset0:17 offset1:18
	ds_read2_b64 v[39:42], v34 offset0:19 offset1:20
	s_and_b32 vcc_lo, exec_lo, s22
	s_waitcnt lgkmcnt(1)
	v_fma_f64 v[0:1], v[4:5], v[35:36], 0
	v_fma_f64 v[0:1], v[6:7], v[37:38], v[0:1]
	s_waitcnt lgkmcnt(0)
	v_fma_f64 v[0:1], v[8:9], v[39:40], v[0:1]
	v_fma_f64 v[0:1], v[10:11], v[41:42], v[0:1]
	ds_read2_b64 v[35:38], v34 offset0:21 offset1:22
	ds_read2_b64 v[39:42], v34 offset0:23 offset1:24
	s_waitcnt lgkmcnt(1)
	v_fma_f64 v[0:1], v[12:13], v[35:36], v[0:1]
	v_fma_f64 v[0:1], v[14:15], v[37:38], v[0:1]
	s_waitcnt lgkmcnt(0)
	v_fma_f64 v[0:1], v[16:17], v[39:40], v[0:1]
	v_fma_f64 v[0:1], v[18:19], v[41:42], v[0:1]
	ds_read2_b64 v[35:38], v34 offset0:25 offset1:26
	ds_read2_b64 v[39:42], v34 offset0:27 offset1:28
	s_waitcnt lgkmcnt(1)
	v_fma_f64 v[0:1], v[20:21], v[35:36], v[0:1]
	ds_read2_b64 v[32:35], v34 offset0:29 offset1:30
	v_fma_f64 v[0:1], v[22:23], v[37:38], v[0:1]
	s_waitcnt lgkmcnt(1)
	v_fma_f64 v[0:1], v[24:25], v[39:40], v[0:1]
	v_fma_f64 v[0:1], v[26:27], v[41:42], v[0:1]
	s_waitcnt lgkmcnt(0)
	v_fma_f64 v[0:1], v[28:29], v[32:33], v[0:1]
	v_fma_f64 v[0:1], v[30:31], v[34:35], v[0:1]
	v_add_f64 v[2:3], v[2:3], -v[0:1]
	s_cbranch_vccz .LBB78_141
; %bb.113:
	v_mov_b32_e32 v0, 0
	global_load_dword v1, v0, s[20:21] offset:52
	s_waitcnt vmcnt(0)
	v_readfirstlane_b32 s0, v1
	s_add_i32 s0, s0, -1
	s_cmp_lg_u32 s0, 13
	s_cbranch_scc0 .LBB78_115
; %bb.114:
	s_lshl_b32 m0, s0, 1
	v_movrels_b32_e32 v1, v2
	v_movrels_b32_e32 v62, v3
	v_mov_b32_e32 v61, v33
	v_mov_b32_e32 v60, v32
	;; [unrolled: 1-line block ×34, first 2 shown]
	v_movreld_b32_e32 v30, v28
	v_movreld_b32_e32 v31, v29
	v_mov_b32_e32 v2, v30
	v_mov_b32_e32 v3, v31
	;; [unrolled: 1-line block ×32, first 2 shown]
.LBB78_115:
	global_load_dword v0, v0, s[20:21] offset:48
	s_waitcnt vmcnt(0)
	v_readfirstlane_b32 s0, v0
	s_add_i32 s0, s0, -1
	s_cmp_eq_u32 s0, 12
	s_cbranch_scc1 .LBB78_117
; %bb.116:
	s_lshl_b32 m0, s0, 1
	v_movrels_b32_e32 v0, v2
	v_movrels_b32_e32 v1, v3
	v_mov_b32_e32 v59, v33
	v_mov_b32_e32 v58, v32
	;; [unrolled: 1-line block ×34, first 2 shown]
	v_movreld_b32_e32 v28, v26
	v_movreld_b32_e32 v29, v27
	v_mov_b32_e32 v2, v28
	v_mov_b32_e32 v3, v29
	;; [unrolled: 1-line block ×32, first 2 shown]
.LBB78_117:
	v_mov_b32_e32 v0, 0
	global_load_dword v1, v0, s[20:21] offset:44
	s_waitcnt vmcnt(0)
	v_readfirstlane_b32 s0, v1
	s_add_i32 s0, s0, -1
	s_cmp_eq_u32 s0, 11
	s_cbranch_scc1 .LBB78_119
; %bb.118:
	s_lshl_b32 m0, s0, 1
	v_movrels_b32_e32 v1, v2
	v_movrels_b32_e32 v58, v3
	v_mov_b32_e32 v57, v33
	v_mov_b32_e32 v56, v32
	;; [unrolled: 1-line block ×34, first 2 shown]
	v_movreld_b32_e32 v26, v24
	v_movreld_b32_e32 v27, v25
	v_mov_b32_e32 v2, v26
	v_mov_b32_e32 v3, v27
	;; [unrolled: 1-line block ×32, first 2 shown]
.LBB78_119:
	global_load_dword v0, v0, s[20:21] offset:40
	s_waitcnt vmcnt(0)
	v_readfirstlane_b32 s0, v0
	s_add_i32 s0, s0, -1
	s_cmp_eq_u32 s0, 10
	s_cbranch_scc1 .LBB78_121
; %bb.120:
	s_lshl_b32 m0, s0, 1
	v_movrels_b32_e32 v0, v2
	v_movrels_b32_e32 v1, v3
	v_mov_b32_e32 v55, v33
	v_mov_b32_e32 v54, v32
	;; [unrolled: 1-line block ×34, first 2 shown]
	v_movreld_b32_e32 v24, v22
	v_movreld_b32_e32 v25, v23
	v_mov_b32_e32 v2, v24
	v_mov_b32_e32 v3, v25
	;; [unrolled: 1-line block ×32, first 2 shown]
.LBB78_121:
	v_mov_b32_e32 v0, 0
	global_load_dword v1, v0, s[20:21] offset:36
	s_waitcnt vmcnt(0)
	v_readfirstlane_b32 s0, v1
	s_add_i32 s0, s0, -1
	s_cmp_eq_u32 s0, 9
	s_cbranch_scc1 .LBB78_123
; %bb.122:
	s_lshl_b32 m0, s0, 1
	v_movrels_b32_e32 v1, v2
	v_movrels_b32_e32 v54, v3
	v_mov_b32_e32 v53, v33
	v_mov_b32_e32 v52, v32
	;; [unrolled: 1-line block ×34, first 2 shown]
	v_movreld_b32_e32 v22, v20
	v_movreld_b32_e32 v23, v21
	v_mov_b32_e32 v2, v22
	v_mov_b32_e32 v3, v23
	;; [unrolled: 1-line block ×32, first 2 shown]
.LBB78_123:
	global_load_dword v0, v0, s[20:21] offset:32
	s_waitcnt vmcnt(0)
	v_readfirstlane_b32 s0, v0
	s_add_i32 s0, s0, -1
	s_cmp_eq_u32 s0, 8
	s_cbranch_scc1 .LBB78_125
; %bb.124:
	s_lshl_b32 m0, s0, 1
	v_movrels_b32_e32 v0, v2
	v_movrels_b32_e32 v1, v3
	v_mov_b32_e32 v51, v33
	v_mov_b32_e32 v50, v32
	;; [unrolled: 1-line block ×34, first 2 shown]
	v_movreld_b32_e32 v20, v18
	v_movreld_b32_e32 v21, v19
	v_mov_b32_e32 v2, v20
	v_mov_b32_e32 v3, v21
	;; [unrolled: 1-line block ×32, first 2 shown]
.LBB78_125:
	v_mov_b32_e32 v0, 0
	global_load_dword v1, v0, s[20:21] offset:28
	s_waitcnt vmcnt(0)
	v_readfirstlane_b32 s0, v1
	s_add_i32 s0, s0, -1
	s_cmp_eq_u32 s0, 7
	s_cbranch_scc1 .LBB78_127
; %bb.126:
	s_lshl_b32 m0, s0, 1
	v_movrels_b32_e32 v1, v2
	v_movrels_b32_e32 v50, v3
	v_mov_b32_e32 v49, v33
	v_mov_b32_e32 v48, v32
	;; [unrolled: 1-line block ×34, first 2 shown]
	v_movreld_b32_e32 v18, v16
	v_movreld_b32_e32 v19, v17
	v_mov_b32_e32 v2, v18
	v_mov_b32_e32 v3, v19
	;; [unrolled: 1-line block ×32, first 2 shown]
.LBB78_127:
	global_load_dword v0, v0, s[20:21] offset:24
	s_waitcnt vmcnt(0)
	v_readfirstlane_b32 s0, v0
	s_add_i32 s0, s0, -1
	s_cmp_eq_u32 s0, 6
	s_cbranch_scc1 .LBB78_129
; %bb.128:
	s_lshl_b32 m0, s0, 1
	v_movrels_b32_e32 v0, v2
	v_movrels_b32_e32 v1, v3
	v_mov_b32_e32 v47, v33
	v_mov_b32_e32 v46, v32
	;; [unrolled: 1-line block ×34, first 2 shown]
	v_movreld_b32_e32 v16, v14
	v_movreld_b32_e32 v17, v15
	v_mov_b32_e32 v2, v16
	v_mov_b32_e32 v3, v17
	;; [unrolled: 1-line block ×32, first 2 shown]
.LBB78_129:
	v_mov_b32_e32 v0, 0
	global_load_dword v1, v0, s[20:21] offset:20
	s_waitcnt vmcnt(0)
	v_readfirstlane_b32 s0, v1
	s_add_i32 s0, s0, -1
	s_cmp_eq_u32 s0, 5
	s_cbranch_scc1 .LBB78_131
; %bb.130:
	s_lshl_b32 m0, s0, 1
	v_movrels_b32_e32 v1, v2
	v_movrels_b32_e32 v46, v3
	v_mov_b32_e32 v45, v33
	v_mov_b32_e32 v44, v32
	;; [unrolled: 1-line block ×34, first 2 shown]
	v_movreld_b32_e32 v14, v12
	v_movreld_b32_e32 v15, v13
	v_mov_b32_e32 v2, v14
	v_mov_b32_e32 v3, v15
	;; [unrolled: 1-line block ×32, first 2 shown]
.LBB78_131:
	global_load_dword v0, v0, s[20:21] offset:16
	s_waitcnt vmcnt(0)
	v_readfirstlane_b32 s0, v0
	s_add_i32 s0, s0, -1
	s_cmp_eq_u32 s0, 4
	s_cbranch_scc1 .LBB78_133
; %bb.132:
	s_lshl_b32 m0, s0, 1
	v_movrels_b32_e32 v0, v2
	v_movrels_b32_e32 v1, v3
	v_mov_b32_e32 v43, v33
	v_mov_b32_e32 v42, v32
	;; [unrolled: 1-line block ×34, first 2 shown]
	v_movreld_b32_e32 v12, v10
	v_movreld_b32_e32 v13, v11
	v_mov_b32_e32 v2, v12
	v_mov_b32_e32 v3, v13
	;; [unrolled: 1-line block ×32, first 2 shown]
.LBB78_133:
	v_mov_b32_e32 v0, 0
	global_load_dword v1, v0, s[20:21] offset:12
	s_waitcnt vmcnt(0)
	v_readfirstlane_b32 s0, v1
	s_add_i32 s0, s0, -1
	s_cmp_eq_u32 s0, 3
	s_cbranch_scc1 .LBB78_135
; %bb.134:
	s_lshl_b32 m0, s0, 1
	v_movrels_b32_e32 v1, v2
	v_movrels_b32_e32 v42, v3
	v_mov_b32_e32 v41, v33
	v_mov_b32_e32 v40, v32
	;; [unrolled: 1-line block ×34, first 2 shown]
	v_movreld_b32_e32 v10, v8
	v_movreld_b32_e32 v11, v9
	v_mov_b32_e32 v2, v10
	v_mov_b32_e32 v3, v11
	;; [unrolled: 1-line block ×32, first 2 shown]
.LBB78_135:
	global_load_dword v0, v0, s[20:21] offset:8
	s_waitcnt vmcnt(0)
	v_readfirstlane_b32 s0, v0
	s_add_i32 s0, s0, -1
	s_cmp_eq_u32 s0, 2
	s_cbranch_scc1 .LBB78_137
; %bb.136:
	s_lshl_b32 m0, s0, 1
	v_movrels_b32_e32 v0, v2
	v_movrels_b32_e32 v1, v3
	v_mov_b32_e32 v39, v33
	v_mov_b32_e32 v38, v32
	;; [unrolled: 1-line block ×34, first 2 shown]
	v_movreld_b32_e32 v8, v6
	v_movreld_b32_e32 v9, v7
	v_mov_b32_e32 v2, v8
	v_mov_b32_e32 v3, v9
	;; [unrolled: 1-line block ×32, first 2 shown]
.LBB78_137:
	v_mov_b32_e32 v0, 0
	global_load_dword v1, v0, s[20:21] offset:4
	s_waitcnt vmcnt(0)
	v_readfirstlane_b32 s0, v1
	s_add_i32 s0, s0, -1
	s_cmp_eq_u32 s0, 1
	s_cbranch_scc1 .LBB78_139
; %bb.138:
	s_lshl_b32 m0, s0, 1
	v_movrels_b32_e32 v1, v2
	v_movrels_b32_e32 v38, v3
	v_mov_b32_e32 v37, v33
	v_mov_b32_e32 v36, v32
	;; [unrolled: 1-line block ×34, first 2 shown]
	v_movreld_b32_e32 v6, v4
	v_movreld_b32_e32 v7, v5
	v_mov_b32_e32 v2, v6
	v_mov_b32_e32 v3, v7
	;; [unrolled: 1-line block ×32, first 2 shown]
.LBB78_139:
	global_load_dword v0, v0, s[20:21]
	s_waitcnt vmcnt(0)
	v_readfirstlane_b32 s0, v0
	s_add_i32 s0, s0, -1
	s_cmp_eq_u32 s0, 0
	s_cbranch_scc1 .LBB78_141
; %bb.140:
	s_lshl_b32 m0, s0, 1
	v_movrels_b32_e32 v0, v2
	v_movrels_b32_e32 v1, v3
	v_mov_b32_e32 v35, v33
	v_mov_b32_e32 v34, v32
	;; [unrolled: 1-line block ×34, first 2 shown]
	v_movreld_b32_e32 v4, v2
	v_movreld_b32_e32 v5, v3
	v_mov_b32_e32 v2, v4
	v_mov_b32_e32 v3, v5
	;; [unrolled: 1-line block ×32, first 2 shown]
.LBB78_141:
	v_mov_b32_e32 v0, v2
	v_mov_b32_e32 v1, v3
	v_mov_b32_e32 v2, v4
	v_mov_b32_e32 v3, v5
	v_mov_b32_e32 v4, v6
	v_mov_b32_e32 v5, v7
	v_mov_b32_e32 v6, v8
	v_mov_b32_e32 v7, v9
	v_mov_b32_e32 v8, v10
	v_mov_b32_e32 v9, v11
	flat_store_dwordx2 v[64:65], v[0:1]
	flat_store_dwordx2 v[66:67], v[2:3]
	flat_store_dwordx2 v[68:69], v[4:5]
	flat_store_dwordx2 v[70:71], v[6:7]
	flat_store_dwordx2 v[74:75], v[8:9]
	v_mov_b32_e32 v0, v12
	v_mov_b32_e32 v1, v13
	v_mov_b32_e32 v2, v14
	v_mov_b32_e32 v3, v15
	v_mov_b32_e32 v4, v16
	v_mov_b32_e32 v5, v17
	v_mov_b32_e32 v6, v18
	v_mov_b32_e32 v7, v19
	v_mov_b32_e32 v8, v20
	v_mov_b32_e32 v9, v21
	flat_store_dwordx2 v[72:73], v[0:1]
	flat_store_dwordx2 v[76:77], v[2:3]
	flat_store_dwordx2 v[78:79], v[4:5]
	flat_store_dwordx2 v[80:81], v[6:7]
	flat_store_dwordx2 v[84:85], v[8:9]
	;; [unrolled: 15-line block ×3, first 2 shown]
	s_endpgm
	.section	.rodata,"a",@progbits
	.p2align	6, 0x0
	.amdhsa_kernel _ZN9rocsolver6v33100L18getri_kernel_smallILi15EdPKPdEEvT1_iilPiilS6_bb
		.amdhsa_group_segment_fixed_size 248
		.amdhsa_private_segment_fixed_size 0
		.amdhsa_kernarg_size 60
		.amdhsa_user_sgpr_count 6
		.amdhsa_user_sgpr_private_segment_buffer 1
		.amdhsa_user_sgpr_dispatch_ptr 0
		.amdhsa_user_sgpr_queue_ptr 0
		.amdhsa_user_sgpr_kernarg_segment_ptr 1
		.amdhsa_user_sgpr_dispatch_id 0
		.amdhsa_user_sgpr_flat_scratch_init 0
		.amdhsa_user_sgpr_private_segment_size 0
		.amdhsa_wavefront_size32 1
		.amdhsa_uses_dynamic_stack 0
		.amdhsa_system_sgpr_private_segment_wavefront_offset 0
		.amdhsa_system_sgpr_workgroup_id_x 1
		.amdhsa_system_sgpr_workgroup_id_y 0
		.amdhsa_system_sgpr_workgroup_id_z 0
		.amdhsa_system_sgpr_workgroup_info 0
		.amdhsa_system_vgpr_workitem_id 0
		.amdhsa_next_free_vgpr 96
		.amdhsa_next_free_sgpr 23
		.amdhsa_reserve_vcc 1
		.amdhsa_reserve_flat_scratch 1
		.amdhsa_float_round_mode_32 0
		.amdhsa_float_round_mode_16_64 0
		.amdhsa_float_denorm_mode_32 3
		.amdhsa_float_denorm_mode_16_64 3
		.amdhsa_dx10_clamp 1
		.amdhsa_ieee_mode 1
		.amdhsa_fp16_overflow 0
		.amdhsa_workgroup_processor_mode 1
		.amdhsa_memory_ordered 1
		.amdhsa_forward_progress 1
		.amdhsa_shared_vgpr_count 0
		.amdhsa_exception_fp_ieee_invalid_op 0
		.amdhsa_exception_fp_denorm_src 0
		.amdhsa_exception_fp_ieee_div_zero 0
		.amdhsa_exception_fp_ieee_overflow 0
		.amdhsa_exception_fp_ieee_underflow 0
		.amdhsa_exception_fp_ieee_inexact 0
		.amdhsa_exception_int_div_zero 0
	.end_amdhsa_kernel
	.section	.text._ZN9rocsolver6v33100L18getri_kernel_smallILi15EdPKPdEEvT1_iilPiilS6_bb,"axG",@progbits,_ZN9rocsolver6v33100L18getri_kernel_smallILi15EdPKPdEEvT1_iilPiilS6_bb,comdat
.Lfunc_end78:
	.size	_ZN9rocsolver6v33100L18getri_kernel_smallILi15EdPKPdEEvT1_iilPiilS6_bb, .Lfunc_end78-_ZN9rocsolver6v33100L18getri_kernel_smallILi15EdPKPdEEvT1_iilPiilS6_bb
                                        ; -- End function
	.set _ZN9rocsolver6v33100L18getri_kernel_smallILi15EdPKPdEEvT1_iilPiilS6_bb.num_vgpr, 96
	.set _ZN9rocsolver6v33100L18getri_kernel_smallILi15EdPKPdEEvT1_iilPiilS6_bb.num_agpr, 0
	.set _ZN9rocsolver6v33100L18getri_kernel_smallILi15EdPKPdEEvT1_iilPiilS6_bb.numbered_sgpr, 23
	.set _ZN9rocsolver6v33100L18getri_kernel_smallILi15EdPKPdEEvT1_iilPiilS6_bb.num_named_barrier, 0
	.set _ZN9rocsolver6v33100L18getri_kernel_smallILi15EdPKPdEEvT1_iilPiilS6_bb.private_seg_size, 0
	.set _ZN9rocsolver6v33100L18getri_kernel_smallILi15EdPKPdEEvT1_iilPiilS6_bb.uses_vcc, 1
	.set _ZN9rocsolver6v33100L18getri_kernel_smallILi15EdPKPdEEvT1_iilPiilS6_bb.uses_flat_scratch, 1
	.set _ZN9rocsolver6v33100L18getri_kernel_smallILi15EdPKPdEEvT1_iilPiilS6_bb.has_dyn_sized_stack, 0
	.set _ZN9rocsolver6v33100L18getri_kernel_smallILi15EdPKPdEEvT1_iilPiilS6_bb.has_recursion, 0
	.set _ZN9rocsolver6v33100L18getri_kernel_smallILi15EdPKPdEEvT1_iilPiilS6_bb.has_indirect_call, 0
	.section	.AMDGPU.csdata,"",@progbits
; Kernel info:
; codeLenInByte = 20384
; TotalNumSgprs: 25
; NumVgprs: 96
; ScratchSize: 0
; MemoryBound: 0
; FloatMode: 240
; IeeeMode: 1
; LDSByteSize: 248 bytes/workgroup (compile time only)
; SGPRBlocks: 0
; VGPRBlocks: 11
; NumSGPRsForWavesPerEU: 25
; NumVGPRsForWavesPerEU: 96
; Occupancy: 10
; WaveLimiterHint : 1
; COMPUTE_PGM_RSRC2:SCRATCH_EN: 0
; COMPUTE_PGM_RSRC2:USER_SGPR: 6
; COMPUTE_PGM_RSRC2:TRAP_HANDLER: 0
; COMPUTE_PGM_RSRC2:TGID_X_EN: 1
; COMPUTE_PGM_RSRC2:TGID_Y_EN: 0
; COMPUTE_PGM_RSRC2:TGID_Z_EN: 0
; COMPUTE_PGM_RSRC2:TIDIG_COMP_CNT: 0
	.section	.text._ZN9rocsolver6v33100L18getri_kernel_smallILi16EdPKPdEEvT1_iilPiilS6_bb,"axG",@progbits,_ZN9rocsolver6v33100L18getri_kernel_smallILi16EdPKPdEEvT1_iilPiilS6_bb,comdat
	.globl	_ZN9rocsolver6v33100L18getri_kernel_smallILi16EdPKPdEEvT1_iilPiilS6_bb ; -- Begin function _ZN9rocsolver6v33100L18getri_kernel_smallILi16EdPKPdEEvT1_iilPiilS6_bb
	.p2align	8
	.type	_ZN9rocsolver6v33100L18getri_kernel_smallILi16EdPKPdEEvT1_iilPiilS6_bb,@function
_ZN9rocsolver6v33100L18getri_kernel_smallILi16EdPKPdEEvT1_iilPiilS6_bb: ; @_ZN9rocsolver6v33100L18getri_kernel_smallILi16EdPKPdEEvT1_iilPiilS6_bb
; %bb.0:
	s_mov_b32 s0, exec_lo
	v_cmpx_gt_u32_e32 16, v0
	s_cbranch_execz .LBB79_16
; %bb.1:
	s_clause 0x2
	s_load_dword s8, s[4:5], 0x38
	s_load_dwordx2 s[0:1], s[4:5], 0x0
	s_load_dwordx4 s[16:19], s[4:5], 0x28
                                        ; implicit-def: $sgpr20_sgpr21
	s_waitcnt lgkmcnt(0)
	s_bitcmp1_b32 s8, 8
	s_cselect_b32 s22, -1, 0
	s_ashr_i32 s7, s6, 31
	s_lshl_b64 s[2:3], s[6:7], 3
	s_add_u32 s0, s0, s2
	s_addc_u32 s1, s1, s3
	s_load_dwordx2 s[2:3], s[0:1], 0x0
	s_bfe_u32 s0, s8, 0x10008
	s_cmp_eq_u32 s0, 0
	s_cbranch_scc1 .LBB79_3
; %bb.2:
	s_clause 0x1
	s_load_dword s0, s[4:5], 0x20
	s_load_dwordx2 s[8:9], s[4:5], 0x18
	s_mul_i32 s1, s16, s7
	s_mul_hi_u32 s10, s16, s6
	s_mul_i32 s11, s17, s6
	s_add_i32 s1, s10, s1
	s_mul_i32 s10, s16, s6
	s_add_i32 s11, s1, s11
	s_lshl_b64 s[10:11], s[10:11], 2
	s_waitcnt lgkmcnt(0)
	s_ashr_i32 s1, s0, 31
	s_add_u32 s8, s8, s10
	s_addc_u32 s9, s9, s11
	s_lshl_b64 s[0:1], s[0:1], 2
	s_add_u32 s20, s8, s0
	s_addc_u32 s21, s9, s1
.LBB79_3:
	s_clause 0x1
	s_load_dwordx2 s[0:1], s[4:5], 0x8
	s_load_dword s4, s[4:5], 0x38
	v_lshlrev_b32_e32 v36, 3, v0
	s_waitcnt lgkmcnt(0)
	v_add3_u32 v1, s1, s1, v0
	s_ashr_i32 s9, s0, 31
	s_mov_b32 s8, s0
	s_mov_b32 s10, s1
	s_lshl_b64 s[8:9], s[8:9], 3
	v_add_nc_u32_e32 v3, s1, v1
	v_ashrrev_i32_e32 v2, 31, v1
	s_add_u32 s0, s2, s8
	s_addc_u32 s5, s3, s9
	v_add_co_u32 v64, s2, s0, v36
	v_add_nc_u32_e32 v5, s1, v3
	s_ashr_i32 s11, s1, 31
	v_lshlrev_b64 v[1:2], 3, v[1:2]
	v_ashrrev_i32_e32 v4, 31, v3
	v_add_co_ci_u32_e64 v65, null, s5, 0, s2
	s_lshl_b64 s[2:3], s[10:11], 3
	v_ashrrev_i32_e32 v6, 31, v5
	v_add_nc_u32_e32 v7, s1, v5
	v_add_co_u32 v66, vcc_lo, v64, s2
	v_lshlrev_b64 v[3:4], 3, v[3:4]
	v_add_co_ci_u32_e64 v67, null, s3, v65, vcc_lo
	v_add_co_u32 v68, vcc_lo, s0, v1
	v_add_co_ci_u32_e64 v69, null, s5, v2, vcc_lo
	v_lshlrev_b64 v[1:2], 3, v[5:6]
	v_ashrrev_i32_e32 v8, 31, v7
	v_add_nc_u32_e32 v5, s1, v7
	v_add_co_u32 v70, vcc_lo, s0, v3
	v_add_co_ci_u32_e64 v71, null, s5, v4, vcc_lo
	v_lshlrev_b64 v[3:4], 3, v[7:8]
	v_ashrrev_i32_e32 v6, 31, v5
	v_add_nc_u32_e32 v7, s1, v5
	;; [unrolled: 5-line block ×9, first 2 shown]
	v_add_co_u32 v86, vcc_lo, s0, v3
	v_add_co_ci_u32_e64 v87, null, s5, v4, vcc_lo
	v_lshlrev_b64 v[3:4], 3, v[7:8]
	v_add_nc_u32_e32 v7, s1, v5
	v_ashrrev_i32_e32 v6, 31, v5
	v_add_co_u32 v88, vcc_lo, s0, v1
	v_add_co_ci_u32_e64 v89, null, s5, v2, vcc_lo
	v_ashrrev_i32_e32 v8, 31, v7
	v_lshlrev_b64 v[1:2], 3, v[5:6]
	v_add_co_u32 v90, vcc_lo, s0, v3
	v_add_co_ci_u32_e64 v91, null, s5, v4, vcc_lo
	v_lshlrev_b64 v[3:4], 3, v[7:8]
	v_add_co_u32 v94, vcc_lo, s0, v1
	v_add_co_ci_u32_e64 v95, null, s5, v2, vcc_lo
	v_mov_b32_e32 v1, 0
	v_add_co_u32 v92, vcc_lo, s0, v3
	v_add_co_ci_u32_e64 v93, null, s5, v4, vcc_lo
	s_clause 0xf
	flat_load_dwordx2 v[2:3], v[64:65]
	flat_load_dwordx2 v[4:5], v[66:67]
	;; [unrolled: 1-line block ×16, first 2 shown]
	s_bitcmp0_b32 s4, 0
	s_mov_b32 s0, -1
	s_cbranch_scc1 .LBB79_14
; %bb.4:
	v_cmp_eq_u32_e64 s0, 0, v0
	s_and_saveexec_b32 s1, s0
; %bb.5:
	v_mov_b32_e32 v34, 0
	ds_write_b32 v34, v34 offset:256
; %bb.6:
	s_or_b32 exec_lo, exec_lo, s1
	v_cmp_eq_u32_e32 vcc_lo, 1, v0
	s_mov_b32 s2, exec_lo
	s_waitcnt vmcnt(0) lgkmcnt(0)
	s_barrier
	buffer_gl0_inv
	v_cndmask_b32_e32 v34, v3, v5, vcc_lo
	v_cndmask_b32_e32 v35, v2, v4, vcc_lo
	v_cmp_eq_u32_e32 vcc_lo, 2, v0
	v_cndmask_b32_e32 v34, v34, v7, vcc_lo
	v_cndmask_b32_e32 v35, v35, v6, vcc_lo
	v_cmp_eq_u32_e32 vcc_lo, 3, v0
	;; [unrolled: 3-line block ×14, first 2 shown]
	v_cndmask_b32_e32 v35, v34, v33, vcc_lo
	v_cndmask_b32_e32 v34, v37, v32, vcc_lo
	v_cmpx_eq_f64_e32 0, v[34:35]
	s_cbranch_execz .LBB79_10
; %bb.7:
	v_mov_b32_e32 v37, 0
	s_mov_b32 s3, 0
	ds_read_b32 v38, v37 offset:256
	s_waitcnt lgkmcnt(0)
	v_readfirstlane_b32 s1, v38
	v_add_nc_u32_e32 v38, 1, v0
	s_cmp_eq_u32 s1, 0
	v_cmp_gt_i32_e32 vcc_lo, s1, v38
	s_cselect_b32 s4, -1, 0
	s_or_b32 s4, s4, vcc_lo
	s_and_b32 exec_lo, exec_lo, s4
	s_cbranch_execz .LBB79_10
; %bb.8:
	v_mov_b32_e32 v39, s1
.LBB79_9:                               ; =>This Inner Loop Header: Depth=1
	ds_cmpst_rtn_b32 v39, v37, v39, v38 offset:256
	s_waitcnt lgkmcnt(0)
	v_cmp_ne_u32_e32 vcc_lo, 0, v39
	v_cmp_le_i32_e64 s1, v39, v38
	s_and_b32 s1, vcc_lo, s1
	s_and_b32 s1, exec_lo, s1
	s_or_b32 s3, s1, s3
	s_andn2_b32 exec_lo, exec_lo, s3
	s_cbranch_execnz .LBB79_9
.LBB79_10:
	s_or_b32 exec_lo, exec_lo, s2
	v_mov_b32_e32 v37, 0
	s_barrier
	buffer_gl0_inv
	ds_read_b32 v38, v37 offset:256
	s_and_saveexec_b32 s1, s0
	s_cbranch_execz .LBB79_12
; %bb.11:
	s_lshl_b64 s[2:3], s[6:7], 2
	s_add_u32 s2, s18, s2
	s_addc_u32 s3, s19, s3
	s_waitcnt lgkmcnt(0)
	global_store_dword v37, v38, s[2:3]
.LBB79_12:
	s_or_b32 exec_lo, exec_lo, s1
	s_waitcnt lgkmcnt(0)
	v_cmp_ne_u32_e32 vcc_lo, 0, v38
	s_cbranch_vccz .LBB79_17
; %bb.13:
	s_mov_b32 s0, 0
                                        ; implicit-def: $vgpr2_vgpr3_vgpr4_vgpr5_vgpr6_vgpr7_vgpr8_vgpr9_vgpr10_vgpr11_vgpr12_vgpr13_vgpr14_vgpr15_vgpr16_vgpr17_vgpr18_vgpr19_vgpr20_vgpr21_vgpr22_vgpr23_vgpr24_vgpr25_vgpr26_vgpr27_vgpr28_vgpr29_vgpr30_vgpr31_vgpr32_vgpr33
.LBB79_14:
	s_and_b32 vcc_lo, exec_lo, s0
	s_cbranch_vccz .LBB79_16
.LBB79_15:
	s_lshl_b64 s[0:1], s[6:7], 2
	v_mov_b32_e32 v1, 0
	s_add_u32 s0, s18, s0
	s_addc_u32 s1, s19, s1
	global_load_dword v1, v1, s[0:1]
	s_waitcnt vmcnt(0)
	v_cmp_ne_u32_e32 vcc_lo, 0, v1
	s_cbranch_vccz .LBB79_88
.LBB79_16:
	s_endpgm
.LBB79_17:
	v_div_scale_f64 v[37:38], null, v[34:35], v[34:35], 1.0
	v_div_scale_f64 v[43:44], vcc_lo, 1.0, v[34:35], 1.0
	v_cmp_eq_u32_e64 s1, 14, v0
	v_cmp_eq_u32_e64 s2, 13, v0
	v_cmp_eq_u32_e64 s3, 12, v0
	v_cmp_eq_u32_e64 s4, 11, v0
	v_cmp_eq_u32_e64 s5, 10, v0
	v_cmp_eq_u32_e64 s8, 9, v0
	v_cmp_eq_u32_e64 s9, 8, v0
	v_cmp_eq_u32_e64 s10, 7, v0
	v_cmp_eq_u32_e64 s11, 6, v0
	v_cmp_eq_u32_e64 s12, 5, v0
	v_cmp_eq_u32_e64 s13, 4, v0
	v_cmp_eq_u32_e64 s14, 3, v0
	v_cmp_eq_u32_e64 s15, 2, v0
	v_cmp_eq_u32_e64 s16, 1, v0
	v_cmp_eq_u32_e64 s17, 0, v0
	v_rcp_f64_e32 v[39:40], v[37:38]
	v_fma_f64 v[41:42], -v[37:38], v[39:40], 1.0
	v_fma_f64 v[39:40], v[39:40], v[41:42], v[39:40]
	v_fma_f64 v[41:42], -v[37:38], v[39:40], 1.0
	v_fma_f64 v[39:40], v[39:40], v[41:42], v[39:40]
	v_mul_f64 v[41:42], v[43:44], v[39:40]
	v_fma_f64 v[37:38], -v[37:38], v[41:42], v[43:44]
	v_div_fmas_f64 v[37:38], v[37:38], v[39:40], v[41:42]
	v_cmp_eq_u32_e32 vcc_lo, 15, v0
	v_div_fixup_f64 v[34:35], v[37:38], v[34:35], 1.0
	v_add_nc_u32_e32 v38, 0x80, v36
	v_cndmask_b32_e32 v33, v33, v35, vcc_lo
	v_cndmask_b32_e32 v32, v32, v34, vcc_lo
	v_cndmask_b32_e64 v31, v31, v35, s1
	v_cndmask_b32_e64 v30, v30, v34, s1
	;; [unrolled: 1-line block ×26, first 2 shown]
	v_xor_b32_e32 v40, 0x80000000, v35
	v_mov_b32_e32 v39, v34
	v_cndmask_b32_e64 v7, v7, v35, s15
	v_cndmask_b32_e64 v6, v6, v34, s15
	;; [unrolled: 1-line block ×4, first 2 shown]
	ds_write2_b64 v36, v[39:40], v[4:5] offset1:16
	s_waitcnt lgkmcnt(0)
	s_waitcnt_vscnt null, 0x0
	s_barrier
	buffer_gl0_inv
	s_and_saveexec_b32 s1, s0
	s_cbranch_execz .LBB79_19
; %bb.18:
	ds_read_b64 v[4:5], v38
	v_mov_b32_e32 v36, 0
	ds_read_b64 v[36:37], v36 offset:8
	s_waitcnt lgkmcnt(1)
	v_fma_f64 v[4:5], v[34:35], v[4:5], 0
	s_waitcnt lgkmcnt(0)
	v_mul_f64 v[4:5], v[4:5], v[36:37]
.LBB79_19:
	s_or_b32 exec_lo, exec_lo, s1
	v_cmp_gt_u32_e32 vcc_lo, 2, v0
	s_barrier
	buffer_gl0_inv
	ds_write_b64 v38, v[6:7]
	s_waitcnt lgkmcnt(0)
	s_barrier
	buffer_gl0_inv
	s_and_saveexec_b32 s3, vcc_lo
	s_cbranch_execz .LBB79_23
; %bb.20:
	v_cmp_eq_u32_e64 s1, 1, v0
	v_cmp_eq_u32_e64 s2, 13, v0
	v_cndmask_b32_e64 v34, v3, v5, s1
	v_cndmask_b32_e64 v35, v2, v4, s1
	v_cmp_eq_u32_e64 s1, 2, v0
	v_cndmask_b32_e64 v7, v34, v7, s1
	v_cndmask_b32_e64 v6, v35, v6, s1
	;; [unrolled: 3-line block ×12, first 2 shown]
	ds_read_b64 v[6:7], v38
	v_cmp_eq_u32_e64 s1, 14, v0
	v_cndmask_b32_e64 v34, v34, v29, s2
	v_cndmask_b32_e64 v35, v35, v28, s2
	;; [unrolled: 1-line block ×4, first 2 shown]
	v_cmp_eq_u32_e64 s1, 15, v0
	v_cndmask_b32_e64 v35, v34, v33, s1
	v_cndmask_b32_e64 v34, v36, v32, s1
	s_waitcnt lgkmcnt(0)
	v_fma_f64 v[6:7], v[34:35], v[6:7], 0
	s_and_saveexec_b32 s1, s0
	s_cbranch_execz .LBB79_22
; %bb.21:
	v_mov_b32_e32 v34, 0
	ds_read_b64 v[34:35], v34 offset:136
	s_waitcnt lgkmcnt(0)
	v_fma_f64 v[6:7], v[4:5], v[34:35], v[6:7]
.LBB79_22:
	s_or_b32 exec_lo, exec_lo, s1
	v_mov_b32_e32 v34, 0
	ds_read_b64 v[34:35], v34 offset:16
	s_waitcnt lgkmcnt(0)
	v_mul_f64 v[6:7], v[6:7], v[34:35]
.LBB79_23:
	s_or_b32 exec_lo, exec_lo, s3
	s_mov_b32 s3, exec_lo
	s_barrier
	buffer_gl0_inv
	ds_write_b64 v38, v[8:9]
	s_waitcnt lgkmcnt(0)
	s_barrier
	buffer_gl0_inv
	v_cmpx_gt_u32_e32 3, v0
	s_cbranch_execz .LBB79_27
; %bb.24:
	v_mov_b32_e32 v34, 0
	v_mov_b32_e32 v37, v1
	v_lshl_add_u32 v39, v0, 3, 0x80
	v_mov_b32_e32 v35, 0
	v_mov_b32_e32 v36, v0
	s_mov_b32 s4, 0
.LBB79_25:                              ; =>This Inner Loop Header: Depth=1
	v_cmp_eq_u32_e64 s1, 1, v36
	v_cmp_eq_u32_e64 s2, 2, v36
	v_cndmask_b32_e64 v40, v3, v5, s1
	v_cndmask_b32_e64 v41, v2, v4, s1
	v_cmp_eq_u32_e64 s1, 3, v36
	v_cndmask_b32_e64 v40, v40, v7, s2
	v_cndmask_b32_e64 v41, v41, v6, s2
	;; [unrolled: 3-line block ×11, first 2 shown]
	ds_read_b64 v[40:41], v39
	v_cmp_eq_u32_e64 s1, 13, v36
	v_add_nc_u32_e32 v39, 8, v39
	v_cndmask_b32_e64 v42, v42, v27, s2
	v_cndmask_b32_e64 v43, v43, v26, s2
	v_cmp_eq_u32_e64 s2, 14, v36
	v_cndmask_b32_e64 v42, v42, v29, s1
	v_cndmask_b32_e64 v43, v43, v28, s1
	v_cmp_eq_u32_e64 s1, 15, v36
	v_cndmask_b32_e64 v42, v42, v31, s2
	v_cndmask_b32_e64 v44, v43, v30, s2
	;; [unrolled: 1-line block ×4, first 2 shown]
	v_add_co_u32 v36, s1, v36, 1
	v_add_co_ci_u32_e64 v37, null, 0, v37, s1
	s_waitcnt lgkmcnt(0)
	v_fma_f64 v[34:35], v[42:43], v[40:41], v[34:35]
	v_add_nc_u32_e32 v40, -1, v36
	v_cmp_lt_u32_e64 s1, 1, v40
	s_or_b32 s4, s1, s4
	s_andn2_b32 exec_lo, exec_lo, s4
	s_cbranch_execnz .LBB79_25
; %bb.26:
	s_or_b32 exec_lo, exec_lo, s4
	v_mov_b32_e32 v8, 0
	ds_read_b64 v[8:9], v8 offset:24
	s_waitcnt lgkmcnt(0)
	v_mul_f64 v[8:9], v[34:35], v[8:9]
.LBB79_27:
	s_or_b32 exec_lo, exec_lo, s3
	v_cmp_gt_u32_e64 s1, 4, v0
	s_barrier
	buffer_gl0_inv
	ds_write_b64 v38, v[10:11]
	s_waitcnt lgkmcnt(0)
	s_barrier
	buffer_gl0_inv
	s_and_saveexec_b32 s4, s1
	s_cbranch_execz .LBB79_31
; %bb.28:
	v_mov_b32_e32 v34, 0
	v_mov_b32_e32 v37, v1
	v_lshl_add_u32 v39, v0, 3, 0x80
	v_mov_b32_e32 v35, 0
	v_mov_b32_e32 v36, v0
	s_mov_b32 s5, 0
.LBB79_29:                              ; =>This Inner Loop Header: Depth=1
	v_cmp_eq_u32_e64 s2, 1, v36
	v_cmp_eq_u32_e64 s3, 2, v36
	v_cndmask_b32_e64 v40, v3, v5, s2
	v_cndmask_b32_e64 v41, v2, v4, s2
	v_cmp_eq_u32_e64 s2, 3, v36
	v_cndmask_b32_e64 v40, v40, v7, s3
	v_cndmask_b32_e64 v41, v41, v6, s3
	;; [unrolled: 3-line block ×11, first 2 shown]
	ds_read_b64 v[40:41], v39
	v_cmp_eq_u32_e64 s2, 13, v36
	v_add_nc_u32_e32 v39, 8, v39
	v_cndmask_b32_e64 v42, v42, v27, s3
	v_cndmask_b32_e64 v43, v43, v26, s3
	v_cmp_eq_u32_e64 s3, 14, v36
	v_cndmask_b32_e64 v42, v42, v29, s2
	v_cndmask_b32_e64 v43, v43, v28, s2
	v_cmp_eq_u32_e64 s2, 15, v36
	v_cndmask_b32_e64 v42, v42, v31, s3
	v_cndmask_b32_e64 v44, v43, v30, s3
	;; [unrolled: 1-line block ×4, first 2 shown]
	v_add_co_u32 v36, s2, v36, 1
	v_add_co_ci_u32_e64 v37, null, 0, v37, s2
	s_waitcnt lgkmcnt(0)
	v_fma_f64 v[34:35], v[42:43], v[40:41], v[34:35]
	v_add_nc_u32_e32 v40, -1, v36
	v_cmp_lt_u32_e64 s2, 2, v40
	s_or_b32 s5, s2, s5
	s_andn2_b32 exec_lo, exec_lo, s5
	s_cbranch_execnz .LBB79_29
; %bb.30:
	s_or_b32 exec_lo, exec_lo, s5
	v_mov_b32_e32 v10, 0
	ds_read_b64 v[10:11], v10 offset:32
	s_waitcnt lgkmcnt(0)
	v_mul_f64 v[10:11], v[34:35], v[10:11]
.LBB79_31:
	s_or_b32 exec_lo, exec_lo, s4
	s_mov_b32 s4, exec_lo
	s_barrier
	buffer_gl0_inv
	ds_write_b64 v38, v[12:13]
	s_waitcnt lgkmcnt(0)
	s_barrier
	buffer_gl0_inv
	v_cmpx_gt_u32_e32 5, v0
	s_cbranch_execz .LBB79_35
; %bb.32:
	v_mov_b32_e32 v34, 0
	v_mov_b32_e32 v37, v1
	v_lshl_add_u32 v39, v0, 3, 0x80
	v_mov_b32_e32 v35, 0
	v_mov_b32_e32 v36, v0
	s_mov_b32 s5, 0
.LBB79_33:                              ; =>This Inner Loop Header: Depth=1
	v_cmp_eq_u32_e64 s2, 1, v36
	v_cmp_eq_u32_e64 s3, 2, v36
	v_cndmask_b32_e64 v40, v3, v5, s2
	v_cndmask_b32_e64 v41, v2, v4, s2
	v_cmp_eq_u32_e64 s2, 3, v36
	v_cndmask_b32_e64 v40, v40, v7, s3
	v_cndmask_b32_e64 v41, v41, v6, s3
	;; [unrolled: 3-line block ×11, first 2 shown]
	ds_read_b64 v[40:41], v39
	v_cmp_eq_u32_e64 s2, 13, v36
	v_add_nc_u32_e32 v39, 8, v39
	v_cndmask_b32_e64 v42, v42, v27, s3
	v_cndmask_b32_e64 v43, v43, v26, s3
	v_cmp_eq_u32_e64 s3, 14, v36
	v_cndmask_b32_e64 v42, v42, v29, s2
	v_cndmask_b32_e64 v43, v43, v28, s2
	v_cmp_eq_u32_e64 s2, 15, v36
	v_cndmask_b32_e64 v42, v42, v31, s3
	v_cndmask_b32_e64 v44, v43, v30, s3
	;; [unrolled: 1-line block ×4, first 2 shown]
	v_add_co_u32 v36, s2, v36, 1
	v_add_co_ci_u32_e64 v37, null, 0, v37, s2
	s_waitcnt lgkmcnt(0)
	v_fma_f64 v[34:35], v[42:43], v[40:41], v[34:35]
	v_add_nc_u32_e32 v40, -1, v36
	v_cmp_lt_u32_e64 s2, 3, v40
	s_or_b32 s5, s2, s5
	s_andn2_b32 exec_lo, exec_lo, s5
	s_cbranch_execnz .LBB79_33
; %bb.34:
	s_or_b32 exec_lo, exec_lo, s5
	v_mov_b32_e32 v12, 0
	ds_read_b64 v[12:13], v12 offset:40
	s_waitcnt lgkmcnt(0)
	v_mul_f64 v[12:13], v[34:35], v[12:13]
.LBB79_35:
	s_or_b32 exec_lo, exec_lo, s4
	v_cmp_gt_u32_e64 s2, 6, v0
	s_barrier
	buffer_gl0_inv
	ds_write_b64 v38, v[14:15]
	s_waitcnt lgkmcnt(0)
	s_barrier
	buffer_gl0_inv
	s_and_saveexec_b32 s5, s2
	s_cbranch_execz .LBB79_39
; %bb.36:
	v_mov_b32_e32 v34, 0
	v_mov_b32_e32 v37, v1
	v_lshl_add_u32 v39, v0, 3, 0x80
	v_mov_b32_e32 v35, 0
	v_mov_b32_e32 v36, v0
	s_mov_b32 s8, 0
.LBB79_37:                              ; =>This Inner Loop Header: Depth=1
	v_cmp_eq_u32_e64 s3, 1, v36
	v_cmp_eq_u32_e64 s4, 2, v36
	v_cndmask_b32_e64 v40, v3, v5, s3
	v_cndmask_b32_e64 v41, v2, v4, s3
	v_cmp_eq_u32_e64 s3, 3, v36
	v_cndmask_b32_e64 v40, v40, v7, s4
	v_cndmask_b32_e64 v41, v41, v6, s4
	;; [unrolled: 3-line block ×11, first 2 shown]
	ds_read_b64 v[40:41], v39
	v_cmp_eq_u32_e64 s3, 13, v36
	v_add_nc_u32_e32 v39, 8, v39
	v_cndmask_b32_e64 v42, v42, v27, s4
	v_cndmask_b32_e64 v43, v43, v26, s4
	v_cmp_eq_u32_e64 s4, 14, v36
	v_cndmask_b32_e64 v42, v42, v29, s3
	v_cndmask_b32_e64 v43, v43, v28, s3
	v_cmp_eq_u32_e64 s3, 15, v36
	v_cndmask_b32_e64 v42, v42, v31, s4
	v_cndmask_b32_e64 v44, v43, v30, s4
	v_cndmask_b32_e64 v43, v42, v33, s3
	v_cndmask_b32_e64 v42, v44, v32, s3
	v_add_co_u32 v36, s3, v36, 1
	v_add_co_ci_u32_e64 v37, null, 0, v37, s3
	s_waitcnt lgkmcnt(0)
	v_fma_f64 v[34:35], v[42:43], v[40:41], v[34:35]
	v_add_nc_u32_e32 v40, -1, v36
	v_cmp_lt_u32_e64 s3, 4, v40
	s_or_b32 s8, s3, s8
	s_andn2_b32 exec_lo, exec_lo, s8
	s_cbranch_execnz .LBB79_37
; %bb.38:
	s_or_b32 exec_lo, exec_lo, s8
	v_mov_b32_e32 v14, 0
	ds_read_b64 v[14:15], v14 offset:48
	s_waitcnt lgkmcnt(0)
	v_mul_f64 v[14:15], v[34:35], v[14:15]
.LBB79_39:
	s_or_b32 exec_lo, exec_lo, s5
	s_mov_b32 s5, exec_lo
	s_barrier
	buffer_gl0_inv
	ds_write_b64 v38, v[16:17]
	s_waitcnt lgkmcnt(0)
	s_barrier
	buffer_gl0_inv
	v_cmpx_gt_u32_e32 7, v0
	s_cbranch_execz .LBB79_43
; %bb.40:
	v_mov_b32_e32 v34, 0
	v_mov_b32_e32 v37, v1
	v_lshl_add_u32 v39, v0, 3, 0x80
	v_mov_b32_e32 v35, 0
	v_mov_b32_e32 v36, v0
	s_mov_b32 s8, 0
.LBB79_41:                              ; =>This Inner Loop Header: Depth=1
	v_cmp_eq_u32_e64 s3, 1, v36
	v_cmp_eq_u32_e64 s4, 2, v36
	v_cndmask_b32_e64 v40, v3, v5, s3
	v_cndmask_b32_e64 v41, v2, v4, s3
	v_cmp_eq_u32_e64 s3, 3, v36
	v_cndmask_b32_e64 v40, v40, v7, s4
	v_cndmask_b32_e64 v41, v41, v6, s4
	;; [unrolled: 3-line block ×11, first 2 shown]
	ds_read_b64 v[40:41], v39
	v_cmp_eq_u32_e64 s3, 13, v36
	v_add_nc_u32_e32 v39, 8, v39
	v_cndmask_b32_e64 v42, v42, v27, s4
	v_cndmask_b32_e64 v43, v43, v26, s4
	v_cmp_eq_u32_e64 s4, 14, v36
	v_cndmask_b32_e64 v42, v42, v29, s3
	v_cndmask_b32_e64 v43, v43, v28, s3
	v_cmp_eq_u32_e64 s3, 15, v36
	v_cndmask_b32_e64 v42, v42, v31, s4
	v_cndmask_b32_e64 v44, v43, v30, s4
	;; [unrolled: 1-line block ×4, first 2 shown]
	v_add_co_u32 v36, s3, v36, 1
	v_add_co_ci_u32_e64 v37, null, 0, v37, s3
	s_waitcnt lgkmcnt(0)
	v_fma_f64 v[34:35], v[42:43], v[40:41], v[34:35]
	v_add_nc_u32_e32 v40, -1, v36
	v_cmp_lt_u32_e64 s3, 5, v40
	s_or_b32 s8, s3, s8
	s_andn2_b32 exec_lo, exec_lo, s8
	s_cbranch_execnz .LBB79_41
; %bb.42:
	s_or_b32 exec_lo, exec_lo, s8
	v_mov_b32_e32 v16, 0
	ds_read_b64 v[16:17], v16 offset:56
	s_waitcnt lgkmcnt(0)
	v_mul_f64 v[16:17], v[34:35], v[16:17]
.LBB79_43:
	s_or_b32 exec_lo, exec_lo, s5
	s_mov_b32 s5, exec_lo
	s_barrier
	buffer_gl0_inv
	ds_write_b64 v38, v[18:19]
	s_waitcnt lgkmcnt(0)
	s_barrier
	buffer_gl0_inv
	v_cmpx_gt_u32_e32 8, v0
	s_cbranch_execz .LBB79_59
; %bb.44:
	v_cmp_eq_u32_e64 s3, 1, v0
	v_cmp_eq_u32_e64 s4, 13, v0
	s_mov_b32 s8, exec_lo
	v_cndmask_b32_e64 v34, v3, v5, s3
	v_cndmask_b32_e64 v35, v2, v4, s3
	v_cmp_eq_u32_e64 s3, 2, v0
	v_cndmask_b32_e64 v34, v34, v7, s3
	v_cndmask_b32_e64 v35, v35, v6, s3
	v_cmp_eq_u32_e64 s3, 3, v0
	;; [unrolled: 3-line block ×11, first 2 shown]
	v_cndmask_b32_e64 v36, v34, v27, s3
	v_cndmask_b32_e64 v37, v35, v26, s3
	ds_read_b64 v[34:35], v38
	v_cmp_eq_u32_e64 s3, 14, v0
	v_cndmask_b32_e64 v36, v36, v29, s4
	v_cndmask_b32_e64 v37, v37, v28, s4
	;; [unrolled: 1-line block ×4, first 2 shown]
	v_cmp_eq_u32_e64 s3, 15, v0
	v_cndmask_b32_e64 v37, v36, v33, s3
	v_cndmask_b32_e64 v36, v39, v32, s3
	s_waitcnt lgkmcnt(0)
	v_fma_f64 v[34:35], v[36:37], v[34:35], 0
	v_cmpx_ne_u32_e32 7, v0
	s_cbranch_execz .LBB79_58
; %bb.45:
	v_add_nc_u32_e32 v39, 1, v0
	v_cmp_eq_u32_e64 s3, 1, v39
	v_cmp_eq_u32_e64 s4, 13, v39
	v_cndmask_b32_e64 v36, v3, v5, s3
	v_cndmask_b32_e64 v37, v2, v4, s3
	v_cmp_eq_u32_e64 s3, 2, v39
	v_cndmask_b32_e64 v36, v36, v7, s3
	v_cndmask_b32_e64 v37, v37, v6, s3
	;; [unrolled: 3-line block ×12, first 2 shown]
	ds_read_b64 v[36:37], v38 offset:8
	v_cmp_eq_u32_e64 s3, 14, v39
	v_cndmask_b32_e64 v40, v40, v29, s4
	v_cndmask_b32_e64 v41, v41, v28, s4
	;; [unrolled: 1-line block ×4, first 2 shown]
	v_cmp_eq_u32_e64 s3, 15, v39
	v_cndmask_b32_e64 v40, v40, v33, s3
	v_cndmask_b32_e64 v39, v41, v32, s3
	s_waitcnt lgkmcnt(0)
	v_fma_f64 v[34:35], v[39:40], v[36:37], v[34:35]
	s_and_saveexec_b32 s4, s2
	s_cbranch_execz .LBB79_57
; %bb.46:
	v_add_nc_u32_e32 v39, 2, v0
	s_mov_b32 s9, exec_lo
	v_cmp_eq_u32_e64 s2, 1, v39
	v_cmp_eq_u32_e64 s3, 13, v39
	v_cndmask_b32_e64 v36, v3, v5, s2
	v_cndmask_b32_e64 v37, v2, v4, s2
	v_cmp_eq_u32_e64 s2, 2, v39
	v_cndmask_b32_e64 v36, v36, v7, s2
	v_cndmask_b32_e64 v37, v37, v6, s2
	;; [unrolled: 3-line block ×12, first 2 shown]
	ds_read_b64 v[36:37], v38 offset:16
	v_cmp_eq_u32_e64 s2, 14, v39
	v_cndmask_b32_e64 v40, v40, v29, s3
	v_cndmask_b32_e64 v41, v41, v28, s3
	;; [unrolled: 1-line block ×4, first 2 shown]
	v_cmp_eq_u32_e64 s2, 15, v39
	v_cndmask_b32_e64 v40, v40, v33, s2
	v_cndmask_b32_e64 v39, v41, v32, s2
	s_waitcnt lgkmcnt(0)
	v_fma_f64 v[34:35], v[39:40], v[36:37], v[34:35]
	v_cmpx_ne_u32_e32 5, v0
	s_cbranch_execz .LBB79_56
; %bb.47:
	v_add_nc_u32_e32 v39, 3, v0
	v_cmp_eq_u32_e64 s2, 1, v39
	v_cmp_eq_u32_e64 s3, 13, v39
	v_cndmask_b32_e64 v36, v3, v5, s2
	v_cndmask_b32_e64 v37, v2, v4, s2
	v_cmp_eq_u32_e64 s2, 2, v39
	v_cndmask_b32_e64 v36, v36, v7, s2
	v_cndmask_b32_e64 v37, v37, v6, s2
	;; [unrolled: 3-line block ×12, first 2 shown]
	ds_read_b64 v[36:37], v38 offset:24
	v_cmp_eq_u32_e64 s2, 14, v39
	v_cndmask_b32_e64 v40, v40, v29, s3
	v_cndmask_b32_e64 v41, v41, v28, s3
	;; [unrolled: 1-line block ×4, first 2 shown]
	v_cmp_eq_u32_e64 s2, 15, v39
	v_cndmask_b32_e64 v40, v40, v33, s2
	v_cndmask_b32_e64 v39, v41, v32, s2
	s_waitcnt lgkmcnt(0)
	v_fma_f64 v[34:35], v[39:40], v[36:37], v[34:35]
	s_and_saveexec_b32 s3, s1
	s_cbranch_execz .LBB79_55
; %bb.48:
	v_or_b32_e32 v39, 4, v0
	s_mov_b32 s10, exec_lo
	v_cmp_eq_u32_e64 s1, 1, v39
	v_cmp_eq_u32_e64 s2, 13, v39
	v_cndmask_b32_e64 v36, v3, v5, s1
	v_cndmask_b32_e64 v37, v2, v4, s1
	v_cmp_eq_u32_e64 s1, 2, v39
	v_cndmask_b32_e64 v36, v36, v7, s1
	v_cndmask_b32_e64 v37, v37, v6, s1
	v_cmp_eq_u32_e64 s1, 3, v39
	v_cndmask_b32_e64 v36, v36, v9, s1
	v_cndmask_b32_e64 v37, v37, v8, s1
	v_cmp_eq_u32_e64 s1, 4, v39
	v_cndmask_b32_e64 v36, v36, v11, s1
	v_cndmask_b32_e64 v37, v37, v10, s1
	v_cmp_eq_u32_e64 s1, 5, v39
	v_cndmask_b32_e64 v36, v36, v13, s1
	v_cndmask_b32_e64 v37, v37, v12, s1
	v_cmp_eq_u32_e64 s1, 6, v39
	v_cndmask_b32_e64 v36, v36, v15, s1
	v_cndmask_b32_e64 v37, v37, v14, s1
	v_cmp_eq_u32_e64 s1, 7, v39
	v_cndmask_b32_e64 v36, v36, v17, s1
	v_cndmask_b32_e64 v37, v37, v16, s1
	v_cmp_eq_u32_e64 s1, 8, v39
	v_cndmask_b32_e64 v36, v36, v19, s1
	v_cndmask_b32_e64 v37, v37, v18, s1
	v_cmp_eq_u32_e64 s1, 9, v39
	v_cndmask_b32_e64 v36, v36, v21, s1
	v_cndmask_b32_e64 v37, v37, v20, s1
	v_cmp_eq_u32_e64 s1, 10, v39
	v_cndmask_b32_e64 v36, v36, v23, s1
	v_cndmask_b32_e64 v37, v37, v22, s1
	v_cmp_eq_u32_e64 s1, 11, v39
	v_cndmask_b32_e64 v36, v36, v25, s1
	v_cndmask_b32_e64 v37, v37, v24, s1
	v_cmp_eq_u32_e64 s1, 12, v39
	v_cndmask_b32_e64 v40, v36, v27, s1
	v_cndmask_b32_e64 v41, v37, v26, s1
	ds_read_b64 v[36:37], v38 offset:32
	v_cmp_eq_u32_e64 s1, 14, v39
	v_cndmask_b32_e64 v40, v40, v29, s2
	v_cndmask_b32_e64 v41, v41, v28, s2
	;; [unrolled: 1-line block ×4, first 2 shown]
	v_cmp_eq_u32_e64 s1, 15, v39
	v_cndmask_b32_e64 v40, v40, v33, s1
	v_cndmask_b32_e64 v39, v41, v32, s1
	s_waitcnt lgkmcnt(0)
	v_fma_f64 v[34:35], v[39:40], v[36:37], v[34:35]
	v_cmpx_ne_u32_e32 3, v0
	s_cbranch_execz .LBB79_54
; %bb.49:
	v_add_nc_u32_e32 v39, 5, v0
	v_cmp_eq_u32_e64 s1, 1, v39
	v_cmp_eq_u32_e64 s2, 13, v39
	v_cndmask_b32_e64 v36, v3, v5, s1
	v_cndmask_b32_e64 v37, v2, v4, s1
	v_cmp_eq_u32_e64 s1, 2, v39
	v_cndmask_b32_e64 v36, v36, v7, s1
	v_cndmask_b32_e64 v37, v37, v6, s1
	;; [unrolled: 3-line block ×12, first 2 shown]
	ds_read_b64 v[36:37], v38 offset:40
	v_cmp_eq_u32_e64 s1, 14, v39
	v_cndmask_b32_e64 v40, v40, v29, s2
	v_cndmask_b32_e64 v41, v41, v28, s2
	;; [unrolled: 1-line block ×4, first 2 shown]
	v_cmp_eq_u32_e64 s1, 15, v39
	v_cndmask_b32_e64 v40, v40, v33, s1
	v_cndmask_b32_e64 v39, v41, v32, s1
	s_waitcnt lgkmcnt(0)
	v_fma_f64 v[34:35], v[39:40], v[36:37], v[34:35]
	s_and_saveexec_b32 s2, vcc_lo
	s_cbranch_execz .LBB79_53
; %bb.50:
	v_or_b32_e32 v36, 6, v0
	v_cmp_eq_u32_e32 vcc_lo, 1, v36
	v_cmp_eq_u32_e64 s1, 13, v36
	v_cndmask_b32_e32 v37, v3, v5, vcc_lo
	v_cndmask_b32_e32 v39, v2, v4, vcc_lo
	v_cmp_eq_u32_e32 vcc_lo, 2, v36
	v_cndmask_b32_e32 v37, v37, v7, vcc_lo
	v_cndmask_b32_e32 v39, v39, v6, vcc_lo
	v_cmp_eq_u32_e32 vcc_lo, 3, v36
	v_cndmask_b32_e32 v37, v37, v9, vcc_lo
	v_cndmask_b32_e32 v39, v39, v8, vcc_lo
	v_cmp_eq_u32_e32 vcc_lo, 4, v36
	v_cndmask_b32_e32 v37, v37, v11, vcc_lo
	v_cndmask_b32_e32 v39, v39, v10, vcc_lo
	v_cmp_eq_u32_e32 vcc_lo, 5, v36
	v_cndmask_b32_e32 v37, v37, v13, vcc_lo
	v_cndmask_b32_e32 v39, v39, v12, vcc_lo
	v_cmp_eq_u32_e32 vcc_lo, 6, v36
	v_cndmask_b32_e32 v37, v37, v15, vcc_lo
	v_cndmask_b32_e32 v39, v39, v14, vcc_lo
	v_cmp_eq_u32_e32 vcc_lo, 7, v36
	v_cndmask_b32_e32 v37, v37, v17, vcc_lo
	v_cndmask_b32_e32 v39, v39, v16, vcc_lo
	v_cmp_eq_u32_e32 vcc_lo, 8, v36
	v_cndmask_b32_e32 v19, v37, v19, vcc_lo
	v_cndmask_b32_e32 v18, v39, v18, vcc_lo
	v_cmp_eq_u32_e32 vcc_lo, 9, v36
	v_cndmask_b32_e32 v19, v19, v21, vcc_lo
	v_cndmask_b32_e32 v18, v18, v20, vcc_lo
	v_cmp_eq_u32_e32 vcc_lo, 10, v36
	v_cndmask_b32_e32 v19, v19, v23, vcc_lo
	v_cndmask_b32_e32 v18, v18, v22, vcc_lo
	v_cmp_eq_u32_e32 vcc_lo, 11, v36
	v_cndmask_b32_e32 v19, v19, v25, vcc_lo
	v_cndmask_b32_e32 v18, v18, v24, vcc_lo
	v_cmp_eq_u32_e32 vcc_lo, 12, v36
	v_cndmask_b32_e32 v37, v19, v27, vcc_lo
	v_cndmask_b32_e32 v39, v18, v26, vcc_lo
	ds_read_b64 v[18:19], v38 offset:48
	v_cmp_eq_u32_e32 vcc_lo, 14, v36
	v_cndmask_b32_e64 v37, v37, v29, s1
	v_cndmask_b32_e64 v39, v39, v28, s1
	v_cndmask_b32_e32 v37, v37, v31, vcc_lo
	v_cndmask_b32_e32 v39, v39, v30, vcc_lo
	v_cmp_eq_u32_e32 vcc_lo, 15, v36
	v_cndmask_b32_e32 v37, v37, v33, vcc_lo
	v_cndmask_b32_e32 v36, v39, v32, vcc_lo
	s_waitcnt lgkmcnt(0)
	v_fma_f64 v[34:35], v[36:37], v[18:19], v[34:35]
	s_and_saveexec_b32 s1, s0
	s_cbranch_execz .LBB79_52
; %bb.51:
	ds_read_b64 v[18:19], v38 offset:56
	s_waitcnt lgkmcnt(0)
	v_fma_f64 v[34:35], v[16:17], v[18:19], v[34:35]
.LBB79_52:
	s_or_b32 exec_lo, exec_lo, s1
.LBB79_53:
	s_or_b32 exec_lo, exec_lo, s2
.LBB79_54:
	s_or_b32 exec_lo, exec_lo, s10
.LBB79_55:
	s_or_b32 exec_lo, exec_lo, s3
.LBB79_56:
	s_or_b32 exec_lo, exec_lo, s9
.LBB79_57:
	s_or_b32 exec_lo, exec_lo, s4
.LBB79_58:
	s_or_b32 exec_lo, exec_lo, s8
	v_mov_b32_e32 v18, 0
	ds_read_b64 v[18:19], v18 offset:64
	s_waitcnt lgkmcnt(0)
	v_mul_f64 v[18:19], v[34:35], v[18:19]
.LBB79_59:
	s_or_b32 exec_lo, exec_lo, s5
	s_mov_b32 s1, exec_lo
	s_barrier
	buffer_gl0_inv
	ds_write_b64 v38, v[20:21]
	s_waitcnt lgkmcnt(0)
	s_barrier
	buffer_gl0_inv
	v_cmpx_gt_u32_e32 9, v0
	s_cbranch_execz .LBB79_63
; %bb.60:
	v_mov_b32_e32 v34, 0
	v_mov_b32_e32 v37, v1
	v_lshl_add_u32 v39, v0, 3, 0x80
	v_mov_b32_e32 v35, 0
	v_mov_b32_e32 v36, v0
	s_mov_b32 s2, 0
.LBB79_61:                              ; =>This Inner Loop Header: Depth=1
	v_cmp_eq_u32_e32 vcc_lo, 1, v36
	v_cmp_eq_u32_e64 s0, 2, v36
	v_cndmask_b32_e32 v40, v3, v5, vcc_lo
	v_cndmask_b32_e32 v41, v2, v4, vcc_lo
	v_cmp_eq_u32_e32 vcc_lo, 3, v36
	v_cndmask_b32_e64 v40, v40, v7, s0
	v_cndmask_b32_e64 v41, v41, v6, s0
	v_cmp_eq_u32_e64 s0, 4, v36
	v_cndmask_b32_e32 v40, v40, v9, vcc_lo
	v_cndmask_b32_e32 v41, v41, v8, vcc_lo
	v_cmp_eq_u32_e32 vcc_lo, 5, v36
	v_cndmask_b32_e64 v40, v40, v11, s0
	v_cndmask_b32_e64 v41, v41, v10, s0
	;; [unrolled: 6-line block ×5, first 2 shown]
	v_cmp_eq_u32_e64 s0, 12, v36
	v_cndmask_b32_e32 v42, v40, v25, vcc_lo
	v_cndmask_b32_e32 v43, v41, v24, vcc_lo
	ds_read_b64 v[40:41], v39
	v_cmp_eq_u32_e32 vcc_lo, 13, v36
	v_add_nc_u32_e32 v39, 8, v39
	v_cndmask_b32_e64 v42, v42, v27, s0
	v_cndmask_b32_e64 v43, v43, v26, s0
	v_cmp_eq_u32_e64 s0, 14, v36
	v_cndmask_b32_e32 v42, v42, v29, vcc_lo
	v_cndmask_b32_e32 v43, v43, v28, vcc_lo
	v_cmp_eq_u32_e32 vcc_lo, 15, v36
	v_cndmask_b32_e64 v42, v42, v31, s0
	v_cndmask_b32_e64 v44, v43, v30, s0
	v_cndmask_b32_e32 v43, v42, v33, vcc_lo
	v_cndmask_b32_e32 v42, v44, v32, vcc_lo
	v_add_co_u32 v36, vcc_lo, v36, 1
	v_add_co_ci_u32_e64 v37, null, 0, v37, vcc_lo
	s_waitcnt lgkmcnt(0)
	v_fma_f64 v[34:35], v[42:43], v[40:41], v[34:35]
	v_add_nc_u32_e32 v40, -1, v36
	v_cmp_lt_u32_e32 vcc_lo, 7, v40
	s_or_b32 s2, vcc_lo, s2
	s_andn2_b32 exec_lo, exec_lo, s2
	s_cbranch_execnz .LBB79_61
; %bb.62:
	s_or_b32 exec_lo, exec_lo, s2
	v_mov_b32_e32 v20, 0
	ds_read_b64 v[20:21], v20 offset:72
	s_waitcnt lgkmcnt(0)
	v_mul_f64 v[20:21], v[34:35], v[20:21]
.LBB79_63:
	s_or_b32 exec_lo, exec_lo, s1
	s_mov_b32 s1, exec_lo
	s_barrier
	buffer_gl0_inv
	ds_write_b64 v38, v[22:23]
	s_waitcnt lgkmcnt(0)
	s_barrier
	buffer_gl0_inv
	v_cmpx_gt_u32_e32 10, v0
	s_cbranch_execz .LBB79_67
; %bb.64:
	v_mov_b32_e32 v34, 0
	v_mov_b32_e32 v37, v1
	v_lshl_add_u32 v39, v0, 3, 0x80
	v_mov_b32_e32 v35, 0
	v_mov_b32_e32 v36, v0
	s_mov_b32 s2, 0
.LBB79_65:                              ; =>This Inner Loop Header: Depth=1
	v_cmp_eq_u32_e32 vcc_lo, 1, v36
	v_cmp_eq_u32_e64 s0, 2, v36
	v_cndmask_b32_e32 v40, v3, v5, vcc_lo
	v_cndmask_b32_e32 v41, v2, v4, vcc_lo
	v_cmp_eq_u32_e32 vcc_lo, 3, v36
	v_cndmask_b32_e64 v40, v40, v7, s0
	v_cndmask_b32_e64 v41, v41, v6, s0
	v_cmp_eq_u32_e64 s0, 4, v36
	v_cndmask_b32_e32 v40, v40, v9, vcc_lo
	v_cndmask_b32_e32 v41, v41, v8, vcc_lo
	v_cmp_eq_u32_e32 vcc_lo, 5, v36
	v_cndmask_b32_e64 v40, v40, v11, s0
	v_cndmask_b32_e64 v41, v41, v10, s0
	;; [unrolled: 6-line block ×5, first 2 shown]
	v_cmp_eq_u32_e64 s0, 12, v36
	v_cndmask_b32_e32 v42, v40, v25, vcc_lo
	v_cndmask_b32_e32 v43, v41, v24, vcc_lo
	ds_read_b64 v[40:41], v39
	v_cmp_eq_u32_e32 vcc_lo, 13, v36
	v_add_nc_u32_e32 v39, 8, v39
	v_cndmask_b32_e64 v42, v42, v27, s0
	v_cndmask_b32_e64 v43, v43, v26, s0
	v_cmp_eq_u32_e64 s0, 14, v36
	v_cndmask_b32_e32 v42, v42, v29, vcc_lo
	v_cndmask_b32_e32 v43, v43, v28, vcc_lo
	v_cmp_eq_u32_e32 vcc_lo, 15, v36
	v_cndmask_b32_e64 v42, v42, v31, s0
	v_cndmask_b32_e64 v44, v43, v30, s0
	v_cndmask_b32_e32 v43, v42, v33, vcc_lo
	v_cndmask_b32_e32 v42, v44, v32, vcc_lo
	v_add_co_u32 v36, vcc_lo, v36, 1
	v_add_co_ci_u32_e64 v37, null, 0, v37, vcc_lo
	s_waitcnt lgkmcnt(0)
	v_fma_f64 v[34:35], v[42:43], v[40:41], v[34:35]
	v_add_nc_u32_e32 v40, -1, v36
	v_cmp_lt_u32_e32 vcc_lo, 8, v40
	s_or_b32 s2, vcc_lo, s2
	s_andn2_b32 exec_lo, exec_lo, s2
	s_cbranch_execnz .LBB79_65
; %bb.66:
	s_or_b32 exec_lo, exec_lo, s2
	v_mov_b32_e32 v22, 0
	ds_read_b64 v[22:23], v22 offset:80
	s_waitcnt lgkmcnt(0)
	v_mul_f64 v[22:23], v[34:35], v[22:23]
.LBB79_67:
	s_or_b32 exec_lo, exec_lo, s1
	s_mov_b32 s1, exec_lo
	s_barrier
	buffer_gl0_inv
	ds_write_b64 v38, v[24:25]
	s_waitcnt lgkmcnt(0)
	s_barrier
	buffer_gl0_inv
	v_cmpx_gt_u32_e32 11, v0
	s_cbranch_execz .LBB79_71
; %bb.68:
	v_mov_b32_e32 v34, 0
	v_mov_b32_e32 v37, v1
	v_lshl_add_u32 v39, v0, 3, 0x80
	v_mov_b32_e32 v35, 0
	v_mov_b32_e32 v36, v0
	s_mov_b32 s2, 0
.LBB79_69:                              ; =>This Inner Loop Header: Depth=1
	v_cmp_eq_u32_e32 vcc_lo, 1, v36
	v_cmp_eq_u32_e64 s0, 2, v36
	v_cndmask_b32_e32 v40, v3, v5, vcc_lo
	v_cndmask_b32_e32 v41, v2, v4, vcc_lo
	v_cmp_eq_u32_e32 vcc_lo, 3, v36
	v_cndmask_b32_e64 v40, v40, v7, s0
	v_cndmask_b32_e64 v41, v41, v6, s0
	v_cmp_eq_u32_e64 s0, 4, v36
	v_cndmask_b32_e32 v40, v40, v9, vcc_lo
	v_cndmask_b32_e32 v41, v41, v8, vcc_lo
	v_cmp_eq_u32_e32 vcc_lo, 5, v36
	v_cndmask_b32_e64 v40, v40, v11, s0
	v_cndmask_b32_e64 v41, v41, v10, s0
	v_cmp_eq_u32_e64 s0, 6, v36
	v_cndmask_b32_e32 v40, v40, v13, vcc_lo
	v_cndmask_b32_e32 v41, v41, v12, vcc_lo
	v_cmp_eq_u32_e32 vcc_lo, 7, v36
	v_cndmask_b32_e64 v40, v40, v15, s0
	v_cndmask_b32_e64 v41, v41, v14, s0
	v_cmp_eq_u32_e64 s0, 8, v36
	v_cndmask_b32_e32 v40, v40, v17, vcc_lo
	v_cndmask_b32_e32 v41, v41, v16, vcc_lo
	v_cmp_eq_u32_e32 vcc_lo, 9, v36
	v_cndmask_b32_e64 v40, v40, v19, s0
	v_cndmask_b32_e64 v41, v41, v18, s0
	v_cmp_eq_u32_e64 s0, 10, v36
	v_cndmask_b32_e32 v40, v40, v21, vcc_lo
	v_cndmask_b32_e32 v41, v41, v20, vcc_lo
	v_cmp_eq_u32_e32 vcc_lo, 11, v36
	v_cndmask_b32_e64 v40, v40, v23, s0
	v_cndmask_b32_e64 v41, v41, v22, s0
	v_cmp_eq_u32_e64 s0, 12, v36
	v_cndmask_b32_e32 v42, v40, v25, vcc_lo
	v_cndmask_b32_e32 v43, v41, v24, vcc_lo
	ds_read_b64 v[40:41], v39
	v_cmp_eq_u32_e32 vcc_lo, 13, v36
	v_add_nc_u32_e32 v39, 8, v39
	v_cndmask_b32_e64 v42, v42, v27, s0
	v_cndmask_b32_e64 v43, v43, v26, s0
	v_cmp_eq_u32_e64 s0, 14, v36
	v_cndmask_b32_e32 v42, v42, v29, vcc_lo
	v_cndmask_b32_e32 v43, v43, v28, vcc_lo
	v_cmp_eq_u32_e32 vcc_lo, 15, v36
	v_cndmask_b32_e64 v42, v42, v31, s0
	v_cndmask_b32_e64 v44, v43, v30, s0
	v_cndmask_b32_e32 v43, v42, v33, vcc_lo
	v_cndmask_b32_e32 v42, v44, v32, vcc_lo
	v_add_co_u32 v36, vcc_lo, v36, 1
	v_add_co_ci_u32_e64 v37, null, 0, v37, vcc_lo
	s_waitcnt lgkmcnt(0)
	v_fma_f64 v[34:35], v[42:43], v[40:41], v[34:35]
	v_add_nc_u32_e32 v40, -1, v36
	v_cmp_lt_u32_e32 vcc_lo, 9, v40
	s_or_b32 s2, vcc_lo, s2
	s_andn2_b32 exec_lo, exec_lo, s2
	s_cbranch_execnz .LBB79_69
; %bb.70:
	s_or_b32 exec_lo, exec_lo, s2
	v_mov_b32_e32 v24, 0
	ds_read_b64 v[24:25], v24 offset:88
	s_waitcnt lgkmcnt(0)
	v_mul_f64 v[24:25], v[34:35], v[24:25]
.LBB79_71:
	s_or_b32 exec_lo, exec_lo, s1
	s_mov_b32 s1, exec_lo
	s_barrier
	buffer_gl0_inv
	ds_write_b64 v38, v[26:27]
	s_waitcnt lgkmcnt(0)
	s_barrier
	buffer_gl0_inv
	v_cmpx_gt_u32_e32 12, v0
	s_cbranch_execz .LBB79_75
; %bb.72:
	v_mov_b32_e32 v34, 0
	v_mov_b32_e32 v37, v1
	v_lshl_add_u32 v39, v0, 3, 0x80
	v_mov_b32_e32 v35, 0
	v_mov_b32_e32 v36, v0
	s_mov_b32 s2, 0
.LBB79_73:                              ; =>This Inner Loop Header: Depth=1
	v_cmp_eq_u32_e32 vcc_lo, 1, v36
	v_cmp_eq_u32_e64 s0, 2, v36
	v_cndmask_b32_e32 v40, v3, v5, vcc_lo
	v_cndmask_b32_e32 v41, v2, v4, vcc_lo
	v_cmp_eq_u32_e32 vcc_lo, 3, v36
	v_cndmask_b32_e64 v40, v40, v7, s0
	v_cndmask_b32_e64 v41, v41, v6, s0
	v_cmp_eq_u32_e64 s0, 4, v36
	v_cndmask_b32_e32 v40, v40, v9, vcc_lo
	v_cndmask_b32_e32 v41, v41, v8, vcc_lo
	v_cmp_eq_u32_e32 vcc_lo, 5, v36
	v_cndmask_b32_e64 v40, v40, v11, s0
	v_cndmask_b32_e64 v41, v41, v10, s0
	;; [unrolled: 6-line block ×5, first 2 shown]
	v_cmp_eq_u32_e64 s0, 12, v36
	v_cndmask_b32_e32 v42, v40, v25, vcc_lo
	v_cndmask_b32_e32 v43, v41, v24, vcc_lo
	ds_read_b64 v[40:41], v39
	v_cmp_eq_u32_e32 vcc_lo, 13, v36
	v_add_nc_u32_e32 v39, 8, v39
	v_cndmask_b32_e64 v42, v42, v27, s0
	v_cndmask_b32_e64 v43, v43, v26, s0
	v_cmp_eq_u32_e64 s0, 14, v36
	v_cndmask_b32_e32 v42, v42, v29, vcc_lo
	v_cndmask_b32_e32 v43, v43, v28, vcc_lo
	v_cmp_eq_u32_e32 vcc_lo, 15, v36
	v_cndmask_b32_e64 v42, v42, v31, s0
	v_cndmask_b32_e64 v44, v43, v30, s0
	v_cndmask_b32_e32 v43, v42, v33, vcc_lo
	v_cndmask_b32_e32 v42, v44, v32, vcc_lo
	v_add_co_u32 v36, vcc_lo, v36, 1
	v_add_co_ci_u32_e64 v37, null, 0, v37, vcc_lo
	s_waitcnt lgkmcnt(0)
	v_fma_f64 v[34:35], v[42:43], v[40:41], v[34:35]
	v_add_nc_u32_e32 v40, -1, v36
	v_cmp_lt_u32_e32 vcc_lo, 10, v40
	s_or_b32 s2, vcc_lo, s2
	s_andn2_b32 exec_lo, exec_lo, s2
	s_cbranch_execnz .LBB79_73
; %bb.74:
	s_or_b32 exec_lo, exec_lo, s2
	v_mov_b32_e32 v26, 0
	ds_read_b64 v[26:27], v26 offset:96
	s_waitcnt lgkmcnt(0)
	v_mul_f64 v[26:27], v[34:35], v[26:27]
.LBB79_75:
	s_or_b32 exec_lo, exec_lo, s1
	s_mov_b32 s1, exec_lo
	s_barrier
	buffer_gl0_inv
	ds_write_b64 v38, v[28:29]
	s_waitcnt lgkmcnt(0)
	s_barrier
	buffer_gl0_inv
	v_cmpx_gt_u32_e32 13, v0
	s_cbranch_execz .LBB79_79
; %bb.76:
	v_mov_b32_e32 v34, 0
	v_mov_b32_e32 v37, v1
	v_lshl_add_u32 v39, v0, 3, 0x80
	v_mov_b32_e32 v35, 0
	v_mov_b32_e32 v36, v0
	s_mov_b32 s2, 0
.LBB79_77:                              ; =>This Inner Loop Header: Depth=1
	v_cmp_eq_u32_e32 vcc_lo, 1, v36
	v_cmp_eq_u32_e64 s0, 2, v36
	v_cndmask_b32_e32 v40, v3, v5, vcc_lo
	v_cndmask_b32_e32 v41, v2, v4, vcc_lo
	v_cmp_eq_u32_e32 vcc_lo, 3, v36
	v_cndmask_b32_e64 v40, v40, v7, s0
	v_cndmask_b32_e64 v41, v41, v6, s0
	v_cmp_eq_u32_e64 s0, 4, v36
	v_cndmask_b32_e32 v40, v40, v9, vcc_lo
	v_cndmask_b32_e32 v41, v41, v8, vcc_lo
	v_cmp_eq_u32_e32 vcc_lo, 5, v36
	v_cndmask_b32_e64 v40, v40, v11, s0
	v_cndmask_b32_e64 v41, v41, v10, s0
	;; [unrolled: 6-line block ×5, first 2 shown]
	v_cmp_eq_u32_e64 s0, 12, v36
	v_cndmask_b32_e32 v42, v40, v25, vcc_lo
	v_cndmask_b32_e32 v43, v41, v24, vcc_lo
	ds_read_b64 v[40:41], v39
	v_cmp_eq_u32_e32 vcc_lo, 13, v36
	v_add_nc_u32_e32 v39, 8, v39
	v_cndmask_b32_e64 v42, v42, v27, s0
	v_cndmask_b32_e64 v43, v43, v26, s0
	v_cmp_eq_u32_e64 s0, 14, v36
	v_cndmask_b32_e32 v42, v42, v29, vcc_lo
	v_cndmask_b32_e32 v43, v43, v28, vcc_lo
	v_cmp_eq_u32_e32 vcc_lo, 15, v36
	v_cndmask_b32_e64 v42, v42, v31, s0
	v_cndmask_b32_e64 v44, v43, v30, s0
	v_cndmask_b32_e32 v43, v42, v33, vcc_lo
	v_cndmask_b32_e32 v42, v44, v32, vcc_lo
	v_add_co_u32 v36, vcc_lo, v36, 1
	v_add_co_ci_u32_e64 v37, null, 0, v37, vcc_lo
	s_waitcnt lgkmcnt(0)
	v_fma_f64 v[34:35], v[42:43], v[40:41], v[34:35]
	v_add_nc_u32_e32 v40, -1, v36
	v_cmp_lt_u32_e32 vcc_lo, 11, v40
	s_or_b32 s2, vcc_lo, s2
	s_andn2_b32 exec_lo, exec_lo, s2
	s_cbranch_execnz .LBB79_77
; %bb.78:
	s_or_b32 exec_lo, exec_lo, s2
	v_mov_b32_e32 v28, 0
	ds_read_b64 v[28:29], v28 offset:104
	s_waitcnt lgkmcnt(0)
	v_mul_f64 v[28:29], v[34:35], v[28:29]
.LBB79_79:
	s_or_b32 exec_lo, exec_lo, s1
	s_mov_b32 s1, exec_lo
	s_barrier
	buffer_gl0_inv
	ds_write_b64 v38, v[30:31]
	s_waitcnt lgkmcnt(0)
	s_barrier
	buffer_gl0_inv
	v_cmpx_gt_u32_e32 14, v0
	s_cbranch_execz .LBB79_83
; %bb.80:
	v_mov_b32_e32 v34, 0
	v_mov_b32_e32 v37, v1
	v_lshl_add_u32 v39, v0, 3, 0x80
	v_mov_b32_e32 v35, 0
	v_mov_b32_e32 v36, v0
	s_mov_b32 s2, 0
.LBB79_81:                              ; =>This Inner Loop Header: Depth=1
	v_cmp_eq_u32_e32 vcc_lo, 1, v36
	v_cmp_eq_u32_e64 s0, 2, v36
	v_cndmask_b32_e32 v40, v3, v5, vcc_lo
	v_cndmask_b32_e32 v41, v2, v4, vcc_lo
	v_cmp_eq_u32_e32 vcc_lo, 3, v36
	v_cndmask_b32_e64 v40, v40, v7, s0
	v_cndmask_b32_e64 v41, v41, v6, s0
	v_cmp_eq_u32_e64 s0, 4, v36
	v_cndmask_b32_e32 v40, v40, v9, vcc_lo
	v_cndmask_b32_e32 v41, v41, v8, vcc_lo
	v_cmp_eq_u32_e32 vcc_lo, 5, v36
	v_cndmask_b32_e64 v40, v40, v11, s0
	v_cndmask_b32_e64 v41, v41, v10, s0
	v_cmp_eq_u32_e64 s0, 6, v36
	v_cndmask_b32_e32 v40, v40, v13, vcc_lo
	v_cndmask_b32_e32 v41, v41, v12, vcc_lo
	v_cmp_eq_u32_e32 vcc_lo, 7, v36
	v_cndmask_b32_e64 v40, v40, v15, s0
	v_cndmask_b32_e64 v41, v41, v14, s0
	v_cmp_eq_u32_e64 s0, 8, v36
	v_cndmask_b32_e32 v40, v40, v17, vcc_lo
	v_cndmask_b32_e32 v41, v41, v16, vcc_lo
	v_cmp_eq_u32_e32 vcc_lo, 9, v36
	v_cndmask_b32_e64 v40, v40, v19, s0
	v_cndmask_b32_e64 v41, v41, v18, s0
	v_cmp_eq_u32_e64 s0, 10, v36
	v_cndmask_b32_e32 v40, v40, v21, vcc_lo
	v_cndmask_b32_e32 v41, v41, v20, vcc_lo
	v_cmp_eq_u32_e32 vcc_lo, 11, v36
	v_cndmask_b32_e64 v40, v40, v23, s0
	v_cndmask_b32_e64 v41, v41, v22, s0
	v_cmp_eq_u32_e64 s0, 12, v36
	v_cndmask_b32_e32 v42, v40, v25, vcc_lo
	v_cndmask_b32_e32 v43, v41, v24, vcc_lo
	ds_read_b64 v[40:41], v39
	v_cmp_eq_u32_e32 vcc_lo, 13, v36
	v_add_nc_u32_e32 v39, 8, v39
	v_cndmask_b32_e64 v42, v42, v27, s0
	v_cndmask_b32_e64 v43, v43, v26, s0
	v_cmp_eq_u32_e64 s0, 14, v36
	v_cndmask_b32_e32 v42, v42, v29, vcc_lo
	v_cndmask_b32_e32 v43, v43, v28, vcc_lo
	v_cmp_eq_u32_e32 vcc_lo, 15, v36
	v_cndmask_b32_e64 v42, v42, v31, s0
	v_cndmask_b32_e64 v44, v43, v30, s0
	v_cndmask_b32_e32 v43, v42, v33, vcc_lo
	v_cndmask_b32_e32 v42, v44, v32, vcc_lo
	v_add_co_u32 v36, vcc_lo, v36, 1
	v_add_co_ci_u32_e64 v37, null, 0, v37, vcc_lo
	s_waitcnt lgkmcnt(0)
	v_fma_f64 v[34:35], v[42:43], v[40:41], v[34:35]
	v_add_nc_u32_e32 v40, -1, v36
	v_cmp_lt_u32_e32 vcc_lo, 12, v40
	s_or_b32 s2, vcc_lo, s2
	s_andn2_b32 exec_lo, exec_lo, s2
	s_cbranch_execnz .LBB79_81
; %bb.82:
	s_or_b32 exec_lo, exec_lo, s2
	v_mov_b32_e32 v30, 0
	ds_read_b64 v[30:31], v30 offset:112
	s_waitcnt lgkmcnt(0)
	v_mul_f64 v[30:31], v[34:35], v[30:31]
.LBB79_83:
	s_or_b32 exec_lo, exec_lo, s1
	s_mov_b32 s1, exec_lo
	s_barrier
	buffer_gl0_inv
	ds_write_b64 v38, v[32:33]
	s_waitcnt lgkmcnt(0)
	s_barrier
	buffer_gl0_inv
	v_cmpx_ne_u32_e32 15, v0
	s_cbranch_execz .LBB79_87
; %bb.84:
	v_mov_b32_e32 v34, 0
	v_mov_b32_e32 v37, v1
	v_lshl_add_u32 v38, v0, 3, 0x80
	v_mov_b32_e32 v35, 0
	v_mov_b32_e32 v36, v0
	s_mov_b32 s2, 0
.LBB79_85:                              ; =>This Inner Loop Header: Depth=1
	v_cmp_eq_u32_e32 vcc_lo, 1, v36
	v_cmp_eq_u32_e64 s0, 2, v36
	v_cndmask_b32_e32 v1, v3, v5, vcc_lo
	v_cndmask_b32_e32 v39, v2, v4, vcc_lo
	v_cmp_eq_u32_e32 vcc_lo, 3, v36
	v_cndmask_b32_e64 v1, v1, v7, s0
	v_cndmask_b32_e64 v39, v39, v6, s0
	v_cmp_eq_u32_e64 s0, 4, v36
	v_cndmask_b32_e32 v1, v1, v9, vcc_lo
	v_cndmask_b32_e32 v39, v39, v8, vcc_lo
	v_cmp_eq_u32_e32 vcc_lo, 5, v36
	v_cndmask_b32_e64 v1, v1, v11, s0
	v_cndmask_b32_e64 v39, v39, v10, s0
	;; [unrolled: 6-line block ×5, first 2 shown]
	v_cmp_eq_u32_e64 s0, 12, v36
	v_cndmask_b32_e32 v1, v1, v25, vcc_lo
	v_cndmask_b32_e32 v41, v39, v24, vcc_lo
	ds_read_b64 v[39:40], v38
	v_cmp_eq_u32_e32 vcc_lo, 13, v36
	v_add_nc_u32_e32 v38, 8, v38
	v_cndmask_b32_e64 v1, v1, v27, s0
	v_cndmask_b32_e64 v41, v41, v26, s0
	v_cmp_eq_u32_e64 s0, 14, v36
	v_cndmask_b32_e32 v1, v1, v29, vcc_lo
	v_cndmask_b32_e32 v41, v41, v28, vcc_lo
	v_cmp_eq_u32_e32 vcc_lo, 15, v36
	v_cndmask_b32_e64 v1, v1, v31, s0
	v_cndmask_b32_e64 v41, v41, v30, s0
	v_cndmask_b32_e32 v42, v1, v33, vcc_lo
	v_cndmask_b32_e32 v41, v41, v32, vcc_lo
	v_add_co_u32 v36, vcc_lo, v36, 1
	v_add_co_ci_u32_e64 v37, null, 0, v37, vcc_lo
	s_waitcnt lgkmcnt(0)
	v_fma_f64 v[34:35], v[41:42], v[39:40], v[34:35]
	v_add_nc_u32_e32 v1, -1, v36
	v_cmp_lt_u32_e32 vcc_lo, 13, v1
	s_or_b32 s2, vcc_lo, s2
	s_andn2_b32 exec_lo, exec_lo, s2
	s_cbranch_execnz .LBB79_85
; %bb.86:
	s_or_b32 exec_lo, exec_lo, s2
	v_mov_b32_e32 v1, 0
	ds_read_b64 v[32:33], v1 offset:120
	s_waitcnt lgkmcnt(0)
	v_mul_f64 v[32:33], v[34:35], v[32:33]
.LBB79_87:
	s_or_b32 exec_lo, exec_lo, s1
	s_barrier
	buffer_gl0_inv
	s_cbranch_execnz .LBB79_15
	s_branch .LBB79_16
.LBB79_88:
	v_lshl_add_u32 v1, v0, 3, 0x80
	s_mov_b32 s0, exec_lo
	v_cmpx_eq_u32_e32 15, v0
	s_cbranch_execz .LBB79_90
; %bb.89:
	s_mov_b32 s1, 0
	s_waitcnt lgkmcnt(0)
	v_mov_b32_e32 v63, v33
	v_mov_b32_e32 v62, v32
	;; [unrolled: 1-line block ×34, first 2 shown]
	ds_write_b64 v1, v[30:31]
	v_mov_b32_e32 v2, v32
	v_mov_b32_e32 v3, v33
	;; [unrolled: 1-line block ×32, first 2 shown]
.LBB79_90:
	s_or_b32 exec_lo, exec_lo, s0
	v_mov_b32_e32 v62, 0
	s_waitcnt lgkmcnt(0)
	s_waitcnt_vscnt null, 0x0
	s_barrier
	buffer_gl0_inv
	s_mov_b32 s0, exec_lo
	ds_read_b64 v[34:35], v62 offset:248
	s_waitcnt lgkmcnt(0)
	v_fma_f64 v[34:35], v[32:33], v[34:35], 0
	v_add_f64 v[30:31], v[30:31], -v[34:35]
	v_cmpx_lt_u32_e32 13, v0
	s_cbranch_execz .LBB79_92
; %bb.91:
	s_mov_b32 s1, 0
	v_mov_b32_e32 v61, v33
	v_mov_b32_e32 v60, v32
	;; [unrolled: 1-line block ×34, first 2 shown]
	ds_write_b64 v1, v[28:29]
	v_mov_b32_e32 v2, v30
	v_mov_b32_e32 v3, v31
	v_mov_b32_e32 v4, v32
	v_mov_b32_e32 v5, v33
	v_mov_b32_e32 v6, v34
	v_mov_b32_e32 v7, v35
	v_mov_b32_e32 v8, v36
	v_mov_b32_e32 v9, v37
	v_mov_b32_e32 v10, v38
	v_mov_b32_e32 v11, v39
	v_mov_b32_e32 v12, v40
	v_mov_b32_e32 v13, v41
	v_mov_b32_e32 v14, v42
	v_mov_b32_e32 v15, v43
	v_mov_b32_e32 v16, v44
	v_mov_b32_e32 v17, v45
	v_mov_b32_e32 v18, v46
	v_mov_b32_e32 v19, v47
	v_mov_b32_e32 v20, v48
	v_mov_b32_e32 v21, v49
	v_mov_b32_e32 v22, v50
	v_mov_b32_e32 v23, v51
	v_mov_b32_e32 v24, v52
	v_mov_b32_e32 v25, v53
	v_mov_b32_e32 v26, v54
	v_mov_b32_e32 v27, v55
	v_mov_b32_e32 v28, v56
	v_mov_b32_e32 v29, v57
	v_mov_b32_e32 v30, v58
	v_mov_b32_e32 v31, v59
	v_mov_b32_e32 v32, v60
	v_mov_b32_e32 v33, v61
.LBB79_92:
	s_or_b32 exec_lo, exec_lo, s0
	s_waitcnt lgkmcnt(0)
	s_barrier
	buffer_gl0_inv
	ds_read_b128 v[34:37], v62 offset:240
	s_mov_b32 s0, exec_lo
	s_waitcnt lgkmcnt(0)
	v_fma_f64 v[34:35], v[30:31], v[34:35], 0
	v_fma_f64 v[34:35], v[32:33], v[36:37], v[34:35]
	v_add_f64 v[28:29], v[28:29], -v[34:35]
	v_cmpx_lt_u32_e32 12, v0
	s_cbranch_execz .LBB79_94
; %bb.93:
	s_mov_b32 s1, 0
	v_mov_b32_e32 v59, v33
	v_mov_b32_e32 v58, v32
	;; [unrolled: 1-line block ×34, first 2 shown]
	ds_write_b64 v1, v[26:27]
	v_mov_b32_e32 v2, v28
	v_mov_b32_e32 v3, v29
	;; [unrolled: 1-line block ×32, first 2 shown]
.LBB79_94:
	s_or_b32 exec_lo, exec_lo, s0
	v_mov_b32_e32 v58, 0
	s_waitcnt lgkmcnt(0)
	s_barrier
	buffer_gl0_inv
	s_mov_b32 s0, exec_lo
	ds_read2_b64 v[34:37], v58 offset0:29 offset1:30
	ds_read_b64 v[38:39], v58 offset:248
	s_waitcnt lgkmcnt(1)
	v_fma_f64 v[34:35], v[28:29], v[34:35], 0
	v_fma_f64 v[34:35], v[30:31], v[36:37], v[34:35]
	s_waitcnt lgkmcnt(0)
	v_fma_f64 v[34:35], v[32:33], v[38:39], v[34:35]
	v_add_f64 v[26:27], v[26:27], -v[34:35]
	v_cmpx_lt_u32_e32 11, v0
	s_cbranch_execz .LBB79_96
; %bb.95:
	s_mov_b32 s1, 0
	v_mov_b32_e32 v57, v33
	v_mov_b32_e32 v56, v32
	;; [unrolled: 1-line block ×34, first 2 shown]
	ds_write_b64 v1, v[24:25]
	v_mov_b32_e32 v2, v26
	v_mov_b32_e32 v3, v27
	v_mov_b32_e32 v4, v28
	v_mov_b32_e32 v5, v29
	v_mov_b32_e32 v6, v30
	v_mov_b32_e32 v7, v31
	v_mov_b32_e32 v8, v32
	v_mov_b32_e32 v9, v33
	v_mov_b32_e32 v10, v34
	v_mov_b32_e32 v11, v35
	v_mov_b32_e32 v12, v36
	v_mov_b32_e32 v13, v37
	v_mov_b32_e32 v14, v38
	v_mov_b32_e32 v15, v39
	v_mov_b32_e32 v16, v40
	v_mov_b32_e32 v17, v41
	v_mov_b32_e32 v18, v42
	v_mov_b32_e32 v19, v43
	v_mov_b32_e32 v20, v44
	v_mov_b32_e32 v21, v45
	v_mov_b32_e32 v22, v46
	v_mov_b32_e32 v23, v47
	v_mov_b32_e32 v24, v48
	v_mov_b32_e32 v25, v49
	v_mov_b32_e32 v26, v50
	v_mov_b32_e32 v27, v51
	v_mov_b32_e32 v28, v52
	v_mov_b32_e32 v29, v53
	v_mov_b32_e32 v30, v54
	v_mov_b32_e32 v31, v55
	v_mov_b32_e32 v32, v56
	v_mov_b32_e32 v33, v57
.LBB79_96:
	s_or_b32 exec_lo, exec_lo, s0
	s_waitcnt lgkmcnt(0)
	s_barrier
	buffer_gl0_inv
	ds_read_b128 v[34:37], v58 offset:224
	ds_read_b128 v[38:41], v58 offset:240
	s_mov_b32 s0, exec_lo
	s_waitcnt lgkmcnt(1)
	v_fma_f64 v[34:35], v[26:27], v[34:35], 0
	v_fma_f64 v[34:35], v[28:29], v[36:37], v[34:35]
	s_waitcnt lgkmcnt(0)
	v_fma_f64 v[34:35], v[30:31], v[38:39], v[34:35]
	v_fma_f64 v[34:35], v[32:33], v[40:41], v[34:35]
	v_add_f64 v[24:25], v[24:25], -v[34:35]
	v_cmpx_lt_u32_e32 10, v0
	s_cbranch_execz .LBB79_98
; %bb.97:
	s_mov_b32 s1, 0
	v_mov_b32_e32 v55, v33
	v_mov_b32_e32 v54, v32
	;; [unrolled: 1-line block ×34, first 2 shown]
	ds_write_b64 v1, v[22:23]
	v_mov_b32_e32 v2, v24
	v_mov_b32_e32 v3, v25
	;; [unrolled: 1-line block ×32, first 2 shown]
.LBB79_98:
	s_or_b32 exec_lo, exec_lo, s0
	v_mov_b32_e32 v54, 0
	s_waitcnt lgkmcnt(0)
	s_barrier
	buffer_gl0_inv
	s_mov_b32 s0, exec_lo
	ds_read2_b64 v[34:37], v54 offset0:27 offset1:28
	ds_read2_b64 v[38:41], v54 offset0:29 offset1:30
	s_waitcnt lgkmcnt(1)
	v_fma_f64 v[34:35], v[24:25], v[34:35], 0
	v_fma_f64 v[34:35], v[26:27], v[36:37], v[34:35]
	ds_read_b64 v[36:37], v54 offset:248
	s_waitcnt lgkmcnt(1)
	v_fma_f64 v[34:35], v[28:29], v[38:39], v[34:35]
	v_fma_f64 v[34:35], v[30:31], v[40:41], v[34:35]
	s_waitcnt lgkmcnt(0)
	v_fma_f64 v[34:35], v[32:33], v[36:37], v[34:35]
	v_add_f64 v[22:23], v[22:23], -v[34:35]
	v_cmpx_lt_u32_e32 9, v0
	s_cbranch_execz .LBB79_100
; %bb.99:
	s_mov_b32 s1, 0
	v_mov_b32_e32 v53, v33
	v_mov_b32_e32 v52, v32
	;; [unrolled: 1-line block ×34, first 2 shown]
	ds_write_b64 v1, v[20:21]
	v_mov_b32_e32 v2, v22
	v_mov_b32_e32 v3, v23
	;; [unrolled: 1-line block ×32, first 2 shown]
.LBB79_100:
	s_or_b32 exec_lo, exec_lo, s0
	s_waitcnt lgkmcnt(0)
	s_barrier
	buffer_gl0_inv
	ds_read_b128 v[34:37], v54 offset:208
	ds_read_b128 v[38:41], v54 offset:224
	s_mov_b32 s0, exec_lo
	s_waitcnt lgkmcnt(1)
	v_fma_f64 v[34:35], v[22:23], v[34:35], 0
	v_fma_f64 v[34:35], v[24:25], v[36:37], v[34:35]
	s_waitcnt lgkmcnt(0)
	v_fma_f64 v[34:35], v[26:27], v[38:39], v[34:35]
	v_fma_f64 v[38:39], v[28:29], v[40:41], v[34:35]
	ds_read_b128 v[34:37], v54 offset:240
	s_waitcnt lgkmcnt(0)
	v_fma_f64 v[34:35], v[30:31], v[34:35], v[38:39]
	v_fma_f64 v[34:35], v[32:33], v[36:37], v[34:35]
	v_add_f64 v[20:21], v[20:21], -v[34:35]
	v_cmpx_lt_u32_e32 8, v0
	s_cbranch_execz .LBB79_102
; %bb.101:
	s_mov_b32 s1, 0
	v_mov_b32_e32 v51, v33
	v_mov_b32_e32 v50, v32
	;; [unrolled: 1-line block ×34, first 2 shown]
	ds_write_b64 v1, v[18:19]
	v_mov_b32_e32 v2, v20
	v_mov_b32_e32 v3, v21
	v_mov_b32_e32 v4, v22
	v_mov_b32_e32 v5, v23
	v_mov_b32_e32 v6, v24
	v_mov_b32_e32 v7, v25
	v_mov_b32_e32 v8, v26
	v_mov_b32_e32 v9, v27
	v_mov_b32_e32 v10, v28
	v_mov_b32_e32 v11, v29
	v_mov_b32_e32 v12, v30
	v_mov_b32_e32 v13, v31
	v_mov_b32_e32 v14, v32
	v_mov_b32_e32 v15, v33
	v_mov_b32_e32 v16, v34
	v_mov_b32_e32 v17, v35
	v_mov_b32_e32 v18, v36
	v_mov_b32_e32 v19, v37
	v_mov_b32_e32 v20, v38
	v_mov_b32_e32 v21, v39
	v_mov_b32_e32 v22, v40
	v_mov_b32_e32 v23, v41
	v_mov_b32_e32 v24, v42
	v_mov_b32_e32 v25, v43
	v_mov_b32_e32 v26, v44
	v_mov_b32_e32 v27, v45
	v_mov_b32_e32 v28, v46
	v_mov_b32_e32 v29, v47
	v_mov_b32_e32 v30, v48
	v_mov_b32_e32 v31, v49
	v_mov_b32_e32 v32, v50
	v_mov_b32_e32 v33, v51
.LBB79_102:
	s_or_b32 exec_lo, exec_lo, s0
	v_mov_b32_e32 v50, 0
	s_waitcnt lgkmcnt(0)
	s_barrier
	buffer_gl0_inv
	s_mov_b32 s0, exec_lo
	ds_read2_b64 v[34:37], v50 offset0:25 offset1:26
	ds_read2_b64 v[38:41], v50 offset0:27 offset1:28
	s_waitcnt lgkmcnt(1)
	v_fma_f64 v[34:35], v[20:21], v[34:35], 0
	v_fma_f64 v[34:35], v[22:23], v[36:37], v[34:35]
	s_waitcnt lgkmcnt(0)
	v_fma_f64 v[34:35], v[24:25], v[38:39], v[34:35]
	v_fma_f64 v[38:39], v[26:27], v[40:41], v[34:35]
	ds_read2_b64 v[34:37], v50 offset0:29 offset1:30
	ds_read_b64 v[40:41], v50 offset:248
	s_waitcnt lgkmcnt(1)
	v_fma_f64 v[34:35], v[28:29], v[34:35], v[38:39]
	v_fma_f64 v[34:35], v[30:31], v[36:37], v[34:35]
	s_waitcnt lgkmcnt(0)
	v_fma_f64 v[34:35], v[32:33], v[40:41], v[34:35]
	v_add_f64 v[18:19], v[18:19], -v[34:35]
	v_cmpx_lt_u32_e32 7, v0
	s_cbranch_execz .LBB79_104
; %bb.103:
	v_mov_b32_e32 v49, v33
	v_mov_b32_e32 v48, v32
	;; [unrolled: 1-line block ×32, first 2 shown]
	s_mov_b32 s1, 0
	ds_write_b64 v1, v[16:17]
	v_mov_b32_e32 v32, s1
	v_mov_b32_e32 v33, s1
	v_mov_b32_e32 v2, v18
	v_mov_b32_e32 v3, v19
	v_mov_b32_e32 v4, v20
	v_mov_b32_e32 v5, v21
	v_mov_b32_e32 v6, v22
	v_mov_b32_e32 v7, v23
	v_mov_b32_e32 v8, v24
	v_mov_b32_e32 v9, v25
	v_mov_b32_e32 v10, v26
	v_mov_b32_e32 v11, v27
	v_mov_b32_e32 v12, v28
	v_mov_b32_e32 v13, v29
	v_mov_b32_e32 v14, v30
	v_mov_b32_e32 v15, v31
	v_mov_b32_e32 v16, v32
	v_mov_b32_e32 v17, v33
	v_mov_b32_e32 v18, v34
	v_mov_b32_e32 v19, v35
	v_mov_b32_e32 v20, v36
	v_mov_b32_e32 v21, v37
	v_mov_b32_e32 v22, v38
	v_mov_b32_e32 v23, v39
	v_mov_b32_e32 v24, v40
	v_mov_b32_e32 v25, v41
	v_mov_b32_e32 v26, v42
	v_mov_b32_e32 v27, v43
	v_mov_b32_e32 v28, v44
	v_mov_b32_e32 v29, v45
	v_mov_b32_e32 v30, v46
	v_mov_b32_e32 v31, v47
	v_mov_b32_e32 v32, v48
	v_mov_b32_e32 v33, v49
.LBB79_104:
	s_or_b32 exec_lo, exec_lo, s0
	s_waitcnt lgkmcnt(0)
	s_barrier
	buffer_gl0_inv
	ds_read_b128 v[34:37], v50 offset:192
	ds_read_b128 v[38:41], v50 offset:208
	s_mov_b32 s0, exec_lo
	s_waitcnt lgkmcnt(1)
	v_fma_f64 v[34:35], v[18:19], v[34:35], 0
	v_fma_f64 v[34:35], v[20:21], v[36:37], v[34:35]
	s_waitcnt lgkmcnt(0)
	v_fma_f64 v[34:35], v[22:23], v[38:39], v[34:35]
	v_fma_f64 v[42:43], v[24:25], v[40:41], v[34:35]
	ds_read_b128 v[34:37], v50 offset:224
	ds_read_b128 v[38:41], v50 offset:240
	s_waitcnt lgkmcnt(1)
	v_fma_f64 v[34:35], v[26:27], v[34:35], v[42:43]
	v_fma_f64 v[34:35], v[28:29], v[36:37], v[34:35]
	s_waitcnt lgkmcnt(0)
	v_fma_f64 v[34:35], v[30:31], v[38:39], v[34:35]
	v_fma_f64 v[34:35], v[32:33], v[40:41], v[34:35]
	v_add_f64 v[16:17], v[16:17], -v[34:35]
	v_cmpx_lt_u32_e32 6, v0
	s_cbranch_execz .LBB79_106
; %bb.105:
	v_mov_b32_e32 v47, v33
	v_mov_b32_e32 v46, v32
	;; [unrolled: 1-line block ×32, first 2 shown]
	s_mov_b32 s1, 0
	ds_write_b64 v1, v[14:15]
	v_mov_b32_e32 v28, s1
	v_mov_b32_e32 v29, s1
	;; [unrolled: 1-line block ×34, first 2 shown]
.LBB79_106:
	s_or_b32 exec_lo, exec_lo, s0
	v_mov_b32_e32 v46, 0
	s_waitcnt lgkmcnt(0)
	s_barrier
	buffer_gl0_inv
	s_mov_b32 s0, exec_lo
	ds_read2_b64 v[34:37], v46 offset0:23 offset1:24
	ds_read2_b64 v[38:41], v46 offset0:25 offset1:26
	s_waitcnt lgkmcnt(1)
	v_fma_f64 v[34:35], v[16:17], v[34:35], 0
	v_fma_f64 v[34:35], v[18:19], v[36:37], v[34:35]
	s_waitcnt lgkmcnt(0)
	v_fma_f64 v[34:35], v[20:21], v[38:39], v[34:35]
	v_fma_f64 v[42:43], v[22:23], v[40:41], v[34:35]
	ds_read2_b64 v[34:37], v46 offset0:27 offset1:28
	ds_read2_b64 v[38:41], v46 offset0:29 offset1:30
	s_waitcnt lgkmcnt(1)
	v_fma_f64 v[34:35], v[24:25], v[34:35], v[42:43]
	v_fma_f64 v[34:35], v[26:27], v[36:37], v[34:35]
	ds_read_b64 v[36:37], v46 offset:248
	s_waitcnt lgkmcnt(1)
	v_fma_f64 v[34:35], v[28:29], v[38:39], v[34:35]
	v_fma_f64 v[34:35], v[30:31], v[40:41], v[34:35]
	s_waitcnt lgkmcnt(0)
	v_fma_f64 v[34:35], v[32:33], v[36:37], v[34:35]
	v_add_f64 v[14:15], v[14:15], -v[34:35]
	v_cmpx_lt_u32_e32 5, v0
	s_cbranch_execz .LBB79_108
; %bb.107:
	v_mov_b32_e32 v45, v33
	v_mov_b32_e32 v44, v32
	;; [unrolled: 1-line block ×32, first 2 shown]
	s_mov_b32 s1, 0
	ds_write_b64 v1, v[12:13]
	v_mov_b32_e32 v24, s1
	v_mov_b32_e32 v25, s1
	;; [unrolled: 1-line block ×34, first 2 shown]
.LBB79_108:
	s_or_b32 exec_lo, exec_lo, s0
	s_waitcnt lgkmcnt(0)
	s_barrier
	buffer_gl0_inv
	ds_read_b128 v[34:37], v46 offset:176
	ds_read_b128 v[38:41], v46 offset:192
	s_mov_b32 s0, exec_lo
	s_waitcnt lgkmcnt(1)
	v_fma_f64 v[34:35], v[14:15], v[34:35], 0
	v_fma_f64 v[34:35], v[16:17], v[36:37], v[34:35]
	s_waitcnt lgkmcnt(0)
	v_fma_f64 v[34:35], v[18:19], v[38:39], v[34:35]
	v_fma_f64 v[42:43], v[20:21], v[40:41], v[34:35]
	ds_read_b128 v[34:37], v46 offset:208
	ds_read_b128 v[38:41], v46 offset:224
	s_waitcnt lgkmcnt(1)
	v_fma_f64 v[34:35], v[22:23], v[34:35], v[42:43]
	v_fma_f64 v[34:35], v[24:25], v[36:37], v[34:35]
	s_waitcnt lgkmcnt(0)
	v_fma_f64 v[34:35], v[26:27], v[38:39], v[34:35]
	v_fma_f64 v[38:39], v[28:29], v[40:41], v[34:35]
	ds_read_b128 v[34:37], v46 offset:240
	s_waitcnt lgkmcnt(0)
	v_fma_f64 v[34:35], v[30:31], v[34:35], v[38:39]
	v_fma_f64 v[34:35], v[32:33], v[36:37], v[34:35]
	v_add_f64 v[12:13], v[12:13], -v[34:35]
	v_cmpx_lt_u32_e32 4, v0
	s_cbranch_execz .LBB79_110
; %bb.109:
	v_mov_b32_e32 v43, v33
	v_mov_b32_e32 v42, v32
	;; [unrolled: 1-line block ×32, first 2 shown]
	s_mov_b32 s1, 0
	ds_write_b64 v1, v[10:11]
	v_mov_b32_e32 v20, s1
	v_mov_b32_e32 v21, s1
	;; [unrolled: 1-line block ×34, first 2 shown]
.LBB79_110:
	s_or_b32 exec_lo, exec_lo, s0
	v_mov_b32_e32 v42, 0
	s_waitcnt lgkmcnt(0)
	s_barrier
	buffer_gl0_inv
	s_mov_b32 s0, exec_lo
	ds_read2_b64 v[34:37], v42 offset0:21 offset1:22
	ds_read2_b64 v[38:41], v42 offset0:23 offset1:24
	s_waitcnt lgkmcnt(1)
	v_fma_f64 v[34:35], v[12:13], v[34:35], 0
	v_fma_f64 v[34:35], v[14:15], v[36:37], v[34:35]
	s_waitcnt lgkmcnt(0)
	v_fma_f64 v[34:35], v[16:17], v[38:39], v[34:35]
	v_fma_f64 v[43:44], v[18:19], v[40:41], v[34:35]
	ds_read2_b64 v[34:37], v42 offset0:25 offset1:26
	ds_read2_b64 v[38:41], v42 offset0:27 offset1:28
	s_waitcnt lgkmcnt(1)
	v_fma_f64 v[34:35], v[20:21], v[34:35], v[43:44]
	v_fma_f64 v[34:35], v[22:23], v[36:37], v[34:35]
	s_waitcnt lgkmcnt(0)
	v_fma_f64 v[34:35], v[24:25], v[38:39], v[34:35]
	v_fma_f64 v[38:39], v[26:27], v[40:41], v[34:35]
	ds_read2_b64 v[34:37], v42 offset0:29 offset1:30
	ds_read_b64 v[40:41], v42 offset:248
	s_waitcnt lgkmcnt(1)
	v_fma_f64 v[34:35], v[28:29], v[34:35], v[38:39]
	v_fma_f64 v[34:35], v[30:31], v[36:37], v[34:35]
	s_waitcnt lgkmcnt(0)
	v_fma_f64 v[34:35], v[32:33], v[40:41], v[34:35]
	v_add_f64 v[10:11], v[10:11], -v[34:35]
	v_cmpx_lt_u32_e32 3, v0
	s_cbranch_execz .LBB79_112
; %bb.111:
	v_mov_b32_e32 v41, v33
	v_mov_b32_e32 v40, v32
	;; [unrolled: 1-line block ×32, first 2 shown]
	s_mov_b32 s1, 0
	ds_write_b64 v1, v[8:9]
	v_mov_b32_e32 v16, s1
	v_mov_b32_e32 v17, s1
	;; [unrolled: 1-line block ×34, first 2 shown]
.LBB79_112:
	s_or_b32 exec_lo, exec_lo, s0
	s_waitcnt lgkmcnt(0)
	s_barrier
	buffer_gl0_inv
	ds_read_b128 v[34:37], v42 offset:160
	ds_read_b128 v[38:41], v42 offset:176
	s_mov_b32 s0, exec_lo
	s_waitcnt lgkmcnt(1)
	v_fma_f64 v[34:35], v[10:11], v[34:35], 0
	v_fma_f64 v[34:35], v[12:13], v[36:37], v[34:35]
	s_waitcnt lgkmcnt(0)
	v_fma_f64 v[34:35], v[14:15], v[38:39], v[34:35]
	v_fma_f64 v[43:44], v[16:17], v[40:41], v[34:35]
	ds_read_b128 v[34:37], v42 offset:192
	ds_read_b128 v[38:41], v42 offset:208
	s_waitcnt lgkmcnt(1)
	v_fma_f64 v[34:35], v[18:19], v[34:35], v[43:44]
	v_fma_f64 v[34:35], v[20:21], v[36:37], v[34:35]
	s_waitcnt lgkmcnt(0)
	v_fma_f64 v[34:35], v[22:23], v[38:39], v[34:35]
	v_fma_f64 v[43:44], v[24:25], v[40:41], v[34:35]
	ds_read_b128 v[34:37], v42 offset:224
	ds_read_b128 v[38:41], v42 offset:240
	s_waitcnt lgkmcnt(1)
	v_fma_f64 v[34:35], v[26:27], v[34:35], v[43:44]
	v_fma_f64 v[34:35], v[28:29], v[36:37], v[34:35]
	s_waitcnt lgkmcnt(0)
	v_fma_f64 v[34:35], v[30:31], v[38:39], v[34:35]
	v_fma_f64 v[34:35], v[32:33], v[40:41], v[34:35]
	v_add_f64 v[8:9], v[8:9], -v[34:35]
	v_cmpx_lt_u32_e32 2, v0
	s_cbranch_execz .LBB79_114
; %bb.113:
	v_mov_b32_e32 v39, v33
	v_mov_b32_e32 v38, v32
	;; [unrolled: 1-line block ×32, first 2 shown]
	s_mov_b32 s1, 0
	ds_write_b64 v1, v[6:7]
	v_mov_b32_e32 v12, s1
	v_mov_b32_e32 v13, s1
	;; [unrolled: 1-line block ×34, first 2 shown]
.LBB79_114:
	s_or_b32 exec_lo, exec_lo, s0
	v_mov_b32_e32 v38, 0
	s_waitcnt lgkmcnt(0)
	s_barrier
	buffer_gl0_inv
	s_mov_b32 s0, exec_lo
	ds_read2_b64 v[34:37], v38 offset0:19 offset1:20
	ds_read2_b64 v[39:42], v38 offset0:21 offset1:22
	s_waitcnt lgkmcnt(1)
	v_fma_f64 v[34:35], v[8:9], v[34:35], 0
	v_fma_f64 v[34:35], v[10:11], v[36:37], v[34:35]
	s_waitcnt lgkmcnt(0)
	v_fma_f64 v[34:35], v[12:13], v[39:40], v[34:35]
	v_fma_f64 v[43:44], v[14:15], v[41:42], v[34:35]
	ds_read2_b64 v[34:37], v38 offset0:23 offset1:24
	ds_read2_b64 v[39:42], v38 offset0:25 offset1:26
	s_waitcnt lgkmcnt(1)
	v_fma_f64 v[34:35], v[16:17], v[34:35], v[43:44]
	v_fma_f64 v[34:35], v[18:19], v[36:37], v[34:35]
	s_waitcnt lgkmcnt(0)
	v_fma_f64 v[34:35], v[20:21], v[39:40], v[34:35]
	v_fma_f64 v[43:44], v[22:23], v[41:42], v[34:35]
	ds_read2_b64 v[34:37], v38 offset0:27 offset1:28
	ds_read2_b64 v[39:42], v38 offset0:29 offset1:30
	s_waitcnt lgkmcnt(1)
	v_fma_f64 v[34:35], v[24:25], v[34:35], v[43:44]
	v_fma_f64 v[34:35], v[26:27], v[36:37], v[34:35]
	ds_read_b64 v[36:37], v38 offset:248
	s_waitcnt lgkmcnt(1)
	v_fma_f64 v[34:35], v[28:29], v[39:40], v[34:35]
	v_fma_f64 v[34:35], v[30:31], v[41:42], v[34:35]
	s_waitcnt lgkmcnt(0)
	v_fma_f64 v[34:35], v[32:33], v[36:37], v[34:35]
	v_add_f64 v[6:7], v[6:7], -v[34:35]
	v_cmpx_lt_u32_e32 1, v0
	s_cbranch_execz .LBB79_116
; %bb.115:
	v_mov_b32_e32 v37, v33
	v_mov_b32_e32 v36, v32
	v_mov_b32_e32 v35, v31
	v_mov_b32_e32 v34, v30
	v_mov_b32_e32 v33, v29
	v_mov_b32_e32 v32, v28
	v_mov_b32_e32 v31, v27
	v_mov_b32_e32 v30, v26
	v_mov_b32_e32 v29, v25
	v_mov_b32_e32 v28, v24
	v_mov_b32_e32 v27, v23
	v_mov_b32_e32 v26, v22
	v_mov_b32_e32 v25, v21
	v_mov_b32_e32 v24, v20
	v_mov_b32_e32 v23, v19
	v_mov_b32_e32 v22, v18
	v_mov_b32_e32 v21, v17
	v_mov_b32_e32 v20, v16
	v_mov_b32_e32 v19, v15
	v_mov_b32_e32 v18, v14
	v_mov_b32_e32 v17, v13
	v_mov_b32_e32 v16, v12
	v_mov_b32_e32 v15, v11
	v_mov_b32_e32 v14, v10
	v_mov_b32_e32 v13, v9
	v_mov_b32_e32 v12, v8
	v_mov_b32_e32 v11, v7
	v_mov_b32_e32 v10, v6
	v_mov_b32_e32 v9, v5
	v_mov_b32_e32 v8, v4
	v_mov_b32_e32 v7, v3
	v_mov_b32_e32 v6, v2
	s_mov_b32 s1, 0
	ds_write_b64 v1, v[4:5]
	v_mov_b32_e32 v8, s1
	v_mov_b32_e32 v9, s1
	;; [unrolled: 1-line block ×34, first 2 shown]
.LBB79_116:
	s_or_b32 exec_lo, exec_lo, s0
	s_waitcnt lgkmcnt(0)
	s_barrier
	buffer_gl0_inv
	ds_read_b128 v[34:37], v38 offset:144
	ds_read_b128 v[39:42], v38 offset:160
	s_mov_b32 s1, 0
	s_mov_b32 s0, exec_lo
	s_waitcnt lgkmcnt(1)
	v_fma_f64 v[34:35], v[6:7], v[34:35], 0
	v_fma_f64 v[34:35], v[8:9], v[36:37], v[34:35]
	s_waitcnt lgkmcnt(0)
	v_fma_f64 v[34:35], v[10:11], v[39:40], v[34:35]
	v_fma_f64 v[43:44], v[12:13], v[41:42], v[34:35]
	ds_read_b128 v[34:37], v38 offset:176
	ds_read_b128 v[39:42], v38 offset:192
	s_waitcnt lgkmcnt(1)
	v_fma_f64 v[34:35], v[14:15], v[34:35], v[43:44]
	v_fma_f64 v[34:35], v[16:17], v[36:37], v[34:35]
	s_waitcnt lgkmcnt(0)
	v_fma_f64 v[34:35], v[18:19], v[39:40], v[34:35]
	v_fma_f64 v[43:44], v[20:21], v[41:42], v[34:35]
	ds_read_b128 v[34:37], v38 offset:208
	ds_read_b128 v[39:42], v38 offset:224
	s_waitcnt lgkmcnt(1)
	v_fma_f64 v[34:35], v[22:23], v[34:35], v[43:44]
	v_fma_f64 v[34:35], v[24:25], v[36:37], v[34:35]
	s_waitcnt lgkmcnt(0)
	v_fma_f64 v[34:35], v[26:27], v[39:40], v[34:35]
	v_fma_f64 v[39:40], v[28:29], v[41:42], v[34:35]
	ds_read_b128 v[34:37], v38 offset:240
	s_waitcnt lgkmcnt(0)
	v_fma_f64 v[34:35], v[30:31], v[34:35], v[39:40]
	v_fma_f64 v[34:35], v[32:33], v[36:37], v[34:35]
	v_add_f64 v[4:5], v[4:5], -v[34:35]
	v_cmpx_ne_u32_e32 0, v0
	s_cbranch_execz .LBB79_118
; %bb.117:
	v_mov_b32_e32 v35, v33
	v_mov_b32_e32 v34, v32
	;; [unrolled: 1-line block ×34, first 2 shown]
	ds_write_b64 v1, v[2:3]
	v_mov_b32_e32 v2, v4
	v_mov_b32_e32 v3, v5
	;; [unrolled: 1-line block ×32, first 2 shown]
.LBB79_118:
	s_or_b32 exec_lo, exec_lo, s0
	v_mov_b32_e32 v0, 0
	s_waitcnt lgkmcnt(0)
	s_barrier
	buffer_gl0_inv
	s_and_b32 vcc_lo, exec_lo, s22
	ds_read2_b64 v[34:37], v0 offset0:17 offset1:18
	ds_read2_b64 v[38:41], v0 offset0:19 offset1:20
	s_waitcnt lgkmcnt(1)
	v_fma_f64 v[34:35], v[4:5], v[34:35], 0
	v_fma_f64 v[34:35], v[6:7], v[36:37], v[34:35]
	s_waitcnt lgkmcnt(0)
	v_fma_f64 v[34:35], v[8:9], v[38:39], v[34:35]
	v_fma_f64 v[42:43], v[10:11], v[40:41], v[34:35]
	ds_read2_b64 v[34:37], v0 offset0:21 offset1:22
	ds_read2_b64 v[38:41], v0 offset0:23 offset1:24
	s_waitcnt lgkmcnt(1)
	v_fma_f64 v[34:35], v[12:13], v[34:35], v[42:43]
	v_fma_f64 v[34:35], v[14:15], v[36:37], v[34:35]
	s_waitcnt lgkmcnt(0)
	v_fma_f64 v[34:35], v[16:17], v[38:39], v[34:35]
	v_fma_f64 v[42:43], v[18:19], v[40:41], v[34:35]
	;; [unrolled: 8-line block ×3, first 2 shown]
	ds_read2_b64 v[34:37], v0 offset0:29 offset1:30
	ds_read_b64 v[40:41], v0 offset:248
	s_waitcnt lgkmcnt(1)
	v_fma_f64 v[34:35], v[28:29], v[34:35], v[38:39]
	v_fma_f64 v[34:35], v[30:31], v[36:37], v[34:35]
	s_waitcnt lgkmcnt(0)
	v_fma_f64 v[34:35], v[32:33], v[40:41], v[34:35]
	v_add_f64 v[2:3], v[2:3], -v[34:35]
	s_cbranch_vccz .LBB79_149
; %bb.119:
	global_load_dword v0, v0, s[20:21] offset:56
	s_waitcnt vmcnt(0)
	v_readfirstlane_b32 s0, v0
	s_add_i32 s0, s0, -1
	s_cmp_lg_u32 s0, 14
	s_cbranch_scc0 .LBB79_121
; %bb.120:
	s_lshl_b32 m0, s0, 1
	v_movrels_b32_e32 v0, v2
	v_movrels_b32_e32 v1, v3
	v_mov_b32_e32 v63, v33
	v_mov_b32_e32 v62, v32
	v_mov_b32_e32 v61, v31
	v_mov_b32_e32 v60, v30
	v_mov_b32_e32 v59, v29
	v_mov_b32_e32 v58, v28
	v_mov_b32_e32 v57, v27
	v_mov_b32_e32 v56, v26
	v_mov_b32_e32 v55, v25
	v_mov_b32_e32 v54, v24
	v_mov_b32_e32 v53, v23
	v_mov_b32_e32 v52, v22
	v_mov_b32_e32 v51, v21
	v_mov_b32_e32 v50, v20
	v_mov_b32_e32 v49, v19
	v_mov_b32_e32 v48, v18
	v_mov_b32_e32 v47, v17
	v_mov_b32_e32 v46, v16
	v_mov_b32_e32 v45, v15
	v_mov_b32_e32 v44, v14
	v_mov_b32_e32 v43, v13
	v_mov_b32_e32 v42, v12
	v_mov_b32_e32 v41, v11
	v_mov_b32_e32 v40, v10
	v_mov_b32_e32 v39, v9
	v_mov_b32_e32 v38, v8
	v_mov_b32_e32 v37, v7
	v_mov_b32_e32 v36, v6
	v_mov_b32_e32 v35, v5
	v_mov_b32_e32 v34, v4
	v_mov_b32_e32 v33, v3
	v_mov_b32_e32 v32, v2
	v_mov_b32_e32 v60, v0
	v_mov_b32_e32 v61, v1
	v_movreld_b32_e32 v32, v30
	v_movreld_b32_e32 v33, v31
	v_mov_b32_e32 v2, v32
	v_mov_b32_e32 v3, v33
	;; [unrolled: 1-line block ×32, first 2 shown]
.LBB79_121:
	v_mov_b32_e32 v0, 0
	global_load_dword v1, v0, s[20:21] offset:52
	s_waitcnt vmcnt(0)
	v_readfirstlane_b32 s0, v1
	s_add_i32 s0, s0, -1
	s_cmp_eq_u32 s0, 13
	s_cbranch_scc1 .LBB79_123
; %bb.122:
	s_lshl_b32 m0, s0, 1
	v_movrels_b32_e32 v1, v2
	v_movrels_b32_e32 v62, v3
	v_mov_b32_e32 v61, v33
	v_mov_b32_e32 v60, v32
	;; [unrolled: 1-line block ×34, first 2 shown]
	v_movreld_b32_e32 v30, v28
	v_movreld_b32_e32 v31, v29
	v_mov_b32_e32 v2, v30
	v_mov_b32_e32 v3, v31
	;; [unrolled: 1-line block ×32, first 2 shown]
.LBB79_123:
	global_load_dword v0, v0, s[20:21] offset:48
	s_waitcnt vmcnt(0)
	v_readfirstlane_b32 s0, v0
	s_add_i32 s0, s0, -1
	s_cmp_eq_u32 s0, 12
	s_cbranch_scc1 .LBB79_125
; %bb.124:
	s_lshl_b32 m0, s0, 1
	v_movrels_b32_e32 v0, v2
	v_movrels_b32_e32 v1, v3
	v_mov_b32_e32 v59, v33
	v_mov_b32_e32 v58, v32
	;; [unrolled: 1-line block ×34, first 2 shown]
	v_movreld_b32_e32 v28, v26
	v_movreld_b32_e32 v29, v27
	v_mov_b32_e32 v2, v28
	v_mov_b32_e32 v3, v29
	;; [unrolled: 1-line block ×32, first 2 shown]
.LBB79_125:
	v_mov_b32_e32 v0, 0
	global_load_dword v1, v0, s[20:21] offset:44
	s_waitcnt vmcnt(0)
	v_readfirstlane_b32 s0, v1
	s_add_i32 s0, s0, -1
	s_cmp_eq_u32 s0, 11
	s_cbranch_scc1 .LBB79_127
; %bb.126:
	s_lshl_b32 m0, s0, 1
	v_movrels_b32_e32 v1, v2
	v_movrels_b32_e32 v58, v3
	v_mov_b32_e32 v57, v33
	v_mov_b32_e32 v56, v32
	;; [unrolled: 1-line block ×34, first 2 shown]
	v_movreld_b32_e32 v26, v24
	v_movreld_b32_e32 v27, v25
	v_mov_b32_e32 v2, v26
	v_mov_b32_e32 v3, v27
	;; [unrolled: 1-line block ×32, first 2 shown]
.LBB79_127:
	global_load_dword v0, v0, s[20:21] offset:40
	s_waitcnt vmcnt(0)
	v_readfirstlane_b32 s0, v0
	s_add_i32 s0, s0, -1
	s_cmp_eq_u32 s0, 10
	s_cbranch_scc1 .LBB79_129
; %bb.128:
	s_lshl_b32 m0, s0, 1
	v_movrels_b32_e32 v0, v2
	v_movrels_b32_e32 v1, v3
	v_mov_b32_e32 v55, v33
	v_mov_b32_e32 v54, v32
	;; [unrolled: 1-line block ×34, first 2 shown]
	v_movreld_b32_e32 v24, v22
	v_movreld_b32_e32 v25, v23
	v_mov_b32_e32 v2, v24
	v_mov_b32_e32 v3, v25
	;; [unrolled: 1-line block ×32, first 2 shown]
.LBB79_129:
	v_mov_b32_e32 v0, 0
	global_load_dword v1, v0, s[20:21] offset:36
	s_waitcnt vmcnt(0)
	v_readfirstlane_b32 s0, v1
	s_add_i32 s0, s0, -1
	s_cmp_eq_u32 s0, 9
	s_cbranch_scc1 .LBB79_131
; %bb.130:
	s_lshl_b32 m0, s0, 1
	v_movrels_b32_e32 v1, v2
	v_movrels_b32_e32 v54, v3
	v_mov_b32_e32 v53, v33
	v_mov_b32_e32 v52, v32
	;; [unrolled: 1-line block ×34, first 2 shown]
	v_movreld_b32_e32 v22, v20
	v_movreld_b32_e32 v23, v21
	v_mov_b32_e32 v2, v22
	v_mov_b32_e32 v3, v23
	;; [unrolled: 1-line block ×32, first 2 shown]
.LBB79_131:
	global_load_dword v0, v0, s[20:21] offset:32
	s_waitcnt vmcnt(0)
	v_readfirstlane_b32 s0, v0
	s_add_i32 s0, s0, -1
	s_cmp_eq_u32 s0, 8
	s_cbranch_scc1 .LBB79_133
; %bb.132:
	s_lshl_b32 m0, s0, 1
	v_movrels_b32_e32 v0, v2
	v_movrels_b32_e32 v1, v3
	v_mov_b32_e32 v51, v33
	v_mov_b32_e32 v50, v32
	;; [unrolled: 1-line block ×34, first 2 shown]
	v_movreld_b32_e32 v20, v18
	v_movreld_b32_e32 v21, v19
	v_mov_b32_e32 v2, v20
	v_mov_b32_e32 v3, v21
	;; [unrolled: 1-line block ×32, first 2 shown]
.LBB79_133:
	v_mov_b32_e32 v0, 0
	global_load_dword v1, v0, s[20:21] offset:28
	s_waitcnt vmcnt(0)
	v_readfirstlane_b32 s0, v1
	s_add_i32 s0, s0, -1
	s_cmp_eq_u32 s0, 7
	s_cbranch_scc1 .LBB79_135
; %bb.134:
	s_lshl_b32 m0, s0, 1
	v_movrels_b32_e32 v1, v2
	v_movrels_b32_e32 v50, v3
	v_mov_b32_e32 v49, v33
	v_mov_b32_e32 v48, v32
	;; [unrolled: 1-line block ×34, first 2 shown]
	v_movreld_b32_e32 v18, v16
	v_movreld_b32_e32 v19, v17
	v_mov_b32_e32 v2, v18
	v_mov_b32_e32 v3, v19
	;; [unrolled: 1-line block ×32, first 2 shown]
.LBB79_135:
	global_load_dword v0, v0, s[20:21] offset:24
	s_waitcnt vmcnt(0)
	v_readfirstlane_b32 s0, v0
	s_add_i32 s0, s0, -1
	s_cmp_eq_u32 s0, 6
	s_cbranch_scc1 .LBB79_137
; %bb.136:
	s_lshl_b32 m0, s0, 1
	v_movrels_b32_e32 v0, v2
	v_movrels_b32_e32 v1, v3
	v_mov_b32_e32 v47, v33
	v_mov_b32_e32 v46, v32
	;; [unrolled: 1-line block ×34, first 2 shown]
	v_movreld_b32_e32 v16, v14
	v_movreld_b32_e32 v17, v15
	v_mov_b32_e32 v2, v16
	v_mov_b32_e32 v3, v17
	;; [unrolled: 1-line block ×32, first 2 shown]
.LBB79_137:
	v_mov_b32_e32 v0, 0
	global_load_dword v1, v0, s[20:21] offset:20
	s_waitcnt vmcnt(0)
	v_readfirstlane_b32 s0, v1
	s_add_i32 s0, s0, -1
	s_cmp_eq_u32 s0, 5
	s_cbranch_scc1 .LBB79_139
; %bb.138:
	s_lshl_b32 m0, s0, 1
	v_movrels_b32_e32 v1, v2
	v_movrels_b32_e32 v46, v3
	v_mov_b32_e32 v45, v33
	v_mov_b32_e32 v44, v32
	;; [unrolled: 1-line block ×34, first 2 shown]
	v_movreld_b32_e32 v14, v12
	v_movreld_b32_e32 v15, v13
	v_mov_b32_e32 v2, v14
	v_mov_b32_e32 v3, v15
	v_mov_b32_e32 v4, v16
	v_mov_b32_e32 v5, v17
	v_mov_b32_e32 v6, v18
	v_mov_b32_e32 v7, v19
	v_mov_b32_e32 v8, v20
	v_mov_b32_e32 v9, v21
	v_mov_b32_e32 v10, v22
	v_mov_b32_e32 v11, v23
	v_mov_b32_e32 v12, v24
	v_mov_b32_e32 v13, v25
	v_mov_b32_e32 v14, v26
	v_mov_b32_e32 v15, v27
	v_mov_b32_e32 v16, v28
	v_mov_b32_e32 v17, v29
	v_mov_b32_e32 v18, v30
	v_mov_b32_e32 v19, v31
	v_mov_b32_e32 v20, v32
	v_mov_b32_e32 v21, v33
	v_mov_b32_e32 v22, v34
	v_mov_b32_e32 v23, v35
	v_mov_b32_e32 v24, v36
	v_mov_b32_e32 v25, v37
	v_mov_b32_e32 v26, v38
	v_mov_b32_e32 v27, v39
	v_mov_b32_e32 v28, v40
	v_mov_b32_e32 v29, v41
	v_mov_b32_e32 v30, v42
	v_mov_b32_e32 v31, v43
	v_mov_b32_e32 v32, v44
	v_mov_b32_e32 v33, v45
.LBB79_139:
	global_load_dword v0, v0, s[20:21] offset:16
	s_waitcnt vmcnt(0)
	v_readfirstlane_b32 s0, v0
	s_add_i32 s0, s0, -1
	s_cmp_eq_u32 s0, 4
	s_cbranch_scc1 .LBB79_141
; %bb.140:
	s_lshl_b32 m0, s0, 1
	v_movrels_b32_e32 v0, v2
	v_movrels_b32_e32 v1, v3
	v_mov_b32_e32 v43, v33
	v_mov_b32_e32 v42, v32
	;; [unrolled: 1-line block ×34, first 2 shown]
	v_movreld_b32_e32 v12, v10
	v_movreld_b32_e32 v13, v11
	v_mov_b32_e32 v2, v12
	v_mov_b32_e32 v3, v13
	;; [unrolled: 1-line block ×32, first 2 shown]
.LBB79_141:
	v_mov_b32_e32 v0, 0
	global_load_dword v1, v0, s[20:21] offset:12
	s_waitcnt vmcnt(0)
	v_readfirstlane_b32 s0, v1
	s_add_i32 s0, s0, -1
	s_cmp_eq_u32 s0, 3
	s_cbranch_scc1 .LBB79_143
; %bb.142:
	s_lshl_b32 m0, s0, 1
	v_movrels_b32_e32 v1, v2
	v_movrels_b32_e32 v42, v3
	v_mov_b32_e32 v41, v33
	v_mov_b32_e32 v40, v32
	;; [unrolled: 1-line block ×34, first 2 shown]
	v_movreld_b32_e32 v10, v8
	v_movreld_b32_e32 v11, v9
	v_mov_b32_e32 v2, v10
	v_mov_b32_e32 v3, v11
	;; [unrolled: 1-line block ×32, first 2 shown]
.LBB79_143:
	global_load_dword v0, v0, s[20:21] offset:8
	s_waitcnt vmcnt(0)
	v_readfirstlane_b32 s0, v0
	s_add_i32 s0, s0, -1
	s_cmp_eq_u32 s0, 2
	s_cbranch_scc1 .LBB79_145
; %bb.144:
	s_lshl_b32 m0, s0, 1
	v_movrels_b32_e32 v0, v2
	v_movrels_b32_e32 v1, v3
	v_mov_b32_e32 v39, v33
	v_mov_b32_e32 v38, v32
	;; [unrolled: 1-line block ×34, first 2 shown]
	v_movreld_b32_e32 v8, v6
	v_movreld_b32_e32 v9, v7
	v_mov_b32_e32 v2, v8
	v_mov_b32_e32 v3, v9
	;; [unrolled: 1-line block ×32, first 2 shown]
.LBB79_145:
	v_mov_b32_e32 v0, 0
	global_load_dword v1, v0, s[20:21] offset:4
	s_waitcnt vmcnt(0)
	v_readfirstlane_b32 s0, v1
	s_add_i32 s0, s0, -1
	s_cmp_eq_u32 s0, 1
	s_cbranch_scc1 .LBB79_147
; %bb.146:
	s_lshl_b32 m0, s0, 1
	v_movrels_b32_e32 v1, v2
	v_movrels_b32_e32 v38, v3
	v_mov_b32_e32 v37, v33
	v_mov_b32_e32 v36, v32
	;; [unrolled: 1-line block ×34, first 2 shown]
	v_movreld_b32_e32 v6, v4
	v_movreld_b32_e32 v7, v5
	v_mov_b32_e32 v2, v6
	v_mov_b32_e32 v3, v7
	;; [unrolled: 1-line block ×32, first 2 shown]
.LBB79_147:
	global_load_dword v0, v0, s[20:21]
	s_waitcnt vmcnt(0)
	v_readfirstlane_b32 s0, v0
	s_add_i32 s0, s0, -1
	s_cmp_eq_u32 s0, 0
	s_cbranch_scc1 .LBB79_149
; %bb.148:
	s_lshl_b32 m0, s0, 1
	v_movrels_b32_e32 v0, v2
	v_movrels_b32_e32 v1, v3
	v_mov_b32_e32 v35, v33
	v_mov_b32_e32 v34, v32
	v_mov_b32_e32 v33, v31
	v_mov_b32_e32 v32, v30
	v_mov_b32_e32 v31, v29
	v_mov_b32_e32 v30, v28
	v_mov_b32_e32 v29, v27
	v_mov_b32_e32 v28, v26
	v_mov_b32_e32 v27, v25
	v_mov_b32_e32 v26, v24
	v_mov_b32_e32 v25, v23
	v_mov_b32_e32 v24, v22
	v_mov_b32_e32 v23, v21
	v_mov_b32_e32 v22, v20
	v_mov_b32_e32 v21, v19
	v_mov_b32_e32 v20, v18
	v_mov_b32_e32 v19, v17
	v_mov_b32_e32 v18, v16
	v_mov_b32_e32 v17, v15
	v_mov_b32_e32 v16, v14
	v_mov_b32_e32 v15, v13
	v_mov_b32_e32 v14, v12
	v_mov_b32_e32 v13, v11
	v_mov_b32_e32 v12, v10
	v_mov_b32_e32 v11, v9
	v_mov_b32_e32 v10, v8
	v_mov_b32_e32 v9, v7
	v_mov_b32_e32 v8, v6
	v_mov_b32_e32 v7, v5
	v_mov_b32_e32 v6, v4
	v_mov_b32_e32 v5, v3
	v_mov_b32_e32 v4, v2
	v_mov_b32_e32 v4, v0
	v_mov_b32_e32 v5, v1
	v_movreld_b32_e32 v4, v2
	v_movreld_b32_e32 v5, v3
	v_mov_b32_e32 v2, v4
	v_mov_b32_e32 v3, v5
	;; [unrolled: 1-line block ×32, first 2 shown]
.LBB79_149:
	flat_store_dwordx2 v[64:65], v[2:3]
	flat_store_dwordx2 v[66:67], v[4:5]
	;; [unrolled: 1-line block ×16, first 2 shown]
	s_endpgm
	.section	.rodata,"a",@progbits
	.p2align	6, 0x0
	.amdhsa_kernel _ZN9rocsolver6v33100L18getri_kernel_smallILi16EdPKPdEEvT1_iilPiilS6_bb
		.amdhsa_group_segment_fixed_size 264
		.amdhsa_private_segment_fixed_size 0
		.amdhsa_kernarg_size 60
		.amdhsa_user_sgpr_count 6
		.amdhsa_user_sgpr_private_segment_buffer 1
		.amdhsa_user_sgpr_dispatch_ptr 0
		.amdhsa_user_sgpr_queue_ptr 0
		.amdhsa_user_sgpr_kernarg_segment_ptr 1
		.amdhsa_user_sgpr_dispatch_id 0
		.amdhsa_user_sgpr_flat_scratch_init 0
		.amdhsa_user_sgpr_private_segment_size 0
		.amdhsa_wavefront_size32 1
		.amdhsa_uses_dynamic_stack 0
		.amdhsa_system_sgpr_private_segment_wavefront_offset 0
		.amdhsa_system_sgpr_workgroup_id_x 1
		.amdhsa_system_sgpr_workgroup_id_y 0
		.amdhsa_system_sgpr_workgroup_id_z 0
		.amdhsa_system_sgpr_workgroup_info 0
		.amdhsa_system_vgpr_workitem_id 0
		.amdhsa_next_free_vgpr 96
		.amdhsa_next_free_sgpr 23
		.amdhsa_reserve_vcc 1
		.amdhsa_reserve_flat_scratch 1
		.amdhsa_float_round_mode_32 0
		.amdhsa_float_round_mode_16_64 0
		.amdhsa_float_denorm_mode_32 3
		.amdhsa_float_denorm_mode_16_64 3
		.amdhsa_dx10_clamp 1
		.amdhsa_ieee_mode 1
		.amdhsa_fp16_overflow 0
		.amdhsa_workgroup_processor_mode 1
		.amdhsa_memory_ordered 1
		.amdhsa_forward_progress 1
		.amdhsa_shared_vgpr_count 0
		.amdhsa_exception_fp_ieee_invalid_op 0
		.amdhsa_exception_fp_denorm_src 0
		.amdhsa_exception_fp_ieee_div_zero 0
		.amdhsa_exception_fp_ieee_overflow 0
		.amdhsa_exception_fp_ieee_underflow 0
		.amdhsa_exception_fp_ieee_inexact 0
		.amdhsa_exception_int_div_zero 0
	.end_amdhsa_kernel
	.section	.text._ZN9rocsolver6v33100L18getri_kernel_smallILi16EdPKPdEEvT1_iilPiilS6_bb,"axG",@progbits,_ZN9rocsolver6v33100L18getri_kernel_smallILi16EdPKPdEEvT1_iilPiilS6_bb,comdat
.Lfunc_end79:
	.size	_ZN9rocsolver6v33100L18getri_kernel_smallILi16EdPKPdEEvT1_iilPiilS6_bb, .Lfunc_end79-_ZN9rocsolver6v33100L18getri_kernel_smallILi16EdPKPdEEvT1_iilPiilS6_bb
                                        ; -- End function
	.set _ZN9rocsolver6v33100L18getri_kernel_smallILi16EdPKPdEEvT1_iilPiilS6_bb.num_vgpr, 96
	.set _ZN9rocsolver6v33100L18getri_kernel_smallILi16EdPKPdEEvT1_iilPiilS6_bb.num_agpr, 0
	.set _ZN9rocsolver6v33100L18getri_kernel_smallILi16EdPKPdEEvT1_iilPiilS6_bb.numbered_sgpr, 23
	.set _ZN9rocsolver6v33100L18getri_kernel_smallILi16EdPKPdEEvT1_iilPiilS6_bb.num_named_barrier, 0
	.set _ZN9rocsolver6v33100L18getri_kernel_smallILi16EdPKPdEEvT1_iilPiilS6_bb.private_seg_size, 0
	.set _ZN9rocsolver6v33100L18getri_kernel_smallILi16EdPKPdEEvT1_iilPiilS6_bb.uses_vcc, 1
	.set _ZN9rocsolver6v33100L18getri_kernel_smallILi16EdPKPdEEvT1_iilPiilS6_bb.uses_flat_scratch, 1
	.set _ZN9rocsolver6v33100L18getri_kernel_smallILi16EdPKPdEEvT1_iilPiilS6_bb.has_dyn_sized_stack, 0
	.set _ZN9rocsolver6v33100L18getri_kernel_smallILi16EdPKPdEEvT1_iilPiilS6_bb.has_recursion, 0
	.set _ZN9rocsolver6v33100L18getri_kernel_smallILi16EdPKPdEEvT1_iilPiilS6_bb.has_indirect_call, 0
	.section	.AMDGPU.csdata,"",@progbits
; Kernel info:
; codeLenInByte = 22212
; TotalNumSgprs: 25
; NumVgprs: 96
; ScratchSize: 0
; MemoryBound: 0
; FloatMode: 240
; IeeeMode: 1
; LDSByteSize: 264 bytes/workgroup (compile time only)
; SGPRBlocks: 0
; VGPRBlocks: 11
; NumSGPRsForWavesPerEU: 25
; NumVGPRsForWavesPerEU: 96
; Occupancy: 10
; WaveLimiterHint : 1
; COMPUTE_PGM_RSRC2:SCRATCH_EN: 0
; COMPUTE_PGM_RSRC2:USER_SGPR: 6
; COMPUTE_PGM_RSRC2:TRAP_HANDLER: 0
; COMPUTE_PGM_RSRC2:TGID_X_EN: 1
; COMPUTE_PGM_RSRC2:TGID_Y_EN: 0
; COMPUTE_PGM_RSRC2:TGID_Z_EN: 0
; COMPUTE_PGM_RSRC2:TIDIG_COMP_CNT: 0
	.section	.text._ZN9rocsolver6v33100L18getri_kernel_smallILi17EdPKPdEEvT1_iilPiilS6_bb,"axG",@progbits,_ZN9rocsolver6v33100L18getri_kernel_smallILi17EdPKPdEEvT1_iilPiilS6_bb,comdat
	.globl	_ZN9rocsolver6v33100L18getri_kernel_smallILi17EdPKPdEEvT1_iilPiilS6_bb ; -- Begin function _ZN9rocsolver6v33100L18getri_kernel_smallILi17EdPKPdEEvT1_iilPiilS6_bb
	.p2align	8
	.type	_ZN9rocsolver6v33100L18getri_kernel_smallILi17EdPKPdEEvT1_iilPiilS6_bb,@function
_ZN9rocsolver6v33100L18getri_kernel_smallILi17EdPKPdEEvT1_iilPiilS6_bb: ; @_ZN9rocsolver6v33100L18getri_kernel_smallILi17EdPKPdEEvT1_iilPiilS6_bb
; %bb.0:
	s_add_u32 s0, s0, s7
	s_addc_u32 s1, s1, 0
	s_mov_b32 s7, exec_lo
	v_cmpx_gt_u32_e32 17, v0
	s_cbranch_execz .LBB80_78
; %bb.1:
	s_clause 0x2
	s_load_dword s17, s[4:5], 0x38
	s_load_dwordx2 s[12:13], s[4:5], 0x0
	s_load_dwordx4 s[8:11], s[4:5], 0x28
	s_waitcnt lgkmcnt(0)
	s_bitcmp1_b32 s17, 8
	s_cselect_b32 s16, -1, 0
	s_ashr_i32 s7, s6, 31
	s_lshl_b64 s[14:15], s[6:7], 3
	s_add_u32 s12, s12, s14
	s_addc_u32 s13, s13, s15
	s_load_dwordx2 s[14:15], s[12:13], 0x0
	s_bfe_u32 s12, s17, 0x10008
	s_cmp_eq_u32 s12, 0
                                        ; implicit-def: $sgpr12_sgpr13
	s_cbranch_scc1 .LBB80_3
; %bb.2:
	s_clause 0x1
	s_load_dword s12, s[4:5], 0x20
	s_load_dwordx2 s[18:19], s[4:5], 0x18
	s_mul_i32 s13, s8, s7
	s_mul_hi_u32 s17, s8, s6
	s_mul_i32 s9, s9, s6
	s_add_i32 s13, s17, s13
	s_mul_i32 s8, s8, s6
	s_add_i32 s9, s13, s9
	s_lshl_b64 s[8:9], s[8:9], 2
	s_waitcnt lgkmcnt(0)
	s_ashr_i32 s13, s12, 31
	s_add_u32 s17, s18, s8
	s_addc_u32 s18, s19, s9
	s_lshl_b64 s[8:9], s[12:13], 2
	s_add_u32 s12, s17, s8
	s_addc_u32 s13, s18, s9
.LBB80_3:
	s_clause 0x1
	s_load_dwordx2 s[8:9], s[4:5], 0x8
	s_load_dword s4, s[4:5], 0x38
	v_lshlrev_b32_e32 v37, 3, v0
	s_waitcnt lgkmcnt(0)
	s_ashr_i32 s19, s8, 31
	s_mov_b32 s18, s8
	v_add3_u32 v9, s9, s9, v0
	s_lshl_b64 s[18:19], s[18:19], 3
	s_add_u32 s5, s14, s18
	s_addc_u32 s8, s15, s19
	v_add_co_u32 v1, s14, s5, v37
	v_add_co_ci_u32_e64 v2, null, s8, 0, s14
	s_mov_b32 s14, s9
	s_ashr_i32 s15, s9, 31
	v_ashrrev_i32_e32 v10, 31, v9
	flat_load_dwordx2 v[5:6], v[1:2]
	s_lshl_b64 s[14:15], s[14:15], 3
	v_add_nc_u32_e32 v12, s9, v9
	v_add_co_u32 v3, vcc_lo, v1, s14
	v_add_co_ci_u32_e64 v4, null, s15, v2, vcc_lo
	v_ashrrev_i32_e32 v13, 31, v12
	s_bitcmp0_b32 s4, 0
	s_waitcnt vmcnt(0) lgkmcnt(0)
	buffer_store_dword v6, off, s[0:3], 0 offset:4
	buffer_store_dword v5, off, s[0:3], 0
	flat_load_dwordx2 v[7:8], v[3:4]
	v_lshlrev_b64 v[5:6], 3, v[9:10]
	s_waitcnt vmcnt(0) lgkmcnt(0)
	buffer_store_dword v8, off, s[0:3], 0 offset:12
	buffer_store_dword v7, off, s[0:3], 0 offset:8
	v_add_co_u32 v5, vcc_lo, s5, v5
	v_add_co_ci_u32_e64 v6, null, s8, v6, vcc_lo
	v_lshlrev_b64 v[7:8], 3, v[12:13]
	flat_load_dwordx2 v[10:11], v[5:6]
	s_waitcnt vmcnt(0) lgkmcnt(0)
	buffer_store_dword v11, off, s[0:3], 0 offset:20
	buffer_store_dword v10, off, s[0:3], 0 offset:16
	v_add_co_u32 v7, vcc_lo, s5, v7
	v_add_co_ci_u32_e64 v8, null, s8, v8, vcc_lo
	v_add_nc_u32_e32 v11, s9, v12
	flat_load_dwordx2 v[13:14], v[7:8]
	s_waitcnt vmcnt(0) lgkmcnt(0)
	buffer_store_dword v14, off, s[0:3], 0 offset:28
	buffer_store_dword v13, off, s[0:3], 0 offset:24
	v_ashrrev_i32_e32 v12, 31, v11
	v_add_nc_u32_e32 v15, s9, v11
	v_lshlrev_b64 v[9:10], 3, v[11:12]
	v_ashrrev_i32_e32 v16, 31, v15
	v_add_nc_u32_e32 v18, s9, v15
	v_add_co_u32 v9, vcc_lo, s5, v9
	v_add_co_ci_u32_e64 v10, null, s8, v10, vcc_lo
	v_lshlrev_b64 v[11:12], 3, v[15:16]
	v_ashrrev_i32_e32 v19, 31, v18
	flat_load_dwordx2 v[13:14], v[9:10]
	s_waitcnt vmcnt(0) lgkmcnt(0)
	buffer_store_dword v14, off, s[0:3], 0 offset:36
	buffer_store_dword v13, off, s[0:3], 0 offset:32
	v_add_co_u32 v11, vcc_lo, s5, v11
	v_add_co_ci_u32_e64 v12, null, s8, v12, vcc_lo
	v_lshlrev_b64 v[13:14], 3, v[18:19]
	flat_load_dwordx2 v[16:17], v[11:12]
	s_waitcnt vmcnt(0) lgkmcnt(0)
	buffer_store_dword v17, off, s[0:3], 0 offset:44
	buffer_store_dword v16, off, s[0:3], 0 offset:40
	v_add_co_u32 v13, vcc_lo, s5, v13
	v_add_co_ci_u32_e64 v14, null, s8, v14, vcc_lo
	v_add_nc_u32_e32 v17, s9, v18
	flat_load_dwordx2 v[19:20], v[13:14]
	s_waitcnt vmcnt(0) lgkmcnt(0)
	buffer_store_dword v20, off, s[0:3], 0 offset:52
	buffer_store_dword v19, off, s[0:3], 0 offset:48
	v_ashrrev_i32_e32 v18, 31, v17
	v_add_nc_u32_e32 v21, s9, v17
	v_lshlrev_b64 v[15:16], 3, v[17:18]
	v_ashrrev_i32_e32 v22, 31, v21
	v_add_nc_u32_e32 v24, s9, v21
	v_add_co_u32 v15, vcc_lo, s5, v15
	v_add_co_ci_u32_e64 v16, null, s8, v16, vcc_lo
	v_lshlrev_b64 v[17:18], 3, v[21:22]
	v_ashrrev_i32_e32 v25, 31, v24
	flat_load_dwordx2 v[19:20], v[15:16]
	;; [unrolled: 27-line block ×3, first 2 shown]
	s_waitcnt vmcnt(0) lgkmcnt(0)
	buffer_store_dword v26, off, s[0:3], 0 offset:84
	buffer_store_dword v25, off, s[0:3], 0 offset:80
	v_add_co_u32 v23, vcc_lo, s5, v23
	v_add_co_ci_u32_e64 v24, null, s8, v24, vcc_lo
	v_lshlrev_b64 v[25:26], 3, v[30:31]
	flat_load_dwordx2 v[28:29], v[23:24]
	s_waitcnt vmcnt(0) lgkmcnt(0)
	buffer_store_dword v29, off, s[0:3], 0 offset:92
	buffer_store_dword v28, off, s[0:3], 0 offset:88
	v_add_co_u32 v25, vcc_lo, s5, v25
	v_add_co_ci_u32_e64 v26, null, s8, v26, vcc_lo
	v_add_nc_u32_e32 v29, s9, v30
	flat_load_dwordx2 v[31:32], v[25:26]
	s_waitcnt vmcnt(0) lgkmcnt(0)
	buffer_store_dword v32, off, s[0:3], 0 offset:100
	buffer_store_dword v31, off, s[0:3], 0 offset:96
	v_ashrrev_i32_e32 v30, 31, v29
	v_add_nc_u32_e32 v33, s9, v29
	v_lshlrev_b64 v[27:28], 3, v[29:30]
	v_ashrrev_i32_e32 v34, 31, v33
	v_add_nc_u32_e32 v38, s9, v33
	v_add_co_u32 v27, vcc_lo, s5, v27
	v_add_co_ci_u32_e64 v28, null, s8, v28, vcc_lo
	v_lshlrev_b64 v[29:30], 3, v[33:34]
	v_ashrrev_i32_e32 v39, 31, v38
	v_add_nc_u32_e32 v33, s9, v38
	flat_load_dwordx2 v[31:32], v[27:28]
	s_waitcnt vmcnt(0) lgkmcnt(0)
	buffer_store_dword v32, off, s[0:3], 0 offset:108
	buffer_store_dword v31, off, s[0:3], 0 offset:104
	v_add_co_u32 v29, vcc_lo, s5, v29
	v_add_co_ci_u32_e64 v30, null, s8, v30, vcc_lo
	v_lshlrev_b64 v[31:32], 3, v[38:39]
	flat_load_dwordx2 v[34:35], v[29:30]
	s_waitcnt vmcnt(0) lgkmcnt(0)
	buffer_store_dword v35, off, s[0:3], 0 offset:116
	buffer_store_dword v34, off, s[0:3], 0 offset:112
	v_add_co_u32 v31, vcc_lo, s5, v31
	v_add_co_ci_u32_e64 v32, null, s8, v32, vcc_lo
	v_ashrrev_i32_e32 v34, 31, v33
	flat_load_dwordx2 v[35:36], v[31:32]
	s_waitcnt vmcnt(0) lgkmcnt(0)
	buffer_store_dword v36, off, s[0:3], 0 offset:124
	buffer_store_dword v35, off, s[0:3], 0 offset:120
	v_lshlrev_b64 v[33:34], 3, v[33:34]
	v_add_co_u32 v33, vcc_lo, s5, v33
	v_add_co_ci_u32_e64 v34, null, s8, v34, vcc_lo
	s_mov_b32 s5, -1
	flat_load_dwordx2 v[35:36], v[33:34]
	s_waitcnt vmcnt(0) lgkmcnt(0)
	buffer_store_dword v36, off, s[0:3], 0 offset:132
	buffer_store_dword v35, off, s[0:3], 0 offset:128
	s_cbranch_scc1 .LBB80_76
; %bb.4:
	v_cmp_eq_u32_e64 s4, 0, v0
	s_and_saveexec_b32 s5, s4
; %bb.5:
	v_mov_b32_e32 v35, 0
	ds_write_b32 v35, v35 offset:136
; %bb.6:
	s_or_b32 exec_lo, exec_lo, s5
	v_lshl_add_u32 v35, v0, 3, 0
	s_waitcnt lgkmcnt(0)
	s_waitcnt_vscnt null, 0x0
	s_barrier
	buffer_gl0_inv
	s_mov_b32 s8, exec_lo
	s_clause 0x1
	buffer_load_dword v38, v35, s[0:3], 0 offen
	buffer_load_dword v39, v35, s[0:3], 0 offen offset:4
	s_waitcnt vmcnt(0)
	v_cmpx_eq_f64_e32 0, v[38:39]
	s_cbranch_execz .LBB80_10
; %bb.7:
	v_mov_b32_e32 v36, 0
	s_mov_b32 s9, 0
	ds_read_b32 v38, v36 offset:136
	s_waitcnt lgkmcnt(0)
	v_readfirstlane_b32 s5, v38
	v_add_nc_u32_e32 v38, 1, v0
	s_cmp_eq_u32 s5, 0
	v_cmp_gt_i32_e32 vcc_lo, s5, v38
	s_cselect_b32 s14, -1, 0
	s_or_b32 s14, s14, vcc_lo
	s_and_b32 exec_lo, exec_lo, s14
	s_cbranch_execz .LBB80_10
; %bb.8:
	v_mov_b32_e32 v39, s5
.LBB80_9:                               ; =>This Inner Loop Header: Depth=1
	ds_cmpst_rtn_b32 v39, v36, v39, v38 offset:136
	s_waitcnt lgkmcnt(0)
	v_cmp_ne_u32_e32 vcc_lo, 0, v39
	v_cmp_le_i32_e64 s5, v39, v38
	s_and_b32 s5, vcc_lo, s5
	s_and_b32 s5, exec_lo, s5
	s_or_b32 s9, s5, s9
	s_andn2_b32 exec_lo, exec_lo, s9
	s_cbranch_execnz .LBB80_9
.LBB80_10:
	s_or_b32 exec_lo, exec_lo, s8
	v_mov_b32_e32 v36, 0
	s_barrier
	buffer_gl0_inv
	ds_read_b32 v38, v36 offset:136
	s_and_saveexec_b32 s5, s4
	s_cbranch_execz .LBB80_12
; %bb.11:
	s_lshl_b64 s[8:9], s[6:7], 2
	s_add_u32 s8, s10, s8
	s_addc_u32 s9, s11, s9
	s_waitcnt lgkmcnt(0)
	global_store_dword v36, v38, s[8:9]
.LBB80_12:
	s_or_b32 exec_lo, exec_lo, s5
	s_waitcnt lgkmcnt(0)
	v_cmp_ne_u32_e32 vcc_lo, 0, v38
	s_mov_b32 s5, 0
	s_cbranch_vccnz .LBB80_76
; %bb.13:
	s_clause 0x1
	buffer_load_dword v38, v35, s[0:3], 0 offen
	buffer_load_dword v39, v35, s[0:3], 0 offen offset:4
	s_waitcnt vmcnt(0)
	v_div_scale_f64 v[40:41], null, v[38:39], v[38:39], 1.0
	v_div_scale_f64 v[46:47], vcc_lo, 1.0, v[38:39], 1.0
	v_rcp_f64_e32 v[42:43], v[40:41]
	v_fma_f64 v[44:45], -v[40:41], v[42:43], 1.0
	v_fma_f64 v[42:43], v[42:43], v[44:45], v[42:43]
	v_fma_f64 v[44:45], -v[40:41], v[42:43], 1.0
	v_fma_f64 v[42:43], v[42:43], v[44:45], v[42:43]
	v_mul_f64 v[44:45], v[46:47], v[42:43]
	v_fma_f64 v[40:41], -v[40:41], v[44:45], v[46:47]
	v_div_fmas_f64 v[40:41], v[40:41], v[42:43], v[44:45]
	v_div_fixup_f64 v[39:40], v[40:41], v[38:39], 1.0
	v_add_nc_u32_e32 v38, 0x90, v37
	buffer_store_dword v40, v35, s[0:3], 0 offen offset:4
	buffer_store_dword v39, v35, s[0:3], 0 offen
	s_clause 0x1
	buffer_load_dword v42, off, s[0:3], 0 offset:12
	buffer_load_dword v41, off, s[0:3], 0 offset:8
	v_xor_b32_e32 v40, 0x80000000, v40
	s_waitcnt vmcnt(0)
	ds_write2_b64 v37, v[39:40], v[41:42] offset1:18
	s_waitcnt lgkmcnt(0)
	s_waitcnt_vscnt null, 0x0
	s_barrier
	buffer_gl0_inv
	s_and_saveexec_b32 s5, s4
	s_cbranch_execz .LBB80_15
; %bb.14:
	s_clause 0x1
	buffer_load_dword v39, v35, s[0:3], 0 offen
	buffer_load_dword v40, v35, s[0:3], 0 offen offset:4
	ds_read_b64 v[41:42], v38
	v_mov_b32_e32 v36, 0
	ds_read_b64 v[43:44], v36 offset:8
	s_waitcnt vmcnt(0) lgkmcnt(1)
	v_fma_f64 v[39:40], v[39:40], v[41:42], 0
	s_waitcnt lgkmcnt(0)
	v_mul_f64 v[39:40], v[39:40], v[43:44]
	buffer_store_dword v39, off, s[0:3], 0 offset:8
	buffer_store_dword v40, off, s[0:3], 0 offset:12
.LBB80_15:
	s_or_b32 exec_lo, exec_lo, s5
	s_waitcnt_vscnt null, 0x0
	s_barrier
	buffer_gl0_inv
	s_clause 0x1
	buffer_load_dword v39, off, s[0:3], 0 offset:16
	buffer_load_dword v40, off, s[0:3], 0 offset:20
	s_mov_b32 s5, exec_lo
	s_waitcnt vmcnt(0)
	ds_write_b64 v38, v[39:40]
	s_waitcnt lgkmcnt(0)
	s_barrier
	buffer_gl0_inv
	v_cmpx_gt_u32_e32 2, v0
	s_cbranch_execz .LBB80_19
; %bb.16:
	s_clause 0x1
	buffer_load_dword v39, v35, s[0:3], 0 offen
	buffer_load_dword v40, v35, s[0:3], 0 offen offset:4
	ds_read_b64 v[35:36], v38
	s_waitcnt vmcnt(0) lgkmcnt(0)
	v_fma_f64 v[35:36], v[39:40], v[35:36], 0
	s_and_saveexec_b32 s8, s4
	s_cbranch_execz .LBB80_18
; %bb.17:
	s_clause 0x1
	buffer_load_dword v39, off, s[0:3], 0 offset:8
	buffer_load_dword v40, off, s[0:3], 0 offset:12
	v_mov_b32_e32 v41, 0
	ds_read_b64 v[41:42], v41 offset:152
	s_waitcnt vmcnt(0) lgkmcnt(0)
	v_fma_f64 v[35:36], v[39:40], v[41:42], v[35:36]
.LBB80_18:
	s_or_b32 exec_lo, exec_lo, s8
	v_mov_b32_e32 v39, 0
	ds_read_b64 v[39:40], v39 offset:16
	s_waitcnt lgkmcnt(0)
	v_mul_f64 v[35:36], v[35:36], v[39:40]
	buffer_store_dword v36, off, s[0:3], 0 offset:20
	buffer_store_dword v35, off, s[0:3], 0 offset:16
.LBB80_19:
	s_or_b32 exec_lo, exec_lo, s5
	s_waitcnt_vscnt null, 0x0
	s_barrier
	buffer_gl0_inv
	s_clause 0x1
	buffer_load_dword v35, off, s[0:3], 0 offset:24
	buffer_load_dword v36, off, s[0:3], 0 offset:28
	v_add_nc_u32_e32 v39, -1, v0
	s_mov_b32 s4, exec_lo
	s_waitcnt vmcnt(0)
	ds_write_b64 v38, v[35:36]
	s_waitcnt lgkmcnt(0)
	s_barrier
	buffer_gl0_inv
	v_cmpx_gt_u32_e32 3, v0
	s_cbranch_execz .LBB80_23
; %bb.20:
	v_mov_b32_e32 v35, 0
	v_add_nc_u32_e32 v40, -1, v0
	v_add_nc_u32_e32 v41, 0x90, v37
	v_mov_b32_e32 v36, 0
	v_mov_b32_e32 v42, v37
	s_mov_b32 s5, 0
.LBB80_21:                              ; =>This Inner Loop Header: Depth=1
	s_clause 0x1
	buffer_load_dword v43, v42, s[0:3], 0 offen
	buffer_load_dword v44, v42, s[0:3], 0 offen offset:4
	ds_read_b64 v[45:46], v41
	v_add_nc_u32_e32 v40, 1, v40
	v_add_nc_u32_e32 v41, 8, v41
	v_add_nc_u32_e32 v42, 8, v42
	v_cmp_lt_u32_e32 vcc_lo, 1, v40
	s_or_b32 s5, vcc_lo, s5
	s_waitcnt vmcnt(0) lgkmcnt(0)
	v_fma_f64 v[35:36], v[43:44], v[45:46], v[35:36]
	s_andn2_b32 exec_lo, exec_lo, s5
	s_cbranch_execnz .LBB80_21
; %bb.22:
	s_or_b32 exec_lo, exec_lo, s5
	v_mov_b32_e32 v40, 0
	ds_read_b64 v[40:41], v40 offset:24
	s_waitcnt lgkmcnt(0)
	v_mul_f64 v[35:36], v[35:36], v[40:41]
	buffer_store_dword v36, off, s[0:3], 0 offset:28
	buffer_store_dword v35, off, s[0:3], 0 offset:24
.LBB80_23:
	s_or_b32 exec_lo, exec_lo, s4
	s_waitcnt_vscnt null, 0x0
	s_barrier
	buffer_gl0_inv
	s_clause 0x1
	buffer_load_dword v35, off, s[0:3], 0 offset:32
	buffer_load_dword v36, off, s[0:3], 0 offset:36
	s_mov_b32 s4, exec_lo
	s_waitcnt vmcnt(0)
	ds_write_b64 v38, v[35:36]
	s_waitcnt lgkmcnt(0)
	s_barrier
	buffer_gl0_inv
	v_cmpx_gt_u32_e32 4, v0
	s_cbranch_execz .LBB80_27
; %bb.24:
	v_mov_b32_e32 v35, 0
	v_add_nc_u32_e32 v40, -1, v0
	v_add_nc_u32_e32 v41, 0x90, v37
	v_mov_b32_e32 v36, 0
	v_mov_b32_e32 v42, v37
	s_mov_b32 s5, 0
.LBB80_25:                              ; =>This Inner Loop Header: Depth=1
	s_clause 0x1
	buffer_load_dword v43, v42, s[0:3], 0 offen
	buffer_load_dword v44, v42, s[0:3], 0 offen offset:4
	ds_read_b64 v[45:46], v41
	v_add_nc_u32_e32 v40, 1, v40
	v_add_nc_u32_e32 v41, 8, v41
	v_add_nc_u32_e32 v42, 8, v42
	v_cmp_lt_u32_e32 vcc_lo, 2, v40
	s_or_b32 s5, vcc_lo, s5
	s_waitcnt vmcnt(0) lgkmcnt(0)
	v_fma_f64 v[35:36], v[43:44], v[45:46], v[35:36]
	s_andn2_b32 exec_lo, exec_lo, s5
	s_cbranch_execnz .LBB80_25
; %bb.26:
	s_or_b32 exec_lo, exec_lo, s5
	v_mov_b32_e32 v40, 0
	ds_read_b64 v[40:41], v40 offset:32
	s_waitcnt lgkmcnt(0)
	v_mul_f64 v[35:36], v[35:36], v[40:41]
	buffer_store_dword v36, off, s[0:3], 0 offset:36
	buffer_store_dword v35, off, s[0:3], 0 offset:32
.LBB80_27:
	s_or_b32 exec_lo, exec_lo, s4
	s_waitcnt_vscnt null, 0x0
	s_barrier
	buffer_gl0_inv
	s_clause 0x1
	buffer_load_dword v35, off, s[0:3], 0 offset:40
	buffer_load_dword v36, off, s[0:3], 0 offset:44
	;; [unrolled: 45-line block ×13, first 2 shown]
	s_mov_b32 s4, exec_lo
	s_waitcnt vmcnt(0)
	ds_write_b64 v38, v[35:36]
	s_waitcnt lgkmcnt(0)
	s_barrier
	buffer_gl0_inv
	v_cmpx_ne_u32_e32 16, v0
	s_cbranch_execz .LBB80_75
; %bb.72:
	v_mov_b32_e32 v35, 0
	v_mov_b32_e32 v36, 0
	s_mov_b32 s5, 0
.LBB80_73:                              ; =>This Inner Loop Header: Depth=1
	s_clause 0x1
	buffer_load_dword v40, v37, s[0:3], 0 offen
	buffer_load_dword v41, v37, s[0:3], 0 offen offset:4
	ds_read_b64 v[42:43], v38
	v_add_nc_u32_e32 v39, 1, v39
	v_add_nc_u32_e32 v38, 8, v38
	v_add_nc_u32_e32 v37, 8, v37
	v_cmp_lt_u32_e32 vcc_lo, 14, v39
	s_or_b32 s5, vcc_lo, s5
	s_waitcnt vmcnt(0) lgkmcnt(0)
	v_fma_f64 v[35:36], v[40:41], v[42:43], v[35:36]
	s_andn2_b32 exec_lo, exec_lo, s5
	s_cbranch_execnz .LBB80_73
; %bb.74:
	s_or_b32 exec_lo, exec_lo, s5
	v_mov_b32_e32 v37, 0
	ds_read_b64 v[37:38], v37 offset:128
	s_waitcnt lgkmcnt(0)
	v_mul_f64 v[35:36], v[35:36], v[37:38]
	buffer_store_dword v36, off, s[0:3], 0 offset:132
	buffer_store_dword v35, off, s[0:3], 0 offset:128
.LBB80_75:
	s_or_b32 exec_lo, exec_lo, s4
	s_mov_b32 s5, -1
	s_waitcnt_vscnt null, 0x0
	s_barrier
	buffer_gl0_inv
.LBB80_76:
	s_and_b32 vcc_lo, exec_lo, s5
	s_cbranch_vccz .LBB80_78
; %bb.77:
	s_lshl_b64 s[4:5], s[6:7], 2
	v_mov_b32_e32 v35, 0
	s_add_u32 s4, s10, s4
	s_addc_u32 s5, s11, s5
	global_load_dword v35, v35, s[4:5]
	s_waitcnt vmcnt(0)
	v_cmp_ne_u32_e32 vcc_lo, 0, v35
	s_cbranch_vccz .LBB80_79
.LBB80_78:
	s_endpgm
.LBB80_79:
	v_lshl_add_u32 v35, v0, 3, 0x90
	s_mov_b32 s4, exec_lo
	v_cmpx_eq_u32_e32 16, v0
	s_cbranch_execz .LBB80_81
; %bb.80:
	s_clause 0x1
	buffer_load_dword v36, off, s[0:3], 0 offset:120
	buffer_load_dword v37, off, s[0:3], 0 offset:124
	v_mov_b32_e32 v38, 0
	buffer_store_dword v38, off, s[0:3], 0 offset:120
	buffer_store_dword v38, off, s[0:3], 0 offset:124
	s_waitcnt vmcnt(0)
	ds_write_b64 v35, v[36:37]
.LBB80_81:
	s_or_b32 exec_lo, exec_lo, s4
	s_waitcnt lgkmcnt(0)
	s_waitcnt_vscnt null, 0x0
	s_barrier
	buffer_gl0_inv
	s_clause 0x3
	buffer_load_dword v37, off, s[0:3], 0 offset:128
	buffer_load_dword v38, off, s[0:3], 0 offset:132
	buffer_load_dword v39, off, s[0:3], 0 offset:120
	buffer_load_dword v40, off, s[0:3], 0 offset:124
	v_mov_b32_e32 v36, 0
	s_mov_b32 s4, exec_lo
	ds_read_b64 v[41:42], v36 offset:272
	s_waitcnt vmcnt(2) lgkmcnt(0)
	v_fma_f64 v[37:38], v[37:38], v[41:42], 0
	s_waitcnt vmcnt(0)
	v_add_f64 v[37:38], v[39:40], -v[37:38]
	buffer_store_dword v37, off, s[0:3], 0 offset:120
	buffer_store_dword v38, off, s[0:3], 0 offset:124
	v_cmpx_lt_u32_e32 14, v0
	s_cbranch_execz .LBB80_83
; %bb.82:
	s_clause 0x1
	buffer_load_dword v37, off, s[0:3], 0 offset:112
	buffer_load_dword v38, off, s[0:3], 0 offset:116
	buffer_store_dword v36, off, s[0:3], 0 offset:112
	buffer_store_dword v36, off, s[0:3], 0 offset:116
	s_waitcnt vmcnt(0)
	ds_write_b64 v35, v[37:38]
.LBB80_83:
	s_or_b32 exec_lo, exec_lo, s4
	s_waitcnt lgkmcnt(0)
	s_waitcnt_vscnt null, 0x0
	s_barrier
	buffer_gl0_inv
	s_clause 0x5
	buffer_load_dword v40, off, s[0:3], 0 offset:120
	buffer_load_dword v41, off, s[0:3], 0 offset:124
	buffer_load_dword v42, off, s[0:3], 0 offset:128
	buffer_load_dword v43, off, s[0:3], 0 offset:132
	buffer_load_dword v44, off, s[0:3], 0 offset:112
	buffer_load_dword v45, off, s[0:3], 0 offset:116
	ds_read2_b64 v[36:39], v36 offset0:33 offset1:34
	s_mov_b32 s4, exec_lo
	s_waitcnt vmcnt(4) lgkmcnt(0)
	v_fma_f64 v[36:37], v[40:41], v[36:37], 0
	s_waitcnt vmcnt(2)
	v_fma_f64 v[36:37], v[42:43], v[38:39], v[36:37]
	s_waitcnt vmcnt(0)
	v_add_f64 v[36:37], v[44:45], -v[36:37]
	buffer_store_dword v36, off, s[0:3], 0 offset:112
	buffer_store_dword v37, off, s[0:3], 0 offset:116
	v_cmpx_lt_u32_e32 13, v0
	s_cbranch_execz .LBB80_85
; %bb.84:
	s_clause 0x1
	buffer_load_dword v36, off, s[0:3], 0 offset:104
	buffer_load_dword v37, off, s[0:3], 0 offset:108
	v_mov_b32_e32 v38, 0
	buffer_store_dword v38, off, s[0:3], 0 offset:104
	buffer_store_dword v38, off, s[0:3], 0 offset:108
	s_waitcnt vmcnt(0)
	ds_write_b64 v35, v[36:37]
.LBB80_85:
	s_or_b32 exec_lo, exec_lo, s4
	s_waitcnt lgkmcnt(0)
	s_waitcnt_vscnt null, 0x0
	s_barrier
	buffer_gl0_inv
	s_clause 0x7
	buffer_load_dword v41, off, s[0:3], 0 offset:112
	buffer_load_dword v42, off, s[0:3], 0 offset:116
	;; [unrolled: 1-line block ×8, first 2 shown]
	v_mov_b32_e32 v36, 0
	ds_read_b128 v[37:40], v36 offset:256
	ds_read_b64 v[49:50], v36 offset:272
	s_mov_b32 s4, exec_lo
	s_waitcnt vmcnt(6) lgkmcnt(1)
	v_fma_f64 v[37:38], v[41:42], v[37:38], 0
	s_waitcnt vmcnt(4)
	v_fma_f64 v[37:38], v[43:44], v[39:40], v[37:38]
	s_waitcnt vmcnt(2) lgkmcnt(0)
	v_fma_f64 v[37:38], v[45:46], v[49:50], v[37:38]
	s_waitcnt vmcnt(0)
	v_add_f64 v[37:38], v[47:48], -v[37:38]
	buffer_store_dword v37, off, s[0:3], 0 offset:104
	buffer_store_dword v38, off, s[0:3], 0 offset:108
	v_cmpx_lt_u32_e32 12, v0
	s_cbranch_execz .LBB80_87
; %bb.86:
	s_clause 0x1
	buffer_load_dword v37, off, s[0:3], 0 offset:96
	buffer_load_dword v38, off, s[0:3], 0 offset:100
	buffer_store_dword v36, off, s[0:3], 0 offset:96
	buffer_store_dword v36, off, s[0:3], 0 offset:100
	s_waitcnt vmcnt(0)
	ds_write_b64 v35, v[37:38]
.LBB80_87:
	s_or_b32 exec_lo, exec_lo, s4
	s_waitcnt lgkmcnt(0)
	s_waitcnt_vscnt null, 0x0
	s_barrier
	buffer_gl0_inv
	s_clause 0x9
	buffer_load_dword v45, off, s[0:3], 0 offset:104
	buffer_load_dword v46, off, s[0:3], 0 offset:108
	;; [unrolled: 1-line block ×10, first 2 shown]
	ds_read2_b64 v[37:40], v36 offset0:31 offset1:32
	ds_read2_b64 v[41:44], v36 offset0:33 offset1:34
	s_mov_b32 s4, exec_lo
	s_waitcnt vmcnt(8) lgkmcnt(1)
	v_fma_f64 v[36:37], v[45:46], v[37:38], 0
	s_waitcnt vmcnt(6)
	v_fma_f64 v[36:37], v[47:48], v[39:40], v[36:37]
	s_waitcnt vmcnt(4) lgkmcnt(0)
	v_fma_f64 v[36:37], v[49:50], v[41:42], v[36:37]
	s_waitcnt vmcnt(2)
	v_fma_f64 v[36:37], v[51:52], v[43:44], v[36:37]
	s_waitcnt vmcnt(0)
	v_add_f64 v[36:37], v[53:54], -v[36:37]
	buffer_store_dword v36, off, s[0:3], 0 offset:96
	buffer_store_dword v37, off, s[0:3], 0 offset:100
	v_cmpx_lt_u32_e32 11, v0
	s_cbranch_execz .LBB80_89
; %bb.88:
	s_clause 0x1
	buffer_load_dword v36, off, s[0:3], 0 offset:88
	buffer_load_dword v37, off, s[0:3], 0 offset:92
	v_mov_b32_e32 v38, 0
	buffer_store_dword v38, off, s[0:3], 0 offset:88
	buffer_store_dword v38, off, s[0:3], 0 offset:92
	s_waitcnt vmcnt(0)
	ds_write_b64 v35, v[36:37]
.LBB80_89:
	s_or_b32 exec_lo, exec_lo, s4
	s_waitcnt lgkmcnt(0)
	s_waitcnt_vscnt null, 0x0
	s_barrier
	buffer_gl0_inv
	s_clause 0xb
	buffer_load_dword v45, off, s[0:3], 0 offset:96
	buffer_load_dword v46, off, s[0:3], 0 offset:100
	;; [unrolled: 1-line block ×12, first 2 shown]
	v_mov_b32_e32 v36, 0
	ds_read_b128 v[37:40], v36 offset:240
	ds_read_b128 v[41:44], v36 offset:256
	s_mov_b32 s4, exec_lo
	s_waitcnt vmcnt(10) lgkmcnt(1)
	v_fma_f64 v[37:38], v[45:46], v[37:38], 0
	s_waitcnt vmcnt(8)
	v_fma_f64 v[37:38], v[47:48], v[39:40], v[37:38]
	ds_read_b64 v[39:40], v36 offset:272
	s_waitcnt vmcnt(6) lgkmcnt(1)
	v_fma_f64 v[37:38], v[49:50], v[41:42], v[37:38]
	s_waitcnt vmcnt(4)
	v_fma_f64 v[37:38], v[51:52], v[43:44], v[37:38]
	s_waitcnt vmcnt(2) lgkmcnt(0)
	v_fma_f64 v[37:38], v[53:54], v[39:40], v[37:38]
	s_waitcnt vmcnt(0)
	v_add_f64 v[37:38], v[55:56], -v[37:38]
	buffer_store_dword v37, off, s[0:3], 0 offset:88
	buffer_store_dword v38, off, s[0:3], 0 offset:92
	v_cmpx_lt_u32_e32 10, v0
	s_cbranch_execz .LBB80_91
; %bb.90:
	s_clause 0x1
	buffer_load_dword v37, off, s[0:3], 0 offset:80
	buffer_load_dword v38, off, s[0:3], 0 offset:84
	buffer_store_dword v36, off, s[0:3], 0 offset:80
	buffer_store_dword v36, off, s[0:3], 0 offset:84
	s_waitcnt vmcnt(0)
	ds_write_b64 v35, v[37:38]
.LBB80_91:
	s_or_b32 exec_lo, exec_lo, s4
	s_waitcnt lgkmcnt(0)
	s_waitcnt_vscnt null, 0x0
	s_barrier
	buffer_gl0_inv
	s_clause 0xd
	buffer_load_dword v45, off, s[0:3], 0 offset:88
	buffer_load_dword v46, off, s[0:3], 0 offset:92
	;; [unrolled: 1-line block ×14, first 2 shown]
	ds_read2_b64 v[37:40], v36 offset0:29 offset1:30
	ds_read2_b64 v[41:44], v36 offset0:31 offset1:32
	s_mov_b32 s4, exec_lo
	s_waitcnt vmcnt(12) lgkmcnt(1)
	v_fma_f64 v[37:38], v[45:46], v[37:38], 0
	s_waitcnt vmcnt(10)
	v_fma_f64 v[37:38], v[47:48], v[39:40], v[37:38]
	s_waitcnt vmcnt(8) lgkmcnt(0)
	v_fma_f64 v[37:38], v[49:50], v[41:42], v[37:38]
	s_waitcnt vmcnt(6)
	v_fma_f64 v[40:41], v[51:52], v[43:44], v[37:38]
	ds_read2_b64 v[36:39], v36 offset0:33 offset1:34
	s_waitcnt vmcnt(4) lgkmcnt(0)
	v_fma_f64 v[36:37], v[53:54], v[36:37], v[40:41]
	s_waitcnt vmcnt(2)
	v_fma_f64 v[36:37], v[55:56], v[38:39], v[36:37]
	s_waitcnt vmcnt(0)
	v_add_f64 v[36:37], v[57:58], -v[36:37]
	buffer_store_dword v36, off, s[0:3], 0 offset:80
	buffer_store_dword v37, off, s[0:3], 0 offset:84
	v_cmpx_lt_u32_e32 9, v0
	s_cbranch_execz .LBB80_93
; %bb.92:
	s_clause 0x1
	buffer_load_dword v36, off, s[0:3], 0 offset:72
	buffer_load_dword v37, off, s[0:3], 0 offset:76
	v_mov_b32_e32 v38, 0
	buffer_store_dword v38, off, s[0:3], 0 offset:72
	buffer_store_dword v38, off, s[0:3], 0 offset:76
	s_waitcnt vmcnt(0)
	ds_write_b64 v35, v[36:37]
.LBB80_93:
	s_or_b32 exec_lo, exec_lo, s4
	s_waitcnt lgkmcnt(0)
	s_waitcnt_vscnt null, 0x0
	s_barrier
	buffer_gl0_inv
	s_clause 0xf
	buffer_load_dword v45, off, s[0:3], 0 offset:80
	buffer_load_dword v46, off, s[0:3], 0 offset:84
	;; [unrolled: 1-line block ×16, first 2 shown]
	v_mov_b32_e32 v36, 0
	ds_read_b128 v[37:40], v36 offset:224
	ds_read_b128 v[41:44], v36 offset:240
	s_mov_b32 s4, exec_lo
	s_waitcnt vmcnt(14) lgkmcnt(1)
	v_fma_f64 v[37:38], v[45:46], v[37:38], 0
	s_waitcnt vmcnt(12)
	v_fma_f64 v[37:38], v[47:48], v[39:40], v[37:38]
	s_waitcnt vmcnt(10) lgkmcnt(0)
	v_fma_f64 v[37:38], v[49:50], v[41:42], v[37:38]
	s_waitcnt vmcnt(8)
	v_fma_f64 v[41:42], v[51:52], v[43:44], v[37:38]
	ds_read_b128 v[37:40], v36 offset:256
	ds_read_b64 v[43:44], v36 offset:272
	s_waitcnt vmcnt(6) lgkmcnt(1)
	v_fma_f64 v[37:38], v[53:54], v[37:38], v[41:42]
	s_waitcnt vmcnt(4)
	v_fma_f64 v[37:38], v[55:56], v[39:40], v[37:38]
	s_waitcnt vmcnt(2) lgkmcnt(0)
	v_fma_f64 v[37:38], v[57:58], v[43:44], v[37:38]
	s_waitcnt vmcnt(0)
	v_add_f64 v[37:38], v[59:60], -v[37:38]
	buffer_store_dword v37, off, s[0:3], 0 offset:72
	buffer_store_dword v38, off, s[0:3], 0 offset:76
	v_cmpx_lt_u32_e32 8, v0
	s_cbranch_execz .LBB80_95
; %bb.94:
	s_clause 0x1
	buffer_load_dword v37, off, s[0:3], 0 offset:64
	buffer_load_dword v38, off, s[0:3], 0 offset:68
	buffer_store_dword v36, off, s[0:3], 0 offset:64
	buffer_store_dword v36, off, s[0:3], 0 offset:68
	s_waitcnt vmcnt(0)
	ds_write_b64 v35, v[37:38]
.LBB80_95:
	s_or_b32 exec_lo, exec_lo, s4
	s_waitcnt lgkmcnt(0)
	s_waitcnt_vscnt null, 0x0
	s_barrier
	buffer_gl0_inv
	s_clause 0x11
	buffer_load_dword v45, off, s[0:3], 0 offset:72
	buffer_load_dword v46, off, s[0:3], 0 offset:76
	;; [unrolled: 1-line block ×18, first 2 shown]
	ds_read2_b64 v[37:40], v36 offset0:27 offset1:28
	ds_read2_b64 v[41:44], v36 offset0:29 offset1:30
	s_mov_b32 s4, exec_lo
	s_waitcnt vmcnt(16) lgkmcnt(1)
	v_fma_f64 v[37:38], v[45:46], v[37:38], 0
	s_waitcnt vmcnt(14)
	v_fma_f64 v[37:38], v[47:48], v[39:40], v[37:38]
	s_waitcnt vmcnt(12) lgkmcnt(0)
	v_fma_f64 v[37:38], v[49:50], v[41:42], v[37:38]
	s_waitcnt vmcnt(10)
	v_fma_f64 v[45:46], v[51:52], v[43:44], v[37:38]
	ds_read2_b64 v[37:40], v36 offset0:31 offset1:32
	ds_read2_b64 v[41:44], v36 offset0:33 offset1:34
	s_waitcnt vmcnt(8) lgkmcnt(1)
	v_fma_f64 v[36:37], v[53:54], v[37:38], v[45:46]
	s_waitcnt vmcnt(6)
	v_fma_f64 v[36:37], v[55:56], v[39:40], v[36:37]
	s_waitcnt vmcnt(4) lgkmcnt(0)
	v_fma_f64 v[36:37], v[57:58], v[41:42], v[36:37]
	s_waitcnt vmcnt(2)
	v_fma_f64 v[36:37], v[59:60], v[43:44], v[36:37]
	s_waitcnt vmcnt(0)
	v_add_f64 v[36:37], v[61:62], -v[36:37]
	buffer_store_dword v36, off, s[0:3], 0 offset:64
	buffer_store_dword v37, off, s[0:3], 0 offset:68
	v_cmpx_lt_u32_e32 7, v0
	s_cbranch_execz .LBB80_97
; %bb.96:
	s_clause 0x1
	buffer_load_dword v36, off, s[0:3], 0 offset:56
	buffer_load_dword v37, off, s[0:3], 0 offset:60
	v_mov_b32_e32 v38, 0
	buffer_store_dword v38, off, s[0:3], 0 offset:56
	buffer_store_dword v38, off, s[0:3], 0 offset:60
	s_waitcnt vmcnt(0)
	ds_write_b64 v35, v[36:37]
.LBB80_97:
	s_or_b32 exec_lo, exec_lo, s4
	s_waitcnt lgkmcnt(0)
	s_waitcnt_vscnt null, 0x0
	s_barrier
	buffer_gl0_inv
	s_clause 0x13
	buffer_load_dword v45, off, s[0:3], 0 offset:64
	buffer_load_dword v46, off, s[0:3], 0 offset:68
	;; [unrolled: 1-line block ×20, first 2 shown]
	v_mov_b32_e32 v36, 0
	ds_read_b128 v[37:40], v36 offset:208
	ds_read_b128 v[41:44], v36 offset:224
	s_mov_b32 s4, exec_lo
	s_waitcnt vmcnt(18) lgkmcnt(1)
	v_fma_f64 v[37:38], v[45:46], v[37:38], 0
	s_waitcnt vmcnt(16)
	v_fma_f64 v[37:38], v[47:48], v[39:40], v[37:38]
	s_waitcnt vmcnt(14) lgkmcnt(0)
	v_fma_f64 v[37:38], v[49:50], v[41:42], v[37:38]
	s_waitcnt vmcnt(12)
	v_fma_f64 v[45:46], v[51:52], v[43:44], v[37:38]
	ds_read_b128 v[37:40], v36 offset:240
	ds_read_b128 v[41:44], v36 offset:256
	s_waitcnt vmcnt(10) lgkmcnt(1)
	v_fma_f64 v[37:38], v[53:54], v[37:38], v[45:46]
	s_waitcnt vmcnt(8)
	v_fma_f64 v[37:38], v[55:56], v[39:40], v[37:38]
	ds_read_b64 v[39:40], v36 offset:272
	s_waitcnt vmcnt(6) lgkmcnt(1)
	v_fma_f64 v[37:38], v[57:58], v[41:42], v[37:38]
	s_waitcnt vmcnt(3)
	v_fma_f64 v[37:38], v[59:60], v[43:44], v[37:38]
	s_waitcnt vmcnt(2) lgkmcnt(0)
	v_fma_f64 v[37:38], v[61:62], v[39:40], v[37:38]
	s_waitcnt vmcnt(0)
	v_add_f64 v[37:38], v[63:64], -v[37:38]
	buffer_store_dword v37, off, s[0:3], 0 offset:56
	buffer_store_dword v38, off, s[0:3], 0 offset:60
	v_cmpx_lt_u32_e32 6, v0
	s_cbranch_execz .LBB80_99
; %bb.98:
	s_clause 0x1
	buffer_load_dword v37, off, s[0:3], 0 offset:48
	buffer_load_dword v38, off, s[0:3], 0 offset:52
	buffer_store_dword v36, off, s[0:3], 0 offset:48
	buffer_store_dword v36, off, s[0:3], 0 offset:52
	s_waitcnt vmcnt(0)
	ds_write_b64 v35, v[37:38]
.LBB80_99:
	s_or_b32 exec_lo, exec_lo, s4
	s_waitcnt lgkmcnt(0)
	s_waitcnt_vscnt null, 0x0
	s_barrier
	buffer_gl0_inv
	s_clause 0x15
	buffer_load_dword v45, off, s[0:3], 0 offset:56
	buffer_load_dword v46, off, s[0:3], 0 offset:60
	;; [unrolled: 1-line block ×22, first 2 shown]
	ds_read2_b64 v[37:40], v36 offset0:25 offset1:26
	ds_read2_b64 v[41:44], v36 offset0:27 offset1:28
	s_mov_b32 s4, exec_lo
	s_waitcnt vmcnt(20) lgkmcnt(1)
	v_fma_f64 v[37:38], v[45:46], v[37:38], 0
	s_waitcnt vmcnt(18)
	v_fma_f64 v[37:38], v[47:48], v[39:40], v[37:38]
	s_waitcnt vmcnt(16) lgkmcnt(0)
	v_fma_f64 v[37:38], v[49:50], v[41:42], v[37:38]
	s_waitcnt vmcnt(14)
	v_fma_f64 v[45:46], v[51:52], v[43:44], v[37:38]
	ds_read2_b64 v[37:40], v36 offset0:29 offset1:30
	ds_read2_b64 v[41:44], v36 offset0:31 offset1:32
	s_waitcnt vmcnt(12) lgkmcnt(1)
	v_fma_f64 v[37:38], v[53:54], v[37:38], v[45:46]
	s_waitcnt vmcnt(10)
	v_fma_f64 v[37:38], v[55:56], v[39:40], v[37:38]
	s_waitcnt vmcnt(8) lgkmcnt(0)
	v_fma_f64 v[37:38], v[57:58], v[41:42], v[37:38]
	s_waitcnt vmcnt(4)
	v_fma_f64 v[40:41], v[59:60], v[43:44], v[37:38]
	ds_read2_b64 v[36:39], v36 offset0:33 offset1:34
	s_waitcnt vmcnt(3) lgkmcnt(0)
	v_fma_f64 v[36:37], v[63:64], v[36:37], v[40:41]
	s_waitcnt vmcnt(2)
	v_fma_f64 v[36:37], v[61:62], v[38:39], v[36:37]
	s_waitcnt vmcnt(0)
	v_add_f64 v[36:37], v[65:66], -v[36:37]
	buffer_store_dword v36, off, s[0:3], 0 offset:48
	buffer_store_dword v37, off, s[0:3], 0 offset:52
	v_cmpx_lt_u32_e32 5, v0
	s_cbranch_execz .LBB80_101
; %bb.100:
	s_clause 0x1
	buffer_load_dword v36, off, s[0:3], 0 offset:40
	buffer_load_dword v37, off, s[0:3], 0 offset:44
	v_mov_b32_e32 v38, 0
	buffer_store_dword v38, off, s[0:3], 0 offset:40
	buffer_store_dword v38, off, s[0:3], 0 offset:44
	s_waitcnt vmcnt(0)
	ds_write_b64 v35, v[36:37]
.LBB80_101:
	s_or_b32 exec_lo, exec_lo, s4
	s_waitcnt lgkmcnt(0)
	s_waitcnt_vscnt null, 0x0
	s_barrier
	buffer_gl0_inv
	s_clause 0x17
	buffer_load_dword v45, off, s[0:3], 0 offset:48
	buffer_load_dword v46, off, s[0:3], 0 offset:52
	;; [unrolled: 1-line block ×24, first 2 shown]
	v_mov_b32_e32 v36, 0
	ds_read_b128 v[37:40], v36 offset:192
	ds_read_b128 v[41:44], v36 offset:208
	s_mov_b32 s4, exec_lo
	s_waitcnt vmcnt(22) lgkmcnt(1)
	v_fma_f64 v[37:38], v[45:46], v[37:38], 0
	s_waitcnt vmcnt(20)
	v_fma_f64 v[37:38], v[47:48], v[39:40], v[37:38]
	s_waitcnt vmcnt(18) lgkmcnt(0)
	v_fma_f64 v[37:38], v[49:50], v[41:42], v[37:38]
	s_waitcnt vmcnt(16)
	v_fma_f64 v[45:46], v[51:52], v[43:44], v[37:38]
	ds_read_b128 v[37:40], v36 offset:224
	ds_read_b128 v[41:44], v36 offset:240
	s_waitcnt vmcnt(14) lgkmcnt(1)
	v_fma_f64 v[37:38], v[53:54], v[37:38], v[45:46]
	s_waitcnt vmcnt(12)
	v_fma_f64 v[37:38], v[55:56], v[39:40], v[37:38]
	s_waitcnt vmcnt(10) lgkmcnt(0)
	v_fma_f64 v[37:38], v[57:58], v[41:42], v[37:38]
	s_waitcnt vmcnt(5)
	v_fma_f64 v[41:42], v[59:60], v[43:44], v[37:38]
	ds_read_b128 v[37:40], v36 offset:256
	ds_read_b64 v[43:44], v36 offset:272
	s_waitcnt vmcnt(4) lgkmcnt(1)
	v_fma_f64 v[37:38], v[65:66], v[37:38], v[41:42]
	s_waitcnt vmcnt(3)
	v_fma_f64 v[37:38], v[63:64], v[39:40], v[37:38]
	s_waitcnt vmcnt(2) lgkmcnt(0)
	v_fma_f64 v[37:38], v[61:62], v[43:44], v[37:38]
	s_waitcnt vmcnt(0)
	v_add_f64 v[37:38], v[67:68], -v[37:38]
	buffer_store_dword v38, off, s[0:3], 0 offset:44
	buffer_store_dword v37, off, s[0:3], 0 offset:40
	v_cmpx_lt_u32_e32 4, v0
	s_cbranch_execz .LBB80_103
; %bb.102:
	s_clause 0x1
	buffer_load_dword v37, off, s[0:3], 0 offset:32
	buffer_load_dword v38, off, s[0:3], 0 offset:36
	buffer_store_dword v36, off, s[0:3], 0 offset:32
	buffer_store_dword v36, off, s[0:3], 0 offset:36
	s_waitcnt vmcnt(0)
	ds_write_b64 v35, v[37:38]
.LBB80_103:
	s_or_b32 exec_lo, exec_lo, s4
	s_waitcnt lgkmcnt(0)
	s_waitcnt_vscnt null, 0x0
	s_barrier
	buffer_gl0_inv
	s_clause 0x19
	buffer_load_dword v45, off, s[0:3], 0 offset:40
	buffer_load_dword v46, off, s[0:3], 0 offset:44
	;; [unrolled: 1-line block ×26, first 2 shown]
	ds_read2_b64 v[37:40], v36 offset0:23 offset1:24
	ds_read2_b64 v[41:44], v36 offset0:25 offset1:26
	s_mov_b32 s4, exec_lo
	s_waitcnt vmcnt(24) lgkmcnt(1)
	v_fma_f64 v[37:38], v[45:46], v[37:38], 0
	s_waitcnt vmcnt(22)
	v_fma_f64 v[37:38], v[47:48], v[39:40], v[37:38]
	s_waitcnt vmcnt(20) lgkmcnt(0)
	v_fma_f64 v[37:38], v[49:50], v[41:42], v[37:38]
	s_waitcnt vmcnt(18)
	v_fma_f64 v[45:46], v[51:52], v[43:44], v[37:38]
	ds_read2_b64 v[37:40], v36 offset0:27 offset1:28
	ds_read2_b64 v[41:44], v36 offset0:29 offset1:30
	s_waitcnt vmcnt(16) lgkmcnt(1)
	v_fma_f64 v[37:38], v[53:54], v[37:38], v[45:46]
	s_waitcnt vmcnt(14)
	v_fma_f64 v[37:38], v[55:56], v[39:40], v[37:38]
	s_waitcnt vmcnt(12) lgkmcnt(0)
	v_fma_f64 v[37:38], v[57:58], v[41:42], v[37:38]
	s_waitcnt vmcnt(7)
	v_fma_f64 v[45:46], v[59:60], v[43:44], v[37:38]
	ds_read2_b64 v[37:40], v36 offset0:31 offset1:32
	ds_read2_b64 v[41:44], v36 offset0:33 offset1:34
	s_waitcnt vmcnt(6) lgkmcnt(1)
	v_fma_f64 v[36:37], v[65:66], v[37:38], v[45:46]
	s_waitcnt vmcnt(5)
	v_fma_f64 v[36:37], v[63:64], v[39:40], v[36:37]
	s_waitcnt vmcnt(4) lgkmcnt(0)
	v_fma_f64 v[36:37], v[61:62], v[41:42], v[36:37]
	s_waitcnt vmcnt(2)
	v_fma_f64 v[36:37], v[67:68], v[43:44], v[36:37]
	s_waitcnt vmcnt(0)
	v_add_f64 v[36:37], v[69:70], -v[36:37]
	buffer_store_dword v37, off, s[0:3], 0 offset:36
	buffer_store_dword v36, off, s[0:3], 0 offset:32
	v_cmpx_lt_u32_e32 3, v0
	s_cbranch_execz .LBB80_105
; %bb.104:
	s_clause 0x1
	buffer_load_dword v36, off, s[0:3], 0 offset:24
	buffer_load_dword v37, off, s[0:3], 0 offset:28
	v_mov_b32_e32 v38, 0
	buffer_store_dword v38, off, s[0:3], 0 offset:24
	buffer_store_dword v38, off, s[0:3], 0 offset:28
	s_waitcnt vmcnt(0)
	ds_write_b64 v35, v[36:37]
.LBB80_105:
	s_or_b32 exec_lo, exec_lo, s4
	s_waitcnt lgkmcnt(0)
	s_waitcnt_vscnt null, 0x0
	s_barrier
	buffer_gl0_inv
	s_clause 0x1b
	buffer_load_dword v45, off, s[0:3], 0 offset:32
	buffer_load_dword v46, off, s[0:3], 0 offset:36
	buffer_load_dword v47, off, s[0:3], 0 offset:40
	buffer_load_dword v48, off, s[0:3], 0 offset:44
	buffer_load_dword v49, off, s[0:3], 0 offset:48
	buffer_load_dword v50, off, s[0:3], 0 offset:52
	buffer_load_dword v51, off, s[0:3], 0 offset:56
	buffer_load_dword v52, off, s[0:3], 0 offset:60
	buffer_load_dword v53, off, s[0:3], 0 offset:64
	buffer_load_dword v54, off, s[0:3], 0 offset:68
	buffer_load_dword v55, off, s[0:3], 0 offset:72
	buffer_load_dword v56, off, s[0:3], 0 offset:76
	buffer_load_dword v57, off, s[0:3], 0 offset:80
	buffer_load_dword v58, off, s[0:3], 0 offset:84
	buffer_load_dword v60, off, s[0:3], 0 offset:92
	buffer_load_dword v61, off, s[0:3], 0 offset:112
	buffer_load_dword v63, off, s[0:3], 0 offset:104
	buffer_load_dword v65, off, s[0:3], 0 offset:96
	buffer_load_dword v59, off, s[0:3], 0 offset:88
	buffer_load_dword v66, off, s[0:3], 0 offset:100
	buffer_load_dword v64, off, s[0:3], 0 offset:108
	buffer_load_dword v62, off, s[0:3], 0 offset:116
	buffer_load_dword v68, off, s[0:3], 0 offset:124
	buffer_load_dword v69, off, s[0:3], 0 offset:128
	buffer_load_dword v67, off, s[0:3], 0 offset:120
	buffer_load_dword v70, off, s[0:3], 0 offset:132
	buffer_load_dword v71, off, s[0:3], 0 offset:24
	buffer_load_dword v72, off, s[0:3], 0 offset:28
	v_mov_b32_e32 v36, 0
	ds_read_b128 v[37:40], v36 offset:176
	ds_read_b128 v[41:44], v36 offset:192
	s_mov_b32 s4, exec_lo
	s_waitcnt vmcnt(26) lgkmcnt(1)
	v_fma_f64 v[37:38], v[45:46], v[37:38], 0
	s_waitcnt vmcnt(24)
	v_fma_f64 v[37:38], v[47:48], v[39:40], v[37:38]
	s_waitcnt vmcnt(22) lgkmcnt(0)
	v_fma_f64 v[37:38], v[49:50], v[41:42], v[37:38]
	s_waitcnt vmcnt(20)
	v_fma_f64 v[45:46], v[51:52], v[43:44], v[37:38]
	ds_read_b128 v[37:40], v36 offset:208
	ds_read_b128 v[41:44], v36 offset:224
	s_waitcnt vmcnt(18) lgkmcnt(1)
	v_fma_f64 v[37:38], v[53:54], v[37:38], v[45:46]
	s_waitcnt vmcnt(16)
	v_fma_f64 v[37:38], v[55:56], v[39:40], v[37:38]
	s_waitcnt vmcnt(14) lgkmcnt(0)
	v_fma_f64 v[37:38], v[57:58], v[41:42], v[37:38]
	s_waitcnt vmcnt(9)
	v_fma_f64 v[45:46], v[59:60], v[43:44], v[37:38]
	ds_read_b128 v[37:40], v36 offset:240
	ds_read_b128 v[41:44], v36 offset:256
	s_waitcnt vmcnt(8) lgkmcnt(1)
	v_fma_f64 v[37:38], v[65:66], v[37:38], v[45:46]
	s_waitcnt vmcnt(7)
	v_fma_f64 v[37:38], v[63:64], v[39:40], v[37:38]
	ds_read_b64 v[39:40], v36 offset:272
	s_waitcnt vmcnt(6) lgkmcnt(1)
	v_fma_f64 v[37:38], v[61:62], v[41:42], v[37:38]
	s_waitcnt vmcnt(3)
	v_fma_f64 v[37:38], v[67:68], v[43:44], v[37:38]
	s_waitcnt vmcnt(2) lgkmcnt(0)
	v_fma_f64 v[37:38], v[69:70], v[39:40], v[37:38]
	s_waitcnt vmcnt(0)
	v_add_f64 v[37:38], v[71:72], -v[37:38]
	buffer_store_dword v38, off, s[0:3], 0 offset:28
	buffer_store_dword v37, off, s[0:3], 0 offset:24
	v_cmpx_lt_u32_e32 2, v0
	s_cbranch_execz .LBB80_107
; %bb.106:
	s_clause 0x1
	buffer_load_dword v37, off, s[0:3], 0 offset:16
	buffer_load_dword v38, off, s[0:3], 0 offset:20
	buffer_store_dword v36, off, s[0:3], 0 offset:16
	buffer_store_dword v36, off, s[0:3], 0 offset:20
	s_waitcnt vmcnt(0)
	ds_write_b64 v35, v[37:38]
.LBB80_107:
	s_or_b32 exec_lo, exec_lo, s4
	s_waitcnt lgkmcnt(0)
	s_waitcnt_vscnt null, 0x0
	s_barrier
	buffer_gl0_inv
	s_clause 0x1b
	buffer_load_dword v45, off, s[0:3], 0 offset:24
	buffer_load_dword v46, off, s[0:3], 0 offset:28
	buffer_load_dword v47, off, s[0:3], 0 offset:32
	buffer_load_dword v48, off, s[0:3], 0 offset:36
	buffer_load_dword v49, off, s[0:3], 0 offset:40
	buffer_load_dword v50, off, s[0:3], 0 offset:44
	buffer_load_dword v51, off, s[0:3], 0 offset:48
	buffer_load_dword v52, off, s[0:3], 0 offset:52
	buffer_load_dword v53, off, s[0:3], 0 offset:56
	buffer_load_dword v54, off, s[0:3], 0 offset:60
	buffer_load_dword v55, off, s[0:3], 0 offset:64
	buffer_load_dword v56, off, s[0:3], 0 offset:68
	buffer_load_dword v57, off, s[0:3], 0 offset:72
	buffer_load_dword v58, off, s[0:3], 0 offset:76
	buffer_load_dword v60, off, s[0:3], 0 offset:84
	buffer_load_dword v61, off, s[0:3], 0 offset:104
	buffer_load_dword v63, off, s[0:3], 0 offset:96
	buffer_load_dword v65, off, s[0:3], 0 offset:88
	buffer_load_dword v59, off, s[0:3], 0 offset:80
	buffer_load_dword v66, off, s[0:3], 0 offset:92
	buffer_load_dword v64, off, s[0:3], 0 offset:100
	buffer_load_dword v62, off, s[0:3], 0 offset:108
	buffer_load_dword v68, off, s[0:3], 0 offset:116
	buffer_load_dword v69, off, s[0:3], 0 offset:128
	buffer_load_dword v71, off, s[0:3], 0 offset:120
	buffer_load_dword v67, off, s[0:3], 0 offset:112
	buffer_load_dword v72, off, s[0:3], 0 offset:124
	buffer_load_dword v70, off, s[0:3], 0 offset:132
	ds_read2_b64 v[37:40], v36 offset0:21 offset1:22
	s_clause 0x1
	buffer_load_dword v73, off, s[0:3], 0 offset:16
	buffer_load_dword v74, off, s[0:3], 0 offset:20
	ds_read2_b64 v[41:44], v36 offset0:23 offset1:24
	s_mov_b32 s4, exec_lo
	s_waitcnt vmcnt(28) lgkmcnt(1)
	v_fma_f64 v[37:38], v[45:46], v[37:38], 0
	s_waitcnt vmcnt(26)
	v_fma_f64 v[37:38], v[47:48], v[39:40], v[37:38]
	s_waitcnt vmcnt(24) lgkmcnt(0)
	v_fma_f64 v[37:38], v[49:50], v[41:42], v[37:38]
	s_waitcnt vmcnt(22)
	v_fma_f64 v[45:46], v[51:52], v[43:44], v[37:38]
	ds_read2_b64 v[37:40], v36 offset0:25 offset1:26
	ds_read2_b64 v[41:44], v36 offset0:27 offset1:28
	s_waitcnt vmcnt(20) lgkmcnt(1)
	v_fma_f64 v[37:38], v[53:54], v[37:38], v[45:46]
	s_waitcnt vmcnt(18)
	v_fma_f64 v[37:38], v[55:56], v[39:40], v[37:38]
	s_waitcnt vmcnt(16) lgkmcnt(0)
	v_fma_f64 v[37:38], v[57:58], v[41:42], v[37:38]
	s_waitcnt vmcnt(11)
	v_fma_f64 v[45:46], v[59:60], v[43:44], v[37:38]
	ds_read2_b64 v[37:40], v36 offset0:29 offset1:30
	ds_read2_b64 v[41:44], v36 offset0:31 offset1:32
	s_waitcnt vmcnt(10) lgkmcnt(1)
	v_fma_f64 v[37:38], v[65:66], v[37:38], v[45:46]
	s_waitcnt vmcnt(9)
	v_fma_f64 v[37:38], v[63:64], v[39:40], v[37:38]
	s_waitcnt vmcnt(8) lgkmcnt(0)
	v_fma_f64 v[37:38], v[61:62], v[41:42], v[37:38]
	s_waitcnt vmcnt(4)
	v_fma_f64 v[40:41], v[67:68], v[43:44], v[37:38]
	ds_read2_b64 v[36:39], v36 offset0:33 offset1:34
	s_waitcnt vmcnt(3) lgkmcnt(0)
	v_fma_f64 v[36:37], v[71:72], v[36:37], v[40:41]
	s_waitcnt vmcnt(2)
	v_fma_f64 v[36:37], v[69:70], v[38:39], v[36:37]
	s_waitcnt vmcnt(0)
	v_add_f64 v[36:37], v[73:74], -v[36:37]
	buffer_store_dword v37, off, s[0:3], 0 offset:20
	buffer_store_dword v36, off, s[0:3], 0 offset:16
	v_cmpx_lt_u32_e32 1, v0
	s_cbranch_execz .LBB80_109
; %bb.108:
	s_clause 0x1
	buffer_load_dword v36, off, s[0:3], 0 offset:8
	buffer_load_dword v37, off, s[0:3], 0 offset:12
	v_mov_b32_e32 v38, 0
	buffer_store_dword v38, off, s[0:3], 0 offset:8
	buffer_store_dword v38, off, s[0:3], 0 offset:12
	s_waitcnt vmcnt(0)
	ds_write_b64 v35, v[36:37]
.LBB80_109:
	s_or_b32 exec_lo, exec_lo, s4
	s_waitcnt lgkmcnt(0)
	s_waitcnt_vscnt null, 0x0
	s_barrier
	buffer_gl0_inv
	s_clause 0x1c
	buffer_load_dword v46, off, s[0:3], 0 offset:16
	buffer_load_dword v47, off, s[0:3], 0 offset:20
	;; [unrolled: 1-line block ×29, first 2 shown]
	v_mov_b32_e32 v37, 0
	buffer_load_dword v71, off, s[0:3], 0 offset:132
	s_mov_b32 s4, exec_lo
	ds_read_b128 v[38:41], v37 offset:160
	ds_read_b128 v[42:45], v37 offset:176
	s_waitcnt vmcnt(28) lgkmcnt(1)
	v_fma_f64 v[38:39], v[46:47], v[38:39], 0
	s_clause 0x1
	buffer_load_dword v46, off, s[0:3], 0 offset:8
	buffer_load_dword v47, off, s[0:3], 0 offset:12
	s_waitcnt vmcnt(28)
	v_fma_f64 v[38:39], v[48:49], v[40:41], v[38:39]
	s_waitcnt vmcnt(26) lgkmcnt(0)
	v_fma_f64 v[38:39], v[50:51], v[42:43], v[38:39]
	s_waitcnt vmcnt(24)
	v_fma_f64 v[48:49], v[52:53], v[44:45], v[38:39]
	ds_read_b128 v[38:41], v37 offset:192
	ds_read_b128 v[42:45], v37 offset:208
	s_waitcnt vmcnt(22) lgkmcnt(1)
	v_fma_f64 v[38:39], v[54:55], v[38:39], v[48:49]
	s_waitcnt vmcnt(20)
	v_fma_f64 v[38:39], v[56:57], v[40:41], v[38:39]
	s_waitcnt vmcnt(18) lgkmcnt(0)
	v_fma_f64 v[38:39], v[58:59], v[42:43], v[38:39]
	s_waitcnt vmcnt(13)
	v_fma_f64 v[48:49], v[60:61], v[44:45], v[38:39]
	ds_read_b128 v[38:41], v37 offset:224
	ds_read_b128 v[42:45], v37 offset:240
	s_waitcnt vmcnt(12) lgkmcnt(1)
	v_fma_f64 v[38:39], v[66:67], v[38:39], v[48:49]
	s_waitcnt vmcnt(11)
	v_fma_f64 v[38:39], v[64:65], v[40:41], v[38:39]
	s_waitcnt vmcnt(10) lgkmcnt(0)
	v_fma_f64 v[38:39], v[62:63], v[42:43], v[38:39]
	s_waitcnt vmcnt(5)
	v_fma_f64 v[42:43], v[68:69], v[44:45], v[38:39]
	ds_read_b128 v[38:41], v37 offset:256
	ds_read_b64 v[44:45], v37 offset:272
	s_waitcnt vmcnt(4) lgkmcnt(1)
	v_fma_f64 v[38:39], v[74:75], v[38:39], v[42:43]
	s_waitcnt vmcnt(3)
	v_fma_f64 v[38:39], v[72:73], v[40:41], v[38:39]
	s_waitcnt vmcnt(2) lgkmcnt(0)
	v_fma_f64 v[38:39], v[70:71], v[44:45], v[38:39]
	s_waitcnt vmcnt(0)
	v_add_f64 v[38:39], v[46:47], -v[38:39]
	buffer_store_dword v39, off, s[0:3], 0 offset:12
	buffer_store_dword v38, off, s[0:3], 0 offset:8
	v_cmpx_ne_u32_e32 0, v0
	s_cbranch_execz .LBB80_111
; %bb.110:
	s_clause 0x1
	buffer_load_dword v38, off, s[0:3], 0
	buffer_load_dword v39, off, s[0:3], 0 offset:4
	buffer_store_dword v37, off, s[0:3], 0
	buffer_store_dword v37, off, s[0:3], 0 offset:4
	s_waitcnt vmcnt(0)
	ds_write_b64 v35, v[38:39]
.LBB80_111:
	s_or_b32 exec_lo, exec_lo, s4
	s_waitcnt lgkmcnt(0)
	s_waitcnt_vscnt null, 0x0
	s_barrier
	buffer_gl0_inv
	s_clause 0x1c
	buffer_load_dword v46, off, s[0:3], 0 offset:8
	buffer_load_dword v47, off, s[0:3], 0 offset:12
	;; [unrolled: 1-line block ×29, first 2 shown]
	ds_read2_b64 v[38:41], v37 offset0:19 offset1:20
	ds_read2_b64 v[42:45], v37 offset0:21 offset1:22
	buffer_load_dword v36, off, s[0:3], 0 offset:124
	s_and_b32 vcc_lo, exec_lo, s16
	s_waitcnt vmcnt(28) lgkmcnt(1)
	v_fma_f64 v[38:39], v[46:47], v[38:39], 0
	s_clause 0x1
	buffer_load_dword v47, off, s[0:3], 0 offset:132
	buffer_load_dword v46, off, s[0:3], 0 offset:128
	s_waitcnt vmcnt(28)
	v_fma_f64 v[38:39], v[48:49], v[40:41], v[38:39]
	s_clause 0x1
	buffer_load_dword v48, off, s[0:3], 0
	buffer_load_dword v49, off, s[0:3], 0 offset:4
	s_waitcnt vmcnt(28) lgkmcnt(0)
	v_fma_f64 v[38:39], v[50:51], v[42:43], v[38:39]
	s_waitcnt vmcnt(26)
	v_fma_f64 v[50:51], v[52:53], v[44:45], v[38:39]
	ds_read2_b64 v[38:41], v37 offset0:23 offset1:24
	ds_read2_b64 v[42:45], v37 offset0:25 offset1:26
	s_waitcnt vmcnt(24) lgkmcnt(1)
	v_fma_f64 v[38:39], v[54:55], v[38:39], v[50:51]
	s_waitcnt vmcnt(22)
	v_fma_f64 v[38:39], v[56:57], v[40:41], v[38:39]
	s_waitcnt vmcnt(20) lgkmcnt(0)
	v_fma_f64 v[38:39], v[58:59], v[42:43], v[38:39]
	s_waitcnt vmcnt(15)
	v_fma_f64 v[50:51], v[60:61], v[44:45], v[38:39]
	ds_read2_b64 v[38:41], v37 offset0:27 offset1:28
	ds_read2_b64 v[42:45], v37 offset0:29 offset1:30
	s_waitcnt vmcnt(14) lgkmcnt(1)
	v_fma_f64 v[38:39], v[66:67], v[38:39], v[50:51]
	s_waitcnt vmcnt(13)
	v_fma_f64 v[38:39], v[64:65], v[40:41], v[38:39]
	;; [unrolled: 10-line block ×3, first 2 shown]
	s_waitcnt vmcnt(4) lgkmcnt(0)
	v_fma_f64 v[37:38], v[35:36], v[42:43], v[37:38]
	s_waitcnt vmcnt(2)
	v_fma_f64 v[37:38], v[46:47], v[44:45], v[37:38]
	s_waitcnt vmcnt(0)
	v_add_f64 v[37:38], v[48:49], -v[37:38]
	buffer_store_dword v38, off, s[0:3], 0 offset:4
	buffer_store_dword v37, off, s[0:3], 0
	s_cbranch_vccz .LBB80_144
; %bb.112:
	v_mov_b32_e32 v0, 0
	global_load_dword v37, v0, s[12:13] offset:60
	s_waitcnt vmcnt(0)
	v_add_nc_u32_e32 v37, -1, v37
	v_cmp_ne_u32_e32 vcc_lo, 15, v37
	s_cbranch_vccz .LBB80_114
; %bb.113:
	v_lshlrev_b32_e32 v37, 3, v37
	s_clause 0x1
	buffer_load_dword v38, v37, s[0:3], 0 offen
	buffer_load_dword v39, v37, s[0:3], 0 offen offset:4
	s_waitcnt vmcnt(1)
	buffer_store_dword v38, off, s[0:3], 0 offset:120
	s_waitcnt vmcnt(0)
	buffer_store_dword v39, off, s[0:3], 0 offset:124
	buffer_store_dword v35, v37, s[0:3], 0 offen
	buffer_store_dword v36, v37, s[0:3], 0 offen offset:4
.LBB80_114:
	global_load_dword v0, v0, s[12:13] offset:56
	s_waitcnt vmcnt(0)
	v_add_nc_u32_e32 v0, -1, v0
	v_cmp_eq_u32_e32 vcc_lo, 14, v0
	s_cbranch_vccnz .LBB80_116
; %bb.115:
	v_lshlrev_b32_e32 v0, 3, v0
	s_clause 0x3
	buffer_load_dword v35, v0, s[0:3], 0 offen
	buffer_load_dword v36, v0, s[0:3], 0 offen offset:4
	buffer_load_dword v37, off, s[0:3], 0 offset:116
	buffer_load_dword v38, off, s[0:3], 0 offset:112
	s_waitcnt vmcnt(3)
	buffer_store_dword v35, off, s[0:3], 0 offset:112
	s_waitcnt vmcnt(2)
	buffer_store_dword v36, off, s[0:3], 0 offset:116
	s_waitcnt vmcnt(1)
	buffer_store_dword v37, v0, s[0:3], 0 offen offset:4
	s_waitcnt vmcnt(0)
	buffer_store_dword v38, v0, s[0:3], 0 offen
.LBB80_116:
	v_mov_b32_e32 v0, 0
	global_load_dword v35, v0, s[12:13] offset:52
	s_waitcnt vmcnt(0)
	v_add_nc_u32_e32 v35, -1, v35
	v_cmp_eq_u32_e32 vcc_lo, 13, v35
	s_cbranch_vccnz .LBB80_118
; %bb.117:
	v_lshlrev_b32_e32 v35, 3, v35
	s_clause 0x3
	buffer_load_dword v36, v35, s[0:3], 0 offen
	buffer_load_dword v37, v35, s[0:3], 0 offen offset:4
	buffer_load_dword v38, off, s[0:3], 0 offset:104
	buffer_load_dword v39, off, s[0:3], 0 offset:108
	s_waitcnt vmcnt(3)
	buffer_store_dword v36, off, s[0:3], 0 offset:104
	s_waitcnt vmcnt(2)
	buffer_store_dword v37, off, s[0:3], 0 offset:108
	s_waitcnt vmcnt(1)
	buffer_store_dword v38, v35, s[0:3], 0 offen
	s_waitcnt vmcnt(0)
	buffer_store_dword v39, v35, s[0:3], 0 offen offset:4
.LBB80_118:
	global_load_dword v0, v0, s[12:13] offset:48
	s_waitcnt vmcnt(0)
	v_add_nc_u32_e32 v0, -1, v0
	v_cmp_eq_u32_e32 vcc_lo, 12, v0
	s_cbranch_vccnz .LBB80_120
; %bb.119:
	v_lshlrev_b32_e32 v0, 3, v0
	s_clause 0x3
	buffer_load_dword v35, v0, s[0:3], 0 offen
	buffer_load_dword v36, v0, s[0:3], 0 offen offset:4
	buffer_load_dword v37, off, s[0:3], 0 offset:100
	buffer_load_dword v38, off, s[0:3], 0 offset:96
	s_waitcnt vmcnt(3)
	buffer_store_dword v35, off, s[0:3], 0 offset:96
	s_waitcnt vmcnt(2)
	buffer_store_dword v36, off, s[0:3], 0 offset:100
	s_waitcnt vmcnt(1)
	buffer_store_dword v37, v0, s[0:3], 0 offen offset:4
	s_waitcnt vmcnt(0)
	buffer_store_dword v38, v0, s[0:3], 0 offen
.LBB80_120:
	v_mov_b32_e32 v0, 0
	global_load_dword v35, v0, s[12:13] offset:44
	s_waitcnt vmcnt(0)
	v_add_nc_u32_e32 v35, -1, v35
	v_cmp_eq_u32_e32 vcc_lo, 11, v35
	s_cbranch_vccnz .LBB80_122
; %bb.121:
	v_lshlrev_b32_e32 v35, 3, v35
	s_clause 0x3
	buffer_load_dword v36, v35, s[0:3], 0 offen
	buffer_load_dword v37, v35, s[0:3], 0 offen offset:4
	buffer_load_dword v38, off, s[0:3], 0 offset:88
	buffer_load_dword v39, off, s[0:3], 0 offset:92
	s_waitcnt vmcnt(3)
	buffer_store_dword v36, off, s[0:3], 0 offset:88
	s_waitcnt vmcnt(2)
	buffer_store_dword v37, off, s[0:3], 0 offset:92
	s_waitcnt vmcnt(1)
	buffer_store_dword v38, v35, s[0:3], 0 offen
	s_waitcnt vmcnt(0)
	buffer_store_dword v39, v35, s[0:3], 0 offen offset:4
.LBB80_122:
	;; [unrolled: 43-line block ×7, first 2 shown]
	global_load_dword v0, v0, s[12:13]
	s_clause 0x1
	buffer_load_dword v37, off, s[0:3], 0
	buffer_load_dword v38, off, s[0:3], 0 offset:4
	s_waitcnt vmcnt(2)
	v_add_nc_u32_e32 v0, -1, v0
	v_cmp_eq_u32_e32 vcc_lo, 0, v0
	s_cbranch_vccnz .LBB80_144
; %bb.143:
	v_lshlrev_b32_e32 v0, 3, v0
	s_clause 0x1
	buffer_load_dword v35, v0, s[0:3], 0 offen offset:4
	buffer_load_dword v36, v0, s[0:3], 0 offen
	s_waitcnt vmcnt(1)
	buffer_store_dword v35, off, s[0:3], 0 offset:4
	s_waitcnt vmcnt(0)
	buffer_store_dword v36, off, s[0:3], 0
	buffer_store_dword v38, v0, s[0:3], 0 offen offset:4
	buffer_store_dword v37, v0, s[0:3], 0 offen
	s_clause 0x1
	buffer_load_dword v37, off, s[0:3], 0
	buffer_load_dword v38, off, s[0:3], 0 offset:4
.LBB80_144:
	s_waitcnt vmcnt(0)
	flat_store_dwordx2 v[1:2], v[37:38]
	s_clause 0x1
	buffer_load_dword v0, off, s[0:3], 0 offset:8
	buffer_load_dword v1, off, s[0:3], 0 offset:12
	s_waitcnt vmcnt(0)
	flat_store_dwordx2 v[3:4], v[0:1]
	s_clause 0x1
	buffer_load_dword v0, off, s[0:3], 0 offset:16
	buffer_load_dword v1, off, s[0:3], 0 offset:20
	;; [unrolled: 5-line block ×16, first 2 shown]
	s_waitcnt vmcnt(0)
	flat_store_dwordx2 v[33:34], v[0:1]
	s_endpgm
	.section	.rodata,"a",@progbits
	.p2align	6, 0x0
	.amdhsa_kernel _ZN9rocsolver6v33100L18getri_kernel_smallILi17EdPKPdEEvT1_iilPiilS6_bb
		.amdhsa_group_segment_fixed_size 280
		.amdhsa_private_segment_fixed_size 144
		.amdhsa_kernarg_size 60
		.amdhsa_user_sgpr_count 6
		.amdhsa_user_sgpr_private_segment_buffer 1
		.amdhsa_user_sgpr_dispatch_ptr 0
		.amdhsa_user_sgpr_queue_ptr 0
		.amdhsa_user_sgpr_kernarg_segment_ptr 1
		.amdhsa_user_sgpr_dispatch_id 0
		.amdhsa_user_sgpr_flat_scratch_init 0
		.amdhsa_user_sgpr_private_segment_size 0
		.amdhsa_wavefront_size32 1
		.amdhsa_uses_dynamic_stack 0
		.amdhsa_system_sgpr_private_segment_wavefront_offset 1
		.amdhsa_system_sgpr_workgroup_id_x 1
		.amdhsa_system_sgpr_workgroup_id_y 0
		.amdhsa_system_sgpr_workgroup_id_z 0
		.amdhsa_system_sgpr_workgroup_info 0
		.amdhsa_system_vgpr_workitem_id 0
		.amdhsa_next_free_vgpr 76
		.amdhsa_next_free_sgpr 20
		.amdhsa_reserve_vcc 1
		.amdhsa_reserve_flat_scratch 0
		.amdhsa_float_round_mode_32 0
		.amdhsa_float_round_mode_16_64 0
		.amdhsa_float_denorm_mode_32 3
		.amdhsa_float_denorm_mode_16_64 3
		.amdhsa_dx10_clamp 1
		.amdhsa_ieee_mode 1
		.amdhsa_fp16_overflow 0
		.amdhsa_workgroup_processor_mode 1
		.amdhsa_memory_ordered 1
		.amdhsa_forward_progress 1
		.amdhsa_shared_vgpr_count 0
		.amdhsa_exception_fp_ieee_invalid_op 0
		.amdhsa_exception_fp_denorm_src 0
		.amdhsa_exception_fp_ieee_div_zero 0
		.amdhsa_exception_fp_ieee_overflow 0
		.amdhsa_exception_fp_ieee_underflow 0
		.amdhsa_exception_fp_ieee_inexact 0
		.amdhsa_exception_int_div_zero 0
	.end_amdhsa_kernel
	.section	.text._ZN9rocsolver6v33100L18getri_kernel_smallILi17EdPKPdEEvT1_iilPiilS6_bb,"axG",@progbits,_ZN9rocsolver6v33100L18getri_kernel_smallILi17EdPKPdEEvT1_iilPiilS6_bb,comdat
.Lfunc_end80:
	.size	_ZN9rocsolver6v33100L18getri_kernel_smallILi17EdPKPdEEvT1_iilPiilS6_bb, .Lfunc_end80-_ZN9rocsolver6v33100L18getri_kernel_smallILi17EdPKPdEEvT1_iilPiilS6_bb
                                        ; -- End function
	.set _ZN9rocsolver6v33100L18getri_kernel_smallILi17EdPKPdEEvT1_iilPiilS6_bb.num_vgpr, 76
	.set _ZN9rocsolver6v33100L18getri_kernel_smallILi17EdPKPdEEvT1_iilPiilS6_bb.num_agpr, 0
	.set _ZN9rocsolver6v33100L18getri_kernel_smallILi17EdPKPdEEvT1_iilPiilS6_bb.numbered_sgpr, 20
	.set _ZN9rocsolver6v33100L18getri_kernel_smallILi17EdPKPdEEvT1_iilPiilS6_bb.num_named_barrier, 0
	.set _ZN9rocsolver6v33100L18getri_kernel_smallILi17EdPKPdEEvT1_iilPiilS6_bb.private_seg_size, 144
	.set _ZN9rocsolver6v33100L18getri_kernel_smallILi17EdPKPdEEvT1_iilPiilS6_bb.uses_vcc, 1
	.set _ZN9rocsolver6v33100L18getri_kernel_smallILi17EdPKPdEEvT1_iilPiilS6_bb.uses_flat_scratch, 0
	.set _ZN9rocsolver6v33100L18getri_kernel_smallILi17EdPKPdEEvT1_iilPiilS6_bb.has_dyn_sized_stack, 0
	.set _ZN9rocsolver6v33100L18getri_kernel_smallILi17EdPKPdEEvT1_iilPiilS6_bb.has_recursion, 0
	.set _ZN9rocsolver6v33100L18getri_kernel_smallILi17EdPKPdEEvT1_iilPiilS6_bb.has_indirect_call, 0
	.section	.AMDGPU.csdata,"",@progbits
; Kernel info:
; codeLenInByte = 14088
; TotalNumSgprs: 22
; NumVgprs: 76
; ScratchSize: 144
; MemoryBound: 0
; FloatMode: 240
; IeeeMode: 1
; LDSByteSize: 280 bytes/workgroup (compile time only)
; SGPRBlocks: 0
; VGPRBlocks: 9
; NumSGPRsForWavesPerEU: 22
; NumVGPRsForWavesPerEU: 76
; Occupancy: 12
; WaveLimiterHint : 1
; COMPUTE_PGM_RSRC2:SCRATCH_EN: 1
; COMPUTE_PGM_RSRC2:USER_SGPR: 6
; COMPUTE_PGM_RSRC2:TRAP_HANDLER: 0
; COMPUTE_PGM_RSRC2:TGID_X_EN: 1
; COMPUTE_PGM_RSRC2:TGID_Y_EN: 0
; COMPUTE_PGM_RSRC2:TGID_Z_EN: 0
; COMPUTE_PGM_RSRC2:TIDIG_COMP_CNT: 0
	.section	.text._ZN9rocsolver6v33100L18getri_kernel_smallILi18EdPKPdEEvT1_iilPiilS6_bb,"axG",@progbits,_ZN9rocsolver6v33100L18getri_kernel_smallILi18EdPKPdEEvT1_iilPiilS6_bb,comdat
	.globl	_ZN9rocsolver6v33100L18getri_kernel_smallILi18EdPKPdEEvT1_iilPiilS6_bb ; -- Begin function _ZN9rocsolver6v33100L18getri_kernel_smallILi18EdPKPdEEvT1_iilPiilS6_bb
	.p2align	8
	.type	_ZN9rocsolver6v33100L18getri_kernel_smallILi18EdPKPdEEvT1_iilPiilS6_bb,@function
_ZN9rocsolver6v33100L18getri_kernel_smallILi18EdPKPdEEvT1_iilPiilS6_bb: ; @_ZN9rocsolver6v33100L18getri_kernel_smallILi18EdPKPdEEvT1_iilPiilS6_bb
; %bb.0:
	s_add_u32 s0, s0, s7
	s_addc_u32 s1, s1, 0
	s_mov_b32 s7, exec_lo
	v_cmpx_gt_u32_e32 18, v0
	s_cbranch_execz .LBB81_82
; %bb.1:
	s_clause 0x2
	s_load_dword s17, s[4:5], 0x38
	s_load_dwordx2 s[12:13], s[4:5], 0x0
	s_load_dwordx4 s[8:11], s[4:5], 0x28
	s_waitcnt lgkmcnt(0)
	s_bitcmp1_b32 s17, 8
	s_cselect_b32 s16, -1, 0
	s_ashr_i32 s7, s6, 31
	s_lshl_b64 s[14:15], s[6:7], 3
	s_add_u32 s12, s12, s14
	s_addc_u32 s13, s13, s15
	s_load_dwordx2 s[14:15], s[12:13], 0x0
	s_bfe_u32 s12, s17, 0x10008
	s_cmp_eq_u32 s12, 0
                                        ; implicit-def: $sgpr12_sgpr13
	s_cbranch_scc1 .LBB81_3
; %bb.2:
	s_clause 0x1
	s_load_dword s12, s[4:5], 0x20
	s_load_dwordx2 s[18:19], s[4:5], 0x18
	s_mul_i32 s13, s8, s7
	s_mul_hi_u32 s17, s8, s6
	s_mul_i32 s9, s9, s6
	s_add_i32 s13, s17, s13
	s_mul_i32 s8, s8, s6
	s_add_i32 s9, s13, s9
	s_lshl_b64 s[8:9], s[8:9], 2
	s_waitcnt lgkmcnt(0)
	s_ashr_i32 s13, s12, 31
	s_add_u32 s17, s18, s8
	s_addc_u32 s18, s19, s9
	s_lshl_b64 s[8:9], s[12:13], 2
	s_add_u32 s12, s17, s8
	s_addc_u32 s13, s18, s9
.LBB81_3:
	s_clause 0x1
	s_load_dwordx2 s[8:9], s[4:5], 0x8
	s_load_dword s4, s[4:5], 0x38
	v_lshlrev_b32_e32 v39, 3, v0
	s_waitcnt lgkmcnt(0)
	s_ashr_i32 s19, s8, 31
	s_mov_b32 s18, s8
	v_add3_u32 v9, s9, s9, v0
	s_lshl_b64 s[18:19], s[18:19], 3
	s_add_u32 s5, s14, s18
	s_addc_u32 s8, s15, s19
	v_add_co_u32 v1, s14, s5, v39
	v_add_co_ci_u32_e64 v2, null, s8, 0, s14
	s_mov_b32 s14, s9
	s_ashr_i32 s15, s9, 31
	v_ashrrev_i32_e32 v10, 31, v9
	flat_load_dwordx2 v[5:6], v[1:2]
	s_lshl_b64 s[14:15], s[14:15], 3
	v_add_nc_u32_e32 v12, s9, v9
	v_add_co_u32 v3, vcc_lo, v1, s14
	v_add_co_ci_u32_e64 v4, null, s15, v2, vcc_lo
	v_ashrrev_i32_e32 v13, 31, v12
	s_bitcmp0_b32 s4, 0
	s_waitcnt vmcnt(0) lgkmcnt(0)
	buffer_store_dword v6, off, s[0:3], 0 offset:4
	buffer_store_dword v5, off, s[0:3], 0
	flat_load_dwordx2 v[7:8], v[3:4]
	v_lshlrev_b64 v[5:6], 3, v[9:10]
	s_waitcnt vmcnt(0) lgkmcnt(0)
	buffer_store_dword v8, off, s[0:3], 0 offset:12
	buffer_store_dword v7, off, s[0:3], 0 offset:8
	v_add_co_u32 v5, vcc_lo, s5, v5
	v_add_co_ci_u32_e64 v6, null, s8, v6, vcc_lo
	v_lshlrev_b64 v[7:8], 3, v[12:13]
	flat_load_dwordx2 v[10:11], v[5:6]
	s_waitcnt vmcnt(0) lgkmcnt(0)
	buffer_store_dword v11, off, s[0:3], 0 offset:20
	buffer_store_dword v10, off, s[0:3], 0 offset:16
	v_add_co_u32 v7, vcc_lo, s5, v7
	v_add_co_ci_u32_e64 v8, null, s8, v8, vcc_lo
	v_add_nc_u32_e32 v11, s9, v12
	flat_load_dwordx2 v[13:14], v[7:8]
	s_waitcnt vmcnt(0) lgkmcnt(0)
	buffer_store_dword v14, off, s[0:3], 0 offset:28
	buffer_store_dword v13, off, s[0:3], 0 offset:24
	v_ashrrev_i32_e32 v12, 31, v11
	v_add_nc_u32_e32 v15, s9, v11
	v_lshlrev_b64 v[9:10], 3, v[11:12]
	v_ashrrev_i32_e32 v16, 31, v15
	v_add_nc_u32_e32 v18, s9, v15
	v_add_co_u32 v9, vcc_lo, s5, v9
	v_add_co_ci_u32_e64 v10, null, s8, v10, vcc_lo
	v_lshlrev_b64 v[11:12], 3, v[15:16]
	v_ashrrev_i32_e32 v19, 31, v18
	flat_load_dwordx2 v[13:14], v[9:10]
	s_waitcnt vmcnt(0) lgkmcnt(0)
	buffer_store_dword v14, off, s[0:3], 0 offset:36
	buffer_store_dword v13, off, s[0:3], 0 offset:32
	v_add_co_u32 v11, vcc_lo, s5, v11
	v_add_co_ci_u32_e64 v12, null, s8, v12, vcc_lo
	v_lshlrev_b64 v[13:14], 3, v[18:19]
	flat_load_dwordx2 v[16:17], v[11:12]
	s_waitcnt vmcnt(0) lgkmcnt(0)
	buffer_store_dword v17, off, s[0:3], 0 offset:44
	buffer_store_dword v16, off, s[0:3], 0 offset:40
	v_add_co_u32 v13, vcc_lo, s5, v13
	v_add_co_ci_u32_e64 v14, null, s8, v14, vcc_lo
	v_add_nc_u32_e32 v17, s9, v18
	flat_load_dwordx2 v[19:20], v[13:14]
	s_waitcnt vmcnt(0) lgkmcnt(0)
	buffer_store_dword v20, off, s[0:3], 0 offset:52
	buffer_store_dword v19, off, s[0:3], 0 offset:48
	v_ashrrev_i32_e32 v18, 31, v17
	v_add_nc_u32_e32 v21, s9, v17
	v_lshlrev_b64 v[15:16], 3, v[17:18]
	v_ashrrev_i32_e32 v22, 31, v21
	v_add_nc_u32_e32 v24, s9, v21
	v_add_co_u32 v15, vcc_lo, s5, v15
	v_add_co_ci_u32_e64 v16, null, s8, v16, vcc_lo
	v_lshlrev_b64 v[17:18], 3, v[21:22]
	v_ashrrev_i32_e32 v25, 31, v24
	flat_load_dwordx2 v[19:20], v[15:16]
	;; [unrolled: 27-line block ×4, first 2 shown]
	s_waitcnt vmcnt(0) lgkmcnt(0)
	buffer_store_dword v32, off, s[0:3], 0 offset:108
	buffer_store_dword v31, off, s[0:3], 0 offset:104
	v_add_co_u32 v29, vcc_lo, s5, v29
	v_add_co_ci_u32_e64 v30, null, s8, v30, vcc_lo
	v_lshlrev_b64 v[31:32], 3, v[36:37]
	flat_load_dwordx2 v[34:35], v[29:30]
	s_waitcnt vmcnt(0) lgkmcnt(0)
	buffer_store_dword v35, off, s[0:3], 0 offset:116
	buffer_store_dword v34, off, s[0:3], 0 offset:112
	v_add_co_u32 v31, vcc_lo, s5, v31
	v_add_co_ci_u32_e64 v32, null, s8, v32, vcc_lo
	v_add_nc_u32_e32 v35, s9, v36
	flat_load_dwordx2 v[37:38], v[31:32]
	s_waitcnt vmcnt(0) lgkmcnt(0)
	buffer_store_dword v38, off, s[0:3], 0 offset:124
	buffer_store_dword v37, off, s[0:3], 0 offset:120
	v_ashrrev_i32_e32 v36, 31, v35
	v_lshlrev_b64 v[33:34], 3, v[35:36]
	v_add_nc_u32_e32 v35, s9, v35
	v_add_co_u32 v33, vcc_lo, s5, v33
	v_add_co_ci_u32_e64 v34, null, s8, v34, vcc_lo
	v_ashrrev_i32_e32 v36, 31, v35
	flat_load_dwordx2 v[37:38], v[33:34]
	s_waitcnt vmcnt(0) lgkmcnt(0)
	buffer_store_dword v38, off, s[0:3], 0 offset:132
	buffer_store_dword v37, off, s[0:3], 0 offset:128
	v_lshlrev_b64 v[35:36], 3, v[35:36]
	v_add_co_u32 v35, vcc_lo, s5, v35
	v_add_co_ci_u32_e64 v36, null, s8, v36, vcc_lo
	s_mov_b32 s5, -1
	flat_load_dwordx2 v[37:38], v[35:36]
	s_waitcnt vmcnt(0) lgkmcnt(0)
	buffer_store_dword v38, off, s[0:3], 0 offset:140
	buffer_store_dword v37, off, s[0:3], 0 offset:136
	s_cbranch_scc1 .LBB81_80
; %bb.4:
	v_cmp_eq_u32_e64 s4, 0, v0
	s_and_saveexec_b32 s5, s4
; %bb.5:
	v_mov_b32_e32 v37, 0
	ds_write_b32 v37, v37 offset:288
; %bb.6:
	s_or_b32 exec_lo, exec_lo, s5
	v_lshl_add_u32 v37, v0, 3, 0
	s_waitcnt lgkmcnt(0)
	s_waitcnt_vscnt null, 0x0
	s_barrier
	buffer_gl0_inv
	s_mov_b32 s8, exec_lo
	s_clause 0x1
	buffer_load_dword v40, v37, s[0:3], 0 offen
	buffer_load_dword v41, v37, s[0:3], 0 offen offset:4
	s_waitcnt vmcnt(0)
	v_cmpx_eq_f64_e32 0, v[40:41]
	s_cbranch_execz .LBB81_10
; %bb.7:
	v_mov_b32_e32 v38, 0
	s_mov_b32 s9, 0
	ds_read_b32 v40, v38 offset:288
	s_waitcnt lgkmcnt(0)
	v_readfirstlane_b32 s5, v40
	v_add_nc_u32_e32 v40, 1, v0
	s_cmp_eq_u32 s5, 0
	v_cmp_gt_i32_e32 vcc_lo, s5, v40
	s_cselect_b32 s14, -1, 0
	s_or_b32 s14, s14, vcc_lo
	s_and_b32 exec_lo, exec_lo, s14
	s_cbranch_execz .LBB81_10
; %bb.8:
	v_mov_b32_e32 v41, s5
.LBB81_9:                               ; =>This Inner Loop Header: Depth=1
	ds_cmpst_rtn_b32 v41, v38, v41, v40 offset:288
	s_waitcnt lgkmcnt(0)
	v_cmp_ne_u32_e32 vcc_lo, 0, v41
	v_cmp_le_i32_e64 s5, v41, v40
	s_and_b32 s5, vcc_lo, s5
	s_and_b32 s5, exec_lo, s5
	s_or_b32 s9, s5, s9
	s_andn2_b32 exec_lo, exec_lo, s9
	s_cbranch_execnz .LBB81_9
.LBB81_10:
	s_or_b32 exec_lo, exec_lo, s8
	v_mov_b32_e32 v38, 0
	s_barrier
	buffer_gl0_inv
	ds_read_b32 v40, v38 offset:288
	s_and_saveexec_b32 s5, s4
	s_cbranch_execz .LBB81_12
; %bb.11:
	s_lshl_b64 s[8:9], s[6:7], 2
	s_add_u32 s8, s10, s8
	s_addc_u32 s9, s11, s9
	s_waitcnt lgkmcnt(0)
	global_store_dword v38, v40, s[8:9]
.LBB81_12:
	s_or_b32 exec_lo, exec_lo, s5
	s_waitcnt lgkmcnt(0)
	v_cmp_ne_u32_e32 vcc_lo, 0, v40
	s_mov_b32 s5, 0
	s_cbranch_vccnz .LBB81_80
; %bb.13:
	s_clause 0x1
	buffer_load_dword v40, v37, s[0:3], 0 offen
	buffer_load_dword v41, v37, s[0:3], 0 offen offset:4
	s_waitcnt vmcnt(0)
	v_div_scale_f64 v[42:43], null, v[40:41], v[40:41], 1.0
	v_div_scale_f64 v[48:49], vcc_lo, 1.0, v[40:41], 1.0
	v_rcp_f64_e32 v[44:45], v[42:43]
	v_fma_f64 v[46:47], -v[42:43], v[44:45], 1.0
	v_fma_f64 v[44:45], v[44:45], v[46:47], v[44:45]
	v_fma_f64 v[46:47], -v[42:43], v[44:45], 1.0
	v_fma_f64 v[44:45], v[44:45], v[46:47], v[44:45]
	v_mul_f64 v[46:47], v[48:49], v[44:45]
	v_fma_f64 v[42:43], -v[42:43], v[46:47], v[48:49]
	v_div_fmas_f64 v[42:43], v[42:43], v[44:45], v[46:47]
	v_div_fixup_f64 v[41:42], v[42:43], v[40:41], 1.0
	v_add_nc_u32_e32 v40, 0x90, v39
	buffer_store_dword v42, v37, s[0:3], 0 offen offset:4
	buffer_store_dword v41, v37, s[0:3], 0 offen
	s_clause 0x1
	buffer_load_dword v44, off, s[0:3], 0 offset:12
	buffer_load_dword v43, off, s[0:3], 0 offset:8
	v_xor_b32_e32 v42, 0x80000000, v42
	s_waitcnt vmcnt(0)
	ds_write2_b64 v39, v[41:42], v[43:44] offset1:18
	s_waitcnt lgkmcnt(0)
	s_waitcnt_vscnt null, 0x0
	s_barrier
	buffer_gl0_inv
	s_and_saveexec_b32 s5, s4
	s_cbranch_execz .LBB81_15
; %bb.14:
	s_clause 0x1
	buffer_load_dword v41, v37, s[0:3], 0 offen
	buffer_load_dword v42, v37, s[0:3], 0 offen offset:4
	ds_read_b64 v[43:44], v40
	v_mov_b32_e32 v38, 0
	ds_read_b64 v[45:46], v38 offset:8
	s_waitcnt vmcnt(0) lgkmcnt(1)
	v_fma_f64 v[41:42], v[41:42], v[43:44], 0
	s_waitcnt lgkmcnt(0)
	v_mul_f64 v[41:42], v[41:42], v[45:46]
	buffer_store_dword v41, off, s[0:3], 0 offset:8
	buffer_store_dword v42, off, s[0:3], 0 offset:12
.LBB81_15:
	s_or_b32 exec_lo, exec_lo, s5
	s_waitcnt_vscnt null, 0x0
	s_barrier
	buffer_gl0_inv
	s_clause 0x1
	buffer_load_dword v41, off, s[0:3], 0 offset:16
	buffer_load_dword v42, off, s[0:3], 0 offset:20
	s_mov_b32 s5, exec_lo
	s_waitcnt vmcnt(0)
	ds_write_b64 v40, v[41:42]
	s_waitcnt lgkmcnt(0)
	s_barrier
	buffer_gl0_inv
	v_cmpx_gt_u32_e32 2, v0
	s_cbranch_execz .LBB81_19
; %bb.16:
	s_clause 0x1
	buffer_load_dword v41, v37, s[0:3], 0 offen
	buffer_load_dword v42, v37, s[0:3], 0 offen offset:4
	ds_read_b64 v[37:38], v40
	s_waitcnt vmcnt(0) lgkmcnt(0)
	v_fma_f64 v[37:38], v[41:42], v[37:38], 0
	s_and_saveexec_b32 s8, s4
	s_cbranch_execz .LBB81_18
; %bb.17:
	s_clause 0x1
	buffer_load_dword v41, off, s[0:3], 0 offset:8
	buffer_load_dword v42, off, s[0:3], 0 offset:12
	v_mov_b32_e32 v43, 0
	ds_read_b64 v[43:44], v43 offset:152
	s_waitcnt vmcnt(0) lgkmcnt(0)
	v_fma_f64 v[37:38], v[41:42], v[43:44], v[37:38]
.LBB81_18:
	s_or_b32 exec_lo, exec_lo, s8
	v_mov_b32_e32 v41, 0
	ds_read_b64 v[41:42], v41 offset:16
	s_waitcnt lgkmcnt(0)
	v_mul_f64 v[37:38], v[37:38], v[41:42]
	buffer_store_dword v38, off, s[0:3], 0 offset:20
	buffer_store_dword v37, off, s[0:3], 0 offset:16
.LBB81_19:
	s_or_b32 exec_lo, exec_lo, s5
	s_waitcnt_vscnt null, 0x0
	s_barrier
	buffer_gl0_inv
	s_clause 0x1
	buffer_load_dword v37, off, s[0:3], 0 offset:24
	buffer_load_dword v38, off, s[0:3], 0 offset:28
	v_add_nc_u32_e32 v41, -1, v0
	s_mov_b32 s4, exec_lo
	s_waitcnt vmcnt(0)
	ds_write_b64 v40, v[37:38]
	s_waitcnt lgkmcnt(0)
	s_barrier
	buffer_gl0_inv
	v_cmpx_gt_u32_e32 3, v0
	s_cbranch_execz .LBB81_23
; %bb.20:
	v_mov_b32_e32 v37, 0
	v_add_nc_u32_e32 v42, -1, v0
	v_add_nc_u32_e32 v43, 0x90, v39
	v_mov_b32_e32 v38, 0
	v_mov_b32_e32 v44, v39
	s_mov_b32 s5, 0
.LBB81_21:                              ; =>This Inner Loop Header: Depth=1
	s_clause 0x1
	buffer_load_dword v45, v44, s[0:3], 0 offen
	buffer_load_dword v46, v44, s[0:3], 0 offen offset:4
	ds_read_b64 v[47:48], v43
	v_add_nc_u32_e32 v42, 1, v42
	v_add_nc_u32_e32 v43, 8, v43
	v_add_nc_u32_e32 v44, 8, v44
	v_cmp_lt_u32_e32 vcc_lo, 1, v42
	s_or_b32 s5, vcc_lo, s5
	s_waitcnt vmcnt(0) lgkmcnt(0)
	v_fma_f64 v[37:38], v[45:46], v[47:48], v[37:38]
	s_andn2_b32 exec_lo, exec_lo, s5
	s_cbranch_execnz .LBB81_21
; %bb.22:
	s_or_b32 exec_lo, exec_lo, s5
	v_mov_b32_e32 v42, 0
	ds_read_b64 v[42:43], v42 offset:24
	s_waitcnt lgkmcnt(0)
	v_mul_f64 v[37:38], v[37:38], v[42:43]
	buffer_store_dword v38, off, s[0:3], 0 offset:28
	buffer_store_dword v37, off, s[0:3], 0 offset:24
.LBB81_23:
	s_or_b32 exec_lo, exec_lo, s4
	s_waitcnt_vscnt null, 0x0
	s_barrier
	buffer_gl0_inv
	s_clause 0x1
	buffer_load_dword v37, off, s[0:3], 0 offset:32
	buffer_load_dword v38, off, s[0:3], 0 offset:36
	s_mov_b32 s4, exec_lo
	s_waitcnt vmcnt(0)
	ds_write_b64 v40, v[37:38]
	s_waitcnt lgkmcnt(0)
	s_barrier
	buffer_gl0_inv
	v_cmpx_gt_u32_e32 4, v0
	s_cbranch_execz .LBB81_27
; %bb.24:
	v_mov_b32_e32 v37, 0
	v_add_nc_u32_e32 v42, -1, v0
	v_add_nc_u32_e32 v43, 0x90, v39
	v_mov_b32_e32 v38, 0
	v_mov_b32_e32 v44, v39
	s_mov_b32 s5, 0
.LBB81_25:                              ; =>This Inner Loop Header: Depth=1
	s_clause 0x1
	buffer_load_dword v45, v44, s[0:3], 0 offen
	buffer_load_dword v46, v44, s[0:3], 0 offen offset:4
	ds_read_b64 v[47:48], v43
	v_add_nc_u32_e32 v42, 1, v42
	v_add_nc_u32_e32 v43, 8, v43
	v_add_nc_u32_e32 v44, 8, v44
	v_cmp_lt_u32_e32 vcc_lo, 2, v42
	s_or_b32 s5, vcc_lo, s5
	s_waitcnt vmcnt(0) lgkmcnt(0)
	v_fma_f64 v[37:38], v[45:46], v[47:48], v[37:38]
	s_andn2_b32 exec_lo, exec_lo, s5
	s_cbranch_execnz .LBB81_25
; %bb.26:
	s_or_b32 exec_lo, exec_lo, s5
	v_mov_b32_e32 v42, 0
	ds_read_b64 v[42:43], v42 offset:32
	s_waitcnt lgkmcnt(0)
	v_mul_f64 v[37:38], v[37:38], v[42:43]
	buffer_store_dword v38, off, s[0:3], 0 offset:36
	buffer_store_dword v37, off, s[0:3], 0 offset:32
.LBB81_27:
	s_or_b32 exec_lo, exec_lo, s4
	s_waitcnt_vscnt null, 0x0
	s_barrier
	buffer_gl0_inv
	s_clause 0x1
	buffer_load_dword v37, off, s[0:3], 0 offset:40
	buffer_load_dword v38, off, s[0:3], 0 offset:44
	;; [unrolled: 45-line block ×14, first 2 shown]
	s_mov_b32 s4, exec_lo
	s_waitcnt vmcnt(0)
	ds_write_b64 v40, v[37:38]
	s_waitcnt lgkmcnt(0)
	s_barrier
	buffer_gl0_inv
	v_cmpx_ne_u32_e32 17, v0
	s_cbranch_execz .LBB81_79
; %bb.76:
	v_mov_b32_e32 v37, 0
	v_mov_b32_e32 v38, 0
	s_mov_b32 s5, 0
.LBB81_77:                              ; =>This Inner Loop Header: Depth=1
	s_clause 0x1
	buffer_load_dword v42, v39, s[0:3], 0 offen
	buffer_load_dword v43, v39, s[0:3], 0 offen offset:4
	ds_read_b64 v[44:45], v40
	v_add_nc_u32_e32 v41, 1, v41
	v_add_nc_u32_e32 v40, 8, v40
	;; [unrolled: 1-line block ×3, first 2 shown]
	v_cmp_lt_u32_e32 vcc_lo, 15, v41
	s_or_b32 s5, vcc_lo, s5
	s_waitcnt vmcnt(0) lgkmcnt(0)
	v_fma_f64 v[37:38], v[42:43], v[44:45], v[37:38]
	s_andn2_b32 exec_lo, exec_lo, s5
	s_cbranch_execnz .LBB81_77
; %bb.78:
	s_or_b32 exec_lo, exec_lo, s5
	v_mov_b32_e32 v39, 0
	ds_read_b64 v[39:40], v39 offset:136
	s_waitcnt lgkmcnt(0)
	v_mul_f64 v[37:38], v[37:38], v[39:40]
	buffer_store_dword v38, off, s[0:3], 0 offset:140
	buffer_store_dword v37, off, s[0:3], 0 offset:136
.LBB81_79:
	s_or_b32 exec_lo, exec_lo, s4
	s_mov_b32 s5, -1
	s_waitcnt_vscnt null, 0x0
	s_barrier
	buffer_gl0_inv
.LBB81_80:
	s_and_b32 vcc_lo, exec_lo, s5
	s_cbranch_vccz .LBB81_82
; %bb.81:
	s_lshl_b64 s[4:5], s[6:7], 2
	v_mov_b32_e32 v37, 0
	s_add_u32 s4, s10, s4
	s_addc_u32 s5, s11, s5
	global_load_dword v37, v37, s[4:5]
	s_waitcnt vmcnt(0)
	v_cmp_ne_u32_e32 vcc_lo, 0, v37
	s_cbranch_vccz .LBB81_83
.LBB81_82:
	s_endpgm
.LBB81_83:
	v_lshl_add_u32 v37, v0, 3, 0x90
	s_mov_b32 s4, exec_lo
	v_cmpx_eq_u32_e32 17, v0
	s_cbranch_execz .LBB81_85
; %bb.84:
	s_clause 0x1
	buffer_load_dword v38, off, s[0:3], 0 offset:128
	buffer_load_dword v39, off, s[0:3], 0 offset:132
	v_mov_b32_e32 v40, 0
	buffer_store_dword v40, off, s[0:3], 0 offset:128
	buffer_store_dword v40, off, s[0:3], 0 offset:132
	s_waitcnt vmcnt(0)
	ds_write_b64 v37, v[38:39]
.LBB81_85:
	s_or_b32 exec_lo, exec_lo, s4
	s_waitcnt lgkmcnt(0)
	s_waitcnt_vscnt null, 0x0
	s_barrier
	buffer_gl0_inv
	s_clause 0x3
	buffer_load_dword v39, off, s[0:3], 0 offset:136
	buffer_load_dword v40, off, s[0:3], 0 offset:140
	;; [unrolled: 1-line block ×4, first 2 shown]
	v_mov_b32_e32 v38, 0
	s_mov_b32 s4, exec_lo
	ds_read_b64 v[43:44], v38 offset:280
	s_waitcnt vmcnt(2) lgkmcnt(0)
	v_fma_f64 v[39:40], v[39:40], v[43:44], 0
	s_waitcnt vmcnt(0)
	v_add_f64 v[39:40], v[41:42], -v[39:40]
	buffer_store_dword v39, off, s[0:3], 0 offset:128
	buffer_store_dword v40, off, s[0:3], 0 offset:132
	v_cmpx_lt_u32_e32 15, v0
	s_cbranch_execz .LBB81_87
; %bb.86:
	s_clause 0x1
	buffer_load_dword v39, off, s[0:3], 0 offset:120
	buffer_load_dword v40, off, s[0:3], 0 offset:124
	buffer_store_dword v38, off, s[0:3], 0 offset:120
	buffer_store_dword v38, off, s[0:3], 0 offset:124
	s_waitcnt vmcnt(0)
	ds_write_b64 v37, v[39:40]
.LBB81_87:
	s_or_b32 exec_lo, exec_lo, s4
	s_waitcnt lgkmcnt(0)
	s_waitcnt_vscnt null, 0x0
	s_barrier
	buffer_gl0_inv
	s_clause 0x5
	buffer_load_dword v42, off, s[0:3], 0 offset:128
	buffer_load_dword v43, off, s[0:3], 0 offset:132
	;; [unrolled: 1-line block ×6, first 2 shown]
	ds_read_b128 v[38:41], v38 offset:272
	s_mov_b32 s4, exec_lo
	s_waitcnt vmcnt(4) lgkmcnt(0)
	v_fma_f64 v[38:39], v[42:43], v[38:39], 0
	s_waitcnt vmcnt(2)
	v_fma_f64 v[38:39], v[44:45], v[40:41], v[38:39]
	s_waitcnt vmcnt(0)
	v_add_f64 v[38:39], v[46:47], -v[38:39]
	buffer_store_dword v38, off, s[0:3], 0 offset:120
	buffer_store_dword v39, off, s[0:3], 0 offset:124
	v_cmpx_lt_u32_e32 14, v0
	s_cbranch_execz .LBB81_89
; %bb.88:
	s_clause 0x1
	buffer_load_dword v38, off, s[0:3], 0 offset:112
	buffer_load_dword v39, off, s[0:3], 0 offset:116
	v_mov_b32_e32 v40, 0
	buffer_store_dword v40, off, s[0:3], 0 offset:112
	buffer_store_dword v40, off, s[0:3], 0 offset:116
	s_waitcnt vmcnt(0)
	ds_write_b64 v37, v[38:39]
.LBB81_89:
	s_or_b32 exec_lo, exec_lo, s4
	s_waitcnt lgkmcnt(0)
	s_waitcnt_vscnt null, 0x0
	s_barrier
	buffer_gl0_inv
	s_clause 0x7
	buffer_load_dword v43, off, s[0:3], 0 offset:120
	buffer_load_dword v44, off, s[0:3], 0 offset:124
	;; [unrolled: 1-line block ×8, first 2 shown]
	v_mov_b32_e32 v38, 0
	ds_read2_b64 v[39:42], v38 offset0:33 offset1:34
	ds_read_b64 v[51:52], v38 offset:280
	s_mov_b32 s4, exec_lo
	s_waitcnt vmcnt(6) lgkmcnt(1)
	v_fma_f64 v[39:40], v[43:44], v[39:40], 0
	s_waitcnt vmcnt(4)
	v_fma_f64 v[39:40], v[45:46], v[41:42], v[39:40]
	s_waitcnt vmcnt(2) lgkmcnt(0)
	v_fma_f64 v[39:40], v[47:48], v[51:52], v[39:40]
	s_waitcnt vmcnt(0)
	v_add_f64 v[39:40], v[49:50], -v[39:40]
	buffer_store_dword v39, off, s[0:3], 0 offset:112
	buffer_store_dword v40, off, s[0:3], 0 offset:116
	v_cmpx_lt_u32_e32 13, v0
	s_cbranch_execz .LBB81_91
; %bb.90:
	s_clause 0x1
	buffer_load_dword v39, off, s[0:3], 0 offset:104
	buffer_load_dword v40, off, s[0:3], 0 offset:108
	buffer_store_dword v38, off, s[0:3], 0 offset:104
	buffer_store_dword v38, off, s[0:3], 0 offset:108
	s_waitcnt vmcnt(0)
	ds_write_b64 v37, v[39:40]
.LBB81_91:
	s_or_b32 exec_lo, exec_lo, s4
	s_waitcnt lgkmcnt(0)
	s_waitcnt_vscnt null, 0x0
	s_barrier
	buffer_gl0_inv
	s_clause 0x9
	buffer_load_dword v47, off, s[0:3], 0 offset:112
	buffer_load_dword v48, off, s[0:3], 0 offset:116
	;; [unrolled: 1-line block ×10, first 2 shown]
	ds_read_b128 v[39:42], v38 offset:256
	ds_read_b128 v[43:46], v38 offset:272
	s_mov_b32 s4, exec_lo
	s_waitcnt vmcnt(8) lgkmcnt(1)
	v_fma_f64 v[38:39], v[47:48], v[39:40], 0
	s_waitcnt vmcnt(6)
	v_fma_f64 v[38:39], v[49:50], v[41:42], v[38:39]
	s_waitcnt vmcnt(4) lgkmcnt(0)
	v_fma_f64 v[38:39], v[51:52], v[43:44], v[38:39]
	s_waitcnt vmcnt(2)
	v_fma_f64 v[38:39], v[53:54], v[45:46], v[38:39]
	s_waitcnt vmcnt(0)
	v_add_f64 v[38:39], v[55:56], -v[38:39]
	buffer_store_dword v38, off, s[0:3], 0 offset:104
	buffer_store_dword v39, off, s[0:3], 0 offset:108
	v_cmpx_lt_u32_e32 12, v0
	s_cbranch_execz .LBB81_93
; %bb.92:
	s_clause 0x1
	buffer_load_dword v38, off, s[0:3], 0 offset:96
	buffer_load_dword v39, off, s[0:3], 0 offset:100
	v_mov_b32_e32 v40, 0
	buffer_store_dword v40, off, s[0:3], 0 offset:96
	buffer_store_dword v40, off, s[0:3], 0 offset:100
	s_waitcnt vmcnt(0)
	ds_write_b64 v37, v[38:39]
.LBB81_93:
	s_or_b32 exec_lo, exec_lo, s4
	s_waitcnt lgkmcnt(0)
	s_waitcnt_vscnt null, 0x0
	s_barrier
	buffer_gl0_inv
	s_clause 0xb
	buffer_load_dword v47, off, s[0:3], 0 offset:104
	buffer_load_dword v48, off, s[0:3], 0 offset:108
	buffer_load_dword v49, off, s[0:3], 0 offset:112
	buffer_load_dword v50, off, s[0:3], 0 offset:116
	buffer_load_dword v51, off, s[0:3], 0 offset:120
	buffer_load_dword v52, off, s[0:3], 0 offset:124
	buffer_load_dword v53, off, s[0:3], 0 offset:128
	buffer_load_dword v54, off, s[0:3], 0 offset:132
	buffer_load_dword v55, off, s[0:3], 0 offset:136
	buffer_load_dword v56, off, s[0:3], 0 offset:140
	buffer_load_dword v57, off, s[0:3], 0 offset:96
	buffer_load_dword v58, off, s[0:3], 0 offset:100
	v_mov_b32_e32 v38, 0
	ds_read2_b64 v[39:42], v38 offset0:31 offset1:32
	ds_read2_b64 v[43:46], v38 offset0:33 offset1:34
	s_mov_b32 s4, exec_lo
	s_waitcnt vmcnt(10) lgkmcnt(1)
	v_fma_f64 v[39:40], v[47:48], v[39:40], 0
	s_waitcnt vmcnt(8)
	v_fma_f64 v[39:40], v[49:50], v[41:42], v[39:40]
	ds_read_b64 v[41:42], v38 offset:280
	s_waitcnt vmcnt(6) lgkmcnt(1)
	v_fma_f64 v[39:40], v[51:52], v[43:44], v[39:40]
	s_waitcnt vmcnt(4)
	v_fma_f64 v[39:40], v[53:54], v[45:46], v[39:40]
	s_waitcnt vmcnt(2) lgkmcnt(0)
	v_fma_f64 v[39:40], v[55:56], v[41:42], v[39:40]
	s_waitcnt vmcnt(0)
	v_add_f64 v[39:40], v[57:58], -v[39:40]
	buffer_store_dword v39, off, s[0:3], 0 offset:96
	buffer_store_dword v40, off, s[0:3], 0 offset:100
	v_cmpx_lt_u32_e32 11, v0
	s_cbranch_execz .LBB81_95
; %bb.94:
	s_clause 0x1
	buffer_load_dword v39, off, s[0:3], 0 offset:88
	buffer_load_dword v40, off, s[0:3], 0 offset:92
	buffer_store_dword v38, off, s[0:3], 0 offset:88
	buffer_store_dword v38, off, s[0:3], 0 offset:92
	s_waitcnt vmcnt(0)
	ds_write_b64 v37, v[39:40]
.LBB81_95:
	s_or_b32 exec_lo, exec_lo, s4
	s_waitcnt lgkmcnt(0)
	s_waitcnt_vscnt null, 0x0
	s_barrier
	buffer_gl0_inv
	s_clause 0xd
	buffer_load_dword v47, off, s[0:3], 0 offset:96
	buffer_load_dword v48, off, s[0:3], 0 offset:100
	;; [unrolled: 1-line block ×14, first 2 shown]
	ds_read_b128 v[39:42], v38 offset:240
	ds_read_b128 v[43:46], v38 offset:256
	s_mov_b32 s4, exec_lo
	s_waitcnt vmcnt(12) lgkmcnt(1)
	v_fma_f64 v[39:40], v[47:48], v[39:40], 0
	s_waitcnt vmcnt(10)
	v_fma_f64 v[39:40], v[49:50], v[41:42], v[39:40]
	s_waitcnt vmcnt(8) lgkmcnt(0)
	v_fma_f64 v[39:40], v[51:52], v[43:44], v[39:40]
	s_waitcnt vmcnt(6)
	v_fma_f64 v[42:43], v[53:54], v[45:46], v[39:40]
	ds_read_b128 v[38:41], v38 offset:272
	s_waitcnt vmcnt(4) lgkmcnt(0)
	v_fma_f64 v[38:39], v[55:56], v[38:39], v[42:43]
	s_waitcnt vmcnt(2)
	v_fma_f64 v[38:39], v[57:58], v[40:41], v[38:39]
	s_waitcnt vmcnt(0)
	v_add_f64 v[38:39], v[59:60], -v[38:39]
	buffer_store_dword v38, off, s[0:3], 0 offset:88
	buffer_store_dword v39, off, s[0:3], 0 offset:92
	v_cmpx_lt_u32_e32 10, v0
	s_cbranch_execz .LBB81_97
; %bb.96:
	s_clause 0x1
	buffer_load_dword v38, off, s[0:3], 0 offset:80
	buffer_load_dword v39, off, s[0:3], 0 offset:84
	v_mov_b32_e32 v40, 0
	buffer_store_dword v40, off, s[0:3], 0 offset:80
	buffer_store_dword v40, off, s[0:3], 0 offset:84
	s_waitcnt vmcnt(0)
	ds_write_b64 v37, v[38:39]
.LBB81_97:
	s_or_b32 exec_lo, exec_lo, s4
	s_waitcnt lgkmcnt(0)
	s_waitcnt_vscnt null, 0x0
	s_barrier
	buffer_gl0_inv
	s_clause 0xf
	buffer_load_dword v47, off, s[0:3], 0 offset:88
	buffer_load_dword v48, off, s[0:3], 0 offset:92
	;; [unrolled: 1-line block ×16, first 2 shown]
	v_mov_b32_e32 v38, 0
	ds_read2_b64 v[39:42], v38 offset0:29 offset1:30
	ds_read2_b64 v[43:46], v38 offset0:31 offset1:32
	s_mov_b32 s4, exec_lo
	s_waitcnt vmcnt(14) lgkmcnt(1)
	v_fma_f64 v[39:40], v[47:48], v[39:40], 0
	s_waitcnt vmcnt(12)
	v_fma_f64 v[39:40], v[49:50], v[41:42], v[39:40]
	s_waitcnt vmcnt(10) lgkmcnt(0)
	v_fma_f64 v[39:40], v[51:52], v[43:44], v[39:40]
	s_waitcnt vmcnt(8)
	v_fma_f64 v[43:44], v[53:54], v[45:46], v[39:40]
	ds_read2_b64 v[39:42], v38 offset0:33 offset1:34
	ds_read_b64 v[45:46], v38 offset:280
	s_waitcnt vmcnt(6) lgkmcnt(1)
	v_fma_f64 v[39:40], v[55:56], v[39:40], v[43:44]
	s_waitcnt vmcnt(4)
	v_fma_f64 v[39:40], v[57:58], v[41:42], v[39:40]
	s_waitcnt vmcnt(2) lgkmcnt(0)
	v_fma_f64 v[39:40], v[59:60], v[45:46], v[39:40]
	s_waitcnt vmcnt(0)
	v_add_f64 v[39:40], v[61:62], -v[39:40]
	buffer_store_dword v39, off, s[0:3], 0 offset:80
	buffer_store_dword v40, off, s[0:3], 0 offset:84
	v_cmpx_lt_u32_e32 9, v0
	s_cbranch_execz .LBB81_99
; %bb.98:
	s_clause 0x1
	buffer_load_dword v39, off, s[0:3], 0 offset:72
	buffer_load_dword v40, off, s[0:3], 0 offset:76
	buffer_store_dword v38, off, s[0:3], 0 offset:72
	buffer_store_dword v38, off, s[0:3], 0 offset:76
	s_waitcnt vmcnt(0)
	ds_write_b64 v37, v[39:40]
.LBB81_99:
	s_or_b32 exec_lo, exec_lo, s4
	s_waitcnt lgkmcnt(0)
	s_waitcnt_vscnt null, 0x0
	s_barrier
	buffer_gl0_inv
	s_clause 0x11
	buffer_load_dword v47, off, s[0:3], 0 offset:80
	buffer_load_dword v48, off, s[0:3], 0 offset:84
	;; [unrolled: 1-line block ×18, first 2 shown]
	ds_read_b128 v[39:42], v38 offset:224
	ds_read_b128 v[43:46], v38 offset:240
	s_mov_b32 s4, exec_lo
	s_waitcnt vmcnt(16) lgkmcnt(1)
	v_fma_f64 v[39:40], v[47:48], v[39:40], 0
	s_waitcnt vmcnt(14)
	v_fma_f64 v[39:40], v[49:50], v[41:42], v[39:40]
	s_waitcnt vmcnt(12) lgkmcnt(0)
	v_fma_f64 v[39:40], v[51:52], v[43:44], v[39:40]
	s_waitcnt vmcnt(10)
	v_fma_f64 v[47:48], v[53:54], v[45:46], v[39:40]
	ds_read_b128 v[39:42], v38 offset:256
	ds_read_b128 v[43:46], v38 offset:272
	s_waitcnt vmcnt(8) lgkmcnt(1)
	v_fma_f64 v[38:39], v[55:56], v[39:40], v[47:48]
	s_waitcnt vmcnt(6)
	v_fma_f64 v[38:39], v[57:58], v[41:42], v[38:39]
	s_waitcnt vmcnt(4) lgkmcnt(0)
	v_fma_f64 v[38:39], v[59:60], v[43:44], v[38:39]
	s_waitcnt vmcnt(2)
	v_fma_f64 v[38:39], v[61:62], v[45:46], v[38:39]
	s_waitcnt vmcnt(0)
	v_add_f64 v[38:39], v[63:64], -v[38:39]
	buffer_store_dword v38, off, s[0:3], 0 offset:72
	buffer_store_dword v39, off, s[0:3], 0 offset:76
	v_cmpx_lt_u32_e32 8, v0
	s_cbranch_execz .LBB81_101
; %bb.100:
	s_clause 0x1
	buffer_load_dword v38, off, s[0:3], 0 offset:64
	buffer_load_dword v39, off, s[0:3], 0 offset:68
	v_mov_b32_e32 v40, 0
	buffer_store_dword v40, off, s[0:3], 0 offset:64
	buffer_store_dword v40, off, s[0:3], 0 offset:68
	s_waitcnt vmcnt(0)
	ds_write_b64 v37, v[38:39]
.LBB81_101:
	s_or_b32 exec_lo, exec_lo, s4
	s_waitcnt lgkmcnt(0)
	s_waitcnt_vscnt null, 0x0
	s_barrier
	buffer_gl0_inv
	s_clause 0x13
	buffer_load_dword v47, off, s[0:3], 0 offset:72
	buffer_load_dword v48, off, s[0:3], 0 offset:76
	;; [unrolled: 1-line block ×20, first 2 shown]
	v_mov_b32_e32 v38, 0
	ds_read2_b64 v[39:42], v38 offset0:27 offset1:28
	ds_read2_b64 v[43:46], v38 offset0:29 offset1:30
	s_mov_b32 s4, exec_lo
	s_waitcnt vmcnt(18) lgkmcnt(1)
	v_fma_f64 v[39:40], v[47:48], v[39:40], 0
	s_waitcnt vmcnt(16)
	v_fma_f64 v[39:40], v[49:50], v[41:42], v[39:40]
	s_waitcnt vmcnt(14) lgkmcnt(0)
	v_fma_f64 v[39:40], v[51:52], v[43:44], v[39:40]
	s_waitcnt vmcnt(12)
	v_fma_f64 v[47:48], v[53:54], v[45:46], v[39:40]
	ds_read2_b64 v[39:42], v38 offset0:31 offset1:32
	ds_read2_b64 v[43:46], v38 offset0:33 offset1:34
	s_waitcnt vmcnt(10) lgkmcnt(1)
	v_fma_f64 v[39:40], v[55:56], v[39:40], v[47:48]
	s_waitcnt vmcnt(8)
	v_fma_f64 v[39:40], v[57:58], v[41:42], v[39:40]
	ds_read_b64 v[41:42], v38 offset:280
	s_waitcnt vmcnt(6) lgkmcnt(1)
	v_fma_f64 v[39:40], v[59:60], v[43:44], v[39:40]
	s_waitcnt vmcnt(3)
	v_fma_f64 v[39:40], v[61:62], v[45:46], v[39:40]
	s_waitcnt vmcnt(2) lgkmcnt(0)
	v_fma_f64 v[39:40], v[63:64], v[41:42], v[39:40]
	s_waitcnt vmcnt(0)
	v_add_f64 v[39:40], v[65:66], -v[39:40]
	buffer_store_dword v39, off, s[0:3], 0 offset:64
	buffer_store_dword v40, off, s[0:3], 0 offset:68
	v_cmpx_lt_u32_e32 7, v0
	s_cbranch_execz .LBB81_103
; %bb.102:
	s_clause 0x1
	buffer_load_dword v39, off, s[0:3], 0 offset:56
	buffer_load_dword v40, off, s[0:3], 0 offset:60
	buffer_store_dword v38, off, s[0:3], 0 offset:56
	buffer_store_dword v38, off, s[0:3], 0 offset:60
	s_waitcnt vmcnt(0)
	ds_write_b64 v37, v[39:40]
.LBB81_103:
	s_or_b32 exec_lo, exec_lo, s4
	s_waitcnt lgkmcnt(0)
	s_waitcnt_vscnt null, 0x0
	s_barrier
	buffer_gl0_inv
	s_clause 0x15
	buffer_load_dword v47, off, s[0:3], 0 offset:64
	buffer_load_dword v48, off, s[0:3], 0 offset:68
	;; [unrolled: 1-line block ×22, first 2 shown]
	ds_read_b128 v[39:42], v38 offset:208
	ds_read_b128 v[43:46], v38 offset:224
	s_mov_b32 s4, exec_lo
	s_waitcnt vmcnt(20) lgkmcnt(1)
	v_fma_f64 v[39:40], v[47:48], v[39:40], 0
	s_waitcnt vmcnt(18)
	v_fma_f64 v[39:40], v[49:50], v[41:42], v[39:40]
	s_waitcnt vmcnt(16) lgkmcnt(0)
	v_fma_f64 v[39:40], v[51:52], v[43:44], v[39:40]
	s_waitcnt vmcnt(14)
	v_fma_f64 v[47:48], v[53:54], v[45:46], v[39:40]
	ds_read_b128 v[39:42], v38 offset:240
	ds_read_b128 v[43:46], v38 offset:256
	s_waitcnt vmcnt(12) lgkmcnt(1)
	v_fma_f64 v[39:40], v[55:56], v[39:40], v[47:48]
	s_waitcnt vmcnt(10)
	v_fma_f64 v[39:40], v[57:58], v[41:42], v[39:40]
	s_waitcnt vmcnt(8) lgkmcnt(0)
	v_fma_f64 v[39:40], v[59:60], v[43:44], v[39:40]
	s_waitcnt vmcnt(4)
	v_fma_f64 v[42:43], v[61:62], v[45:46], v[39:40]
	ds_read_b128 v[38:41], v38 offset:272
	s_waitcnt vmcnt(3) lgkmcnt(0)
	v_fma_f64 v[38:39], v[65:66], v[38:39], v[42:43]
	s_waitcnt vmcnt(2)
	v_fma_f64 v[38:39], v[63:64], v[40:41], v[38:39]
	s_waitcnt vmcnt(0)
	v_add_f64 v[38:39], v[67:68], -v[38:39]
	buffer_store_dword v38, off, s[0:3], 0 offset:56
	buffer_store_dword v39, off, s[0:3], 0 offset:60
	v_cmpx_lt_u32_e32 6, v0
	s_cbranch_execz .LBB81_105
; %bb.104:
	s_clause 0x1
	buffer_load_dword v38, off, s[0:3], 0 offset:48
	buffer_load_dword v39, off, s[0:3], 0 offset:52
	v_mov_b32_e32 v40, 0
	buffer_store_dword v40, off, s[0:3], 0 offset:48
	buffer_store_dword v40, off, s[0:3], 0 offset:52
	s_waitcnt vmcnt(0)
	ds_write_b64 v37, v[38:39]
.LBB81_105:
	s_or_b32 exec_lo, exec_lo, s4
	s_waitcnt lgkmcnt(0)
	s_waitcnt_vscnt null, 0x0
	s_barrier
	buffer_gl0_inv
	s_clause 0x17
	buffer_load_dword v47, off, s[0:3], 0 offset:56
	buffer_load_dword v48, off, s[0:3], 0 offset:60
	;; [unrolled: 1-line block ×24, first 2 shown]
	v_mov_b32_e32 v38, 0
	ds_read2_b64 v[39:42], v38 offset0:25 offset1:26
	ds_read2_b64 v[43:46], v38 offset0:27 offset1:28
	s_mov_b32 s4, exec_lo
	s_waitcnt vmcnt(22) lgkmcnt(1)
	v_fma_f64 v[39:40], v[47:48], v[39:40], 0
	s_waitcnt vmcnt(20)
	v_fma_f64 v[39:40], v[49:50], v[41:42], v[39:40]
	s_waitcnt vmcnt(18) lgkmcnt(0)
	v_fma_f64 v[39:40], v[51:52], v[43:44], v[39:40]
	s_waitcnt vmcnt(16)
	v_fma_f64 v[47:48], v[53:54], v[45:46], v[39:40]
	ds_read2_b64 v[39:42], v38 offset0:29 offset1:30
	ds_read2_b64 v[43:46], v38 offset0:31 offset1:32
	s_waitcnt vmcnt(14) lgkmcnt(1)
	v_fma_f64 v[39:40], v[55:56], v[39:40], v[47:48]
	s_waitcnt vmcnt(12)
	v_fma_f64 v[39:40], v[57:58], v[41:42], v[39:40]
	s_waitcnt vmcnt(10) lgkmcnt(0)
	v_fma_f64 v[39:40], v[59:60], v[43:44], v[39:40]
	s_waitcnt vmcnt(5)
	v_fma_f64 v[43:44], v[61:62], v[45:46], v[39:40]
	ds_read2_b64 v[39:42], v38 offset0:33 offset1:34
	ds_read_b64 v[45:46], v38 offset:280
	s_waitcnt vmcnt(4) lgkmcnt(1)
	v_fma_f64 v[39:40], v[67:68], v[39:40], v[43:44]
	s_waitcnt vmcnt(3)
	v_fma_f64 v[39:40], v[65:66], v[41:42], v[39:40]
	s_waitcnt vmcnt(2) lgkmcnt(0)
	v_fma_f64 v[39:40], v[63:64], v[45:46], v[39:40]
	s_waitcnt vmcnt(0)
	v_add_f64 v[39:40], v[69:70], -v[39:40]
	buffer_store_dword v40, off, s[0:3], 0 offset:52
	buffer_store_dword v39, off, s[0:3], 0 offset:48
	v_cmpx_lt_u32_e32 5, v0
	s_cbranch_execz .LBB81_107
; %bb.106:
	s_clause 0x1
	buffer_load_dword v39, off, s[0:3], 0 offset:40
	buffer_load_dword v40, off, s[0:3], 0 offset:44
	buffer_store_dword v38, off, s[0:3], 0 offset:40
	buffer_store_dword v38, off, s[0:3], 0 offset:44
	s_waitcnt vmcnt(0)
	ds_write_b64 v37, v[39:40]
.LBB81_107:
	s_or_b32 exec_lo, exec_lo, s4
	s_waitcnt lgkmcnt(0)
	s_waitcnt_vscnt null, 0x0
	s_barrier
	buffer_gl0_inv
	s_clause 0x19
	buffer_load_dword v47, off, s[0:3], 0 offset:48
	buffer_load_dword v48, off, s[0:3], 0 offset:52
	buffer_load_dword v49, off, s[0:3], 0 offset:56
	buffer_load_dword v50, off, s[0:3], 0 offset:60
	buffer_load_dword v51, off, s[0:3], 0 offset:64
	buffer_load_dword v52, off, s[0:3], 0 offset:68
	buffer_load_dword v53, off, s[0:3], 0 offset:72
	buffer_load_dword v54, off, s[0:3], 0 offset:76
	buffer_load_dword v55, off, s[0:3], 0 offset:80
	buffer_load_dword v56, off, s[0:3], 0 offset:84
	buffer_load_dword v57, off, s[0:3], 0 offset:88
	buffer_load_dword v58, off, s[0:3], 0 offset:92
	buffer_load_dword v59, off, s[0:3], 0 offset:96
	buffer_load_dword v60, off, s[0:3], 0 offset:100
	buffer_load_dword v62, off, s[0:3], 0 offset:108
	buffer_load_dword v63, off, s[0:3], 0 offset:128
	buffer_load_dword v65, off, s[0:3], 0 offset:120
	buffer_load_dword v67, off, s[0:3], 0 offset:112
	buffer_load_dword v61, off, s[0:3], 0 offset:104
	buffer_load_dword v68, off, s[0:3], 0 offset:116
	buffer_load_dword v66, off, s[0:3], 0 offset:124
	buffer_load_dword v64, off, s[0:3], 0 offset:132
	buffer_load_dword v70, off, s[0:3], 0 offset:140
	buffer_load_dword v69, off, s[0:3], 0 offset:136
	buffer_load_dword v71, off, s[0:3], 0 offset:40
	buffer_load_dword v72, off, s[0:3], 0 offset:44
	ds_read_b128 v[39:42], v38 offset:192
	ds_read_b128 v[43:46], v38 offset:208
	s_mov_b32 s4, exec_lo
	s_waitcnt vmcnt(24) lgkmcnt(1)
	v_fma_f64 v[39:40], v[47:48], v[39:40], 0
	s_waitcnt vmcnt(22)
	v_fma_f64 v[39:40], v[49:50], v[41:42], v[39:40]
	s_waitcnt vmcnt(20) lgkmcnt(0)
	v_fma_f64 v[39:40], v[51:52], v[43:44], v[39:40]
	s_waitcnt vmcnt(18)
	v_fma_f64 v[47:48], v[53:54], v[45:46], v[39:40]
	ds_read_b128 v[39:42], v38 offset:224
	ds_read_b128 v[43:46], v38 offset:240
	s_waitcnt vmcnt(16) lgkmcnt(1)
	v_fma_f64 v[39:40], v[55:56], v[39:40], v[47:48]
	s_waitcnt vmcnt(14)
	v_fma_f64 v[39:40], v[57:58], v[41:42], v[39:40]
	s_waitcnt vmcnt(12) lgkmcnt(0)
	v_fma_f64 v[39:40], v[59:60], v[43:44], v[39:40]
	s_waitcnt vmcnt(7)
	v_fma_f64 v[47:48], v[61:62], v[45:46], v[39:40]
	ds_read_b128 v[39:42], v38 offset:256
	ds_read_b128 v[43:46], v38 offset:272
	s_waitcnt vmcnt(6) lgkmcnt(1)
	v_fma_f64 v[38:39], v[67:68], v[39:40], v[47:48]
	s_waitcnt vmcnt(5)
	v_fma_f64 v[38:39], v[65:66], v[41:42], v[38:39]
	s_waitcnt vmcnt(4) lgkmcnt(0)
	v_fma_f64 v[38:39], v[63:64], v[43:44], v[38:39]
	s_waitcnt vmcnt(2)
	v_fma_f64 v[38:39], v[69:70], v[45:46], v[38:39]
	s_waitcnt vmcnt(0)
	v_add_f64 v[38:39], v[71:72], -v[38:39]
	buffer_store_dword v39, off, s[0:3], 0 offset:44
	buffer_store_dword v38, off, s[0:3], 0 offset:40
	v_cmpx_lt_u32_e32 4, v0
	s_cbranch_execz .LBB81_109
; %bb.108:
	s_clause 0x1
	buffer_load_dword v38, off, s[0:3], 0 offset:32
	buffer_load_dword v39, off, s[0:3], 0 offset:36
	v_mov_b32_e32 v40, 0
	buffer_store_dword v40, off, s[0:3], 0 offset:32
	buffer_store_dword v40, off, s[0:3], 0 offset:36
	s_waitcnt vmcnt(0)
	ds_write_b64 v37, v[38:39]
.LBB81_109:
	s_or_b32 exec_lo, exec_lo, s4
	s_waitcnt lgkmcnt(0)
	s_waitcnt_vscnt null, 0x0
	s_barrier
	buffer_gl0_inv
	s_clause 0x1b
	buffer_load_dword v47, off, s[0:3], 0 offset:40
	buffer_load_dword v48, off, s[0:3], 0 offset:44
	;; [unrolled: 1-line block ×28, first 2 shown]
	v_mov_b32_e32 v38, 0
	ds_read2_b64 v[39:42], v38 offset0:23 offset1:24
	ds_read2_b64 v[43:46], v38 offset0:25 offset1:26
	s_mov_b32 s4, exec_lo
	s_waitcnt vmcnt(26) lgkmcnt(1)
	v_fma_f64 v[39:40], v[47:48], v[39:40], 0
	s_waitcnt vmcnt(24)
	v_fma_f64 v[39:40], v[49:50], v[41:42], v[39:40]
	s_waitcnt vmcnt(22) lgkmcnt(0)
	v_fma_f64 v[39:40], v[51:52], v[43:44], v[39:40]
	s_waitcnt vmcnt(20)
	v_fma_f64 v[47:48], v[53:54], v[45:46], v[39:40]
	ds_read2_b64 v[39:42], v38 offset0:27 offset1:28
	ds_read2_b64 v[43:46], v38 offset0:29 offset1:30
	s_waitcnt vmcnt(18) lgkmcnt(1)
	v_fma_f64 v[39:40], v[55:56], v[39:40], v[47:48]
	s_waitcnt vmcnt(16)
	v_fma_f64 v[39:40], v[57:58], v[41:42], v[39:40]
	s_waitcnt vmcnt(14) lgkmcnt(0)
	v_fma_f64 v[39:40], v[59:60], v[43:44], v[39:40]
	s_waitcnt vmcnt(9)
	v_fma_f64 v[47:48], v[61:62], v[45:46], v[39:40]
	ds_read2_b64 v[39:42], v38 offset0:31 offset1:32
	ds_read2_b64 v[43:46], v38 offset0:33 offset1:34
	s_waitcnt vmcnt(8) lgkmcnt(1)
	v_fma_f64 v[39:40], v[67:68], v[39:40], v[47:48]
	s_waitcnt vmcnt(7)
	v_fma_f64 v[39:40], v[65:66], v[41:42], v[39:40]
	ds_read_b64 v[41:42], v38 offset:280
	s_waitcnt vmcnt(6) lgkmcnt(1)
	v_fma_f64 v[39:40], v[63:64], v[43:44], v[39:40]
	s_waitcnt vmcnt(3)
	v_fma_f64 v[39:40], v[69:70], v[45:46], v[39:40]
	s_waitcnt vmcnt(2) lgkmcnt(0)
	v_fma_f64 v[39:40], v[71:72], v[41:42], v[39:40]
	s_waitcnt vmcnt(0)
	v_add_f64 v[39:40], v[73:74], -v[39:40]
	buffer_store_dword v40, off, s[0:3], 0 offset:36
	buffer_store_dword v39, off, s[0:3], 0 offset:32
	v_cmpx_lt_u32_e32 3, v0
	s_cbranch_execz .LBB81_111
; %bb.110:
	s_clause 0x1
	buffer_load_dword v39, off, s[0:3], 0 offset:24
	buffer_load_dword v40, off, s[0:3], 0 offset:28
	buffer_store_dword v38, off, s[0:3], 0 offset:24
	buffer_store_dword v38, off, s[0:3], 0 offset:28
	s_waitcnt vmcnt(0)
	ds_write_b64 v37, v[39:40]
.LBB81_111:
	s_or_b32 exec_lo, exec_lo, s4
	s_waitcnt lgkmcnt(0)
	s_waitcnt_vscnt null, 0x0
	s_barrier
	buffer_gl0_inv
	s_clause 0x1b
	buffer_load_dword v47, off, s[0:3], 0 offset:32
	buffer_load_dword v48, off, s[0:3], 0 offset:36
	;; [unrolled: 1-line block ×28, first 2 shown]
	ds_read_b128 v[39:42], v38 offset:176
	s_clause 0x1
	buffer_load_dword v75, off, s[0:3], 0 offset:24
	buffer_load_dword v76, off, s[0:3], 0 offset:28
	ds_read_b128 v[43:46], v38 offset:192
	s_mov_b32 s4, exec_lo
	s_waitcnt vmcnt(28) lgkmcnt(1)
	v_fma_f64 v[39:40], v[47:48], v[39:40], 0
	s_waitcnt vmcnt(26)
	v_fma_f64 v[39:40], v[49:50], v[41:42], v[39:40]
	s_waitcnt vmcnt(24) lgkmcnt(0)
	v_fma_f64 v[39:40], v[51:52], v[43:44], v[39:40]
	s_waitcnt vmcnt(22)
	v_fma_f64 v[47:48], v[53:54], v[45:46], v[39:40]
	ds_read_b128 v[39:42], v38 offset:208
	ds_read_b128 v[43:46], v38 offset:224
	s_waitcnt vmcnt(20) lgkmcnt(1)
	v_fma_f64 v[39:40], v[55:56], v[39:40], v[47:48]
	s_waitcnt vmcnt(18)
	v_fma_f64 v[39:40], v[57:58], v[41:42], v[39:40]
	s_waitcnt vmcnt(16) lgkmcnt(0)
	v_fma_f64 v[39:40], v[59:60], v[43:44], v[39:40]
	s_waitcnt vmcnt(11)
	v_fma_f64 v[47:48], v[61:62], v[45:46], v[39:40]
	ds_read_b128 v[39:42], v38 offset:240
	ds_read_b128 v[43:46], v38 offset:256
	s_waitcnt vmcnt(10) lgkmcnt(1)
	v_fma_f64 v[39:40], v[67:68], v[39:40], v[47:48]
	s_waitcnt vmcnt(9)
	v_fma_f64 v[39:40], v[65:66], v[41:42], v[39:40]
	s_waitcnt vmcnt(8) lgkmcnt(0)
	v_fma_f64 v[39:40], v[63:64], v[43:44], v[39:40]
	s_waitcnt vmcnt(4)
	v_fma_f64 v[42:43], v[69:70], v[45:46], v[39:40]
	ds_read_b128 v[38:41], v38 offset:272
	s_waitcnt vmcnt(3) lgkmcnt(0)
	v_fma_f64 v[38:39], v[73:74], v[38:39], v[42:43]
	s_waitcnt vmcnt(2)
	v_fma_f64 v[38:39], v[71:72], v[40:41], v[38:39]
	s_waitcnt vmcnt(0)
	v_add_f64 v[38:39], v[75:76], -v[38:39]
	buffer_store_dword v39, off, s[0:3], 0 offset:28
	buffer_store_dword v38, off, s[0:3], 0 offset:24
	v_cmpx_lt_u32_e32 2, v0
	s_cbranch_execz .LBB81_113
; %bb.112:
	s_clause 0x1
	buffer_load_dword v38, off, s[0:3], 0 offset:16
	buffer_load_dword v39, off, s[0:3], 0 offset:20
	v_mov_b32_e32 v40, 0
	buffer_store_dword v40, off, s[0:3], 0 offset:16
	buffer_store_dword v40, off, s[0:3], 0 offset:20
	s_waitcnt vmcnt(0)
	ds_write_b64 v37, v[38:39]
.LBB81_113:
	s_or_b32 exec_lo, exec_lo, s4
	s_waitcnt lgkmcnt(0)
	s_waitcnt_vscnt null, 0x0
	s_barrier
	buffer_gl0_inv
	s_clause 0x1c
	buffer_load_dword v47, off, s[0:3], 0 offset:24
	buffer_load_dword v48, off, s[0:3], 0 offset:28
	;; [unrolled: 1-line block ×29, first 2 shown]
	v_mov_b32_e32 v38, 0
	buffer_load_dword v72, off, s[0:3], 0 offset:140
	s_mov_b32 s4, exec_lo
	ds_read2_b64 v[39:42], v38 offset0:21 offset1:22
	ds_read2_b64 v[43:46], v38 offset0:23 offset1:24
	s_waitcnt vmcnt(28) lgkmcnt(1)
	v_fma_f64 v[39:40], v[47:48], v[39:40], 0
	s_clause 0x1
	buffer_load_dword v47, off, s[0:3], 0 offset:16
	buffer_load_dword v48, off, s[0:3], 0 offset:20
	s_waitcnt vmcnt(28)
	v_fma_f64 v[39:40], v[49:50], v[41:42], v[39:40]
	s_waitcnt vmcnt(26) lgkmcnt(0)
	v_fma_f64 v[39:40], v[51:52], v[43:44], v[39:40]
	s_waitcnt vmcnt(24)
	v_fma_f64 v[49:50], v[53:54], v[45:46], v[39:40]
	ds_read2_b64 v[39:42], v38 offset0:25 offset1:26
	ds_read2_b64 v[43:46], v38 offset0:27 offset1:28
	s_waitcnt vmcnt(22) lgkmcnt(1)
	v_fma_f64 v[39:40], v[55:56], v[39:40], v[49:50]
	s_waitcnt vmcnt(20)
	v_fma_f64 v[39:40], v[57:58], v[41:42], v[39:40]
	s_waitcnt vmcnt(18) lgkmcnt(0)
	v_fma_f64 v[39:40], v[59:60], v[43:44], v[39:40]
	s_waitcnt vmcnt(13)
	v_fma_f64 v[49:50], v[61:62], v[45:46], v[39:40]
	ds_read2_b64 v[39:42], v38 offset0:29 offset1:30
	ds_read2_b64 v[43:46], v38 offset0:31 offset1:32
	s_waitcnt vmcnt(12) lgkmcnt(1)
	v_fma_f64 v[39:40], v[67:68], v[39:40], v[49:50]
	s_waitcnt vmcnt(11)
	v_fma_f64 v[39:40], v[65:66], v[41:42], v[39:40]
	s_waitcnt vmcnt(10) lgkmcnt(0)
	v_fma_f64 v[39:40], v[63:64], v[43:44], v[39:40]
	s_waitcnt vmcnt(5)
	v_fma_f64 v[43:44], v[69:70], v[45:46], v[39:40]
	ds_read2_b64 v[39:42], v38 offset0:33 offset1:34
	ds_read_b64 v[45:46], v38 offset:280
	s_waitcnt vmcnt(4) lgkmcnt(1)
	v_fma_f64 v[39:40], v[75:76], v[39:40], v[43:44]
	s_waitcnt vmcnt(3)
	v_fma_f64 v[39:40], v[73:74], v[41:42], v[39:40]
	s_waitcnt vmcnt(2) lgkmcnt(0)
	v_fma_f64 v[39:40], v[71:72], v[45:46], v[39:40]
	s_waitcnt vmcnt(0)
	v_add_f64 v[39:40], v[47:48], -v[39:40]
	buffer_store_dword v40, off, s[0:3], 0 offset:20
	buffer_store_dword v39, off, s[0:3], 0 offset:16
	v_cmpx_lt_u32_e32 1, v0
	s_cbranch_execz .LBB81_115
; %bb.114:
	s_clause 0x1
	buffer_load_dword v39, off, s[0:3], 0 offset:8
	buffer_load_dword v40, off, s[0:3], 0 offset:12
	buffer_store_dword v38, off, s[0:3], 0 offset:8
	buffer_store_dword v38, off, s[0:3], 0 offset:12
	s_waitcnt vmcnt(0)
	ds_write_b64 v37, v[39:40]
.LBB81_115:
	s_or_b32 exec_lo, exec_lo, s4
	s_waitcnt lgkmcnt(0)
	s_waitcnt_vscnt null, 0x0
	s_barrier
	buffer_gl0_inv
	s_clause 0x1c
	buffer_load_dword v47, off, s[0:3], 0 offset:16
	buffer_load_dword v48, off, s[0:3], 0 offset:20
	;; [unrolled: 1-line block ×29, first 2 shown]
	ds_read_b128 v[39:42], v38 offset:160
	ds_read_b128 v[43:46], v38 offset:176
	buffer_load_dword v72, off, s[0:3], 0 offset:132
	s_mov_b32 s4, exec_lo
	s_waitcnt vmcnt(28) lgkmcnt(1)
	v_fma_f64 v[39:40], v[47:48], v[39:40], 0
	s_clause 0x1
	buffer_load_dword v48, off, s[0:3], 0 offset:140
	buffer_load_dword v47, off, s[0:3], 0 offset:136
	s_waitcnt vmcnt(28)
	v_fma_f64 v[39:40], v[49:50], v[41:42], v[39:40]
	s_clause 0x1
	buffer_load_dword v49, off, s[0:3], 0 offset:8
	buffer_load_dword v50, off, s[0:3], 0 offset:12
	s_waitcnt vmcnt(28) lgkmcnt(0)
	v_fma_f64 v[39:40], v[51:52], v[43:44], v[39:40]
	s_waitcnt vmcnt(26)
	v_fma_f64 v[51:52], v[53:54], v[45:46], v[39:40]
	ds_read_b128 v[39:42], v38 offset:192
	ds_read_b128 v[43:46], v38 offset:208
	s_waitcnt vmcnt(24) lgkmcnt(1)
	v_fma_f64 v[39:40], v[55:56], v[39:40], v[51:52]
	s_waitcnt vmcnt(22)
	v_fma_f64 v[39:40], v[57:58], v[41:42], v[39:40]
	s_waitcnt vmcnt(20) lgkmcnt(0)
	v_fma_f64 v[39:40], v[59:60], v[43:44], v[39:40]
	s_waitcnt vmcnt(15)
	v_fma_f64 v[51:52], v[61:62], v[45:46], v[39:40]
	ds_read_b128 v[39:42], v38 offset:224
	ds_read_b128 v[43:46], v38 offset:240
	s_waitcnt vmcnt(14) lgkmcnt(1)
	v_fma_f64 v[39:40], v[67:68], v[39:40], v[51:52]
	s_waitcnt vmcnt(13)
	v_fma_f64 v[39:40], v[65:66], v[41:42], v[39:40]
	;; [unrolled: 10-line block ×3, first 2 shown]
	s_waitcnt vmcnt(4) lgkmcnt(0)
	v_fma_f64 v[38:39], v[71:72], v[43:44], v[38:39]
	s_waitcnt vmcnt(2)
	v_fma_f64 v[38:39], v[47:48], v[45:46], v[38:39]
	s_waitcnt vmcnt(0)
	v_add_f64 v[38:39], v[49:50], -v[38:39]
	buffer_store_dword v39, off, s[0:3], 0 offset:12
	buffer_store_dword v38, off, s[0:3], 0 offset:8
	v_cmpx_ne_u32_e32 0, v0
	s_cbranch_execz .LBB81_117
; %bb.116:
	s_clause 0x1
	buffer_load_dword v38, off, s[0:3], 0
	buffer_load_dword v39, off, s[0:3], 0 offset:4
	v_mov_b32_e32 v0, 0
	buffer_store_dword v0, off, s[0:3], 0
	buffer_store_dword v0, off, s[0:3], 0 offset:4
	s_waitcnt vmcnt(0)
	ds_write_b64 v37, v[38:39]
.LBB81_117:
	s_or_b32 exec_lo, exec_lo, s4
	s_waitcnt lgkmcnt(0)
	s_waitcnt_vscnt null, 0x0
	s_barrier
	buffer_gl0_inv
	s_clause 0x1c
	buffer_load_dword v45, off, s[0:3], 0 offset:8
	buffer_load_dword v46, off, s[0:3], 0 offset:12
	;; [unrolled: 1-line block ×29, first 2 shown]
	v_mov_b32_e32 v0, 0
	buffer_load_dword v70, off, s[0:3], 0 offset:124
	s_and_b32 vcc_lo, exec_lo, s16
	ds_read2_b64 v[37:40], v0 offset0:19 offset1:20
	ds_read2_b64 v[41:44], v0 offset0:21 offset1:22
	s_waitcnt vmcnt(28) lgkmcnt(1)
	v_fma_f64 v[45:46], v[45:46], v[37:38], 0
	s_clause 0x3
	buffer_load_dword v38, off, s[0:3], 0 offset:132
	buffer_load_dword v75, off, s[0:3], 0 offset:136
	;; [unrolled: 1-line block ×4, first 2 shown]
	s_waitcnt vmcnt(30)
	v_fma_f64 v[39:40], v[47:48], v[39:40], v[45:46]
	s_clause 0x1
	buffer_load_dword v47, off, s[0:3], 0
	buffer_load_dword v48, off, s[0:3], 0 offset:4
	s_waitcnt vmcnt(30) lgkmcnt(0)
	v_fma_f64 v[39:40], v[49:50], v[41:42], v[39:40]
	s_waitcnt vmcnt(28)
	v_fma_f64 v[49:50], v[51:52], v[43:44], v[39:40]
	ds_read2_b64 v[39:42], v0 offset0:23 offset1:24
	ds_read2_b64 v[43:46], v0 offset0:25 offset1:26
	s_waitcnt vmcnt(26) lgkmcnt(1)
	v_fma_f64 v[39:40], v[53:54], v[39:40], v[49:50]
	s_waitcnt vmcnt(24)
	v_fma_f64 v[39:40], v[55:56], v[41:42], v[39:40]
	s_waitcnt vmcnt(22) lgkmcnt(0)
	v_fma_f64 v[39:40], v[57:58], v[43:44], v[39:40]
	s_waitcnt vmcnt(17)
	v_fma_f64 v[49:50], v[59:60], v[45:46], v[39:40]
	ds_read2_b64 v[39:42], v0 offset0:27 offset1:28
	ds_read2_b64 v[43:46], v0 offset0:29 offset1:30
	s_waitcnt vmcnt(16) lgkmcnt(1)
	v_fma_f64 v[39:40], v[65:66], v[39:40], v[49:50]
	s_waitcnt vmcnt(15)
	v_fma_f64 v[39:40], v[63:64], v[41:42], v[39:40]
	;; [unrolled: 10-line block ×3, first 2 shown]
	ds_read_b64 v[41:42], v0 offset:280
	s_waitcnt vmcnt(6) lgkmcnt(1)
	v_fma_f64 v[39:40], v[69:70], v[43:44], v[39:40]
	s_waitcnt vmcnt(3)
	v_fma_f64 v[39:40], v[37:38], v[45:46], v[39:40]
	s_waitcnt vmcnt(2) lgkmcnt(0)
	v_fma_f64 v[39:40], v[75:76], v[41:42], v[39:40]
	s_waitcnt vmcnt(0)
	v_add_f64 v[39:40], v[47:48], -v[39:40]
	buffer_store_dword v40, off, s[0:3], 0 offset:4
	buffer_store_dword v39, off, s[0:3], 0
	s_cbranch_vccz .LBB81_152
; %bb.118:
	global_load_dword v0, v0, s[12:13] offset:64
	s_waitcnt vmcnt(0)
	v_add_nc_u32_e32 v0, -1, v0
	v_cmp_ne_u32_e32 vcc_lo, 16, v0
	s_cbranch_vccz .LBB81_120
; %bb.119:
	v_lshlrev_b32_e32 v0, 3, v0
	s_clause 0x1
	buffer_load_dword v39, v0, s[0:3], 0 offen offset:4
	buffer_load_dword v40, v0, s[0:3], 0 offen
	s_waitcnt vmcnt(1)
	buffer_store_dword v39, off, s[0:3], 0 offset:132
	s_waitcnt vmcnt(0)
	buffer_store_dword v40, off, s[0:3], 0 offset:128
	buffer_store_dword v38, v0, s[0:3], 0 offen offset:4
	buffer_store_dword v37, v0, s[0:3], 0 offen
.LBB81_120:
	v_mov_b32_e32 v0, 0
	global_load_dword v37, v0, s[12:13] offset:60
	s_waitcnt vmcnt(0)
	v_add_nc_u32_e32 v37, -1, v37
	v_cmp_eq_u32_e32 vcc_lo, 15, v37
	s_cbranch_vccnz .LBB81_122
; %bb.121:
	v_lshlrev_b32_e32 v37, 3, v37
	s_clause 0x3
	buffer_load_dword v38, v37, s[0:3], 0 offen
	buffer_load_dword v39, v37, s[0:3], 0 offen offset:4
	buffer_load_dword v40, off, s[0:3], 0 offset:120
	buffer_load_dword v41, off, s[0:3], 0 offset:124
	s_waitcnt vmcnt(3)
	buffer_store_dword v38, off, s[0:3], 0 offset:120
	s_waitcnt vmcnt(2)
	buffer_store_dword v39, off, s[0:3], 0 offset:124
	s_waitcnt vmcnt(1)
	buffer_store_dword v40, v37, s[0:3], 0 offen
	s_waitcnt vmcnt(0)
	buffer_store_dword v41, v37, s[0:3], 0 offen offset:4
.LBB81_122:
	global_load_dword v0, v0, s[12:13] offset:56
	s_waitcnt vmcnt(0)
	v_add_nc_u32_e32 v0, -1, v0
	v_cmp_eq_u32_e32 vcc_lo, 14, v0
	s_cbranch_vccnz .LBB81_124
; %bb.123:
	v_lshlrev_b32_e32 v0, 3, v0
	s_clause 0x3
	buffer_load_dword v37, v0, s[0:3], 0 offen
	buffer_load_dword v38, v0, s[0:3], 0 offen offset:4
	buffer_load_dword v39, off, s[0:3], 0 offset:116
	buffer_load_dword v40, off, s[0:3], 0 offset:112
	s_waitcnt vmcnt(3)
	buffer_store_dword v37, off, s[0:3], 0 offset:112
	s_waitcnt vmcnt(2)
	buffer_store_dword v38, off, s[0:3], 0 offset:116
	s_waitcnt vmcnt(1)
	buffer_store_dword v39, v0, s[0:3], 0 offen offset:4
	s_waitcnt vmcnt(0)
	buffer_store_dword v40, v0, s[0:3], 0 offen
.LBB81_124:
	v_mov_b32_e32 v0, 0
	global_load_dword v37, v0, s[12:13] offset:52
	s_waitcnt vmcnt(0)
	v_add_nc_u32_e32 v37, -1, v37
	v_cmp_eq_u32_e32 vcc_lo, 13, v37
	s_cbranch_vccnz .LBB81_126
; %bb.125:
	v_lshlrev_b32_e32 v37, 3, v37
	s_clause 0x3
	buffer_load_dword v38, v37, s[0:3], 0 offen
	buffer_load_dword v39, v37, s[0:3], 0 offen offset:4
	buffer_load_dword v40, off, s[0:3], 0 offset:104
	buffer_load_dword v41, off, s[0:3], 0 offset:108
	s_waitcnt vmcnt(3)
	buffer_store_dword v38, off, s[0:3], 0 offset:104
	s_waitcnt vmcnt(2)
	buffer_store_dword v39, off, s[0:3], 0 offset:108
	s_waitcnt vmcnt(1)
	buffer_store_dword v40, v37, s[0:3], 0 offen
	s_waitcnt vmcnt(0)
	buffer_store_dword v41, v37, s[0:3], 0 offen offset:4
.LBB81_126:
	global_load_dword v0, v0, s[12:13] offset:48
	s_waitcnt vmcnt(0)
	v_add_nc_u32_e32 v0, -1, v0
	v_cmp_eq_u32_e32 vcc_lo, 12, v0
	s_cbranch_vccnz .LBB81_128
; %bb.127:
	v_lshlrev_b32_e32 v0, 3, v0
	s_clause 0x3
	buffer_load_dword v37, v0, s[0:3], 0 offen
	buffer_load_dword v38, v0, s[0:3], 0 offen offset:4
	buffer_load_dword v39, off, s[0:3], 0 offset:100
	buffer_load_dword v40, off, s[0:3], 0 offset:96
	s_waitcnt vmcnt(3)
	buffer_store_dword v37, off, s[0:3], 0 offset:96
	s_waitcnt vmcnt(2)
	buffer_store_dword v38, off, s[0:3], 0 offset:100
	s_waitcnt vmcnt(1)
	buffer_store_dword v39, v0, s[0:3], 0 offen offset:4
	s_waitcnt vmcnt(0)
	buffer_store_dword v40, v0, s[0:3], 0 offen
.LBB81_128:
	;; [unrolled: 43-line block ×7, first 2 shown]
	v_mov_b32_e32 v0, 0
	global_load_dword v37, v0, s[12:13] offset:4
	s_waitcnt vmcnt(0)
	v_add_nc_u32_e32 v37, -1, v37
	v_cmp_eq_u32_e32 vcc_lo, 1, v37
	s_cbranch_vccnz .LBB81_150
; %bb.149:
	v_lshlrev_b32_e32 v37, 3, v37
	s_clause 0x3
	buffer_load_dword v38, v37, s[0:3], 0 offen
	buffer_load_dword v39, v37, s[0:3], 0 offen offset:4
	buffer_load_dword v40, off, s[0:3], 0 offset:8
	buffer_load_dword v41, off, s[0:3], 0 offset:12
	s_waitcnt vmcnt(3)
	buffer_store_dword v38, off, s[0:3], 0 offset:8
	s_waitcnt vmcnt(2)
	buffer_store_dword v39, off, s[0:3], 0 offset:12
	s_waitcnt vmcnt(1)
	buffer_store_dword v40, v37, s[0:3], 0 offen
	s_waitcnt vmcnt(0)
	buffer_store_dword v41, v37, s[0:3], 0 offen offset:4
.LBB81_150:
	global_load_dword v0, v0, s[12:13]
	s_clause 0x1
	buffer_load_dword v39, off, s[0:3], 0
	buffer_load_dword v40, off, s[0:3], 0 offset:4
	s_waitcnt vmcnt(2)
	v_add_nc_u32_e32 v0, -1, v0
	v_cmp_eq_u32_e32 vcc_lo, 0, v0
	s_cbranch_vccnz .LBB81_152
; %bb.151:
	v_lshlrev_b32_e32 v0, 3, v0
	s_clause 0x1
	buffer_load_dword v37, v0, s[0:3], 0 offen offset:4
	buffer_load_dword v38, v0, s[0:3], 0 offen
	s_waitcnt vmcnt(1)
	buffer_store_dword v37, off, s[0:3], 0 offset:4
	s_waitcnt vmcnt(0)
	buffer_store_dword v38, off, s[0:3], 0
	buffer_store_dword v40, v0, s[0:3], 0 offen offset:4
	buffer_store_dword v39, v0, s[0:3], 0 offen
	s_clause 0x1
	buffer_load_dword v39, off, s[0:3], 0
	buffer_load_dword v40, off, s[0:3], 0 offset:4
.LBB81_152:
	s_waitcnt vmcnt(0)
	flat_store_dwordx2 v[1:2], v[39:40]
	s_clause 0x1
	buffer_load_dword v0, off, s[0:3], 0 offset:8
	buffer_load_dword v1, off, s[0:3], 0 offset:12
	s_waitcnt vmcnt(0)
	flat_store_dwordx2 v[3:4], v[0:1]
	s_clause 0x1
	buffer_load_dword v0, off, s[0:3], 0 offset:16
	buffer_load_dword v1, off, s[0:3], 0 offset:20
	;; [unrolled: 5-line block ×17, first 2 shown]
	s_waitcnt vmcnt(0)
	flat_store_dwordx2 v[35:36], v[0:1]
	s_endpgm
	.section	.rodata,"a",@progbits
	.p2align	6, 0x0
	.amdhsa_kernel _ZN9rocsolver6v33100L18getri_kernel_smallILi18EdPKPdEEvT1_iilPiilS6_bb
		.amdhsa_group_segment_fixed_size 296
		.amdhsa_private_segment_fixed_size 160
		.amdhsa_kernarg_size 60
		.amdhsa_user_sgpr_count 6
		.amdhsa_user_sgpr_private_segment_buffer 1
		.amdhsa_user_sgpr_dispatch_ptr 0
		.amdhsa_user_sgpr_queue_ptr 0
		.amdhsa_user_sgpr_kernarg_segment_ptr 1
		.amdhsa_user_sgpr_dispatch_id 0
		.amdhsa_user_sgpr_flat_scratch_init 0
		.amdhsa_user_sgpr_private_segment_size 0
		.amdhsa_wavefront_size32 1
		.amdhsa_uses_dynamic_stack 0
		.amdhsa_system_sgpr_private_segment_wavefront_offset 1
		.amdhsa_system_sgpr_workgroup_id_x 1
		.amdhsa_system_sgpr_workgroup_id_y 0
		.amdhsa_system_sgpr_workgroup_id_z 0
		.amdhsa_system_sgpr_workgroup_info 0
		.amdhsa_system_vgpr_workitem_id 0
		.amdhsa_next_free_vgpr 77
		.amdhsa_next_free_sgpr 20
		.amdhsa_reserve_vcc 1
		.amdhsa_reserve_flat_scratch 0
		.amdhsa_float_round_mode_32 0
		.amdhsa_float_round_mode_16_64 0
		.amdhsa_float_denorm_mode_32 3
		.amdhsa_float_denorm_mode_16_64 3
		.amdhsa_dx10_clamp 1
		.amdhsa_ieee_mode 1
		.amdhsa_fp16_overflow 0
		.amdhsa_workgroup_processor_mode 1
		.amdhsa_memory_ordered 1
		.amdhsa_forward_progress 1
		.amdhsa_shared_vgpr_count 0
		.amdhsa_exception_fp_ieee_invalid_op 0
		.amdhsa_exception_fp_denorm_src 0
		.amdhsa_exception_fp_ieee_div_zero 0
		.amdhsa_exception_fp_ieee_overflow 0
		.amdhsa_exception_fp_ieee_underflow 0
		.amdhsa_exception_fp_ieee_inexact 0
		.amdhsa_exception_int_div_zero 0
	.end_amdhsa_kernel
	.section	.text._ZN9rocsolver6v33100L18getri_kernel_smallILi18EdPKPdEEvT1_iilPiilS6_bb,"axG",@progbits,_ZN9rocsolver6v33100L18getri_kernel_smallILi18EdPKPdEEvT1_iilPiilS6_bb,comdat
.Lfunc_end81:
	.size	_ZN9rocsolver6v33100L18getri_kernel_smallILi18EdPKPdEEvT1_iilPiilS6_bb, .Lfunc_end81-_ZN9rocsolver6v33100L18getri_kernel_smallILi18EdPKPdEEvT1_iilPiilS6_bb
                                        ; -- End function
	.set _ZN9rocsolver6v33100L18getri_kernel_smallILi18EdPKPdEEvT1_iilPiilS6_bb.num_vgpr, 77
	.set _ZN9rocsolver6v33100L18getri_kernel_smallILi18EdPKPdEEvT1_iilPiilS6_bb.num_agpr, 0
	.set _ZN9rocsolver6v33100L18getri_kernel_smallILi18EdPKPdEEvT1_iilPiilS6_bb.numbered_sgpr, 20
	.set _ZN9rocsolver6v33100L18getri_kernel_smallILi18EdPKPdEEvT1_iilPiilS6_bb.num_named_barrier, 0
	.set _ZN9rocsolver6v33100L18getri_kernel_smallILi18EdPKPdEEvT1_iilPiilS6_bb.private_seg_size, 160
	.set _ZN9rocsolver6v33100L18getri_kernel_smallILi18EdPKPdEEvT1_iilPiilS6_bb.uses_vcc, 1
	.set _ZN9rocsolver6v33100L18getri_kernel_smallILi18EdPKPdEEvT1_iilPiilS6_bb.uses_flat_scratch, 0
	.set _ZN9rocsolver6v33100L18getri_kernel_smallILi18EdPKPdEEvT1_iilPiilS6_bb.has_dyn_sized_stack, 0
	.set _ZN9rocsolver6v33100L18getri_kernel_smallILi18EdPKPdEEvT1_iilPiilS6_bb.has_recursion, 0
	.set _ZN9rocsolver6v33100L18getri_kernel_smallILi18EdPKPdEEvT1_iilPiilS6_bb.has_indirect_call, 0
	.section	.AMDGPU.csdata,"",@progbits
; Kernel info:
; codeLenInByte = 15208
; TotalNumSgprs: 22
; NumVgprs: 77
; ScratchSize: 160
; MemoryBound: 0
; FloatMode: 240
; IeeeMode: 1
; LDSByteSize: 296 bytes/workgroup (compile time only)
; SGPRBlocks: 0
; VGPRBlocks: 9
; NumSGPRsForWavesPerEU: 22
; NumVGPRsForWavesPerEU: 77
; Occupancy: 12
; WaveLimiterHint : 1
; COMPUTE_PGM_RSRC2:SCRATCH_EN: 1
; COMPUTE_PGM_RSRC2:USER_SGPR: 6
; COMPUTE_PGM_RSRC2:TRAP_HANDLER: 0
; COMPUTE_PGM_RSRC2:TGID_X_EN: 1
; COMPUTE_PGM_RSRC2:TGID_Y_EN: 0
; COMPUTE_PGM_RSRC2:TGID_Z_EN: 0
; COMPUTE_PGM_RSRC2:TIDIG_COMP_CNT: 0
	.section	.text._ZN9rocsolver6v33100L18getri_kernel_smallILi19EdPKPdEEvT1_iilPiilS6_bb,"axG",@progbits,_ZN9rocsolver6v33100L18getri_kernel_smallILi19EdPKPdEEvT1_iilPiilS6_bb,comdat
	.globl	_ZN9rocsolver6v33100L18getri_kernel_smallILi19EdPKPdEEvT1_iilPiilS6_bb ; -- Begin function _ZN9rocsolver6v33100L18getri_kernel_smallILi19EdPKPdEEvT1_iilPiilS6_bb
	.p2align	8
	.type	_ZN9rocsolver6v33100L18getri_kernel_smallILi19EdPKPdEEvT1_iilPiilS6_bb,@function
_ZN9rocsolver6v33100L18getri_kernel_smallILi19EdPKPdEEvT1_iilPiilS6_bb: ; @_ZN9rocsolver6v33100L18getri_kernel_smallILi19EdPKPdEEvT1_iilPiilS6_bb
; %bb.0:
	s_add_u32 s0, s0, s7
	s_addc_u32 s1, s1, 0
	s_mov_b32 s7, exec_lo
	v_cmpx_gt_u32_e32 19, v0
	s_cbranch_execz .LBB82_86
; %bb.1:
	s_clause 0x2
	s_load_dword s17, s[4:5], 0x38
	s_load_dwordx2 s[12:13], s[4:5], 0x0
	s_load_dwordx4 s[8:11], s[4:5], 0x28
	s_waitcnt lgkmcnt(0)
	s_bitcmp1_b32 s17, 8
	s_cselect_b32 s16, -1, 0
	s_ashr_i32 s7, s6, 31
	s_lshl_b64 s[14:15], s[6:7], 3
	s_add_u32 s12, s12, s14
	s_addc_u32 s13, s13, s15
	s_load_dwordx2 s[14:15], s[12:13], 0x0
	s_bfe_u32 s12, s17, 0x10008
	s_cmp_eq_u32 s12, 0
                                        ; implicit-def: $sgpr12_sgpr13
	s_cbranch_scc1 .LBB82_3
; %bb.2:
	s_clause 0x1
	s_load_dword s12, s[4:5], 0x20
	s_load_dwordx2 s[18:19], s[4:5], 0x18
	s_mul_i32 s13, s8, s7
	s_mul_hi_u32 s17, s8, s6
	s_mul_i32 s9, s9, s6
	s_add_i32 s13, s17, s13
	s_mul_i32 s8, s8, s6
	s_add_i32 s9, s13, s9
	s_lshl_b64 s[8:9], s[8:9], 2
	s_waitcnt lgkmcnt(0)
	s_ashr_i32 s13, s12, 31
	s_add_u32 s17, s18, s8
	s_addc_u32 s18, s19, s9
	s_lshl_b64 s[8:9], s[12:13], 2
	s_add_u32 s12, s17, s8
	s_addc_u32 s13, s18, s9
.LBB82_3:
	s_clause 0x1
	s_load_dwordx2 s[8:9], s[4:5], 0x8
	s_load_dword s4, s[4:5], 0x38
	v_lshlrev_b32_e32 v41, 3, v0
	s_waitcnt lgkmcnt(0)
	s_ashr_i32 s19, s8, 31
	s_mov_b32 s18, s8
	v_add3_u32 v9, s9, s9, v0
	s_lshl_b64 s[18:19], s[18:19], 3
	s_add_u32 s5, s14, s18
	s_addc_u32 s8, s15, s19
	v_add_co_u32 v1, s14, s5, v41
	v_add_co_ci_u32_e64 v2, null, s8, 0, s14
	s_mov_b32 s14, s9
	s_ashr_i32 s15, s9, 31
	v_ashrrev_i32_e32 v10, 31, v9
	flat_load_dwordx2 v[5:6], v[1:2]
	s_lshl_b64 s[14:15], s[14:15], 3
	v_add_nc_u32_e32 v12, s9, v9
	v_add_co_u32 v3, vcc_lo, v1, s14
	v_add_co_ci_u32_e64 v4, null, s15, v2, vcc_lo
	v_ashrrev_i32_e32 v13, 31, v12
	s_bitcmp0_b32 s4, 0
	s_waitcnt vmcnt(0) lgkmcnt(0)
	buffer_store_dword v6, off, s[0:3], 0 offset:4
	buffer_store_dword v5, off, s[0:3], 0
	flat_load_dwordx2 v[7:8], v[3:4]
	v_lshlrev_b64 v[5:6], 3, v[9:10]
	s_waitcnt vmcnt(0) lgkmcnt(0)
	buffer_store_dword v8, off, s[0:3], 0 offset:12
	buffer_store_dword v7, off, s[0:3], 0 offset:8
	v_add_co_u32 v5, vcc_lo, s5, v5
	v_add_co_ci_u32_e64 v6, null, s8, v6, vcc_lo
	v_lshlrev_b64 v[7:8], 3, v[12:13]
	flat_load_dwordx2 v[10:11], v[5:6]
	s_waitcnt vmcnt(0) lgkmcnt(0)
	buffer_store_dword v11, off, s[0:3], 0 offset:20
	buffer_store_dword v10, off, s[0:3], 0 offset:16
	v_add_co_u32 v7, vcc_lo, s5, v7
	v_add_co_ci_u32_e64 v8, null, s8, v8, vcc_lo
	v_add_nc_u32_e32 v11, s9, v12
	flat_load_dwordx2 v[13:14], v[7:8]
	s_waitcnt vmcnt(0) lgkmcnt(0)
	buffer_store_dword v14, off, s[0:3], 0 offset:28
	buffer_store_dword v13, off, s[0:3], 0 offset:24
	v_ashrrev_i32_e32 v12, 31, v11
	v_add_nc_u32_e32 v15, s9, v11
	v_lshlrev_b64 v[9:10], 3, v[11:12]
	v_ashrrev_i32_e32 v16, 31, v15
	v_add_nc_u32_e32 v18, s9, v15
	v_add_co_u32 v9, vcc_lo, s5, v9
	v_add_co_ci_u32_e64 v10, null, s8, v10, vcc_lo
	v_lshlrev_b64 v[11:12], 3, v[15:16]
	v_ashrrev_i32_e32 v19, 31, v18
	flat_load_dwordx2 v[13:14], v[9:10]
	s_waitcnt vmcnt(0) lgkmcnt(0)
	buffer_store_dword v14, off, s[0:3], 0 offset:36
	buffer_store_dword v13, off, s[0:3], 0 offset:32
	v_add_co_u32 v11, vcc_lo, s5, v11
	v_add_co_ci_u32_e64 v12, null, s8, v12, vcc_lo
	v_lshlrev_b64 v[13:14], 3, v[18:19]
	flat_load_dwordx2 v[16:17], v[11:12]
	s_waitcnt vmcnt(0) lgkmcnt(0)
	buffer_store_dword v17, off, s[0:3], 0 offset:44
	buffer_store_dword v16, off, s[0:3], 0 offset:40
	v_add_co_u32 v13, vcc_lo, s5, v13
	v_add_co_ci_u32_e64 v14, null, s8, v14, vcc_lo
	v_add_nc_u32_e32 v17, s9, v18
	flat_load_dwordx2 v[19:20], v[13:14]
	s_waitcnt vmcnt(0) lgkmcnt(0)
	buffer_store_dword v20, off, s[0:3], 0 offset:52
	buffer_store_dword v19, off, s[0:3], 0 offset:48
	v_ashrrev_i32_e32 v18, 31, v17
	v_add_nc_u32_e32 v21, s9, v17
	v_lshlrev_b64 v[15:16], 3, v[17:18]
	v_ashrrev_i32_e32 v22, 31, v21
	v_add_nc_u32_e32 v24, s9, v21
	v_add_co_u32 v15, vcc_lo, s5, v15
	v_add_co_ci_u32_e64 v16, null, s8, v16, vcc_lo
	v_lshlrev_b64 v[17:18], 3, v[21:22]
	v_ashrrev_i32_e32 v25, 31, v24
	flat_load_dwordx2 v[19:20], v[15:16]
	;; [unrolled: 27-line block ×4, first 2 shown]
	s_waitcnt vmcnt(0) lgkmcnt(0)
	buffer_store_dword v32, off, s[0:3], 0 offset:108
	buffer_store_dword v31, off, s[0:3], 0 offset:104
	v_add_co_u32 v29, vcc_lo, s5, v29
	v_add_co_ci_u32_e64 v30, null, s8, v30, vcc_lo
	v_lshlrev_b64 v[31:32], 3, v[36:37]
	flat_load_dwordx2 v[34:35], v[29:30]
	s_waitcnt vmcnt(0) lgkmcnt(0)
	buffer_store_dword v35, off, s[0:3], 0 offset:116
	buffer_store_dword v34, off, s[0:3], 0 offset:112
	v_add_co_u32 v31, vcc_lo, s5, v31
	v_add_co_ci_u32_e64 v32, null, s8, v32, vcc_lo
	v_add_nc_u32_e32 v35, s9, v36
	flat_load_dwordx2 v[37:38], v[31:32]
	s_waitcnt vmcnt(0) lgkmcnt(0)
	buffer_store_dword v38, off, s[0:3], 0 offset:124
	buffer_store_dword v37, off, s[0:3], 0 offset:120
	v_ashrrev_i32_e32 v36, 31, v35
	v_add_nc_u32_e32 v39, s9, v35
	v_lshlrev_b64 v[33:34], 3, v[35:36]
	v_ashrrev_i32_e32 v40, 31, v39
	v_add_co_u32 v33, vcc_lo, s5, v33
	v_add_co_ci_u32_e64 v34, null, s8, v34, vcc_lo
	v_lshlrev_b64 v[35:36], 3, v[39:40]
	flat_load_dwordx2 v[37:38], v[33:34]
	s_waitcnt vmcnt(0) lgkmcnt(0)
	buffer_store_dword v38, off, s[0:3], 0 offset:132
	buffer_store_dword v37, off, s[0:3], 0 offset:128
	v_add_co_u32 v35, vcc_lo, s5, v35
	v_add_co_ci_u32_e64 v36, null, s8, v36, vcc_lo
	v_add_nc_u32_e32 v37, s9, v39
	flat_load_dwordx2 v[42:43], v[35:36]
	s_waitcnt vmcnt(0) lgkmcnt(0)
	buffer_store_dword v43, off, s[0:3], 0 offset:140
	buffer_store_dword v42, off, s[0:3], 0 offset:136
	v_ashrrev_i32_e32 v38, 31, v37
	v_lshlrev_b64 v[37:38], 3, v[37:38]
	v_add_co_u32 v37, vcc_lo, s5, v37
	v_add_co_ci_u32_e64 v38, null, s8, v38, vcc_lo
	s_mov_b32 s5, -1
	flat_load_dwordx2 v[39:40], v[37:38]
	s_waitcnt vmcnt(0) lgkmcnt(0)
	buffer_store_dword v40, off, s[0:3], 0 offset:148
	buffer_store_dword v39, off, s[0:3], 0 offset:144
	s_cbranch_scc1 .LBB82_84
; %bb.4:
	v_cmp_eq_u32_e64 s4, 0, v0
	s_and_saveexec_b32 s5, s4
; %bb.5:
	v_mov_b32_e32 v39, 0
	ds_write_b32 v39, v39 offset:152
; %bb.6:
	s_or_b32 exec_lo, exec_lo, s5
	v_lshl_add_u32 v39, v0, 3, 0
	s_waitcnt lgkmcnt(0)
	s_waitcnt_vscnt null, 0x0
	s_barrier
	buffer_gl0_inv
	s_mov_b32 s8, exec_lo
	s_clause 0x1
	buffer_load_dword v42, v39, s[0:3], 0 offen
	buffer_load_dword v43, v39, s[0:3], 0 offen offset:4
	s_waitcnt vmcnt(0)
	v_cmpx_eq_f64_e32 0, v[42:43]
	s_cbranch_execz .LBB82_10
; %bb.7:
	v_mov_b32_e32 v40, 0
	s_mov_b32 s9, 0
	ds_read_b32 v42, v40 offset:152
	s_waitcnt lgkmcnt(0)
	v_readfirstlane_b32 s5, v42
	v_add_nc_u32_e32 v42, 1, v0
	s_cmp_eq_u32 s5, 0
	v_cmp_gt_i32_e32 vcc_lo, s5, v42
	s_cselect_b32 s14, -1, 0
	s_or_b32 s14, s14, vcc_lo
	s_and_b32 exec_lo, exec_lo, s14
	s_cbranch_execz .LBB82_10
; %bb.8:
	v_mov_b32_e32 v43, s5
.LBB82_9:                               ; =>This Inner Loop Header: Depth=1
	ds_cmpst_rtn_b32 v43, v40, v43, v42 offset:152
	s_waitcnt lgkmcnt(0)
	v_cmp_ne_u32_e32 vcc_lo, 0, v43
	v_cmp_le_i32_e64 s5, v43, v42
	s_and_b32 s5, vcc_lo, s5
	s_and_b32 s5, exec_lo, s5
	s_or_b32 s9, s5, s9
	s_andn2_b32 exec_lo, exec_lo, s9
	s_cbranch_execnz .LBB82_9
.LBB82_10:
	s_or_b32 exec_lo, exec_lo, s8
	v_mov_b32_e32 v40, 0
	s_barrier
	buffer_gl0_inv
	ds_read_b32 v42, v40 offset:152
	s_and_saveexec_b32 s5, s4
	s_cbranch_execz .LBB82_12
; %bb.11:
	s_lshl_b64 s[8:9], s[6:7], 2
	s_add_u32 s8, s10, s8
	s_addc_u32 s9, s11, s9
	s_waitcnt lgkmcnt(0)
	global_store_dword v40, v42, s[8:9]
.LBB82_12:
	s_or_b32 exec_lo, exec_lo, s5
	s_waitcnt lgkmcnt(0)
	v_cmp_ne_u32_e32 vcc_lo, 0, v42
	s_mov_b32 s5, 0
	s_cbranch_vccnz .LBB82_84
; %bb.13:
	s_clause 0x1
	buffer_load_dword v42, v39, s[0:3], 0 offen
	buffer_load_dword v43, v39, s[0:3], 0 offen offset:4
	s_waitcnt vmcnt(0)
	v_div_scale_f64 v[44:45], null, v[42:43], v[42:43], 1.0
	v_div_scale_f64 v[50:51], vcc_lo, 1.0, v[42:43], 1.0
	v_rcp_f64_e32 v[46:47], v[44:45]
	v_fma_f64 v[48:49], -v[44:45], v[46:47], 1.0
	v_fma_f64 v[46:47], v[46:47], v[48:49], v[46:47]
	v_fma_f64 v[48:49], -v[44:45], v[46:47], 1.0
	v_fma_f64 v[46:47], v[46:47], v[48:49], v[46:47]
	v_mul_f64 v[48:49], v[50:51], v[46:47]
	v_fma_f64 v[44:45], -v[44:45], v[48:49], v[50:51]
	v_div_fmas_f64 v[44:45], v[44:45], v[46:47], v[48:49]
	v_div_fixup_f64 v[43:44], v[44:45], v[42:43], 1.0
	v_add_nc_u32_e32 v42, 0xa0, v41
	buffer_store_dword v44, v39, s[0:3], 0 offen offset:4
	buffer_store_dword v43, v39, s[0:3], 0 offen
	s_clause 0x1
	buffer_load_dword v46, off, s[0:3], 0 offset:12
	buffer_load_dword v45, off, s[0:3], 0 offset:8
	v_xor_b32_e32 v44, 0x80000000, v44
	s_waitcnt vmcnt(0)
	ds_write2_b64 v41, v[43:44], v[45:46] offset1:20
	s_waitcnt lgkmcnt(0)
	s_waitcnt_vscnt null, 0x0
	s_barrier
	buffer_gl0_inv
	s_and_saveexec_b32 s5, s4
	s_cbranch_execz .LBB82_15
; %bb.14:
	s_clause 0x1
	buffer_load_dword v43, v39, s[0:3], 0 offen
	buffer_load_dword v44, v39, s[0:3], 0 offen offset:4
	ds_read_b64 v[45:46], v42
	v_mov_b32_e32 v40, 0
	ds_read_b64 v[47:48], v40 offset:8
	s_waitcnt vmcnt(0) lgkmcnt(1)
	v_fma_f64 v[43:44], v[43:44], v[45:46], 0
	s_waitcnt lgkmcnt(0)
	v_mul_f64 v[43:44], v[43:44], v[47:48]
	buffer_store_dword v43, off, s[0:3], 0 offset:8
	buffer_store_dword v44, off, s[0:3], 0 offset:12
.LBB82_15:
	s_or_b32 exec_lo, exec_lo, s5
	s_waitcnt_vscnt null, 0x0
	s_barrier
	buffer_gl0_inv
	s_clause 0x1
	buffer_load_dword v43, off, s[0:3], 0 offset:16
	buffer_load_dword v44, off, s[0:3], 0 offset:20
	s_mov_b32 s5, exec_lo
	s_waitcnt vmcnt(0)
	ds_write_b64 v42, v[43:44]
	s_waitcnt lgkmcnt(0)
	s_barrier
	buffer_gl0_inv
	v_cmpx_gt_u32_e32 2, v0
	s_cbranch_execz .LBB82_19
; %bb.16:
	s_clause 0x1
	buffer_load_dword v43, v39, s[0:3], 0 offen
	buffer_load_dword v44, v39, s[0:3], 0 offen offset:4
	ds_read_b64 v[39:40], v42
	s_waitcnt vmcnt(0) lgkmcnt(0)
	v_fma_f64 v[39:40], v[43:44], v[39:40], 0
	s_and_saveexec_b32 s8, s4
	s_cbranch_execz .LBB82_18
; %bb.17:
	s_clause 0x1
	buffer_load_dword v43, off, s[0:3], 0 offset:8
	buffer_load_dword v44, off, s[0:3], 0 offset:12
	v_mov_b32_e32 v45, 0
	ds_read_b64 v[45:46], v45 offset:168
	s_waitcnt vmcnt(0) lgkmcnt(0)
	v_fma_f64 v[39:40], v[43:44], v[45:46], v[39:40]
.LBB82_18:
	s_or_b32 exec_lo, exec_lo, s8
	v_mov_b32_e32 v43, 0
	ds_read_b64 v[43:44], v43 offset:16
	s_waitcnt lgkmcnt(0)
	v_mul_f64 v[39:40], v[39:40], v[43:44]
	buffer_store_dword v40, off, s[0:3], 0 offset:20
	buffer_store_dword v39, off, s[0:3], 0 offset:16
.LBB82_19:
	s_or_b32 exec_lo, exec_lo, s5
	s_waitcnt_vscnt null, 0x0
	s_barrier
	buffer_gl0_inv
	s_clause 0x1
	buffer_load_dword v39, off, s[0:3], 0 offset:24
	buffer_load_dword v40, off, s[0:3], 0 offset:28
	v_add_nc_u32_e32 v43, -1, v0
	s_mov_b32 s4, exec_lo
	s_waitcnt vmcnt(0)
	ds_write_b64 v42, v[39:40]
	s_waitcnt lgkmcnt(0)
	s_barrier
	buffer_gl0_inv
	v_cmpx_gt_u32_e32 3, v0
	s_cbranch_execz .LBB82_23
; %bb.20:
	v_mov_b32_e32 v39, 0
	v_add_nc_u32_e32 v44, -1, v0
	v_add_nc_u32_e32 v45, 0xa0, v41
	v_mov_b32_e32 v40, 0
	v_mov_b32_e32 v46, v41
	s_mov_b32 s5, 0
.LBB82_21:                              ; =>This Inner Loop Header: Depth=1
	s_clause 0x1
	buffer_load_dword v47, v46, s[0:3], 0 offen
	buffer_load_dword v48, v46, s[0:3], 0 offen offset:4
	ds_read_b64 v[49:50], v45
	v_add_nc_u32_e32 v44, 1, v44
	v_add_nc_u32_e32 v45, 8, v45
	v_add_nc_u32_e32 v46, 8, v46
	v_cmp_lt_u32_e32 vcc_lo, 1, v44
	s_or_b32 s5, vcc_lo, s5
	s_waitcnt vmcnt(0) lgkmcnt(0)
	v_fma_f64 v[39:40], v[47:48], v[49:50], v[39:40]
	s_andn2_b32 exec_lo, exec_lo, s5
	s_cbranch_execnz .LBB82_21
; %bb.22:
	s_or_b32 exec_lo, exec_lo, s5
	v_mov_b32_e32 v44, 0
	ds_read_b64 v[44:45], v44 offset:24
	s_waitcnt lgkmcnt(0)
	v_mul_f64 v[39:40], v[39:40], v[44:45]
	buffer_store_dword v40, off, s[0:3], 0 offset:28
	buffer_store_dword v39, off, s[0:3], 0 offset:24
.LBB82_23:
	s_or_b32 exec_lo, exec_lo, s4
	s_waitcnt_vscnt null, 0x0
	s_barrier
	buffer_gl0_inv
	s_clause 0x1
	buffer_load_dword v39, off, s[0:3], 0 offset:32
	buffer_load_dword v40, off, s[0:3], 0 offset:36
	s_mov_b32 s4, exec_lo
	s_waitcnt vmcnt(0)
	ds_write_b64 v42, v[39:40]
	s_waitcnt lgkmcnt(0)
	s_barrier
	buffer_gl0_inv
	v_cmpx_gt_u32_e32 4, v0
	s_cbranch_execz .LBB82_27
; %bb.24:
	v_mov_b32_e32 v39, 0
	v_add_nc_u32_e32 v44, -1, v0
	v_add_nc_u32_e32 v45, 0xa0, v41
	v_mov_b32_e32 v40, 0
	v_mov_b32_e32 v46, v41
	s_mov_b32 s5, 0
.LBB82_25:                              ; =>This Inner Loop Header: Depth=1
	s_clause 0x1
	buffer_load_dword v47, v46, s[0:3], 0 offen
	buffer_load_dword v48, v46, s[0:3], 0 offen offset:4
	ds_read_b64 v[49:50], v45
	v_add_nc_u32_e32 v44, 1, v44
	v_add_nc_u32_e32 v45, 8, v45
	v_add_nc_u32_e32 v46, 8, v46
	v_cmp_lt_u32_e32 vcc_lo, 2, v44
	s_or_b32 s5, vcc_lo, s5
	s_waitcnt vmcnt(0) lgkmcnt(0)
	v_fma_f64 v[39:40], v[47:48], v[49:50], v[39:40]
	s_andn2_b32 exec_lo, exec_lo, s5
	s_cbranch_execnz .LBB82_25
; %bb.26:
	s_or_b32 exec_lo, exec_lo, s5
	v_mov_b32_e32 v44, 0
	ds_read_b64 v[44:45], v44 offset:32
	s_waitcnt lgkmcnt(0)
	v_mul_f64 v[39:40], v[39:40], v[44:45]
	buffer_store_dword v40, off, s[0:3], 0 offset:36
	buffer_store_dword v39, off, s[0:3], 0 offset:32
.LBB82_27:
	s_or_b32 exec_lo, exec_lo, s4
	s_waitcnt_vscnt null, 0x0
	s_barrier
	buffer_gl0_inv
	s_clause 0x1
	buffer_load_dword v39, off, s[0:3], 0 offset:40
	buffer_load_dword v40, off, s[0:3], 0 offset:44
	s_mov_b32 s4, exec_lo
	s_waitcnt vmcnt(0)
	ds_write_b64 v42, v[39:40]
	s_waitcnt lgkmcnt(0)
	s_barrier
	buffer_gl0_inv
	v_cmpx_gt_u32_e32 5, v0
	s_cbranch_execz .LBB82_31
; %bb.28:
	v_mov_b32_e32 v39, 0
	v_add_nc_u32_e32 v44, -1, v0
	v_add_nc_u32_e32 v45, 0xa0, v41
	v_mov_b32_e32 v40, 0
	v_mov_b32_e32 v46, v41
	s_mov_b32 s5, 0
.LBB82_29:                              ; =>This Inner Loop Header: Depth=1
	s_clause 0x1
	buffer_load_dword v47, v46, s[0:3], 0 offen
	buffer_load_dword v48, v46, s[0:3], 0 offen offset:4
	ds_read_b64 v[49:50], v45
	v_add_nc_u32_e32 v44, 1, v44
	v_add_nc_u32_e32 v45, 8, v45
	v_add_nc_u32_e32 v46, 8, v46
	v_cmp_lt_u32_e32 vcc_lo, 3, v44
	s_or_b32 s5, vcc_lo, s5
	s_waitcnt vmcnt(0) lgkmcnt(0)
	v_fma_f64 v[39:40], v[47:48], v[49:50], v[39:40]
	s_andn2_b32 exec_lo, exec_lo, s5
	s_cbranch_execnz .LBB82_29
; %bb.30:
	s_or_b32 exec_lo, exec_lo, s5
	v_mov_b32_e32 v44, 0
	ds_read_b64 v[44:45], v44 offset:40
	s_waitcnt lgkmcnt(0)
	v_mul_f64 v[39:40], v[39:40], v[44:45]
	buffer_store_dword v40, off, s[0:3], 0 offset:44
	buffer_store_dword v39, off, s[0:3], 0 offset:40
.LBB82_31:
	s_or_b32 exec_lo, exec_lo, s4
	s_waitcnt_vscnt null, 0x0
	s_barrier
	buffer_gl0_inv
	s_clause 0x1
	buffer_load_dword v39, off, s[0:3], 0 offset:48
	buffer_load_dword v40, off, s[0:3], 0 offset:52
	s_mov_b32 s4, exec_lo
	s_waitcnt vmcnt(0)
	ds_write_b64 v42, v[39:40]
	s_waitcnt lgkmcnt(0)
	s_barrier
	buffer_gl0_inv
	v_cmpx_gt_u32_e32 6, v0
	s_cbranch_execz .LBB82_35
; %bb.32:
	v_mov_b32_e32 v39, 0
	v_add_nc_u32_e32 v44, -1, v0
	v_add_nc_u32_e32 v45, 0xa0, v41
	v_mov_b32_e32 v40, 0
	v_mov_b32_e32 v46, v41
	s_mov_b32 s5, 0
.LBB82_33:                              ; =>This Inner Loop Header: Depth=1
	s_clause 0x1
	buffer_load_dword v47, v46, s[0:3], 0 offen
	buffer_load_dword v48, v46, s[0:3], 0 offen offset:4
	ds_read_b64 v[49:50], v45
	v_add_nc_u32_e32 v44, 1, v44
	v_add_nc_u32_e32 v45, 8, v45
	v_add_nc_u32_e32 v46, 8, v46
	v_cmp_lt_u32_e32 vcc_lo, 4, v44
	s_or_b32 s5, vcc_lo, s5
	s_waitcnt vmcnt(0) lgkmcnt(0)
	v_fma_f64 v[39:40], v[47:48], v[49:50], v[39:40]
	s_andn2_b32 exec_lo, exec_lo, s5
	s_cbranch_execnz .LBB82_33
; %bb.34:
	s_or_b32 exec_lo, exec_lo, s5
	v_mov_b32_e32 v44, 0
	ds_read_b64 v[44:45], v44 offset:48
	s_waitcnt lgkmcnt(0)
	v_mul_f64 v[39:40], v[39:40], v[44:45]
	buffer_store_dword v40, off, s[0:3], 0 offset:52
	buffer_store_dword v39, off, s[0:3], 0 offset:48
.LBB82_35:
	s_or_b32 exec_lo, exec_lo, s4
	s_waitcnt_vscnt null, 0x0
	s_barrier
	buffer_gl0_inv
	s_clause 0x1
	buffer_load_dword v39, off, s[0:3], 0 offset:56
	buffer_load_dword v40, off, s[0:3], 0 offset:60
	s_mov_b32 s4, exec_lo
	s_waitcnt vmcnt(0)
	ds_write_b64 v42, v[39:40]
	s_waitcnt lgkmcnt(0)
	s_barrier
	buffer_gl0_inv
	v_cmpx_gt_u32_e32 7, v0
	s_cbranch_execz .LBB82_39
; %bb.36:
	v_mov_b32_e32 v39, 0
	v_add_nc_u32_e32 v44, -1, v0
	v_add_nc_u32_e32 v45, 0xa0, v41
	v_mov_b32_e32 v40, 0
	v_mov_b32_e32 v46, v41
	s_mov_b32 s5, 0
.LBB82_37:                              ; =>This Inner Loop Header: Depth=1
	s_clause 0x1
	buffer_load_dword v47, v46, s[0:3], 0 offen
	buffer_load_dword v48, v46, s[0:3], 0 offen offset:4
	ds_read_b64 v[49:50], v45
	v_add_nc_u32_e32 v44, 1, v44
	v_add_nc_u32_e32 v45, 8, v45
	v_add_nc_u32_e32 v46, 8, v46
	v_cmp_lt_u32_e32 vcc_lo, 5, v44
	s_or_b32 s5, vcc_lo, s5
	s_waitcnt vmcnt(0) lgkmcnt(0)
	v_fma_f64 v[39:40], v[47:48], v[49:50], v[39:40]
	s_andn2_b32 exec_lo, exec_lo, s5
	s_cbranch_execnz .LBB82_37
; %bb.38:
	s_or_b32 exec_lo, exec_lo, s5
	v_mov_b32_e32 v44, 0
	ds_read_b64 v[44:45], v44 offset:56
	s_waitcnt lgkmcnt(0)
	v_mul_f64 v[39:40], v[39:40], v[44:45]
	buffer_store_dword v40, off, s[0:3], 0 offset:60
	buffer_store_dword v39, off, s[0:3], 0 offset:56
.LBB82_39:
	s_or_b32 exec_lo, exec_lo, s4
	s_waitcnt_vscnt null, 0x0
	s_barrier
	buffer_gl0_inv
	s_clause 0x1
	buffer_load_dword v39, off, s[0:3], 0 offset:64
	buffer_load_dword v40, off, s[0:3], 0 offset:68
	s_mov_b32 s4, exec_lo
	s_waitcnt vmcnt(0)
	ds_write_b64 v42, v[39:40]
	s_waitcnt lgkmcnt(0)
	s_barrier
	buffer_gl0_inv
	v_cmpx_gt_u32_e32 8, v0
	s_cbranch_execz .LBB82_43
; %bb.40:
	v_mov_b32_e32 v39, 0
	v_add_nc_u32_e32 v44, -1, v0
	v_add_nc_u32_e32 v45, 0xa0, v41
	v_mov_b32_e32 v40, 0
	v_mov_b32_e32 v46, v41
	s_mov_b32 s5, 0
.LBB82_41:                              ; =>This Inner Loop Header: Depth=1
	s_clause 0x1
	buffer_load_dword v47, v46, s[0:3], 0 offen
	buffer_load_dword v48, v46, s[0:3], 0 offen offset:4
	ds_read_b64 v[49:50], v45
	v_add_nc_u32_e32 v44, 1, v44
	v_add_nc_u32_e32 v45, 8, v45
	v_add_nc_u32_e32 v46, 8, v46
	v_cmp_lt_u32_e32 vcc_lo, 6, v44
	s_or_b32 s5, vcc_lo, s5
	s_waitcnt vmcnt(0) lgkmcnt(0)
	v_fma_f64 v[39:40], v[47:48], v[49:50], v[39:40]
	s_andn2_b32 exec_lo, exec_lo, s5
	s_cbranch_execnz .LBB82_41
; %bb.42:
	s_or_b32 exec_lo, exec_lo, s5
	v_mov_b32_e32 v44, 0
	ds_read_b64 v[44:45], v44 offset:64
	s_waitcnt lgkmcnt(0)
	v_mul_f64 v[39:40], v[39:40], v[44:45]
	buffer_store_dword v40, off, s[0:3], 0 offset:68
	buffer_store_dword v39, off, s[0:3], 0 offset:64
.LBB82_43:
	s_or_b32 exec_lo, exec_lo, s4
	s_waitcnt_vscnt null, 0x0
	s_barrier
	buffer_gl0_inv
	s_clause 0x1
	buffer_load_dword v39, off, s[0:3], 0 offset:72
	buffer_load_dword v40, off, s[0:3], 0 offset:76
	s_mov_b32 s4, exec_lo
	s_waitcnt vmcnt(0)
	ds_write_b64 v42, v[39:40]
	s_waitcnt lgkmcnt(0)
	s_barrier
	buffer_gl0_inv
	v_cmpx_gt_u32_e32 9, v0
	s_cbranch_execz .LBB82_47
; %bb.44:
	v_mov_b32_e32 v39, 0
	v_add_nc_u32_e32 v44, -1, v0
	v_add_nc_u32_e32 v45, 0xa0, v41
	v_mov_b32_e32 v40, 0
	v_mov_b32_e32 v46, v41
	s_mov_b32 s5, 0
.LBB82_45:                              ; =>This Inner Loop Header: Depth=1
	s_clause 0x1
	buffer_load_dword v47, v46, s[0:3], 0 offen
	buffer_load_dword v48, v46, s[0:3], 0 offen offset:4
	ds_read_b64 v[49:50], v45
	v_add_nc_u32_e32 v44, 1, v44
	v_add_nc_u32_e32 v45, 8, v45
	v_add_nc_u32_e32 v46, 8, v46
	v_cmp_lt_u32_e32 vcc_lo, 7, v44
	s_or_b32 s5, vcc_lo, s5
	s_waitcnt vmcnt(0) lgkmcnt(0)
	v_fma_f64 v[39:40], v[47:48], v[49:50], v[39:40]
	s_andn2_b32 exec_lo, exec_lo, s5
	s_cbranch_execnz .LBB82_45
; %bb.46:
	s_or_b32 exec_lo, exec_lo, s5
	v_mov_b32_e32 v44, 0
	ds_read_b64 v[44:45], v44 offset:72
	s_waitcnt lgkmcnt(0)
	v_mul_f64 v[39:40], v[39:40], v[44:45]
	buffer_store_dword v40, off, s[0:3], 0 offset:76
	buffer_store_dword v39, off, s[0:3], 0 offset:72
.LBB82_47:
	s_or_b32 exec_lo, exec_lo, s4
	s_waitcnt_vscnt null, 0x0
	s_barrier
	buffer_gl0_inv
	s_clause 0x1
	buffer_load_dword v39, off, s[0:3], 0 offset:80
	buffer_load_dword v40, off, s[0:3], 0 offset:84
	s_mov_b32 s4, exec_lo
	s_waitcnt vmcnt(0)
	ds_write_b64 v42, v[39:40]
	s_waitcnt lgkmcnt(0)
	s_barrier
	buffer_gl0_inv
	v_cmpx_gt_u32_e32 10, v0
	s_cbranch_execz .LBB82_51
; %bb.48:
	v_mov_b32_e32 v39, 0
	v_add_nc_u32_e32 v44, -1, v0
	v_add_nc_u32_e32 v45, 0xa0, v41
	v_mov_b32_e32 v40, 0
	v_mov_b32_e32 v46, v41
	s_mov_b32 s5, 0
.LBB82_49:                              ; =>This Inner Loop Header: Depth=1
	s_clause 0x1
	buffer_load_dword v47, v46, s[0:3], 0 offen
	buffer_load_dword v48, v46, s[0:3], 0 offen offset:4
	ds_read_b64 v[49:50], v45
	v_add_nc_u32_e32 v44, 1, v44
	v_add_nc_u32_e32 v45, 8, v45
	v_add_nc_u32_e32 v46, 8, v46
	v_cmp_lt_u32_e32 vcc_lo, 8, v44
	s_or_b32 s5, vcc_lo, s5
	s_waitcnt vmcnt(0) lgkmcnt(0)
	v_fma_f64 v[39:40], v[47:48], v[49:50], v[39:40]
	s_andn2_b32 exec_lo, exec_lo, s5
	s_cbranch_execnz .LBB82_49
; %bb.50:
	s_or_b32 exec_lo, exec_lo, s5
	v_mov_b32_e32 v44, 0
	ds_read_b64 v[44:45], v44 offset:80
	s_waitcnt lgkmcnt(0)
	v_mul_f64 v[39:40], v[39:40], v[44:45]
	buffer_store_dword v40, off, s[0:3], 0 offset:84
	buffer_store_dword v39, off, s[0:3], 0 offset:80
.LBB82_51:
	s_or_b32 exec_lo, exec_lo, s4
	s_waitcnt_vscnt null, 0x0
	s_barrier
	buffer_gl0_inv
	s_clause 0x1
	buffer_load_dword v39, off, s[0:3], 0 offset:88
	buffer_load_dword v40, off, s[0:3], 0 offset:92
	s_mov_b32 s4, exec_lo
	s_waitcnt vmcnt(0)
	ds_write_b64 v42, v[39:40]
	s_waitcnt lgkmcnt(0)
	s_barrier
	buffer_gl0_inv
	v_cmpx_gt_u32_e32 11, v0
	s_cbranch_execz .LBB82_55
; %bb.52:
	v_mov_b32_e32 v39, 0
	v_add_nc_u32_e32 v44, -1, v0
	v_add_nc_u32_e32 v45, 0xa0, v41
	v_mov_b32_e32 v40, 0
	v_mov_b32_e32 v46, v41
	s_mov_b32 s5, 0
.LBB82_53:                              ; =>This Inner Loop Header: Depth=1
	s_clause 0x1
	buffer_load_dword v47, v46, s[0:3], 0 offen
	buffer_load_dword v48, v46, s[0:3], 0 offen offset:4
	ds_read_b64 v[49:50], v45
	v_add_nc_u32_e32 v44, 1, v44
	v_add_nc_u32_e32 v45, 8, v45
	v_add_nc_u32_e32 v46, 8, v46
	v_cmp_lt_u32_e32 vcc_lo, 9, v44
	s_or_b32 s5, vcc_lo, s5
	s_waitcnt vmcnt(0) lgkmcnt(0)
	v_fma_f64 v[39:40], v[47:48], v[49:50], v[39:40]
	s_andn2_b32 exec_lo, exec_lo, s5
	s_cbranch_execnz .LBB82_53
; %bb.54:
	s_or_b32 exec_lo, exec_lo, s5
	v_mov_b32_e32 v44, 0
	ds_read_b64 v[44:45], v44 offset:88
	s_waitcnt lgkmcnt(0)
	v_mul_f64 v[39:40], v[39:40], v[44:45]
	buffer_store_dword v40, off, s[0:3], 0 offset:92
	buffer_store_dword v39, off, s[0:3], 0 offset:88
.LBB82_55:
	s_or_b32 exec_lo, exec_lo, s4
	s_waitcnt_vscnt null, 0x0
	s_barrier
	buffer_gl0_inv
	s_clause 0x1
	buffer_load_dword v39, off, s[0:3], 0 offset:96
	buffer_load_dword v40, off, s[0:3], 0 offset:100
	s_mov_b32 s4, exec_lo
	s_waitcnt vmcnt(0)
	ds_write_b64 v42, v[39:40]
	s_waitcnt lgkmcnt(0)
	s_barrier
	buffer_gl0_inv
	v_cmpx_gt_u32_e32 12, v0
	s_cbranch_execz .LBB82_59
; %bb.56:
	v_mov_b32_e32 v39, 0
	v_add_nc_u32_e32 v44, -1, v0
	v_add_nc_u32_e32 v45, 0xa0, v41
	v_mov_b32_e32 v40, 0
	v_mov_b32_e32 v46, v41
	s_mov_b32 s5, 0
.LBB82_57:                              ; =>This Inner Loop Header: Depth=1
	s_clause 0x1
	buffer_load_dword v47, v46, s[0:3], 0 offen
	buffer_load_dword v48, v46, s[0:3], 0 offen offset:4
	ds_read_b64 v[49:50], v45
	v_add_nc_u32_e32 v44, 1, v44
	v_add_nc_u32_e32 v45, 8, v45
	v_add_nc_u32_e32 v46, 8, v46
	v_cmp_lt_u32_e32 vcc_lo, 10, v44
	s_or_b32 s5, vcc_lo, s5
	s_waitcnt vmcnt(0) lgkmcnt(0)
	v_fma_f64 v[39:40], v[47:48], v[49:50], v[39:40]
	s_andn2_b32 exec_lo, exec_lo, s5
	s_cbranch_execnz .LBB82_57
; %bb.58:
	s_or_b32 exec_lo, exec_lo, s5
	v_mov_b32_e32 v44, 0
	ds_read_b64 v[44:45], v44 offset:96
	s_waitcnt lgkmcnt(0)
	v_mul_f64 v[39:40], v[39:40], v[44:45]
	buffer_store_dword v40, off, s[0:3], 0 offset:100
	buffer_store_dword v39, off, s[0:3], 0 offset:96
.LBB82_59:
	s_or_b32 exec_lo, exec_lo, s4
	s_waitcnt_vscnt null, 0x0
	s_barrier
	buffer_gl0_inv
	s_clause 0x1
	buffer_load_dword v39, off, s[0:3], 0 offset:104
	buffer_load_dword v40, off, s[0:3], 0 offset:108
	s_mov_b32 s4, exec_lo
	s_waitcnt vmcnt(0)
	ds_write_b64 v42, v[39:40]
	s_waitcnt lgkmcnt(0)
	s_barrier
	buffer_gl0_inv
	v_cmpx_gt_u32_e32 13, v0
	s_cbranch_execz .LBB82_63
; %bb.60:
	v_mov_b32_e32 v39, 0
	v_add_nc_u32_e32 v44, -1, v0
	v_add_nc_u32_e32 v45, 0xa0, v41
	v_mov_b32_e32 v40, 0
	v_mov_b32_e32 v46, v41
	s_mov_b32 s5, 0
.LBB82_61:                              ; =>This Inner Loop Header: Depth=1
	s_clause 0x1
	buffer_load_dword v47, v46, s[0:3], 0 offen
	buffer_load_dword v48, v46, s[0:3], 0 offen offset:4
	ds_read_b64 v[49:50], v45
	v_add_nc_u32_e32 v44, 1, v44
	v_add_nc_u32_e32 v45, 8, v45
	v_add_nc_u32_e32 v46, 8, v46
	v_cmp_lt_u32_e32 vcc_lo, 11, v44
	s_or_b32 s5, vcc_lo, s5
	s_waitcnt vmcnt(0) lgkmcnt(0)
	v_fma_f64 v[39:40], v[47:48], v[49:50], v[39:40]
	s_andn2_b32 exec_lo, exec_lo, s5
	s_cbranch_execnz .LBB82_61
; %bb.62:
	s_or_b32 exec_lo, exec_lo, s5
	v_mov_b32_e32 v44, 0
	ds_read_b64 v[44:45], v44 offset:104
	s_waitcnt lgkmcnt(0)
	v_mul_f64 v[39:40], v[39:40], v[44:45]
	buffer_store_dword v40, off, s[0:3], 0 offset:108
	buffer_store_dword v39, off, s[0:3], 0 offset:104
.LBB82_63:
	s_or_b32 exec_lo, exec_lo, s4
	s_waitcnt_vscnt null, 0x0
	s_barrier
	buffer_gl0_inv
	s_clause 0x1
	buffer_load_dword v39, off, s[0:3], 0 offset:112
	buffer_load_dword v40, off, s[0:3], 0 offset:116
	s_mov_b32 s4, exec_lo
	s_waitcnt vmcnt(0)
	ds_write_b64 v42, v[39:40]
	s_waitcnt lgkmcnt(0)
	s_barrier
	buffer_gl0_inv
	v_cmpx_gt_u32_e32 14, v0
	s_cbranch_execz .LBB82_67
; %bb.64:
	v_mov_b32_e32 v39, 0
	v_add_nc_u32_e32 v44, -1, v0
	v_add_nc_u32_e32 v45, 0xa0, v41
	v_mov_b32_e32 v40, 0
	v_mov_b32_e32 v46, v41
	s_mov_b32 s5, 0
.LBB82_65:                              ; =>This Inner Loop Header: Depth=1
	s_clause 0x1
	buffer_load_dword v47, v46, s[0:3], 0 offen
	buffer_load_dword v48, v46, s[0:3], 0 offen offset:4
	ds_read_b64 v[49:50], v45
	v_add_nc_u32_e32 v44, 1, v44
	v_add_nc_u32_e32 v45, 8, v45
	v_add_nc_u32_e32 v46, 8, v46
	v_cmp_lt_u32_e32 vcc_lo, 12, v44
	s_or_b32 s5, vcc_lo, s5
	s_waitcnt vmcnt(0) lgkmcnt(0)
	v_fma_f64 v[39:40], v[47:48], v[49:50], v[39:40]
	s_andn2_b32 exec_lo, exec_lo, s5
	s_cbranch_execnz .LBB82_65
; %bb.66:
	s_or_b32 exec_lo, exec_lo, s5
	v_mov_b32_e32 v44, 0
	ds_read_b64 v[44:45], v44 offset:112
	s_waitcnt lgkmcnt(0)
	v_mul_f64 v[39:40], v[39:40], v[44:45]
	buffer_store_dword v40, off, s[0:3], 0 offset:116
	buffer_store_dword v39, off, s[0:3], 0 offset:112
.LBB82_67:
	s_or_b32 exec_lo, exec_lo, s4
	s_waitcnt_vscnt null, 0x0
	s_barrier
	buffer_gl0_inv
	s_clause 0x1
	buffer_load_dword v39, off, s[0:3], 0 offset:120
	buffer_load_dword v40, off, s[0:3], 0 offset:124
	s_mov_b32 s4, exec_lo
	s_waitcnt vmcnt(0)
	ds_write_b64 v42, v[39:40]
	s_waitcnt lgkmcnt(0)
	s_barrier
	buffer_gl0_inv
	v_cmpx_gt_u32_e32 15, v0
	s_cbranch_execz .LBB82_71
; %bb.68:
	v_mov_b32_e32 v39, 0
	v_add_nc_u32_e32 v44, -1, v0
	v_add_nc_u32_e32 v45, 0xa0, v41
	v_mov_b32_e32 v40, 0
	v_mov_b32_e32 v46, v41
	s_mov_b32 s5, 0
.LBB82_69:                              ; =>This Inner Loop Header: Depth=1
	s_clause 0x1
	buffer_load_dword v47, v46, s[0:3], 0 offen
	buffer_load_dword v48, v46, s[0:3], 0 offen offset:4
	ds_read_b64 v[49:50], v45
	v_add_nc_u32_e32 v44, 1, v44
	v_add_nc_u32_e32 v45, 8, v45
	v_add_nc_u32_e32 v46, 8, v46
	v_cmp_lt_u32_e32 vcc_lo, 13, v44
	s_or_b32 s5, vcc_lo, s5
	s_waitcnt vmcnt(0) lgkmcnt(0)
	v_fma_f64 v[39:40], v[47:48], v[49:50], v[39:40]
	s_andn2_b32 exec_lo, exec_lo, s5
	s_cbranch_execnz .LBB82_69
; %bb.70:
	s_or_b32 exec_lo, exec_lo, s5
	v_mov_b32_e32 v44, 0
	ds_read_b64 v[44:45], v44 offset:120
	s_waitcnt lgkmcnt(0)
	v_mul_f64 v[39:40], v[39:40], v[44:45]
	buffer_store_dword v40, off, s[0:3], 0 offset:124
	buffer_store_dword v39, off, s[0:3], 0 offset:120
.LBB82_71:
	s_or_b32 exec_lo, exec_lo, s4
	s_waitcnt_vscnt null, 0x0
	s_barrier
	buffer_gl0_inv
	s_clause 0x1
	buffer_load_dword v39, off, s[0:3], 0 offset:128
	buffer_load_dword v40, off, s[0:3], 0 offset:132
	s_mov_b32 s4, exec_lo
	s_waitcnt vmcnt(0)
	ds_write_b64 v42, v[39:40]
	s_waitcnt lgkmcnt(0)
	s_barrier
	buffer_gl0_inv
	v_cmpx_gt_u32_e32 16, v0
	s_cbranch_execz .LBB82_75
; %bb.72:
	v_mov_b32_e32 v39, 0
	v_add_nc_u32_e32 v44, -1, v0
	v_add_nc_u32_e32 v45, 0xa0, v41
	v_mov_b32_e32 v40, 0
	v_mov_b32_e32 v46, v41
	s_mov_b32 s5, 0
.LBB82_73:                              ; =>This Inner Loop Header: Depth=1
	s_clause 0x1
	buffer_load_dword v47, v46, s[0:3], 0 offen
	buffer_load_dword v48, v46, s[0:3], 0 offen offset:4
	ds_read_b64 v[49:50], v45
	v_add_nc_u32_e32 v44, 1, v44
	v_add_nc_u32_e32 v45, 8, v45
	v_add_nc_u32_e32 v46, 8, v46
	v_cmp_lt_u32_e32 vcc_lo, 14, v44
	s_or_b32 s5, vcc_lo, s5
	s_waitcnt vmcnt(0) lgkmcnt(0)
	v_fma_f64 v[39:40], v[47:48], v[49:50], v[39:40]
	s_andn2_b32 exec_lo, exec_lo, s5
	s_cbranch_execnz .LBB82_73
; %bb.74:
	s_or_b32 exec_lo, exec_lo, s5
	v_mov_b32_e32 v44, 0
	ds_read_b64 v[44:45], v44 offset:128
	s_waitcnt lgkmcnt(0)
	v_mul_f64 v[39:40], v[39:40], v[44:45]
	buffer_store_dword v40, off, s[0:3], 0 offset:132
	buffer_store_dword v39, off, s[0:3], 0 offset:128
.LBB82_75:
	s_or_b32 exec_lo, exec_lo, s4
	s_waitcnt_vscnt null, 0x0
	s_barrier
	buffer_gl0_inv
	s_clause 0x1
	buffer_load_dword v39, off, s[0:3], 0 offset:136
	buffer_load_dword v40, off, s[0:3], 0 offset:140
	s_mov_b32 s4, exec_lo
	s_waitcnt vmcnt(0)
	ds_write_b64 v42, v[39:40]
	s_waitcnt lgkmcnt(0)
	s_barrier
	buffer_gl0_inv
	v_cmpx_gt_u32_e32 17, v0
	s_cbranch_execz .LBB82_79
; %bb.76:
	v_mov_b32_e32 v39, 0
	v_add_nc_u32_e32 v44, -1, v0
	v_add_nc_u32_e32 v45, 0xa0, v41
	v_mov_b32_e32 v40, 0
	v_mov_b32_e32 v46, v41
	s_mov_b32 s5, 0
.LBB82_77:                              ; =>This Inner Loop Header: Depth=1
	s_clause 0x1
	buffer_load_dword v47, v46, s[0:3], 0 offen
	buffer_load_dword v48, v46, s[0:3], 0 offen offset:4
	ds_read_b64 v[49:50], v45
	v_add_nc_u32_e32 v44, 1, v44
	v_add_nc_u32_e32 v45, 8, v45
	v_add_nc_u32_e32 v46, 8, v46
	v_cmp_lt_u32_e32 vcc_lo, 15, v44
	s_or_b32 s5, vcc_lo, s5
	s_waitcnt vmcnt(0) lgkmcnt(0)
	v_fma_f64 v[39:40], v[47:48], v[49:50], v[39:40]
	s_andn2_b32 exec_lo, exec_lo, s5
	s_cbranch_execnz .LBB82_77
; %bb.78:
	s_or_b32 exec_lo, exec_lo, s5
	v_mov_b32_e32 v44, 0
	ds_read_b64 v[44:45], v44 offset:136
	s_waitcnt lgkmcnt(0)
	v_mul_f64 v[39:40], v[39:40], v[44:45]
	buffer_store_dword v40, off, s[0:3], 0 offset:140
	buffer_store_dword v39, off, s[0:3], 0 offset:136
.LBB82_79:
	s_or_b32 exec_lo, exec_lo, s4
	s_waitcnt_vscnt null, 0x0
	s_barrier
	buffer_gl0_inv
	s_clause 0x1
	buffer_load_dword v39, off, s[0:3], 0 offset:144
	buffer_load_dword v40, off, s[0:3], 0 offset:148
	s_mov_b32 s4, exec_lo
	s_waitcnt vmcnt(0)
	ds_write_b64 v42, v[39:40]
	s_waitcnt lgkmcnt(0)
	s_barrier
	buffer_gl0_inv
	v_cmpx_ne_u32_e32 18, v0
	s_cbranch_execz .LBB82_83
; %bb.80:
	v_mov_b32_e32 v39, 0
	v_mov_b32_e32 v40, 0
	s_mov_b32 s5, 0
.LBB82_81:                              ; =>This Inner Loop Header: Depth=1
	s_clause 0x1
	buffer_load_dword v44, v41, s[0:3], 0 offen
	buffer_load_dword v45, v41, s[0:3], 0 offen offset:4
	ds_read_b64 v[46:47], v42
	v_add_nc_u32_e32 v43, 1, v43
	v_add_nc_u32_e32 v42, 8, v42
	;; [unrolled: 1-line block ×3, first 2 shown]
	v_cmp_lt_u32_e32 vcc_lo, 16, v43
	s_or_b32 s5, vcc_lo, s5
	s_waitcnt vmcnt(0) lgkmcnt(0)
	v_fma_f64 v[39:40], v[44:45], v[46:47], v[39:40]
	s_andn2_b32 exec_lo, exec_lo, s5
	s_cbranch_execnz .LBB82_81
; %bb.82:
	s_or_b32 exec_lo, exec_lo, s5
	v_mov_b32_e32 v41, 0
	ds_read_b64 v[41:42], v41 offset:144
	s_waitcnt lgkmcnt(0)
	v_mul_f64 v[39:40], v[39:40], v[41:42]
	buffer_store_dword v40, off, s[0:3], 0 offset:148
	buffer_store_dword v39, off, s[0:3], 0 offset:144
.LBB82_83:
	s_or_b32 exec_lo, exec_lo, s4
	s_mov_b32 s5, -1
	s_waitcnt_vscnt null, 0x0
	s_barrier
	buffer_gl0_inv
.LBB82_84:
	s_and_b32 vcc_lo, exec_lo, s5
	s_cbranch_vccz .LBB82_86
; %bb.85:
	s_lshl_b64 s[4:5], s[6:7], 2
	v_mov_b32_e32 v39, 0
	s_add_u32 s4, s10, s4
	s_addc_u32 s5, s11, s5
	global_load_dword v39, v39, s[4:5]
	s_waitcnt vmcnt(0)
	v_cmp_ne_u32_e32 vcc_lo, 0, v39
	s_cbranch_vccz .LBB82_87
.LBB82_86:
	s_endpgm
.LBB82_87:
	v_lshl_add_u32 v39, v0, 3, 0xa0
	s_mov_b32 s4, exec_lo
	v_cmpx_eq_u32_e32 18, v0
	s_cbranch_execz .LBB82_89
; %bb.88:
	s_clause 0x1
	buffer_load_dword v40, off, s[0:3], 0 offset:136
	buffer_load_dword v41, off, s[0:3], 0 offset:140
	v_mov_b32_e32 v42, 0
	buffer_store_dword v42, off, s[0:3], 0 offset:136
	buffer_store_dword v42, off, s[0:3], 0 offset:140
	s_waitcnt vmcnt(0)
	ds_write_b64 v39, v[40:41]
.LBB82_89:
	s_or_b32 exec_lo, exec_lo, s4
	s_waitcnt lgkmcnt(0)
	s_waitcnt_vscnt null, 0x0
	s_barrier
	buffer_gl0_inv
	s_clause 0x3
	buffer_load_dword v41, off, s[0:3], 0 offset:144
	buffer_load_dword v42, off, s[0:3], 0 offset:148
	;; [unrolled: 1-line block ×4, first 2 shown]
	v_mov_b32_e32 v40, 0
	s_mov_b32 s4, exec_lo
	ds_read_b64 v[45:46], v40 offset:304
	s_waitcnt vmcnt(2) lgkmcnt(0)
	v_fma_f64 v[41:42], v[41:42], v[45:46], 0
	s_waitcnt vmcnt(0)
	v_add_f64 v[41:42], v[43:44], -v[41:42]
	buffer_store_dword v41, off, s[0:3], 0 offset:136
	buffer_store_dword v42, off, s[0:3], 0 offset:140
	v_cmpx_lt_u32_e32 16, v0
	s_cbranch_execz .LBB82_91
; %bb.90:
	s_clause 0x1
	buffer_load_dword v41, off, s[0:3], 0 offset:128
	buffer_load_dword v42, off, s[0:3], 0 offset:132
	buffer_store_dword v40, off, s[0:3], 0 offset:128
	buffer_store_dword v40, off, s[0:3], 0 offset:132
	s_waitcnt vmcnt(0)
	ds_write_b64 v39, v[41:42]
.LBB82_91:
	s_or_b32 exec_lo, exec_lo, s4
	s_waitcnt lgkmcnt(0)
	s_waitcnt_vscnt null, 0x0
	s_barrier
	buffer_gl0_inv
	s_clause 0x5
	buffer_load_dword v44, off, s[0:3], 0 offset:136
	buffer_load_dword v45, off, s[0:3], 0 offset:140
	;; [unrolled: 1-line block ×6, first 2 shown]
	ds_read2_b64 v[40:43], v40 offset0:37 offset1:38
	s_mov_b32 s4, exec_lo
	s_waitcnt vmcnt(4) lgkmcnt(0)
	v_fma_f64 v[40:41], v[44:45], v[40:41], 0
	s_waitcnt vmcnt(2)
	v_fma_f64 v[40:41], v[46:47], v[42:43], v[40:41]
	s_waitcnt vmcnt(0)
	v_add_f64 v[40:41], v[48:49], -v[40:41]
	buffer_store_dword v40, off, s[0:3], 0 offset:128
	buffer_store_dword v41, off, s[0:3], 0 offset:132
	v_cmpx_lt_u32_e32 15, v0
	s_cbranch_execz .LBB82_93
; %bb.92:
	s_clause 0x1
	buffer_load_dword v40, off, s[0:3], 0 offset:120
	buffer_load_dword v41, off, s[0:3], 0 offset:124
	v_mov_b32_e32 v42, 0
	buffer_store_dword v42, off, s[0:3], 0 offset:120
	buffer_store_dword v42, off, s[0:3], 0 offset:124
	s_waitcnt vmcnt(0)
	ds_write_b64 v39, v[40:41]
.LBB82_93:
	s_or_b32 exec_lo, exec_lo, s4
	s_waitcnt lgkmcnt(0)
	s_waitcnt_vscnt null, 0x0
	s_barrier
	buffer_gl0_inv
	s_clause 0x7
	buffer_load_dword v45, off, s[0:3], 0 offset:128
	buffer_load_dword v46, off, s[0:3], 0 offset:132
	;; [unrolled: 1-line block ×8, first 2 shown]
	v_mov_b32_e32 v40, 0
	ds_read_b128 v[41:44], v40 offset:288
	ds_read_b64 v[53:54], v40 offset:304
	s_mov_b32 s4, exec_lo
	s_waitcnt vmcnt(6) lgkmcnt(1)
	v_fma_f64 v[41:42], v[45:46], v[41:42], 0
	s_waitcnt vmcnt(4)
	v_fma_f64 v[41:42], v[47:48], v[43:44], v[41:42]
	s_waitcnt vmcnt(2) lgkmcnt(0)
	v_fma_f64 v[41:42], v[49:50], v[53:54], v[41:42]
	s_waitcnt vmcnt(0)
	v_add_f64 v[41:42], v[51:52], -v[41:42]
	buffer_store_dword v41, off, s[0:3], 0 offset:120
	buffer_store_dword v42, off, s[0:3], 0 offset:124
	v_cmpx_lt_u32_e32 14, v0
	s_cbranch_execz .LBB82_95
; %bb.94:
	s_clause 0x1
	buffer_load_dword v41, off, s[0:3], 0 offset:112
	buffer_load_dword v42, off, s[0:3], 0 offset:116
	buffer_store_dword v40, off, s[0:3], 0 offset:112
	buffer_store_dword v40, off, s[0:3], 0 offset:116
	s_waitcnt vmcnt(0)
	ds_write_b64 v39, v[41:42]
.LBB82_95:
	s_or_b32 exec_lo, exec_lo, s4
	s_waitcnt lgkmcnt(0)
	s_waitcnt_vscnt null, 0x0
	s_barrier
	buffer_gl0_inv
	s_clause 0x9
	buffer_load_dword v49, off, s[0:3], 0 offset:120
	buffer_load_dword v50, off, s[0:3], 0 offset:124
	;; [unrolled: 1-line block ×10, first 2 shown]
	ds_read2_b64 v[41:44], v40 offset0:35 offset1:36
	ds_read2_b64 v[45:48], v40 offset0:37 offset1:38
	s_mov_b32 s4, exec_lo
	s_waitcnt vmcnt(8) lgkmcnt(1)
	v_fma_f64 v[40:41], v[49:50], v[41:42], 0
	s_waitcnt vmcnt(6)
	v_fma_f64 v[40:41], v[51:52], v[43:44], v[40:41]
	s_waitcnt vmcnt(4) lgkmcnt(0)
	v_fma_f64 v[40:41], v[53:54], v[45:46], v[40:41]
	s_waitcnt vmcnt(2)
	v_fma_f64 v[40:41], v[55:56], v[47:48], v[40:41]
	s_waitcnt vmcnt(0)
	v_add_f64 v[40:41], v[57:58], -v[40:41]
	buffer_store_dword v40, off, s[0:3], 0 offset:112
	buffer_store_dword v41, off, s[0:3], 0 offset:116
	v_cmpx_lt_u32_e32 13, v0
	s_cbranch_execz .LBB82_97
; %bb.96:
	s_clause 0x1
	buffer_load_dword v40, off, s[0:3], 0 offset:104
	buffer_load_dword v41, off, s[0:3], 0 offset:108
	v_mov_b32_e32 v42, 0
	buffer_store_dword v42, off, s[0:3], 0 offset:104
	buffer_store_dword v42, off, s[0:3], 0 offset:108
	s_waitcnt vmcnt(0)
	ds_write_b64 v39, v[40:41]
.LBB82_97:
	s_or_b32 exec_lo, exec_lo, s4
	s_waitcnt lgkmcnt(0)
	s_waitcnt_vscnt null, 0x0
	s_barrier
	buffer_gl0_inv
	s_clause 0xb
	buffer_load_dword v49, off, s[0:3], 0 offset:112
	buffer_load_dword v50, off, s[0:3], 0 offset:116
	;; [unrolled: 1-line block ×12, first 2 shown]
	v_mov_b32_e32 v40, 0
	ds_read_b128 v[41:44], v40 offset:272
	ds_read_b128 v[45:48], v40 offset:288
	s_mov_b32 s4, exec_lo
	s_waitcnt vmcnt(10) lgkmcnt(1)
	v_fma_f64 v[41:42], v[49:50], v[41:42], 0
	s_waitcnt vmcnt(8)
	v_fma_f64 v[41:42], v[51:52], v[43:44], v[41:42]
	ds_read_b64 v[43:44], v40 offset:304
	s_waitcnt vmcnt(6) lgkmcnt(1)
	v_fma_f64 v[41:42], v[53:54], v[45:46], v[41:42]
	s_waitcnt vmcnt(4)
	v_fma_f64 v[41:42], v[55:56], v[47:48], v[41:42]
	s_waitcnt vmcnt(2) lgkmcnt(0)
	v_fma_f64 v[41:42], v[57:58], v[43:44], v[41:42]
	s_waitcnt vmcnt(0)
	v_add_f64 v[41:42], v[59:60], -v[41:42]
	buffer_store_dword v41, off, s[0:3], 0 offset:104
	buffer_store_dword v42, off, s[0:3], 0 offset:108
	v_cmpx_lt_u32_e32 12, v0
	s_cbranch_execz .LBB82_99
; %bb.98:
	s_clause 0x1
	buffer_load_dword v41, off, s[0:3], 0 offset:96
	buffer_load_dword v42, off, s[0:3], 0 offset:100
	buffer_store_dword v40, off, s[0:3], 0 offset:96
	buffer_store_dword v40, off, s[0:3], 0 offset:100
	s_waitcnt vmcnt(0)
	ds_write_b64 v39, v[41:42]
.LBB82_99:
	s_or_b32 exec_lo, exec_lo, s4
	s_waitcnt lgkmcnt(0)
	s_waitcnt_vscnt null, 0x0
	s_barrier
	buffer_gl0_inv
	s_clause 0xd
	buffer_load_dword v49, off, s[0:3], 0 offset:104
	buffer_load_dword v50, off, s[0:3], 0 offset:108
	;; [unrolled: 1-line block ×14, first 2 shown]
	ds_read2_b64 v[41:44], v40 offset0:33 offset1:34
	ds_read2_b64 v[45:48], v40 offset0:35 offset1:36
	s_mov_b32 s4, exec_lo
	s_waitcnt vmcnt(12) lgkmcnt(1)
	v_fma_f64 v[41:42], v[49:50], v[41:42], 0
	s_waitcnt vmcnt(10)
	v_fma_f64 v[41:42], v[51:52], v[43:44], v[41:42]
	s_waitcnt vmcnt(8) lgkmcnt(0)
	v_fma_f64 v[41:42], v[53:54], v[45:46], v[41:42]
	s_waitcnt vmcnt(6)
	v_fma_f64 v[44:45], v[55:56], v[47:48], v[41:42]
	ds_read2_b64 v[40:43], v40 offset0:37 offset1:38
	s_waitcnt vmcnt(4) lgkmcnt(0)
	v_fma_f64 v[40:41], v[57:58], v[40:41], v[44:45]
	s_waitcnt vmcnt(2)
	v_fma_f64 v[40:41], v[59:60], v[42:43], v[40:41]
	s_waitcnt vmcnt(0)
	v_add_f64 v[40:41], v[61:62], -v[40:41]
	buffer_store_dword v40, off, s[0:3], 0 offset:96
	buffer_store_dword v41, off, s[0:3], 0 offset:100
	v_cmpx_lt_u32_e32 11, v0
	s_cbranch_execz .LBB82_101
; %bb.100:
	s_clause 0x1
	buffer_load_dword v40, off, s[0:3], 0 offset:88
	buffer_load_dword v41, off, s[0:3], 0 offset:92
	v_mov_b32_e32 v42, 0
	buffer_store_dword v42, off, s[0:3], 0 offset:88
	buffer_store_dword v42, off, s[0:3], 0 offset:92
	s_waitcnt vmcnt(0)
	ds_write_b64 v39, v[40:41]
.LBB82_101:
	s_or_b32 exec_lo, exec_lo, s4
	s_waitcnt lgkmcnt(0)
	s_waitcnt_vscnt null, 0x0
	s_barrier
	buffer_gl0_inv
	s_clause 0xf
	buffer_load_dword v49, off, s[0:3], 0 offset:96
	buffer_load_dword v50, off, s[0:3], 0 offset:100
	;; [unrolled: 1-line block ×16, first 2 shown]
	v_mov_b32_e32 v40, 0
	ds_read_b128 v[41:44], v40 offset:256
	ds_read_b128 v[45:48], v40 offset:272
	s_mov_b32 s4, exec_lo
	s_waitcnt vmcnt(14) lgkmcnt(1)
	v_fma_f64 v[41:42], v[49:50], v[41:42], 0
	s_waitcnt vmcnt(12)
	v_fma_f64 v[41:42], v[51:52], v[43:44], v[41:42]
	s_waitcnt vmcnt(10) lgkmcnt(0)
	v_fma_f64 v[41:42], v[53:54], v[45:46], v[41:42]
	s_waitcnt vmcnt(8)
	v_fma_f64 v[45:46], v[55:56], v[47:48], v[41:42]
	ds_read_b128 v[41:44], v40 offset:288
	ds_read_b64 v[47:48], v40 offset:304
	s_waitcnt vmcnt(6) lgkmcnt(1)
	v_fma_f64 v[41:42], v[57:58], v[41:42], v[45:46]
	s_waitcnt vmcnt(4)
	v_fma_f64 v[41:42], v[59:60], v[43:44], v[41:42]
	s_waitcnt vmcnt(2) lgkmcnt(0)
	v_fma_f64 v[41:42], v[61:62], v[47:48], v[41:42]
	s_waitcnt vmcnt(0)
	v_add_f64 v[41:42], v[63:64], -v[41:42]
	buffer_store_dword v41, off, s[0:3], 0 offset:88
	buffer_store_dword v42, off, s[0:3], 0 offset:92
	v_cmpx_lt_u32_e32 10, v0
	s_cbranch_execz .LBB82_103
; %bb.102:
	s_clause 0x1
	buffer_load_dword v41, off, s[0:3], 0 offset:80
	buffer_load_dword v42, off, s[0:3], 0 offset:84
	buffer_store_dword v40, off, s[0:3], 0 offset:80
	buffer_store_dword v40, off, s[0:3], 0 offset:84
	s_waitcnt vmcnt(0)
	ds_write_b64 v39, v[41:42]
.LBB82_103:
	s_or_b32 exec_lo, exec_lo, s4
	s_waitcnt lgkmcnt(0)
	s_waitcnt_vscnt null, 0x0
	s_barrier
	buffer_gl0_inv
	s_clause 0x11
	buffer_load_dword v49, off, s[0:3], 0 offset:88
	buffer_load_dword v50, off, s[0:3], 0 offset:92
	;; [unrolled: 1-line block ×18, first 2 shown]
	ds_read2_b64 v[41:44], v40 offset0:31 offset1:32
	ds_read2_b64 v[45:48], v40 offset0:33 offset1:34
	s_mov_b32 s4, exec_lo
	s_waitcnt vmcnt(16) lgkmcnt(1)
	v_fma_f64 v[41:42], v[49:50], v[41:42], 0
	s_waitcnt vmcnt(14)
	v_fma_f64 v[41:42], v[51:52], v[43:44], v[41:42]
	s_waitcnt vmcnt(12) lgkmcnt(0)
	v_fma_f64 v[41:42], v[53:54], v[45:46], v[41:42]
	s_waitcnt vmcnt(10)
	v_fma_f64 v[49:50], v[55:56], v[47:48], v[41:42]
	ds_read2_b64 v[41:44], v40 offset0:35 offset1:36
	ds_read2_b64 v[45:48], v40 offset0:37 offset1:38
	s_waitcnt vmcnt(8) lgkmcnt(1)
	v_fma_f64 v[40:41], v[57:58], v[41:42], v[49:50]
	s_waitcnt vmcnt(6)
	v_fma_f64 v[40:41], v[59:60], v[43:44], v[40:41]
	s_waitcnt vmcnt(4) lgkmcnt(0)
	v_fma_f64 v[40:41], v[61:62], v[45:46], v[40:41]
	s_waitcnt vmcnt(2)
	v_fma_f64 v[40:41], v[63:64], v[47:48], v[40:41]
	s_waitcnt vmcnt(0)
	v_add_f64 v[40:41], v[65:66], -v[40:41]
	buffer_store_dword v40, off, s[0:3], 0 offset:80
	buffer_store_dword v41, off, s[0:3], 0 offset:84
	v_cmpx_lt_u32_e32 9, v0
	s_cbranch_execz .LBB82_105
; %bb.104:
	s_clause 0x1
	buffer_load_dword v40, off, s[0:3], 0 offset:72
	buffer_load_dword v41, off, s[0:3], 0 offset:76
	v_mov_b32_e32 v42, 0
	buffer_store_dword v42, off, s[0:3], 0 offset:72
	buffer_store_dword v42, off, s[0:3], 0 offset:76
	s_waitcnt vmcnt(0)
	ds_write_b64 v39, v[40:41]
.LBB82_105:
	s_or_b32 exec_lo, exec_lo, s4
	s_waitcnt lgkmcnt(0)
	s_waitcnt_vscnt null, 0x0
	s_barrier
	buffer_gl0_inv
	s_clause 0x13
	buffer_load_dword v49, off, s[0:3], 0 offset:80
	buffer_load_dword v50, off, s[0:3], 0 offset:84
	;; [unrolled: 1-line block ×20, first 2 shown]
	v_mov_b32_e32 v40, 0
	ds_read_b128 v[41:44], v40 offset:240
	ds_read_b128 v[45:48], v40 offset:256
	s_mov_b32 s4, exec_lo
	s_waitcnt vmcnt(18) lgkmcnt(1)
	v_fma_f64 v[41:42], v[49:50], v[41:42], 0
	s_waitcnt vmcnt(16)
	v_fma_f64 v[41:42], v[51:52], v[43:44], v[41:42]
	s_waitcnt vmcnt(14) lgkmcnt(0)
	v_fma_f64 v[41:42], v[53:54], v[45:46], v[41:42]
	s_waitcnt vmcnt(12)
	v_fma_f64 v[49:50], v[55:56], v[47:48], v[41:42]
	ds_read_b128 v[41:44], v40 offset:272
	ds_read_b128 v[45:48], v40 offset:288
	s_waitcnt vmcnt(10) lgkmcnt(1)
	v_fma_f64 v[41:42], v[57:58], v[41:42], v[49:50]
	s_waitcnt vmcnt(8)
	v_fma_f64 v[41:42], v[59:60], v[43:44], v[41:42]
	ds_read_b64 v[43:44], v40 offset:304
	s_waitcnt vmcnt(6) lgkmcnt(1)
	v_fma_f64 v[41:42], v[61:62], v[45:46], v[41:42]
	s_waitcnt vmcnt(3)
	v_fma_f64 v[41:42], v[63:64], v[47:48], v[41:42]
	s_waitcnt vmcnt(2) lgkmcnt(0)
	v_fma_f64 v[41:42], v[65:66], v[43:44], v[41:42]
	s_waitcnt vmcnt(0)
	v_add_f64 v[41:42], v[67:68], -v[41:42]
	buffer_store_dword v41, off, s[0:3], 0 offset:72
	buffer_store_dword v42, off, s[0:3], 0 offset:76
	v_cmpx_lt_u32_e32 8, v0
	s_cbranch_execz .LBB82_107
; %bb.106:
	s_clause 0x1
	buffer_load_dword v41, off, s[0:3], 0 offset:64
	buffer_load_dword v42, off, s[0:3], 0 offset:68
	buffer_store_dword v40, off, s[0:3], 0 offset:64
	buffer_store_dword v40, off, s[0:3], 0 offset:68
	s_waitcnt vmcnt(0)
	ds_write_b64 v39, v[41:42]
.LBB82_107:
	s_or_b32 exec_lo, exec_lo, s4
	s_waitcnt lgkmcnt(0)
	s_waitcnt_vscnt null, 0x0
	s_barrier
	buffer_gl0_inv
	s_clause 0x15
	buffer_load_dword v49, off, s[0:3], 0 offset:72
	buffer_load_dword v50, off, s[0:3], 0 offset:76
	;; [unrolled: 1-line block ×22, first 2 shown]
	ds_read2_b64 v[41:44], v40 offset0:29 offset1:30
	ds_read2_b64 v[45:48], v40 offset0:31 offset1:32
	s_mov_b32 s4, exec_lo
	s_waitcnt vmcnt(20) lgkmcnt(1)
	v_fma_f64 v[41:42], v[49:50], v[41:42], 0
	s_waitcnt vmcnt(18)
	v_fma_f64 v[41:42], v[51:52], v[43:44], v[41:42]
	s_waitcnt vmcnt(16) lgkmcnt(0)
	v_fma_f64 v[41:42], v[53:54], v[45:46], v[41:42]
	s_waitcnt vmcnt(14)
	v_fma_f64 v[49:50], v[55:56], v[47:48], v[41:42]
	ds_read2_b64 v[41:44], v40 offset0:33 offset1:34
	ds_read2_b64 v[45:48], v40 offset0:35 offset1:36
	s_waitcnt vmcnt(12) lgkmcnt(1)
	v_fma_f64 v[41:42], v[57:58], v[41:42], v[49:50]
	s_waitcnt vmcnt(10)
	v_fma_f64 v[41:42], v[59:60], v[43:44], v[41:42]
	s_waitcnt vmcnt(8) lgkmcnt(0)
	v_fma_f64 v[41:42], v[61:62], v[45:46], v[41:42]
	s_waitcnt vmcnt(4)
	v_fma_f64 v[44:45], v[63:64], v[47:48], v[41:42]
	ds_read2_b64 v[40:43], v40 offset0:37 offset1:38
	s_waitcnt vmcnt(3) lgkmcnt(0)
	v_fma_f64 v[40:41], v[67:68], v[40:41], v[44:45]
	s_waitcnt vmcnt(2)
	v_fma_f64 v[40:41], v[65:66], v[42:43], v[40:41]
	s_waitcnt vmcnt(0)
	v_add_f64 v[40:41], v[69:70], -v[40:41]
	buffer_store_dword v40, off, s[0:3], 0 offset:64
	buffer_store_dword v41, off, s[0:3], 0 offset:68
	v_cmpx_lt_u32_e32 7, v0
	s_cbranch_execz .LBB82_109
; %bb.108:
	s_clause 0x1
	buffer_load_dword v40, off, s[0:3], 0 offset:56
	buffer_load_dword v41, off, s[0:3], 0 offset:60
	v_mov_b32_e32 v42, 0
	buffer_store_dword v42, off, s[0:3], 0 offset:56
	buffer_store_dword v42, off, s[0:3], 0 offset:60
	s_waitcnt vmcnt(0)
	ds_write_b64 v39, v[40:41]
.LBB82_109:
	s_or_b32 exec_lo, exec_lo, s4
	s_waitcnt lgkmcnt(0)
	s_waitcnt_vscnt null, 0x0
	s_barrier
	buffer_gl0_inv
	s_clause 0x17
	buffer_load_dword v49, off, s[0:3], 0 offset:64
	buffer_load_dword v50, off, s[0:3], 0 offset:68
	;; [unrolled: 1-line block ×24, first 2 shown]
	v_mov_b32_e32 v40, 0
	ds_read_b128 v[41:44], v40 offset:224
	ds_read_b128 v[45:48], v40 offset:240
	s_mov_b32 s4, exec_lo
	s_waitcnt vmcnt(22) lgkmcnt(1)
	v_fma_f64 v[41:42], v[49:50], v[41:42], 0
	s_waitcnt vmcnt(20)
	v_fma_f64 v[41:42], v[51:52], v[43:44], v[41:42]
	s_waitcnt vmcnt(18) lgkmcnt(0)
	v_fma_f64 v[41:42], v[53:54], v[45:46], v[41:42]
	s_waitcnt vmcnt(16)
	v_fma_f64 v[49:50], v[55:56], v[47:48], v[41:42]
	ds_read_b128 v[41:44], v40 offset:256
	ds_read_b128 v[45:48], v40 offset:272
	s_waitcnt vmcnt(14) lgkmcnt(1)
	v_fma_f64 v[41:42], v[57:58], v[41:42], v[49:50]
	s_waitcnt vmcnt(12)
	v_fma_f64 v[41:42], v[59:60], v[43:44], v[41:42]
	s_waitcnt vmcnt(10) lgkmcnt(0)
	v_fma_f64 v[41:42], v[61:62], v[45:46], v[41:42]
	s_waitcnt vmcnt(5)
	v_fma_f64 v[45:46], v[63:64], v[47:48], v[41:42]
	ds_read_b128 v[41:44], v40 offset:288
	ds_read_b64 v[47:48], v40 offset:304
	s_waitcnt vmcnt(4) lgkmcnt(1)
	v_fma_f64 v[41:42], v[69:70], v[41:42], v[45:46]
	s_waitcnt vmcnt(3)
	v_fma_f64 v[41:42], v[67:68], v[43:44], v[41:42]
	s_waitcnt vmcnt(2) lgkmcnt(0)
	v_fma_f64 v[41:42], v[65:66], v[47:48], v[41:42]
	s_waitcnt vmcnt(0)
	v_add_f64 v[41:42], v[71:72], -v[41:42]
	buffer_store_dword v42, off, s[0:3], 0 offset:60
	buffer_store_dword v41, off, s[0:3], 0 offset:56
	v_cmpx_lt_u32_e32 6, v0
	s_cbranch_execz .LBB82_111
; %bb.110:
	s_clause 0x1
	buffer_load_dword v41, off, s[0:3], 0 offset:48
	buffer_load_dword v42, off, s[0:3], 0 offset:52
	buffer_store_dword v40, off, s[0:3], 0 offset:48
	buffer_store_dword v40, off, s[0:3], 0 offset:52
	s_waitcnt vmcnt(0)
	ds_write_b64 v39, v[41:42]
.LBB82_111:
	s_or_b32 exec_lo, exec_lo, s4
	s_waitcnt lgkmcnt(0)
	s_waitcnt_vscnt null, 0x0
	s_barrier
	buffer_gl0_inv
	s_clause 0x19
	buffer_load_dword v49, off, s[0:3], 0 offset:56
	buffer_load_dword v50, off, s[0:3], 0 offset:60
	;; [unrolled: 1-line block ×26, first 2 shown]
	ds_read2_b64 v[41:44], v40 offset0:27 offset1:28
	ds_read2_b64 v[45:48], v40 offset0:29 offset1:30
	s_mov_b32 s4, exec_lo
	s_waitcnt vmcnt(24) lgkmcnt(1)
	v_fma_f64 v[41:42], v[49:50], v[41:42], 0
	s_waitcnt vmcnt(22)
	v_fma_f64 v[41:42], v[51:52], v[43:44], v[41:42]
	s_waitcnt vmcnt(20) lgkmcnt(0)
	v_fma_f64 v[41:42], v[53:54], v[45:46], v[41:42]
	s_waitcnt vmcnt(18)
	v_fma_f64 v[49:50], v[55:56], v[47:48], v[41:42]
	ds_read2_b64 v[41:44], v40 offset0:31 offset1:32
	ds_read2_b64 v[45:48], v40 offset0:33 offset1:34
	s_waitcnt vmcnt(16) lgkmcnt(1)
	v_fma_f64 v[41:42], v[57:58], v[41:42], v[49:50]
	s_waitcnt vmcnt(14)
	v_fma_f64 v[41:42], v[59:60], v[43:44], v[41:42]
	s_waitcnt vmcnt(12) lgkmcnt(0)
	v_fma_f64 v[41:42], v[61:62], v[45:46], v[41:42]
	s_waitcnt vmcnt(7)
	v_fma_f64 v[49:50], v[63:64], v[47:48], v[41:42]
	ds_read2_b64 v[41:44], v40 offset0:35 offset1:36
	ds_read2_b64 v[45:48], v40 offset0:37 offset1:38
	s_waitcnt vmcnt(6) lgkmcnt(1)
	v_fma_f64 v[40:41], v[69:70], v[41:42], v[49:50]
	s_waitcnt vmcnt(5)
	v_fma_f64 v[40:41], v[67:68], v[43:44], v[40:41]
	s_waitcnt vmcnt(4) lgkmcnt(0)
	v_fma_f64 v[40:41], v[65:66], v[45:46], v[40:41]
	s_waitcnt vmcnt(2)
	v_fma_f64 v[40:41], v[71:72], v[47:48], v[40:41]
	s_waitcnt vmcnt(0)
	v_add_f64 v[40:41], v[73:74], -v[40:41]
	buffer_store_dword v41, off, s[0:3], 0 offset:52
	buffer_store_dword v40, off, s[0:3], 0 offset:48
	v_cmpx_lt_u32_e32 5, v0
	s_cbranch_execz .LBB82_113
; %bb.112:
	s_clause 0x1
	buffer_load_dword v40, off, s[0:3], 0 offset:40
	buffer_load_dword v41, off, s[0:3], 0 offset:44
	v_mov_b32_e32 v42, 0
	buffer_store_dword v42, off, s[0:3], 0 offset:40
	buffer_store_dword v42, off, s[0:3], 0 offset:44
	s_waitcnt vmcnt(0)
	ds_write_b64 v39, v[40:41]
.LBB82_113:
	s_or_b32 exec_lo, exec_lo, s4
	s_waitcnt lgkmcnt(0)
	s_waitcnt_vscnt null, 0x0
	s_barrier
	buffer_gl0_inv
	s_clause 0x1b
	buffer_load_dword v49, off, s[0:3], 0 offset:48
	buffer_load_dword v50, off, s[0:3], 0 offset:52
	;; [unrolled: 1-line block ×28, first 2 shown]
	v_mov_b32_e32 v40, 0
	ds_read_b128 v[41:44], v40 offset:208
	ds_read_b128 v[45:48], v40 offset:224
	s_mov_b32 s4, exec_lo
	s_waitcnt vmcnt(26) lgkmcnt(1)
	v_fma_f64 v[41:42], v[49:50], v[41:42], 0
	s_waitcnt vmcnt(24)
	v_fma_f64 v[41:42], v[51:52], v[43:44], v[41:42]
	s_waitcnt vmcnt(22) lgkmcnt(0)
	v_fma_f64 v[41:42], v[53:54], v[45:46], v[41:42]
	s_waitcnt vmcnt(20)
	v_fma_f64 v[49:50], v[55:56], v[47:48], v[41:42]
	ds_read_b128 v[41:44], v40 offset:240
	ds_read_b128 v[45:48], v40 offset:256
	s_waitcnt vmcnt(18) lgkmcnt(1)
	v_fma_f64 v[41:42], v[57:58], v[41:42], v[49:50]
	s_waitcnt vmcnt(16)
	v_fma_f64 v[41:42], v[59:60], v[43:44], v[41:42]
	s_waitcnt vmcnt(14) lgkmcnt(0)
	v_fma_f64 v[41:42], v[61:62], v[45:46], v[41:42]
	s_waitcnt vmcnt(9)
	v_fma_f64 v[49:50], v[63:64], v[47:48], v[41:42]
	ds_read_b128 v[41:44], v40 offset:272
	ds_read_b128 v[45:48], v40 offset:288
	s_waitcnt vmcnt(8) lgkmcnt(1)
	v_fma_f64 v[41:42], v[69:70], v[41:42], v[49:50]
	s_waitcnt vmcnt(7)
	v_fma_f64 v[41:42], v[67:68], v[43:44], v[41:42]
	ds_read_b64 v[43:44], v40 offset:304
	s_waitcnt vmcnt(6) lgkmcnt(1)
	v_fma_f64 v[41:42], v[65:66], v[45:46], v[41:42]
	s_waitcnt vmcnt(3)
	v_fma_f64 v[41:42], v[71:72], v[47:48], v[41:42]
	s_waitcnt vmcnt(2) lgkmcnt(0)
	v_fma_f64 v[41:42], v[73:74], v[43:44], v[41:42]
	s_waitcnt vmcnt(0)
	v_add_f64 v[41:42], v[75:76], -v[41:42]
	buffer_store_dword v42, off, s[0:3], 0 offset:44
	buffer_store_dword v41, off, s[0:3], 0 offset:40
	v_cmpx_lt_u32_e32 4, v0
	s_cbranch_execz .LBB82_115
; %bb.114:
	s_clause 0x1
	buffer_load_dword v41, off, s[0:3], 0 offset:32
	buffer_load_dword v42, off, s[0:3], 0 offset:36
	buffer_store_dword v40, off, s[0:3], 0 offset:32
	buffer_store_dword v40, off, s[0:3], 0 offset:36
	s_waitcnt vmcnt(0)
	ds_write_b64 v39, v[41:42]
.LBB82_115:
	s_or_b32 exec_lo, exec_lo, s4
	s_waitcnt lgkmcnt(0)
	s_waitcnt_vscnt null, 0x0
	s_barrier
	buffer_gl0_inv
	s_clause 0x1b
	buffer_load_dword v49, off, s[0:3], 0 offset:40
	buffer_load_dword v50, off, s[0:3], 0 offset:44
	;; [unrolled: 1-line block ×28, first 2 shown]
	ds_read2_b64 v[41:44], v40 offset0:25 offset1:26
	s_clause 0x1
	buffer_load_dword v77, off, s[0:3], 0 offset:32
	buffer_load_dword v78, off, s[0:3], 0 offset:36
	ds_read2_b64 v[45:48], v40 offset0:27 offset1:28
	s_mov_b32 s4, exec_lo
	s_waitcnt vmcnt(28) lgkmcnt(1)
	v_fma_f64 v[41:42], v[49:50], v[41:42], 0
	s_waitcnt vmcnt(26)
	v_fma_f64 v[41:42], v[51:52], v[43:44], v[41:42]
	s_waitcnt vmcnt(24) lgkmcnt(0)
	v_fma_f64 v[41:42], v[53:54], v[45:46], v[41:42]
	s_waitcnt vmcnt(22)
	v_fma_f64 v[49:50], v[55:56], v[47:48], v[41:42]
	ds_read2_b64 v[41:44], v40 offset0:29 offset1:30
	ds_read2_b64 v[45:48], v40 offset0:31 offset1:32
	s_waitcnt vmcnt(20) lgkmcnt(1)
	v_fma_f64 v[41:42], v[57:58], v[41:42], v[49:50]
	s_waitcnt vmcnt(18)
	v_fma_f64 v[41:42], v[59:60], v[43:44], v[41:42]
	s_waitcnt vmcnt(16) lgkmcnt(0)
	v_fma_f64 v[41:42], v[61:62], v[45:46], v[41:42]
	s_waitcnt vmcnt(11)
	v_fma_f64 v[49:50], v[63:64], v[47:48], v[41:42]
	ds_read2_b64 v[41:44], v40 offset0:33 offset1:34
	ds_read2_b64 v[45:48], v40 offset0:35 offset1:36
	s_waitcnt vmcnt(10) lgkmcnt(1)
	v_fma_f64 v[41:42], v[69:70], v[41:42], v[49:50]
	s_waitcnt vmcnt(9)
	v_fma_f64 v[41:42], v[67:68], v[43:44], v[41:42]
	s_waitcnt vmcnt(8) lgkmcnt(0)
	v_fma_f64 v[41:42], v[65:66], v[45:46], v[41:42]
	s_waitcnt vmcnt(4)
	v_fma_f64 v[44:45], v[71:72], v[47:48], v[41:42]
	ds_read2_b64 v[40:43], v40 offset0:37 offset1:38
	s_waitcnt vmcnt(3) lgkmcnt(0)
	v_fma_f64 v[40:41], v[75:76], v[40:41], v[44:45]
	s_waitcnt vmcnt(2)
	v_fma_f64 v[40:41], v[73:74], v[42:43], v[40:41]
	s_waitcnt vmcnt(0)
	v_add_f64 v[40:41], v[77:78], -v[40:41]
	buffer_store_dword v41, off, s[0:3], 0 offset:36
	buffer_store_dword v40, off, s[0:3], 0 offset:32
	v_cmpx_lt_u32_e32 3, v0
	s_cbranch_execz .LBB82_117
; %bb.116:
	s_clause 0x1
	buffer_load_dword v40, off, s[0:3], 0 offset:24
	buffer_load_dword v41, off, s[0:3], 0 offset:28
	v_mov_b32_e32 v42, 0
	buffer_store_dword v42, off, s[0:3], 0 offset:24
	buffer_store_dword v42, off, s[0:3], 0 offset:28
	s_waitcnt vmcnt(0)
	ds_write_b64 v39, v[40:41]
.LBB82_117:
	s_or_b32 exec_lo, exec_lo, s4
	s_waitcnt lgkmcnt(0)
	s_waitcnt_vscnt null, 0x0
	s_barrier
	buffer_gl0_inv
	s_clause 0x1c
	buffer_load_dword v49, off, s[0:3], 0 offset:32
	buffer_load_dword v50, off, s[0:3], 0 offset:36
	;; [unrolled: 1-line block ×29, first 2 shown]
	v_mov_b32_e32 v40, 0
	buffer_load_dword v74, off, s[0:3], 0 offset:148
	s_mov_b32 s4, exec_lo
	ds_read_b128 v[41:44], v40 offset:192
	ds_read_b128 v[45:48], v40 offset:208
	s_waitcnt vmcnt(28) lgkmcnt(1)
	v_fma_f64 v[41:42], v[49:50], v[41:42], 0
	s_clause 0x1
	buffer_load_dword v49, off, s[0:3], 0 offset:24
	buffer_load_dword v50, off, s[0:3], 0 offset:28
	s_waitcnt vmcnt(28)
	v_fma_f64 v[41:42], v[51:52], v[43:44], v[41:42]
	s_waitcnt vmcnt(26) lgkmcnt(0)
	v_fma_f64 v[41:42], v[53:54], v[45:46], v[41:42]
	s_waitcnt vmcnt(24)
	v_fma_f64 v[51:52], v[55:56], v[47:48], v[41:42]
	ds_read_b128 v[41:44], v40 offset:224
	ds_read_b128 v[45:48], v40 offset:240
	s_waitcnt vmcnt(22) lgkmcnt(1)
	v_fma_f64 v[41:42], v[57:58], v[41:42], v[51:52]
	s_waitcnt vmcnt(20)
	v_fma_f64 v[41:42], v[59:60], v[43:44], v[41:42]
	s_waitcnt vmcnt(18) lgkmcnt(0)
	v_fma_f64 v[41:42], v[61:62], v[45:46], v[41:42]
	s_waitcnt vmcnt(13)
	v_fma_f64 v[51:52], v[63:64], v[47:48], v[41:42]
	ds_read_b128 v[41:44], v40 offset:256
	ds_read_b128 v[45:48], v40 offset:272
	s_waitcnt vmcnt(12) lgkmcnt(1)
	v_fma_f64 v[41:42], v[69:70], v[41:42], v[51:52]
	s_waitcnt vmcnt(11)
	v_fma_f64 v[41:42], v[67:68], v[43:44], v[41:42]
	s_waitcnt vmcnt(10) lgkmcnt(0)
	v_fma_f64 v[41:42], v[65:66], v[45:46], v[41:42]
	s_waitcnt vmcnt(5)
	v_fma_f64 v[45:46], v[71:72], v[47:48], v[41:42]
	ds_read_b128 v[41:44], v40 offset:288
	ds_read_b64 v[47:48], v40 offset:304
	s_waitcnt vmcnt(4) lgkmcnt(1)
	v_fma_f64 v[41:42], v[77:78], v[41:42], v[45:46]
	s_waitcnt vmcnt(3)
	v_fma_f64 v[41:42], v[75:76], v[43:44], v[41:42]
	s_waitcnt vmcnt(2) lgkmcnt(0)
	v_fma_f64 v[41:42], v[73:74], v[47:48], v[41:42]
	s_waitcnt vmcnt(0)
	v_add_f64 v[41:42], v[49:50], -v[41:42]
	buffer_store_dword v42, off, s[0:3], 0 offset:28
	buffer_store_dword v41, off, s[0:3], 0 offset:24
	v_cmpx_lt_u32_e32 2, v0
	s_cbranch_execz .LBB82_119
; %bb.118:
	s_clause 0x1
	buffer_load_dword v41, off, s[0:3], 0 offset:16
	buffer_load_dword v42, off, s[0:3], 0 offset:20
	buffer_store_dword v40, off, s[0:3], 0 offset:16
	buffer_store_dword v40, off, s[0:3], 0 offset:20
	s_waitcnt vmcnt(0)
	ds_write_b64 v39, v[41:42]
.LBB82_119:
	s_or_b32 exec_lo, exec_lo, s4
	s_waitcnt lgkmcnt(0)
	s_waitcnt_vscnt null, 0x0
	s_barrier
	buffer_gl0_inv
	s_clause 0x1c
	buffer_load_dword v49, off, s[0:3], 0 offset:24
	buffer_load_dword v50, off, s[0:3], 0 offset:28
	;; [unrolled: 1-line block ×29, first 2 shown]
	ds_read2_b64 v[41:44], v40 offset0:23 offset1:24
	ds_read2_b64 v[45:48], v40 offset0:25 offset1:26
	buffer_load_dword v74, off, s[0:3], 0 offset:140
	s_mov_b32 s4, exec_lo
	s_waitcnt vmcnt(28) lgkmcnt(1)
	v_fma_f64 v[41:42], v[49:50], v[41:42], 0
	s_clause 0x1
	buffer_load_dword v50, off, s[0:3], 0 offset:148
	buffer_load_dword v49, off, s[0:3], 0 offset:144
	s_waitcnt vmcnt(28)
	v_fma_f64 v[41:42], v[51:52], v[43:44], v[41:42]
	s_clause 0x1
	buffer_load_dword v51, off, s[0:3], 0 offset:16
	buffer_load_dword v52, off, s[0:3], 0 offset:20
	s_waitcnt vmcnt(28) lgkmcnt(0)
	v_fma_f64 v[41:42], v[53:54], v[45:46], v[41:42]
	s_waitcnt vmcnt(26)
	v_fma_f64 v[53:54], v[55:56], v[47:48], v[41:42]
	ds_read2_b64 v[41:44], v40 offset0:27 offset1:28
	ds_read2_b64 v[45:48], v40 offset0:29 offset1:30
	s_waitcnt vmcnt(24) lgkmcnt(1)
	v_fma_f64 v[41:42], v[57:58], v[41:42], v[53:54]
	s_waitcnt vmcnt(22)
	v_fma_f64 v[41:42], v[59:60], v[43:44], v[41:42]
	s_waitcnt vmcnt(20) lgkmcnt(0)
	v_fma_f64 v[41:42], v[61:62], v[45:46], v[41:42]
	s_waitcnt vmcnt(15)
	v_fma_f64 v[53:54], v[63:64], v[47:48], v[41:42]
	ds_read2_b64 v[41:44], v40 offset0:31 offset1:32
	ds_read2_b64 v[45:48], v40 offset0:33 offset1:34
	s_waitcnt vmcnt(14) lgkmcnt(1)
	v_fma_f64 v[41:42], v[69:70], v[41:42], v[53:54]
	s_waitcnt vmcnt(13)
	v_fma_f64 v[41:42], v[67:68], v[43:44], v[41:42]
	;; [unrolled: 10-line block ×3, first 2 shown]
	s_waitcnt vmcnt(4) lgkmcnt(0)
	v_fma_f64 v[40:41], v[73:74], v[45:46], v[40:41]
	s_waitcnt vmcnt(2)
	v_fma_f64 v[40:41], v[49:50], v[47:48], v[40:41]
	s_waitcnt vmcnt(0)
	v_add_f64 v[40:41], v[51:52], -v[40:41]
	buffer_store_dword v41, off, s[0:3], 0 offset:20
	buffer_store_dword v40, off, s[0:3], 0 offset:16
	v_cmpx_lt_u32_e32 1, v0
	s_cbranch_execz .LBB82_121
; %bb.120:
	s_clause 0x1
	buffer_load_dword v40, off, s[0:3], 0 offset:8
	buffer_load_dword v41, off, s[0:3], 0 offset:12
	v_mov_b32_e32 v42, 0
	buffer_store_dword v42, off, s[0:3], 0 offset:8
	buffer_store_dword v42, off, s[0:3], 0 offset:12
	s_waitcnt vmcnt(0)
	ds_write_b64 v39, v[40:41]
.LBB82_121:
	s_or_b32 exec_lo, exec_lo, s4
	s_waitcnt lgkmcnt(0)
	s_waitcnt_vscnt null, 0x0
	s_barrier
	buffer_gl0_inv
	s_clause 0x1c
	buffer_load_dword v50, off, s[0:3], 0 offset:16
	buffer_load_dword v51, off, s[0:3], 0 offset:20
	;; [unrolled: 1-line block ×29, first 2 shown]
	v_mov_b32_e32 v41, 0
	buffer_load_dword v75, off, s[0:3], 0 offset:132
	s_mov_b32 s4, exec_lo
	ds_read_b128 v[42:45], v41 offset:176
	ds_read_b128 v[46:49], v41 offset:192
	s_waitcnt vmcnt(28) lgkmcnt(1)
	v_fma_f64 v[42:43], v[50:51], v[42:43], 0
	s_clause 0x3
	buffer_load_dword v51, off, s[0:3], 0 offset:140
	buffer_load_dword v80, off, s[0:3], 0 offset:144
	buffer_load_dword v50, off, s[0:3], 0 offset:136
	buffer_load_dword v81, off, s[0:3], 0 offset:148
	s_waitcnt vmcnt(30)
	v_fma_f64 v[42:43], v[52:53], v[44:45], v[42:43]
	s_clause 0x1
	buffer_load_dword v52, off, s[0:3], 0 offset:8
	buffer_load_dword v53, off, s[0:3], 0 offset:12
	s_waitcnt vmcnt(30) lgkmcnt(0)
	v_fma_f64 v[42:43], v[54:55], v[46:47], v[42:43]
	s_waitcnt vmcnt(28)
	v_fma_f64 v[54:55], v[56:57], v[48:49], v[42:43]
	ds_read_b128 v[42:45], v41 offset:208
	ds_read_b128 v[46:49], v41 offset:224
	s_waitcnt vmcnt(26) lgkmcnt(1)
	v_fma_f64 v[42:43], v[58:59], v[42:43], v[54:55]
	s_waitcnt vmcnt(24)
	v_fma_f64 v[42:43], v[60:61], v[44:45], v[42:43]
	s_waitcnt vmcnt(22) lgkmcnt(0)
	v_fma_f64 v[42:43], v[62:63], v[46:47], v[42:43]
	s_waitcnt vmcnt(17)
	v_fma_f64 v[54:55], v[64:65], v[48:49], v[42:43]
	ds_read_b128 v[42:45], v41 offset:240
	ds_read_b128 v[46:49], v41 offset:256
	s_waitcnt vmcnt(16) lgkmcnt(1)
	v_fma_f64 v[42:43], v[70:71], v[42:43], v[54:55]
	s_waitcnt vmcnt(15)
	v_fma_f64 v[42:43], v[68:69], v[44:45], v[42:43]
	;; [unrolled: 10-line block ×3, first 2 shown]
	ds_read_b64 v[44:45], v41 offset:304
	s_waitcnt vmcnt(6) lgkmcnt(1)
	v_fma_f64 v[42:43], v[74:75], v[46:47], v[42:43]
	s_waitcnt vmcnt(3)
	v_fma_f64 v[42:43], v[50:51], v[48:49], v[42:43]
	s_waitcnt vmcnt(2) lgkmcnt(0)
	v_fma_f64 v[42:43], v[80:81], v[44:45], v[42:43]
	s_waitcnt vmcnt(0)
	v_add_f64 v[42:43], v[52:53], -v[42:43]
	buffer_store_dword v43, off, s[0:3], 0 offset:12
	buffer_store_dword v42, off, s[0:3], 0 offset:8
	v_cmpx_ne_u32_e32 0, v0
	s_cbranch_execz .LBB82_123
; %bb.122:
	s_clause 0x1
	buffer_load_dword v42, off, s[0:3], 0
	buffer_load_dword v43, off, s[0:3], 0 offset:4
	buffer_store_dword v41, off, s[0:3], 0
	buffer_store_dword v41, off, s[0:3], 0 offset:4
	s_waitcnt vmcnt(0)
	ds_write_b64 v39, v[42:43]
.LBB82_123:
	s_or_b32 exec_lo, exec_lo, s4
	s_waitcnt lgkmcnt(0)
	s_waitcnt_vscnt null, 0x0
	s_barrier
	buffer_gl0_inv
	s_clause 0x1c
	buffer_load_dword v39, off, s[0:3], 0 offset:8
	buffer_load_dword v40, off, s[0:3], 0 offset:12
	;; [unrolled: 1-line block ×29, first 2 shown]
	ds_read2_b64 v[42:45], v41 offset0:21 offset1:22
	ds_read2_b64 v[46:49], v41 offset0:23 offset1:24
	buffer_load_dword v73, off, s[0:3], 0 offset:124
	s_and_b32 vcc_lo, exec_lo, s16
	s_waitcnt vmcnt(28) lgkmcnt(1)
	v_fma_f64 v[42:43], v[39:40], v[42:43], 0
	s_clause 0x5
	buffer_load_dword v79, off, s[0:3], 0 offset:132
	buffer_load_dword v80, off, s[0:3], 0 offset:144
	;; [unrolled: 1-line block ×6, first 2 shown]
	s_waitcnt vmcnt(32)
	v_fma_f64 v[42:43], v[50:51], v[44:45], v[42:43]
	s_waitcnt vmcnt(30) lgkmcnt(0)
	v_fma_f64 v[42:43], v[52:53], v[46:47], v[42:43]
	s_waitcnt vmcnt(28)
	v_fma_f64 v[50:51], v[54:55], v[48:49], v[42:43]
	ds_read2_b64 v[42:45], v41 offset0:25 offset1:26
	s_clause 0x1
	buffer_load_dword v52, off, s[0:3], 0
	buffer_load_dword v53, off, s[0:3], 0 offset:4
	ds_read2_b64 v[46:49], v41 offset0:27 offset1:28
	s_waitcnt vmcnt(28) lgkmcnt(1)
	v_fma_f64 v[42:43], v[56:57], v[42:43], v[50:51]
	s_waitcnt vmcnt(26)
	v_fma_f64 v[42:43], v[58:59], v[44:45], v[42:43]
	s_waitcnt vmcnt(24) lgkmcnt(0)
	v_fma_f64 v[42:43], v[60:61], v[46:47], v[42:43]
	s_waitcnt vmcnt(19)
	v_fma_f64 v[50:51], v[62:63], v[48:49], v[42:43]
	ds_read2_b64 v[42:45], v41 offset0:29 offset1:30
	ds_read2_b64 v[46:49], v41 offset0:31 offset1:32
	s_waitcnt vmcnt(18) lgkmcnt(1)
	v_fma_f64 v[42:43], v[68:69], v[42:43], v[50:51]
	s_waitcnt vmcnt(17)
	v_fma_f64 v[42:43], v[66:67], v[44:45], v[42:43]
	s_waitcnt vmcnt(16) lgkmcnt(0)
	v_fma_f64 v[42:43], v[64:65], v[46:47], v[42:43]
	s_waitcnt vmcnt(11)
	v_fma_f64 v[50:51], v[70:71], v[48:49], v[42:43]
	ds_read2_b64 v[42:45], v41 offset0:33 offset1:34
	;; [unrolled: 10-line block ×3, first 2 shown]
	s_waitcnt vmcnt(3) lgkmcnt(0)
	v_fma_f64 v[41:42], v[39:40], v[41:42], v[45:46]
	s_waitcnt vmcnt(2)
	v_fma_f64 v[41:42], v[80:81], v[43:44], v[41:42]
	s_waitcnt vmcnt(0)
	v_add_f64 v[41:42], v[52:53], -v[41:42]
	buffer_store_dword v42, off, s[0:3], 0 offset:4
	buffer_store_dword v41, off, s[0:3], 0
	s_cbranch_vccz .LBB82_160
; %bb.124:
	v_mov_b32_e32 v0, 0
	global_load_dword v41, v0, s[12:13] offset:68
	s_waitcnt vmcnt(0)
	v_add_nc_u32_e32 v41, -1, v41
	v_cmp_ne_u32_e32 vcc_lo, 17, v41
	s_cbranch_vccz .LBB82_126
; %bb.125:
	v_lshlrev_b32_e32 v41, 3, v41
	s_clause 0x1
	buffer_load_dword v42, v41, s[0:3], 0 offen
	buffer_load_dword v43, v41, s[0:3], 0 offen offset:4
	s_waitcnt vmcnt(1)
	buffer_store_dword v42, off, s[0:3], 0 offset:136
	s_waitcnt vmcnt(0)
	buffer_store_dword v43, off, s[0:3], 0 offset:140
	buffer_store_dword v39, v41, s[0:3], 0 offen
	buffer_store_dword v40, v41, s[0:3], 0 offen offset:4
.LBB82_126:
	global_load_dword v0, v0, s[12:13] offset:64
	s_waitcnt vmcnt(0)
	v_add_nc_u32_e32 v0, -1, v0
	v_cmp_eq_u32_e32 vcc_lo, 16, v0
	s_cbranch_vccnz .LBB82_128
; %bb.127:
	v_lshlrev_b32_e32 v0, 3, v0
	s_clause 0x3
	buffer_load_dword v39, v0, s[0:3], 0 offen
	buffer_load_dword v40, v0, s[0:3], 0 offen offset:4
	buffer_load_dword v41, off, s[0:3], 0 offset:132
	buffer_load_dword v42, off, s[0:3], 0 offset:128
	s_waitcnt vmcnt(3)
	buffer_store_dword v39, off, s[0:3], 0 offset:128
	s_waitcnt vmcnt(2)
	buffer_store_dword v40, off, s[0:3], 0 offset:132
	s_waitcnt vmcnt(1)
	buffer_store_dword v41, v0, s[0:3], 0 offen offset:4
	s_waitcnt vmcnt(0)
	buffer_store_dword v42, v0, s[0:3], 0 offen
.LBB82_128:
	v_mov_b32_e32 v0, 0
	global_load_dword v39, v0, s[12:13] offset:60
	s_waitcnt vmcnt(0)
	v_add_nc_u32_e32 v39, -1, v39
	v_cmp_eq_u32_e32 vcc_lo, 15, v39
	s_cbranch_vccnz .LBB82_130
; %bb.129:
	v_lshlrev_b32_e32 v39, 3, v39
	s_clause 0x3
	buffer_load_dword v40, v39, s[0:3], 0 offen
	buffer_load_dword v41, v39, s[0:3], 0 offen offset:4
	buffer_load_dword v42, off, s[0:3], 0 offset:120
	buffer_load_dword v43, off, s[0:3], 0 offset:124
	s_waitcnt vmcnt(3)
	buffer_store_dword v40, off, s[0:3], 0 offset:120
	s_waitcnt vmcnt(2)
	buffer_store_dword v41, off, s[0:3], 0 offset:124
	s_waitcnt vmcnt(1)
	buffer_store_dword v42, v39, s[0:3], 0 offen
	s_waitcnt vmcnt(0)
	buffer_store_dword v43, v39, s[0:3], 0 offen offset:4
.LBB82_130:
	global_load_dword v0, v0, s[12:13] offset:56
	s_waitcnt vmcnt(0)
	v_add_nc_u32_e32 v0, -1, v0
	v_cmp_eq_u32_e32 vcc_lo, 14, v0
	s_cbranch_vccnz .LBB82_132
; %bb.131:
	v_lshlrev_b32_e32 v0, 3, v0
	s_clause 0x3
	buffer_load_dword v39, v0, s[0:3], 0 offen
	buffer_load_dword v40, v0, s[0:3], 0 offen offset:4
	buffer_load_dword v41, off, s[0:3], 0 offset:116
	buffer_load_dword v42, off, s[0:3], 0 offset:112
	s_waitcnt vmcnt(3)
	buffer_store_dword v39, off, s[0:3], 0 offset:112
	s_waitcnt vmcnt(2)
	buffer_store_dword v40, off, s[0:3], 0 offset:116
	s_waitcnt vmcnt(1)
	buffer_store_dword v41, v0, s[0:3], 0 offen offset:4
	s_waitcnt vmcnt(0)
	buffer_store_dword v42, v0, s[0:3], 0 offen
.LBB82_132:
	v_mov_b32_e32 v0, 0
	global_load_dword v39, v0, s[12:13] offset:52
	s_waitcnt vmcnt(0)
	v_add_nc_u32_e32 v39, -1, v39
	v_cmp_eq_u32_e32 vcc_lo, 13, v39
	s_cbranch_vccnz .LBB82_134
; %bb.133:
	v_lshlrev_b32_e32 v39, 3, v39
	s_clause 0x3
	buffer_load_dword v40, v39, s[0:3], 0 offen
	buffer_load_dword v41, v39, s[0:3], 0 offen offset:4
	buffer_load_dword v42, off, s[0:3], 0 offset:104
	buffer_load_dword v43, off, s[0:3], 0 offset:108
	s_waitcnt vmcnt(3)
	buffer_store_dword v40, off, s[0:3], 0 offset:104
	s_waitcnt vmcnt(2)
	buffer_store_dword v41, off, s[0:3], 0 offset:108
	s_waitcnt vmcnt(1)
	buffer_store_dword v42, v39, s[0:3], 0 offen
	s_waitcnt vmcnt(0)
	buffer_store_dword v43, v39, s[0:3], 0 offen offset:4
.LBB82_134:
	;; [unrolled: 43-line block ×8, first 2 shown]
	global_load_dword v0, v0, s[12:13]
	s_clause 0x1
	buffer_load_dword v41, off, s[0:3], 0
	buffer_load_dword v42, off, s[0:3], 0 offset:4
	s_waitcnt vmcnt(2)
	v_add_nc_u32_e32 v0, -1, v0
	v_cmp_eq_u32_e32 vcc_lo, 0, v0
	s_cbranch_vccnz .LBB82_160
; %bb.159:
	v_lshlrev_b32_e32 v0, 3, v0
	s_clause 0x1
	buffer_load_dword v39, v0, s[0:3], 0 offen offset:4
	buffer_load_dword v40, v0, s[0:3], 0 offen
	s_waitcnt vmcnt(1)
	buffer_store_dword v39, off, s[0:3], 0 offset:4
	s_waitcnt vmcnt(0)
	buffer_store_dword v40, off, s[0:3], 0
	buffer_store_dword v42, v0, s[0:3], 0 offen offset:4
	buffer_store_dword v41, v0, s[0:3], 0 offen
	s_clause 0x1
	buffer_load_dword v41, off, s[0:3], 0
	buffer_load_dword v42, off, s[0:3], 0 offset:4
.LBB82_160:
	s_waitcnt vmcnt(0)
	flat_store_dwordx2 v[1:2], v[41:42]
	s_clause 0x1
	buffer_load_dword v0, off, s[0:3], 0 offset:8
	buffer_load_dword v1, off, s[0:3], 0 offset:12
	s_waitcnt vmcnt(0)
	flat_store_dwordx2 v[3:4], v[0:1]
	s_clause 0x1
	buffer_load_dword v0, off, s[0:3], 0 offset:16
	buffer_load_dword v1, off, s[0:3], 0 offset:20
	;; [unrolled: 5-line block ×18, first 2 shown]
	s_waitcnt vmcnt(0)
	flat_store_dwordx2 v[37:38], v[0:1]
	s_endpgm
	.section	.rodata,"a",@progbits
	.p2align	6, 0x0
	.amdhsa_kernel _ZN9rocsolver6v33100L18getri_kernel_smallILi19EdPKPdEEvT1_iilPiilS6_bb
		.amdhsa_group_segment_fixed_size 312
		.amdhsa_private_segment_fixed_size 160
		.amdhsa_kernarg_size 60
		.amdhsa_user_sgpr_count 6
		.amdhsa_user_sgpr_private_segment_buffer 1
		.amdhsa_user_sgpr_dispatch_ptr 0
		.amdhsa_user_sgpr_queue_ptr 0
		.amdhsa_user_sgpr_kernarg_segment_ptr 1
		.amdhsa_user_sgpr_dispatch_id 0
		.amdhsa_user_sgpr_flat_scratch_init 0
		.amdhsa_user_sgpr_private_segment_size 0
		.amdhsa_wavefront_size32 1
		.amdhsa_uses_dynamic_stack 0
		.amdhsa_system_sgpr_private_segment_wavefront_offset 1
		.amdhsa_system_sgpr_workgroup_id_x 1
		.amdhsa_system_sgpr_workgroup_id_y 0
		.amdhsa_system_sgpr_workgroup_id_z 0
		.amdhsa_system_sgpr_workgroup_info 0
		.amdhsa_system_vgpr_workitem_id 0
		.amdhsa_next_free_vgpr 82
		.amdhsa_next_free_sgpr 20
		.amdhsa_reserve_vcc 1
		.amdhsa_reserve_flat_scratch 0
		.amdhsa_float_round_mode_32 0
		.amdhsa_float_round_mode_16_64 0
		.amdhsa_float_denorm_mode_32 3
		.amdhsa_float_denorm_mode_16_64 3
		.amdhsa_dx10_clamp 1
		.amdhsa_ieee_mode 1
		.amdhsa_fp16_overflow 0
		.amdhsa_workgroup_processor_mode 1
		.amdhsa_memory_ordered 1
		.amdhsa_forward_progress 1
		.amdhsa_shared_vgpr_count 0
		.amdhsa_exception_fp_ieee_invalid_op 0
		.amdhsa_exception_fp_denorm_src 0
		.amdhsa_exception_fp_ieee_div_zero 0
		.amdhsa_exception_fp_ieee_overflow 0
		.amdhsa_exception_fp_ieee_underflow 0
		.amdhsa_exception_fp_ieee_inexact 0
		.amdhsa_exception_int_div_zero 0
	.end_amdhsa_kernel
	.section	.text._ZN9rocsolver6v33100L18getri_kernel_smallILi19EdPKPdEEvT1_iilPiilS6_bb,"axG",@progbits,_ZN9rocsolver6v33100L18getri_kernel_smallILi19EdPKPdEEvT1_iilPiilS6_bb,comdat
.Lfunc_end82:
	.size	_ZN9rocsolver6v33100L18getri_kernel_smallILi19EdPKPdEEvT1_iilPiilS6_bb, .Lfunc_end82-_ZN9rocsolver6v33100L18getri_kernel_smallILi19EdPKPdEEvT1_iilPiilS6_bb
                                        ; -- End function
	.set _ZN9rocsolver6v33100L18getri_kernel_smallILi19EdPKPdEEvT1_iilPiilS6_bb.num_vgpr, 82
	.set _ZN9rocsolver6v33100L18getri_kernel_smallILi19EdPKPdEEvT1_iilPiilS6_bb.num_agpr, 0
	.set _ZN9rocsolver6v33100L18getri_kernel_smallILi19EdPKPdEEvT1_iilPiilS6_bb.numbered_sgpr, 20
	.set _ZN9rocsolver6v33100L18getri_kernel_smallILi19EdPKPdEEvT1_iilPiilS6_bb.num_named_barrier, 0
	.set _ZN9rocsolver6v33100L18getri_kernel_smallILi19EdPKPdEEvT1_iilPiilS6_bb.private_seg_size, 160
	.set _ZN9rocsolver6v33100L18getri_kernel_smallILi19EdPKPdEEvT1_iilPiilS6_bb.uses_vcc, 1
	.set _ZN9rocsolver6v33100L18getri_kernel_smallILi19EdPKPdEEvT1_iilPiilS6_bb.uses_flat_scratch, 0
	.set _ZN9rocsolver6v33100L18getri_kernel_smallILi19EdPKPdEEvT1_iilPiilS6_bb.has_dyn_sized_stack, 0
	.set _ZN9rocsolver6v33100L18getri_kernel_smallILi19EdPKPdEEvT1_iilPiilS6_bb.has_recursion, 0
	.set _ZN9rocsolver6v33100L18getri_kernel_smallILi19EdPKPdEEvT1_iilPiilS6_bb.has_indirect_call, 0
	.section	.AMDGPU.csdata,"",@progbits
; Kernel info:
; codeLenInByte = 16352
; TotalNumSgprs: 22
; NumVgprs: 82
; ScratchSize: 160
; MemoryBound: 0
; FloatMode: 240
; IeeeMode: 1
; LDSByteSize: 312 bytes/workgroup (compile time only)
; SGPRBlocks: 0
; VGPRBlocks: 10
; NumSGPRsForWavesPerEU: 22
; NumVGPRsForWavesPerEU: 82
; Occupancy: 10
; WaveLimiterHint : 1
; COMPUTE_PGM_RSRC2:SCRATCH_EN: 1
; COMPUTE_PGM_RSRC2:USER_SGPR: 6
; COMPUTE_PGM_RSRC2:TRAP_HANDLER: 0
; COMPUTE_PGM_RSRC2:TGID_X_EN: 1
; COMPUTE_PGM_RSRC2:TGID_Y_EN: 0
; COMPUTE_PGM_RSRC2:TGID_Z_EN: 0
; COMPUTE_PGM_RSRC2:TIDIG_COMP_CNT: 0
	.section	.text._ZN9rocsolver6v33100L18getri_kernel_smallILi20EdPKPdEEvT1_iilPiilS6_bb,"axG",@progbits,_ZN9rocsolver6v33100L18getri_kernel_smallILi20EdPKPdEEvT1_iilPiilS6_bb,comdat
	.globl	_ZN9rocsolver6v33100L18getri_kernel_smallILi20EdPKPdEEvT1_iilPiilS6_bb ; -- Begin function _ZN9rocsolver6v33100L18getri_kernel_smallILi20EdPKPdEEvT1_iilPiilS6_bb
	.p2align	8
	.type	_ZN9rocsolver6v33100L18getri_kernel_smallILi20EdPKPdEEvT1_iilPiilS6_bb,@function
_ZN9rocsolver6v33100L18getri_kernel_smallILi20EdPKPdEEvT1_iilPiilS6_bb: ; @_ZN9rocsolver6v33100L18getri_kernel_smallILi20EdPKPdEEvT1_iilPiilS6_bb
; %bb.0:
	s_add_u32 s0, s0, s7
	s_addc_u32 s1, s1, 0
	s_mov_b32 s7, exec_lo
	v_cmpx_gt_u32_e32 20, v0
	s_cbranch_execz .LBB83_90
; %bb.1:
	s_clause 0x2
	s_load_dword s17, s[4:5], 0x38
	s_load_dwordx2 s[12:13], s[4:5], 0x0
	s_load_dwordx4 s[8:11], s[4:5], 0x28
	s_waitcnt lgkmcnt(0)
	s_bitcmp1_b32 s17, 8
	s_cselect_b32 s16, -1, 0
	s_ashr_i32 s7, s6, 31
	s_lshl_b64 s[14:15], s[6:7], 3
	s_add_u32 s12, s12, s14
	s_addc_u32 s13, s13, s15
	s_load_dwordx2 s[14:15], s[12:13], 0x0
	s_bfe_u32 s12, s17, 0x10008
	s_cmp_eq_u32 s12, 0
                                        ; implicit-def: $sgpr12_sgpr13
	s_cbranch_scc1 .LBB83_3
; %bb.2:
	s_clause 0x1
	s_load_dword s12, s[4:5], 0x20
	s_load_dwordx2 s[18:19], s[4:5], 0x18
	s_mul_i32 s13, s8, s7
	s_mul_hi_u32 s17, s8, s6
	s_mul_i32 s9, s9, s6
	s_add_i32 s13, s17, s13
	s_mul_i32 s8, s8, s6
	s_add_i32 s9, s13, s9
	s_lshl_b64 s[8:9], s[8:9], 2
	s_waitcnt lgkmcnt(0)
	s_ashr_i32 s13, s12, 31
	s_add_u32 s17, s18, s8
	s_addc_u32 s18, s19, s9
	s_lshl_b64 s[8:9], s[12:13], 2
	s_add_u32 s12, s17, s8
	s_addc_u32 s13, s18, s9
.LBB83_3:
	s_clause 0x1
	s_load_dwordx2 s[8:9], s[4:5], 0x8
	s_load_dword s4, s[4:5], 0x38
	v_lshlrev_b32_e32 v43, 3, v0
	s_waitcnt lgkmcnt(0)
	s_ashr_i32 s19, s8, 31
	s_mov_b32 s18, s8
	v_add3_u32 v9, s9, s9, v0
	s_lshl_b64 s[18:19], s[18:19], 3
	s_add_u32 s5, s14, s18
	s_addc_u32 s8, s15, s19
	v_add_co_u32 v1, s14, s5, v43
	v_add_co_ci_u32_e64 v2, null, s8, 0, s14
	s_mov_b32 s14, s9
	s_ashr_i32 s15, s9, 31
	v_ashrrev_i32_e32 v10, 31, v9
	flat_load_dwordx2 v[5:6], v[1:2]
	s_lshl_b64 s[14:15], s[14:15], 3
	v_add_nc_u32_e32 v12, s9, v9
	v_add_co_u32 v3, vcc_lo, v1, s14
	v_add_co_ci_u32_e64 v4, null, s15, v2, vcc_lo
	v_ashrrev_i32_e32 v13, 31, v12
	s_bitcmp0_b32 s4, 0
	s_waitcnt vmcnt(0) lgkmcnt(0)
	buffer_store_dword v6, off, s[0:3], 0 offset:4
	buffer_store_dword v5, off, s[0:3], 0
	flat_load_dwordx2 v[7:8], v[3:4]
	v_lshlrev_b64 v[5:6], 3, v[9:10]
	s_waitcnt vmcnt(0) lgkmcnt(0)
	buffer_store_dword v8, off, s[0:3], 0 offset:12
	buffer_store_dword v7, off, s[0:3], 0 offset:8
	v_add_co_u32 v5, vcc_lo, s5, v5
	v_add_co_ci_u32_e64 v6, null, s8, v6, vcc_lo
	v_lshlrev_b64 v[7:8], 3, v[12:13]
	flat_load_dwordx2 v[10:11], v[5:6]
	s_waitcnt vmcnt(0) lgkmcnt(0)
	buffer_store_dword v11, off, s[0:3], 0 offset:20
	buffer_store_dword v10, off, s[0:3], 0 offset:16
	v_add_co_u32 v7, vcc_lo, s5, v7
	v_add_co_ci_u32_e64 v8, null, s8, v8, vcc_lo
	v_add_nc_u32_e32 v11, s9, v12
	flat_load_dwordx2 v[13:14], v[7:8]
	s_waitcnt vmcnt(0) lgkmcnt(0)
	buffer_store_dword v14, off, s[0:3], 0 offset:28
	buffer_store_dword v13, off, s[0:3], 0 offset:24
	v_ashrrev_i32_e32 v12, 31, v11
	v_add_nc_u32_e32 v15, s9, v11
	v_lshlrev_b64 v[9:10], 3, v[11:12]
	v_ashrrev_i32_e32 v16, 31, v15
	v_add_nc_u32_e32 v18, s9, v15
	v_add_co_u32 v9, vcc_lo, s5, v9
	v_add_co_ci_u32_e64 v10, null, s8, v10, vcc_lo
	v_lshlrev_b64 v[11:12], 3, v[15:16]
	v_ashrrev_i32_e32 v19, 31, v18
	flat_load_dwordx2 v[13:14], v[9:10]
	s_waitcnt vmcnt(0) lgkmcnt(0)
	buffer_store_dword v14, off, s[0:3], 0 offset:36
	buffer_store_dword v13, off, s[0:3], 0 offset:32
	v_add_co_u32 v11, vcc_lo, s5, v11
	v_add_co_ci_u32_e64 v12, null, s8, v12, vcc_lo
	v_lshlrev_b64 v[13:14], 3, v[18:19]
	flat_load_dwordx2 v[16:17], v[11:12]
	s_waitcnt vmcnt(0) lgkmcnt(0)
	buffer_store_dword v17, off, s[0:3], 0 offset:44
	buffer_store_dword v16, off, s[0:3], 0 offset:40
	v_add_co_u32 v13, vcc_lo, s5, v13
	v_add_co_ci_u32_e64 v14, null, s8, v14, vcc_lo
	v_add_nc_u32_e32 v17, s9, v18
	flat_load_dwordx2 v[19:20], v[13:14]
	s_waitcnt vmcnt(0) lgkmcnt(0)
	buffer_store_dword v20, off, s[0:3], 0 offset:52
	buffer_store_dword v19, off, s[0:3], 0 offset:48
	v_ashrrev_i32_e32 v18, 31, v17
	v_add_nc_u32_e32 v21, s9, v17
	v_lshlrev_b64 v[15:16], 3, v[17:18]
	v_ashrrev_i32_e32 v22, 31, v21
	v_add_nc_u32_e32 v24, s9, v21
	v_add_co_u32 v15, vcc_lo, s5, v15
	v_add_co_ci_u32_e64 v16, null, s8, v16, vcc_lo
	v_lshlrev_b64 v[17:18], 3, v[21:22]
	v_ashrrev_i32_e32 v25, 31, v24
	flat_load_dwordx2 v[19:20], v[15:16]
	;; [unrolled: 27-line block ×4, first 2 shown]
	s_waitcnt vmcnt(0) lgkmcnt(0)
	buffer_store_dword v32, off, s[0:3], 0 offset:108
	buffer_store_dword v31, off, s[0:3], 0 offset:104
	v_add_co_u32 v29, vcc_lo, s5, v29
	v_add_co_ci_u32_e64 v30, null, s8, v30, vcc_lo
	v_lshlrev_b64 v[31:32], 3, v[36:37]
	flat_load_dwordx2 v[34:35], v[29:30]
	s_waitcnt vmcnt(0) lgkmcnt(0)
	buffer_store_dword v35, off, s[0:3], 0 offset:116
	buffer_store_dword v34, off, s[0:3], 0 offset:112
	v_add_co_u32 v31, vcc_lo, s5, v31
	v_add_co_ci_u32_e64 v32, null, s8, v32, vcc_lo
	v_add_nc_u32_e32 v35, s9, v36
	flat_load_dwordx2 v[37:38], v[31:32]
	s_waitcnt vmcnt(0) lgkmcnt(0)
	buffer_store_dword v38, off, s[0:3], 0 offset:124
	buffer_store_dword v37, off, s[0:3], 0 offset:120
	v_ashrrev_i32_e32 v36, 31, v35
	v_add_nc_u32_e32 v39, s9, v35
	v_lshlrev_b64 v[33:34], 3, v[35:36]
	v_ashrrev_i32_e32 v40, 31, v39
	v_add_nc_u32_e32 v44, s9, v39
	v_add_co_u32 v33, vcc_lo, s5, v33
	v_add_co_ci_u32_e64 v34, null, s8, v34, vcc_lo
	v_lshlrev_b64 v[35:36], 3, v[39:40]
	v_ashrrev_i32_e32 v45, 31, v44
	v_add_nc_u32_e32 v39, s9, v44
	flat_load_dwordx2 v[37:38], v[33:34]
	s_waitcnt vmcnt(0) lgkmcnt(0)
	buffer_store_dword v38, off, s[0:3], 0 offset:132
	buffer_store_dword v37, off, s[0:3], 0 offset:128
	v_add_co_u32 v35, vcc_lo, s5, v35
	v_add_co_ci_u32_e64 v36, null, s8, v36, vcc_lo
	v_lshlrev_b64 v[37:38], 3, v[44:45]
	flat_load_dwordx2 v[40:41], v[35:36]
	s_waitcnt vmcnt(0) lgkmcnt(0)
	buffer_store_dword v41, off, s[0:3], 0 offset:140
	buffer_store_dword v40, off, s[0:3], 0 offset:136
	v_add_co_u32 v37, vcc_lo, s5, v37
	v_add_co_ci_u32_e64 v38, null, s8, v38, vcc_lo
	v_ashrrev_i32_e32 v40, 31, v39
	flat_load_dwordx2 v[41:42], v[37:38]
	s_waitcnt vmcnt(0) lgkmcnt(0)
	buffer_store_dword v42, off, s[0:3], 0 offset:148
	buffer_store_dword v41, off, s[0:3], 0 offset:144
	v_lshlrev_b64 v[39:40], 3, v[39:40]
	v_add_co_u32 v39, vcc_lo, s5, v39
	v_add_co_ci_u32_e64 v40, null, s8, v40, vcc_lo
	s_mov_b32 s5, -1
	flat_load_dwordx2 v[41:42], v[39:40]
	s_waitcnt vmcnt(0) lgkmcnt(0)
	buffer_store_dword v42, off, s[0:3], 0 offset:156
	buffer_store_dword v41, off, s[0:3], 0 offset:152
	s_cbranch_scc1 .LBB83_88
; %bb.4:
	v_cmp_eq_u32_e64 s4, 0, v0
	s_and_saveexec_b32 s5, s4
; %bb.5:
	v_mov_b32_e32 v41, 0
	ds_write_b32 v41, v41 offset:320
; %bb.6:
	s_or_b32 exec_lo, exec_lo, s5
	v_lshl_add_u32 v41, v0, 3, 0
	s_waitcnt lgkmcnt(0)
	s_waitcnt_vscnt null, 0x0
	s_barrier
	buffer_gl0_inv
	s_mov_b32 s8, exec_lo
	s_clause 0x1
	buffer_load_dword v44, v41, s[0:3], 0 offen
	buffer_load_dword v45, v41, s[0:3], 0 offen offset:4
	s_waitcnt vmcnt(0)
	v_cmpx_eq_f64_e32 0, v[44:45]
	s_cbranch_execz .LBB83_10
; %bb.7:
	v_mov_b32_e32 v42, 0
	s_mov_b32 s9, 0
	ds_read_b32 v44, v42 offset:320
	s_waitcnt lgkmcnt(0)
	v_readfirstlane_b32 s5, v44
	v_add_nc_u32_e32 v44, 1, v0
	s_cmp_eq_u32 s5, 0
	v_cmp_gt_i32_e32 vcc_lo, s5, v44
	s_cselect_b32 s14, -1, 0
	s_or_b32 s14, s14, vcc_lo
	s_and_b32 exec_lo, exec_lo, s14
	s_cbranch_execz .LBB83_10
; %bb.8:
	v_mov_b32_e32 v45, s5
.LBB83_9:                               ; =>This Inner Loop Header: Depth=1
	ds_cmpst_rtn_b32 v45, v42, v45, v44 offset:320
	s_waitcnt lgkmcnt(0)
	v_cmp_ne_u32_e32 vcc_lo, 0, v45
	v_cmp_le_i32_e64 s5, v45, v44
	s_and_b32 s5, vcc_lo, s5
	s_and_b32 s5, exec_lo, s5
	s_or_b32 s9, s5, s9
	s_andn2_b32 exec_lo, exec_lo, s9
	s_cbranch_execnz .LBB83_9
.LBB83_10:
	s_or_b32 exec_lo, exec_lo, s8
	v_mov_b32_e32 v42, 0
	s_barrier
	buffer_gl0_inv
	ds_read_b32 v44, v42 offset:320
	s_and_saveexec_b32 s5, s4
	s_cbranch_execz .LBB83_12
; %bb.11:
	s_lshl_b64 s[8:9], s[6:7], 2
	s_add_u32 s8, s10, s8
	s_addc_u32 s9, s11, s9
	s_waitcnt lgkmcnt(0)
	global_store_dword v42, v44, s[8:9]
.LBB83_12:
	s_or_b32 exec_lo, exec_lo, s5
	s_waitcnt lgkmcnt(0)
	v_cmp_ne_u32_e32 vcc_lo, 0, v44
	s_mov_b32 s5, 0
	s_cbranch_vccnz .LBB83_88
; %bb.13:
	s_clause 0x1
	buffer_load_dword v44, v41, s[0:3], 0 offen
	buffer_load_dword v45, v41, s[0:3], 0 offen offset:4
	s_waitcnt vmcnt(0)
	v_div_scale_f64 v[46:47], null, v[44:45], v[44:45], 1.0
	v_div_scale_f64 v[52:53], vcc_lo, 1.0, v[44:45], 1.0
	v_rcp_f64_e32 v[48:49], v[46:47]
	v_fma_f64 v[50:51], -v[46:47], v[48:49], 1.0
	v_fma_f64 v[48:49], v[48:49], v[50:51], v[48:49]
	v_fma_f64 v[50:51], -v[46:47], v[48:49], 1.0
	v_fma_f64 v[48:49], v[48:49], v[50:51], v[48:49]
	v_mul_f64 v[50:51], v[52:53], v[48:49]
	v_fma_f64 v[46:47], -v[46:47], v[50:51], v[52:53]
	v_div_fmas_f64 v[46:47], v[46:47], v[48:49], v[50:51]
	v_div_fixup_f64 v[45:46], v[46:47], v[44:45], 1.0
	v_add_nc_u32_e32 v44, 0xa0, v43
	buffer_store_dword v46, v41, s[0:3], 0 offen offset:4
	buffer_store_dword v45, v41, s[0:3], 0 offen
	s_clause 0x1
	buffer_load_dword v48, off, s[0:3], 0 offset:12
	buffer_load_dword v47, off, s[0:3], 0 offset:8
	v_xor_b32_e32 v46, 0x80000000, v46
	s_waitcnt vmcnt(0)
	ds_write2_b64 v43, v[45:46], v[47:48] offset1:20
	s_waitcnt lgkmcnt(0)
	s_waitcnt_vscnt null, 0x0
	s_barrier
	buffer_gl0_inv
	s_and_saveexec_b32 s5, s4
	s_cbranch_execz .LBB83_15
; %bb.14:
	s_clause 0x1
	buffer_load_dword v45, v41, s[0:3], 0 offen
	buffer_load_dword v46, v41, s[0:3], 0 offen offset:4
	ds_read_b64 v[47:48], v44
	v_mov_b32_e32 v42, 0
	ds_read_b64 v[49:50], v42 offset:8
	s_waitcnt vmcnt(0) lgkmcnt(1)
	v_fma_f64 v[45:46], v[45:46], v[47:48], 0
	s_waitcnt lgkmcnt(0)
	v_mul_f64 v[45:46], v[45:46], v[49:50]
	buffer_store_dword v45, off, s[0:3], 0 offset:8
	buffer_store_dword v46, off, s[0:3], 0 offset:12
.LBB83_15:
	s_or_b32 exec_lo, exec_lo, s5
	s_waitcnt_vscnt null, 0x0
	s_barrier
	buffer_gl0_inv
	s_clause 0x1
	buffer_load_dword v45, off, s[0:3], 0 offset:16
	buffer_load_dword v46, off, s[0:3], 0 offset:20
	s_mov_b32 s5, exec_lo
	s_waitcnt vmcnt(0)
	ds_write_b64 v44, v[45:46]
	s_waitcnt lgkmcnt(0)
	s_barrier
	buffer_gl0_inv
	v_cmpx_gt_u32_e32 2, v0
	s_cbranch_execz .LBB83_19
; %bb.16:
	s_clause 0x1
	buffer_load_dword v45, v41, s[0:3], 0 offen
	buffer_load_dword v46, v41, s[0:3], 0 offen offset:4
	ds_read_b64 v[41:42], v44
	s_waitcnt vmcnt(0) lgkmcnt(0)
	v_fma_f64 v[41:42], v[45:46], v[41:42], 0
	s_and_saveexec_b32 s8, s4
	s_cbranch_execz .LBB83_18
; %bb.17:
	s_clause 0x1
	buffer_load_dword v45, off, s[0:3], 0 offset:8
	buffer_load_dword v46, off, s[0:3], 0 offset:12
	v_mov_b32_e32 v47, 0
	ds_read_b64 v[47:48], v47 offset:168
	s_waitcnt vmcnt(0) lgkmcnt(0)
	v_fma_f64 v[41:42], v[45:46], v[47:48], v[41:42]
.LBB83_18:
	s_or_b32 exec_lo, exec_lo, s8
	v_mov_b32_e32 v45, 0
	ds_read_b64 v[45:46], v45 offset:16
	s_waitcnt lgkmcnt(0)
	v_mul_f64 v[41:42], v[41:42], v[45:46]
	buffer_store_dword v42, off, s[0:3], 0 offset:20
	buffer_store_dword v41, off, s[0:3], 0 offset:16
.LBB83_19:
	s_or_b32 exec_lo, exec_lo, s5
	s_waitcnt_vscnt null, 0x0
	s_barrier
	buffer_gl0_inv
	s_clause 0x1
	buffer_load_dword v41, off, s[0:3], 0 offset:24
	buffer_load_dword v42, off, s[0:3], 0 offset:28
	v_add_nc_u32_e32 v45, -1, v0
	s_mov_b32 s4, exec_lo
	s_waitcnt vmcnt(0)
	ds_write_b64 v44, v[41:42]
	s_waitcnt lgkmcnt(0)
	s_barrier
	buffer_gl0_inv
	v_cmpx_gt_u32_e32 3, v0
	s_cbranch_execz .LBB83_23
; %bb.20:
	v_mov_b32_e32 v41, 0
	v_add_nc_u32_e32 v46, -1, v0
	v_add_nc_u32_e32 v47, 0xa0, v43
	v_mov_b32_e32 v42, 0
	v_mov_b32_e32 v48, v43
	s_mov_b32 s5, 0
.LBB83_21:                              ; =>This Inner Loop Header: Depth=1
	s_clause 0x1
	buffer_load_dword v49, v48, s[0:3], 0 offen
	buffer_load_dword v50, v48, s[0:3], 0 offen offset:4
	ds_read_b64 v[51:52], v47
	v_add_nc_u32_e32 v46, 1, v46
	v_add_nc_u32_e32 v47, 8, v47
	v_add_nc_u32_e32 v48, 8, v48
	v_cmp_lt_u32_e32 vcc_lo, 1, v46
	s_or_b32 s5, vcc_lo, s5
	s_waitcnt vmcnt(0) lgkmcnt(0)
	v_fma_f64 v[41:42], v[49:50], v[51:52], v[41:42]
	s_andn2_b32 exec_lo, exec_lo, s5
	s_cbranch_execnz .LBB83_21
; %bb.22:
	s_or_b32 exec_lo, exec_lo, s5
	v_mov_b32_e32 v46, 0
	ds_read_b64 v[46:47], v46 offset:24
	s_waitcnt lgkmcnt(0)
	v_mul_f64 v[41:42], v[41:42], v[46:47]
	buffer_store_dword v42, off, s[0:3], 0 offset:28
	buffer_store_dword v41, off, s[0:3], 0 offset:24
.LBB83_23:
	s_or_b32 exec_lo, exec_lo, s4
	s_waitcnt_vscnt null, 0x0
	s_barrier
	buffer_gl0_inv
	s_clause 0x1
	buffer_load_dword v41, off, s[0:3], 0 offset:32
	buffer_load_dword v42, off, s[0:3], 0 offset:36
	s_mov_b32 s4, exec_lo
	s_waitcnt vmcnt(0)
	ds_write_b64 v44, v[41:42]
	s_waitcnt lgkmcnt(0)
	s_barrier
	buffer_gl0_inv
	v_cmpx_gt_u32_e32 4, v0
	s_cbranch_execz .LBB83_27
; %bb.24:
	v_mov_b32_e32 v41, 0
	v_add_nc_u32_e32 v46, -1, v0
	v_add_nc_u32_e32 v47, 0xa0, v43
	v_mov_b32_e32 v42, 0
	v_mov_b32_e32 v48, v43
	s_mov_b32 s5, 0
.LBB83_25:                              ; =>This Inner Loop Header: Depth=1
	s_clause 0x1
	buffer_load_dword v49, v48, s[0:3], 0 offen
	buffer_load_dword v50, v48, s[0:3], 0 offen offset:4
	ds_read_b64 v[51:52], v47
	v_add_nc_u32_e32 v46, 1, v46
	v_add_nc_u32_e32 v47, 8, v47
	v_add_nc_u32_e32 v48, 8, v48
	v_cmp_lt_u32_e32 vcc_lo, 2, v46
	s_or_b32 s5, vcc_lo, s5
	s_waitcnt vmcnt(0) lgkmcnt(0)
	v_fma_f64 v[41:42], v[49:50], v[51:52], v[41:42]
	s_andn2_b32 exec_lo, exec_lo, s5
	s_cbranch_execnz .LBB83_25
; %bb.26:
	s_or_b32 exec_lo, exec_lo, s5
	v_mov_b32_e32 v46, 0
	ds_read_b64 v[46:47], v46 offset:32
	s_waitcnt lgkmcnt(0)
	v_mul_f64 v[41:42], v[41:42], v[46:47]
	buffer_store_dword v42, off, s[0:3], 0 offset:36
	buffer_store_dword v41, off, s[0:3], 0 offset:32
.LBB83_27:
	s_or_b32 exec_lo, exec_lo, s4
	s_waitcnt_vscnt null, 0x0
	s_barrier
	buffer_gl0_inv
	s_clause 0x1
	buffer_load_dword v41, off, s[0:3], 0 offset:40
	buffer_load_dword v42, off, s[0:3], 0 offset:44
	;; [unrolled: 45-line block ×16, first 2 shown]
	s_mov_b32 s4, exec_lo
	s_waitcnt vmcnt(0)
	ds_write_b64 v44, v[41:42]
	s_waitcnt lgkmcnt(0)
	s_barrier
	buffer_gl0_inv
	v_cmpx_ne_u32_e32 19, v0
	s_cbranch_execz .LBB83_87
; %bb.84:
	v_mov_b32_e32 v41, 0
	v_mov_b32_e32 v42, 0
	s_mov_b32 s5, 0
.LBB83_85:                              ; =>This Inner Loop Header: Depth=1
	s_clause 0x1
	buffer_load_dword v46, v43, s[0:3], 0 offen
	buffer_load_dword v47, v43, s[0:3], 0 offen offset:4
	ds_read_b64 v[48:49], v44
	v_add_nc_u32_e32 v45, 1, v45
	v_add_nc_u32_e32 v44, 8, v44
	;; [unrolled: 1-line block ×3, first 2 shown]
	v_cmp_lt_u32_e32 vcc_lo, 17, v45
	s_or_b32 s5, vcc_lo, s5
	s_waitcnt vmcnt(0) lgkmcnt(0)
	v_fma_f64 v[41:42], v[46:47], v[48:49], v[41:42]
	s_andn2_b32 exec_lo, exec_lo, s5
	s_cbranch_execnz .LBB83_85
; %bb.86:
	s_or_b32 exec_lo, exec_lo, s5
	v_mov_b32_e32 v43, 0
	ds_read_b64 v[43:44], v43 offset:152
	s_waitcnt lgkmcnt(0)
	v_mul_f64 v[41:42], v[41:42], v[43:44]
	buffer_store_dword v42, off, s[0:3], 0 offset:156
	buffer_store_dword v41, off, s[0:3], 0 offset:152
.LBB83_87:
	s_or_b32 exec_lo, exec_lo, s4
	s_mov_b32 s5, -1
	s_waitcnt_vscnt null, 0x0
	s_barrier
	buffer_gl0_inv
.LBB83_88:
	s_and_b32 vcc_lo, exec_lo, s5
	s_cbranch_vccz .LBB83_90
; %bb.89:
	s_lshl_b64 s[4:5], s[6:7], 2
	v_mov_b32_e32 v41, 0
	s_add_u32 s4, s10, s4
	s_addc_u32 s5, s11, s5
	global_load_dword v41, v41, s[4:5]
	s_waitcnt vmcnt(0)
	v_cmp_ne_u32_e32 vcc_lo, 0, v41
	s_cbranch_vccz .LBB83_91
.LBB83_90:
	s_endpgm
.LBB83_91:
	v_lshl_add_u32 v41, v0, 3, 0xa0
	s_mov_b32 s4, exec_lo
	v_cmpx_eq_u32_e32 19, v0
	s_cbranch_execz .LBB83_93
; %bb.92:
	s_clause 0x1
	buffer_load_dword v42, off, s[0:3], 0 offset:144
	buffer_load_dword v43, off, s[0:3], 0 offset:148
	v_mov_b32_e32 v44, 0
	buffer_store_dword v44, off, s[0:3], 0 offset:144
	buffer_store_dword v44, off, s[0:3], 0 offset:148
	s_waitcnt vmcnt(0)
	ds_write_b64 v41, v[42:43]
.LBB83_93:
	s_or_b32 exec_lo, exec_lo, s4
	s_waitcnt lgkmcnt(0)
	s_waitcnt_vscnt null, 0x0
	s_barrier
	buffer_gl0_inv
	s_clause 0x3
	buffer_load_dword v43, off, s[0:3], 0 offset:152
	buffer_load_dword v44, off, s[0:3], 0 offset:156
	;; [unrolled: 1-line block ×4, first 2 shown]
	v_mov_b32_e32 v42, 0
	s_mov_b32 s4, exec_lo
	ds_read_b64 v[47:48], v42 offset:312
	s_waitcnt vmcnt(2) lgkmcnt(0)
	v_fma_f64 v[43:44], v[43:44], v[47:48], 0
	s_waitcnt vmcnt(0)
	v_add_f64 v[43:44], v[45:46], -v[43:44]
	buffer_store_dword v43, off, s[0:3], 0 offset:144
	buffer_store_dword v44, off, s[0:3], 0 offset:148
	v_cmpx_lt_u32_e32 17, v0
	s_cbranch_execz .LBB83_95
; %bb.94:
	s_clause 0x1
	buffer_load_dword v43, off, s[0:3], 0 offset:136
	buffer_load_dword v44, off, s[0:3], 0 offset:140
	buffer_store_dword v42, off, s[0:3], 0 offset:136
	buffer_store_dword v42, off, s[0:3], 0 offset:140
	s_waitcnt vmcnt(0)
	ds_write_b64 v41, v[43:44]
.LBB83_95:
	s_or_b32 exec_lo, exec_lo, s4
	s_waitcnt lgkmcnt(0)
	s_waitcnt_vscnt null, 0x0
	s_barrier
	buffer_gl0_inv
	s_clause 0x5
	buffer_load_dword v46, off, s[0:3], 0 offset:144
	buffer_load_dword v47, off, s[0:3], 0 offset:148
	;; [unrolled: 1-line block ×6, first 2 shown]
	ds_read_b128 v[42:45], v42 offset:304
	s_mov_b32 s4, exec_lo
	s_waitcnt vmcnt(4) lgkmcnt(0)
	v_fma_f64 v[42:43], v[46:47], v[42:43], 0
	s_waitcnt vmcnt(2)
	v_fma_f64 v[42:43], v[48:49], v[44:45], v[42:43]
	s_waitcnt vmcnt(0)
	v_add_f64 v[42:43], v[50:51], -v[42:43]
	buffer_store_dword v42, off, s[0:3], 0 offset:136
	buffer_store_dword v43, off, s[0:3], 0 offset:140
	v_cmpx_lt_u32_e32 16, v0
	s_cbranch_execz .LBB83_97
; %bb.96:
	s_clause 0x1
	buffer_load_dword v42, off, s[0:3], 0 offset:128
	buffer_load_dword v43, off, s[0:3], 0 offset:132
	v_mov_b32_e32 v44, 0
	buffer_store_dword v44, off, s[0:3], 0 offset:128
	buffer_store_dword v44, off, s[0:3], 0 offset:132
	s_waitcnt vmcnt(0)
	ds_write_b64 v41, v[42:43]
.LBB83_97:
	s_or_b32 exec_lo, exec_lo, s4
	s_waitcnt lgkmcnt(0)
	s_waitcnt_vscnt null, 0x0
	s_barrier
	buffer_gl0_inv
	s_clause 0x7
	buffer_load_dword v47, off, s[0:3], 0 offset:136
	buffer_load_dword v48, off, s[0:3], 0 offset:140
	;; [unrolled: 1-line block ×8, first 2 shown]
	v_mov_b32_e32 v42, 0
	ds_read2_b64 v[43:46], v42 offset0:37 offset1:38
	ds_read_b64 v[55:56], v42 offset:312
	s_mov_b32 s4, exec_lo
	s_waitcnt vmcnt(6) lgkmcnt(1)
	v_fma_f64 v[43:44], v[47:48], v[43:44], 0
	s_waitcnt vmcnt(4)
	v_fma_f64 v[43:44], v[49:50], v[45:46], v[43:44]
	s_waitcnt vmcnt(2) lgkmcnt(0)
	v_fma_f64 v[43:44], v[51:52], v[55:56], v[43:44]
	s_waitcnt vmcnt(0)
	v_add_f64 v[43:44], v[53:54], -v[43:44]
	buffer_store_dword v43, off, s[0:3], 0 offset:128
	buffer_store_dword v44, off, s[0:3], 0 offset:132
	v_cmpx_lt_u32_e32 15, v0
	s_cbranch_execz .LBB83_99
; %bb.98:
	s_clause 0x1
	buffer_load_dword v43, off, s[0:3], 0 offset:120
	buffer_load_dword v44, off, s[0:3], 0 offset:124
	buffer_store_dword v42, off, s[0:3], 0 offset:120
	buffer_store_dword v42, off, s[0:3], 0 offset:124
	s_waitcnt vmcnt(0)
	ds_write_b64 v41, v[43:44]
.LBB83_99:
	s_or_b32 exec_lo, exec_lo, s4
	s_waitcnt lgkmcnt(0)
	s_waitcnt_vscnt null, 0x0
	s_barrier
	buffer_gl0_inv
	s_clause 0x9
	buffer_load_dword v51, off, s[0:3], 0 offset:128
	buffer_load_dword v52, off, s[0:3], 0 offset:132
	buffer_load_dword v53, off, s[0:3], 0 offset:136
	buffer_load_dword v54, off, s[0:3], 0 offset:140
	buffer_load_dword v55, off, s[0:3], 0 offset:144
	buffer_load_dword v56, off, s[0:3], 0 offset:148
	buffer_load_dword v57, off, s[0:3], 0 offset:152
	buffer_load_dword v58, off, s[0:3], 0 offset:156
	buffer_load_dword v59, off, s[0:3], 0 offset:120
	buffer_load_dword v60, off, s[0:3], 0 offset:124
	ds_read_b128 v[43:46], v42 offset:288
	ds_read_b128 v[47:50], v42 offset:304
	s_mov_b32 s4, exec_lo
	s_waitcnt vmcnt(8) lgkmcnt(1)
	v_fma_f64 v[42:43], v[51:52], v[43:44], 0
	s_waitcnt vmcnt(6)
	v_fma_f64 v[42:43], v[53:54], v[45:46], v[42:43]
	s_waitcnt vmcnt(4) lgkmcnt(0)
	v_fma_f64 v[42:43], v[55:56], v[47:48], v[42:43]
	s_waitcnt vmcnt(2)
	v_fma_f64 v[42:43], v[57:58], v[49:50], v[42:43]
	s_waitcnt vmcnt(0)
	v_add_f64 v[42:43], v[59:60], -v[42:43]
	buffer_store_dword v42, off, s[0:3], 0 offset:120
	buffer_store_dword v43, off, s[0:3], 0 offset:124
	v_cmpx_lt_u32_e32 14, v0
	s_cbranch_execz .LBB83_101
; %bb.100:
	s_clause 0x1
	buffer_load_dword v42, off, s[0:3], 0 offset:112
	buffer_load_dword v43, off, s[0:3], 0 offset:116
	v_mov_b32_e32 v44, 0
	buffer_store_dword v44, off, s[0:3], 0 offset:112
	buffer_store_dword v44, off, s[0:3], 0 offset:116
	s_waitcnt vmcnt(0)
	ds_write_b64 v41, v[42:43]
.LBB83_101:
	s_or_b32 exec_lo, exec_lo, s4
	s_waitcnt lgkmcnt(0)
	s_waitcnt_vscnt null, 0x0
	s_barrier
	buffer_gl0_inv
	s_clause 0xb
	buffer_load_dword v51, off, s[0:3], 0 offset:120
	buffer_load_dword v52, off, s[0:3], 0 offset:124
	;; [unrolled: 1-line block ×12, first 2 shown]
	v_mov_b32_e32 v42, 0
	ds_read2_b64 v[43:46], v42 offset0:35 offset1:36
	ds_read2_b64 v[47:50], v42 offset0:37 offset1:38
	s_mov_b32 s4, exec_lo
	s_waitcnt vmcnt(10) lgkmcnt(1)
	v_fma_f64 v[43:44], v[51:52], v[43:44], 0
	s_waitcnt vmcnt(8)
	v_fma_f64 v[43:44], v[53:54], v[45:46], v[43:44]
	ds_read_b64 v[45:46], v42 offset:312
	s_waitcnt vmcnt(6) lgkmcnt(1)
	v_fma_f64 v[43:44], v[55:56], v[47:48], v[43:44]
	s_waitcnt vmcnt(4)
	v_fma_f64 v[43:44], v[57:58], v[49:50], v[43:44]
	s_waitcnt vmcnt(2) lgkmcnt(0)
	v_fma_f64 v[43:44], v[59:60], v[45:46], v[43:44]
	s_waitcnt vmcnt(0)
	v_add_f64 v[43:44], v[61:62], -v[43:44]
	buffer_store_dword v43, off, s[0:3], 0 offset:112
	buffer_store_dword v44, off, s[0:3], 0 offset:116
	v_cmpx_lt_u32_e32 13, v0
	s_cbranch_execz .LBB83_103
; %bb.102:
	s_clause 0x1
	buffer_load_dword v43, off, s[0:3], 0 offset:104
	buffer_load_dword v44, off, s[0:3], 0 offset:108
	buffer_store_dword v42, off, s[0:3], 0 offset:104
	buffer_store_dword v42, off, s[0:3], 0 offset:108
	s_waitcnt vmcnt(0)
	ds_write_b64 v41, v[43:44]
.LBB83_103:
	s_or_b32 exec_lo, exec_lo, s4
	s_waitcnt lgkmcnt(0)
	s_waitcnt_vscnt null, 0x0
	s_barrier
	buffer_gl0_inv
	s_clause 0xd
	buffer_load_dword v51, off, s[0:3], 0 offset:112
	buffer_load_dword v52, off, s[0:3], 0 offset:116
	;; [unrolled: 1-line block ×14, first 2 shown]
	ds_read_b128 v[43:46], v42 offset:272
	ds_read_b128 v[47:50], v42 offset:288
	s_mov_b32 s4, exec_lo
	s_waitcnt vmcnt(12) lgkmcnt(1)
	v_fma_f64 v[43:44], v[51:52], v[43:44], 0
	s_waitcnt vmcnt(10)
	v_fma_f64 v[43:44], v[53:54], v[45:46], v[43:44]
	s_waitcnt vmcnt(8) lgkmcnt(0)
	v_fma_f64 v[43:44], v[55:56], v[47:48], v[43:44]
	s_waitcnt vmcnt(6)
	v_fma_f64 v[46:47], v[57:58], v[49:50], v[43:44]
	ds_read_b128 v[42:45], v42 offset:304
	s_waitcnt vmcnt(4) lgkmcnt(0)
	v_fma_f64 v[42:43], v[59:60], v[42:43], v[46:47]
	s_waitcnt vmcnt(2)
	v_fma_f64 v[42:43], v[61:62], v[44:45], v[42:43]
	s_waitcnt vmcnt(0)
	v_add_f64 v[42:43], v[63:64], -v[42:43]
	buffer_store_dword v42, off, s[0:3], 0 offset:104
	buffer_store_dword v43, off, s[0:3], 0 offset:108
	v_cmpx_lt_u32_e32 12, v0
	s_cbranch_execz .LBB83_105
; %bb.104:
	s_clause 0x1
	buffer_load_dword v42, off, s[0:3], 0 offset:96
	buffer_load_dword v43, off, s[0:3], 0 offset:100
	v_mov_b32_e32 v44, 0
	buffer_store_dword v44, off, s[0:3], 0 offset:96
	buffer_store_dword v44, off, s[0:3], 0 offset:100
	s_waitcnt vmcnt(0)
	ds_write_b64 v41, v[42:43]
.LBB83_105:
	s_or_b32 exec_lo, exec_lo, s4
	s_waitcnt lgkmcnt(0)
	s_waitcnt_vscnt null, 0x0
	s_barrier
	buffer_gl0_inv
	s_clause 0xf
	buffer_load_dword v51, off, s[0:3], 0 offset:104
	buffer_load_dword v52, off, s[0:3], 0 offset:108
	buffer_load_dword v53, off, s[0:3], 0 offset:112
	buffer_load_dword v54, off, s[0:3], 0 offset:116
	buffer_load_dword v55, off, s[0:3], 0 offset:120
	buffer_load_dword v56, off, s[0:3], 0 offset:124
	buffer_load_dword v57, off, s[0:3], 0 offset:128
	buffer_load_dword v58, off, s[0:3], 0 offset:132
	buffer_load_dword v59, off, s[0:3], 0 offset:136
	buffer_load_dword v60, off, s[0:3], 0 offset:140
	buffer_load_dword v61, off, s[0:3], 0 offset:144
	buffer_load_dword v62, off, s[0:3], 0 offset:148
	buffer_load_dword v63, off, s[0:3], 0 offset:152
	buffer_load_dword v64, off, s[0:3], 0 offset:156
	buffer_load_dword v65, off, s[0:3], 0 offset:96
	buffer_load_dword v66, off, s[0:3], 0 offset:100
	v_mov_b32_e32 v42, 0
	ds_read2_b64 v[43:46], v42 offset0:33 offset1:34
	ds_read2_b64 v[47:50], v42 offset0:35 offset1:36
	s_mov_b32 s4, exec_lo
	s_waitcnt vmcnt(14) lgkmcnt(1)
	v_fma_f64 v[43:44], v[51:52], v[43:44], 0
	s_waitcnt vmcnt(12)
	v_fma_f64 v[43:44], v[53:54], v[45:46], v[43:44]
	s_waitcnt vmcnt(10) lgkmcnt(0)
	v_fma_f64 v[43:44], v[55:56], v[47:48], v[43:44]
	s_waitcnt vmcnt(8)
	v_fma_f64 v[47:48], v[57:58], v[49:50], v[43:44]
	ds_read2_b64 v[43:46], v42 offset0:37 offset1:38
	ds_read_b64 v[49:50], v42 offset:312
	s_waitcnt vmcnt(6) lgkmcnt(1)
	v_fma_f64 v[43:44], v[59:60], v[43:44], v[47:48]
	s_waitcnt vmcnt(4)
	v_fma_f64 v[43:44], v[61:62], v[45:46], v[43:44]
	s_waitcnt vmcnt(2) lgkmcnt(0)
	v_fma_f64 v[43:44], v[63:64], v[49:50], v[43:44]
	s_waitcnt vmcnt(0)
	v_add_f64 v[43:44], v[65:66], -v[43:44]
	buffer_store_dword v43, off, s[0:3], 0 offset:96
	buffer_store_dword v44, off, s[0:3], 0 offset:100
	v_cmpx_lt_u32_e32 11, v0
	s_cbranch_execz .LBB83_107
; %bb.106:
	s_clause 0x1
	buffer_load_dword v43, off, s[0:3], 0 offset:88
	buffer_load_dword v44, off, s[0:3], 0 offset:92
	buffer_store_dword v42, off, s[0:3], 0 offset:88
	buffer_store_dword v42, off, s[0:3], 0 offset:92
	s_waitcnt vmcnt(0)
	ds_write_b64 v41, v[43:44]
.LBB83_107:
	s_or_b32 exec_lo, exec_lo, s4
	s_waitcnt lgkmcnt(0)
	s_waitcnt_vscnt null, 0x0
	s_barrier
	buffer_gl0_inv
	s_clause 0x11
	buffer_load_dword v51, off, s[0:3], 0 offset:96
	buffer_load_dword v52, off, s[0:3], 0 offset:100
	;; [unrolled: 1-line block ×18, first 2 shown]
	ds_read_b128 v[43:46], v42 offset:256
	ds_read_b128 v[47:50], v42 offset:272
	s_mov_b32 s4, exec_lo
	s_waitcnt vmcnt(16) lgkmcnt(1)
	v_fma_f64 v[43:44], v[51:52], v[43:44], 0
	s_waitcnt vmcnt(14)
	v_fma_f64 v[43:44], v[53:54], v[45:46], v[43:44]
	s_waitcnt vmcnt(12) lgkmcnt(0)
	v_fma_f64 v[43:44], v[55:56], v[47:48], v[43:44]
	s_waitcnt vmcnt(10)
	v_fma_f64 v[51:52], v[57:58], v[49:50], v[43:44]
	ds_read_b128 v[43:46], v42 offset:288
	ds_read_b128 v[47:50], v42 offset:304
	s_waitcnt vmcnt(8) lgkmcnt(1)
	v_fma_f64 v[42:43], v[59:60], v[43:44], v[51:52]
	s_waitcnt vmcnt(6)
	v_fma_f64 v[42:43], v[61:62], v[45:46], v[42:43]
	s_waitcnt vmcnt(4) lgkmcnt(0)
	v_fma_f64 v[42:43], v[63:64], v[47:48], v[42:43]
	s_waitcnt vmcnt(2)
	v_fma_f64 v[42:43], v[65:66], v[49:50], v[42:43]
	s_waitcnt vmcnt(0)
	v_add_f64 v[42:43], v[67:68], -v[42:43]
	buffer_store_dword v42, off, s[0:3], 0 offset:88
	buffer_store_dword v43, off, s[0:3], 0 offset:92
	v_cmpx_lt_u32_e32 10, v0
	s_cbranch_execz .LBB83_109
; %bb.108:
	s_clause 0x1
	buffer_load_dword v42, off, s[0:3], 0 offset:80
	buffer_load_dword v43, off, s[0:3], 0 offset:84
	v_mov_b32_e32 v44, 0
	buffer_store_dword v44, off, s[0:3], 0 offset:80
	buffer_store_dword v44, off, s[0:3], 0 offset:84
	s_waitcnt vmcnt(0)
	ds_write_b64 v41, v[42:43]
.LBB83_109:
	s_or_b32 exec_lo, exec_lo, s4
	s_waitcnt lgkmcnt(0)
	s_waitcnt_vscnt null, 0x0
	s_barrier
	buffer_gl0_inv
	s_clause 0x13
	buffer_load_dword v51, off, s[0:3], 0 offset:88
	buffer_load_dword v52, off, s[0:3], 0 offset:92
	;; [unrolled: 1-line block ×20, first 2 shown]
	v_mov_b32_e32 v42, 0
	ds_read2_b64 v[43:46], v42 offset0:31 offset1:32
	ds_read2_b64 v[47:50], v42 offset0:33 offset1:34
	s_mov_b32 s4, exec_lo
	s_waitcnt vmcnt(18) lgkmcnt(1)
	v_fma_f64 v[43:44], v[51:52], v[43:44], 0
	s_waitcnt vmcnt(16)
	v_fma_f64 v[43:44], v[53:54], v[45:46], v[43:44]
	s_waitcnt vmcnt(14) lgkmcnt(0)
	v_fma_f64 v[43:44], v[55:56], v[47:48], v[43:44]
	s_waitcnt vmcnt(12)
	v_fma_f64 v[51:52], v[57:58], v[49:50], v[43:44]
	ds_read2_b64 v[43:46], v42 offset0:35 offset1:36
	ds_read2_b64 v[47:50], v42 offset0:37 offset1:38
	s_waitcnt vmcnt(10) lgkmcnt(1)
	v_fma_f64 v[43:44], v[59:60], v[43:44], v[51:52]
	s_waitcnt vmcnt(8)
	v_fma_f64 v[43:44], v[61:62], v[45:46], v[43:44]
	ds_read_b64 v[45:46], v42 offset:312
	s_waitcnt vmcnt(6) lgkmcnt(1)
	v_fma_f64 v[43:44], v[63:64], v[47:48], v[43:44]
	s_waitcnt vmcnt(3)
	v_fma_f64 v[43:44], v[65:66], v[49:50], v[43:44]
	s_waitcnt vmcnt(2) lgkmcnt(0)
	v_fma_f64 v[43:44], v[67:68], v[45:46], v[43:44]
	s_waitcnt vmcnt(0)
	v_add_f64 v[43:44], v[69:70], -v[43:44]
	buffer_store_dword v43, off, s[0:3], 0 offset:80
	buffer_store_dword v44, off, s[0:3], 0 offset:84
	v_cmpx_lt_u32_e32 9, v0
	s_cbranch_execz .LBB83_111
; %bb.110:
	s_clause 0x1
	buffer_load_dword v43, off, s[0:3], 0 offset:72
	buffer_load_dword v44, off, s[0:3], 0 offset:76
	buffer_store_dword v42, off, s[0:3], 0 offset:72
	buffer_store_dword v42, off, s[0:3], 0 offset:76
	s_waitcnt vmcnt(0)
	ds_write_b64 v41, v[43:44]
.LBB83_111:
	s_or_b32 exec_lo, exec_lo, s4
	s_waitcnt lgkmcnt(0)
	s_waitcnt_vscnt null, 0x0
	s_barrier
	buffer_gl0_inv
	s_clause 0x15
	buffer_load_dword v51, off, s[0:3], 0 offset:80
	buffer_load_dword v52, off, s[0:3], 0 offset:84
	;; [unrolled: 1-line block ×22, first 2 shown]
	ds_read_b128 v[43:46], v42 offset:240
	ds_read_b128 v[47:50], v42 offset:256
	s_mov_b32 s4, exec_lo
	s_waitcnt vmcnt(20) lgkmcnt(1)
	v_fma_f64 v[43:44], v[51:52], v[43:44], 0
	s_waitcnt vmcnt(18)
	v_fma_f64 v[43:44], v[53:54], v[45:46], v[43:44]
	s_waitcnt vmcnt(16) lgkmcnt(0)
	v_fma_f64 v[43:44], v[55:56], v[47:48], v[43:44]
	s_waitcnt vmcnt(14)
	v_fma_f64 v[51:52], v[57:58], v[49:50], v[43:44]
	ds_read_b128 v[43:46], v42 offset:272
	ds_read_b128 v[47:50], v42 offset:288
	s_waitcnt vmcnt(12) lgkmcnt(1)
	v_fma_f64 v[43:44], v[59:60], v[43:44], v[51:52]
	s_waitcnt vmcnt(10)
	v_fma_f64 v[43:44], v[61:62], v[45:46], v[43:44]
	s_waitcnt vmcnt(8) lgkmcnt(0)
	v_fma_f64 v[43:44], v[63:64], v[47:48], v[43:44]
	s_waitcnt vmcnt(4)
	v_fma_f64 v[46:47], v[65:66], v[49:50], v[43:44]
	ds_read_b128 v[42:45], v42 offset:304
	s_waitcnt vmcnt(3) lgkmcnt(0)
	v_fma_f64 v[42:43], v[69:70], v[42:43], v[46:47]
	s_waitcnt vmcnt(2)
	v_fma_f64 v[42:43], v[67:68], v[44:45], v[42:43]
	s_waitcnt vmcnt(0)
	v_add_f64 v[42:43], v[71:72], -v[42:43]
	buffer_store_dword v42, off, s[0:3], 0 offset:72
	buffer_store_dword v43, off, s[0:3], 0 offset:76
	v_cmpx_lt_u32_e32 8, v0
	s_cbranch_execz .LBB83_113
; %bb.112:
	s_clause 0x1
	buffer_load_dword v42, off, s[0:3], 0 offset:64
	buffer_load_dword v43, off, s[0:3], 0 offset:68
	v_mov_b32_e32 v44, 0
	buffer_store_dword v44, off, s[0:3], 0 offset:64
	buffer_store_dword v44, off, s[0:3], 0 offset:68
	s_waitcnt vmcnt(0)
	ds_write_b64 v41, v[42:43]
.LBB83_113:
	s_or_b32 exec_lo, exec_lo, s4
	s_waitcnt lgkmcnt(0)
	s_waitcnt_vscnt null, 0x0
	s_barrier
	buffer_gl0_inv
	s_clause 0x17
	buffer_load_dword v51, off, s[0:3], 0 offset:72
	buffer_load_dword v52, off, s[0:3], 0 offset:76
	;; [unrolled: 1-line block ×24, first 2 shown]
	v_mov_b32_e32 v42, 0
	ds_read2_b64 v[43:46], v42 offset0:29 offset1:30
	ds_read2_b64 v[47:50], v42 offset0:31 offset1:32
	s_mov_b32 s4, exec_lo
	s_waitcnt vmcnt(22) lgkmcnt(1)
	v_fma_f64 v[43:44], v[51:52], v[43:44], 0
	s_waitcnt vmcnt(20)
	v_fma_f64 v[43:44], v[53:54], v[45:46], v[43:44]
	s_waitcnt vmcnt(18) lgkmcnt(0)
	v_fma_f64 v[43:44], v[55:56], v[47:48], v[43:44]
	s_waitcnt vmcnt(16)
	v_fma_f64 v[51:52], v[57:58], v[49:50], v[43:44]
	ds_read2_b64 v[43:46], v42 offset0:33 offset1:34
	ds_read2_b64 v[47:50], v42 offset0:35 offset1:36
	s_waitcnt vmcnt(14) lgkmcnt(1)
	v_fma_f64 v[43:44], v[59:60], v[43:44], v[51:52]
	s_waitcnt vmcnt(12)
	v_fma_f64 v[43:44], v[61:62], v[45:46], v[43:44]
	s_waitcnt vmcnt(10) lgkmcnt(0)
	v_fma_f64 v[43:44], v[63:64], v[47:48], v[43:44]
	s_waitcnt vmcnt(5)
	v_fma_f64 v[47:48], v[65:66], v[49:50], v[43:44]
	ds_read2_b64 v[43:46], v42 offset0:37 offset1:38
	ds_read_b64 v[49:50], v42 offset:312
	s_waitcnt vmcnt(4) lgkmcnt(1)
	v_fma_f64 v[43:44], v[71:72], v[43:44], v[47:48]
	s_waitcnt vmcnt(3)
	v_fma_f64 v[43:44], v[69:70], v[45:46], v[43:44]
	s_waitcnt vmcnt(2) lgkmcnt(0)
	v_fma_f64 v[43:44], v[67:68], v[49:50], v[43:44]
	s_waitcnt vmcnt(0)
	v_add_f64 v[43:44], v[73:74], -v[43:44]
	buffer_store_dword v44, off, s[0:3], 0 offset:68
	buffer_store_dword v43, off, s[0:3], 0 offset:64
	v_cmpx_lt_u32_e32 7, v0
	s_cbranch_execz .LBB83_115
; %bb.114:
	s_clause 0x1
	buffer_load_dword v43, off, s[0:3], 0 offset:56
	buffer_load_dword v44, off, s[0:3], 0 offset:60
	buffer_store_dword v42, off, s[0:3], 0 offset:56
	buffer_store_dword v42, off, s[0:3], 0 offset:60
	s_waitcnt vmcnt(0)
	ds_write_b64 v41, v[43:44]
.LBB83_115:
	s_or_b32 exec_lo, exec_lo, s4
	s_waitcnt lgkmcnt(0)
	s_waitcnt_vscnt null, 0x0
	s_barrier
	buffer_gl0_inv
	s_clause 0x19
	buffer_load_dword v51, off, s[0:3], 0 offset:64
	buffer_load_dword v52, off, s[0:3], 0 offset:68
	;; [unrolled: 1-line block ×26, first 2 shown]
	ds_read_b128 v[43:46], v42 offset:224
	ds_read_b128 v[47:50], v42 offset:240
	s_mov_b32 s4, exec_lo
	s_waitcnt vmcnt(24) lgkmcnt(1)
	v_fma_f64 v[43:44], v[51:52], v[43:44], 0
	s_waitcnt vmcnt(22)
	v_fma_f64 v[43:44], v[53:54], v[45:46], v[43:44]
	s_waitcnt vmcnt(20) lgkmcnt(0)
	v_fma_f64 v[43:44], v[55:56], v[47:48], v[43:44]
	s_waitcnt vmcnt(18)
	v_fma_f64 v[51:52], v[57:58], v[49:50], v[43:44]
	ds_read_b128 v[43:46], v42 offset:256
	ds_read_b128 v[47:50], v42 offset:272
	s_waitcnt vmcnt(16) lgkmcnt(1)
	v_fma_f64 v[43:44], v[59:60], v[43:44], v[51:52]
	s_waitcnt vmcnt(14)
	v_fma_f64 v[43:44], v[61:62], v[45:46], v[43:44]
	s_waitcnt vmcnt(12) lgkmcnt(0)
	v_fma_f64 v[43:44], v[63:64], v[47:48], v[43:44]
	s_waitcnt vmcnt(7)
	v_fma_f64 v[51:52], v[65:66], v[49:50], v[43:44]
	ds_read_b128 v[43:46], v42 offset:288
	ds_read_b128 v[47:50], v42 offset:304
	s_waitcnt vmcnt(6) lgkmcnt(1)
	v_fma_f64 v[42:43], v[71:72], v[43:44], v[51:52]
	s_waitcnt vmcnt(5)
	v_fma_f64 v[42:43], v[69:70], v[45:46], v[42:43]
	s_waitcnt vmcnt(4) lgkmcnt(0)
	v_fma_f64 v[42:43], v[67:68], v[47:48], v[42:43]
	s_waitcnt vmcnt(2)
	v_fma_f64 v[42:43], v[73:74], v[49:50], v[42:43]
	s_waitcnt vmcnt(0)
	v_add_f64 v[42:43], v[75:76], -v[42:43]
	buffer_store_dword v43, off, s[0:3], 0 offset:60
	buffer_store_dword v42, off, s[0:3], 0 offset:56
	v_cmpx_lt_u32_e32 6, v0
	s_cbranch_execz .LBB83_117
; %bb.116:
	s_clause 0x1
	buffer_load_dword v42, off, s[0:3], 0 offset:48
	buffer_load_dword v43, off, s[0:3], 0 offset:52
	v_mov_b32_e32 v44, 0
	buffer_store_dword v44, off, s[0:3], 0 offset:48
	buffer_store_dword v44, off, s[0:3], 0 offset:52
	s_waitcnt vmcnt(0)
	ds_write_b64 v41, v[42:43]
.LBB83_117:
	s_or_b32 exec_lo, exec_lo, s4
	s_waitcnt lgkmcnt(0)
	s_waitcnt_vscnt null, 0x0
	s_barrier
	buffer_gl0_inv
	s_clause 0x1b
	buffer_load_dword v51, off, s[0:3], 0 offset:56
	buffer_load_dword v52, off, s[0:3], 0 offset:60
	;; [unrolled: 1-line block ×28, first 2 shown]
	v_mov_b32_e32 v42, 0
	ds_read2_b64 v[43:46], v42 offset0:27 offset1:28
	ds_read2_b64 v[47:50], v42 offset0:29 offset1:30
	s_mov_b32 s4, exec_lo
	s_waitcnt vmcnt(26) lgkmcnt(1)
	v_fma_f64 v[43:44], v[51:52], v[43:44], 0
	s_waitcnt vmcnt(24)
	v_fma_f64 v[43:44], v[53:54], v[45:46], v[43:44]
	s_waitcnt vmcnt(22) lgkmcnt(0)
	v_fma_f64 v[43:44], v[55:56], v[47:48], v[43:44]
	s_waitcnt vmcnt(20)
	v_fma_f64 v[51:52], v[57:58], v[49:50], v[43:44]
	ds_read2_b64 v[43:46], v42 offset0:31 offset1:32
	ds_read2_b64 v[47:50], v42 offset0:33 offset1:34
	s_waitcnt vmcnt(18) lgkmcnt(1)
	v_fma_f64 v[43:44], v[59:60], v[43:44], v[51:52]
	s_waitcnt vmcnt(16)
	v_fma_f64 v[43:44], v[61:62], v[45:46], v[43:44]
	s_waitcnt vmcnt(14) lgkmcnt(0)
	v_fma_f64 v[43:44], v[63:64], v[47:48], v[43:44]
	s_waitcnt vmcnt(9)
	v_fma_f64 v[51:52], v[65:66], v[49:50], v[43:44]
	ds_read2_b64 v[43:46], v42 offset0:35 offset1:36
	ds_read2_b64 v[47:50], v42 offset0:37 offset1:38
	s_waitcnt vmcnt(8) lgkmcnt(1)
	v_fma_f64 v[43:44], v[71:72], v[43:44], v[51:52]
	s_waitcnt vmcnt(7)
	v_fma_f64 v[43:44], v[69:70], v[45:46], v[43:44]
	ds_read_b64 v[45:46], v42 offset:312
	s_waitcnt vmcnt(6) lgkmcnt(1)
	v_fma_f64 v[43:44], v[67:68], v[47:48], v[43:44]
	s_waitcnt vmcnt(3)
	v_fma_f64 v[43:44], v[73:74], v[49:50], v[43:44]
	s_waitcnt vmcnt(2) lgkmcnt(0)
	v_fma_f64 v[43:44], v[75:76], v[45:46], v[43:44]
	s_waitcnt vmcnt(0)
	v_add_f64 v[43:44], v[77:78], -v[43:44]
	buffer_store_dword v44, off, s[0:3], 0 offset:52
	buffer_store_dword v43, off, s[0:3], 0 offset:48
	v_cmpx_lt_u32_e32 5, v0
	s_cbranch_execz .LBB83_119
; %bb.118:
	s_clause 0x1
	buffer_load_dword v43, off, s[0:3], 0 offset:40
	buffer_load_dword v44, off, s[0:3], 0 offset:44
	buffer_store_dword v42, off, s[0:3], 0 offset:40
	buffer_store_dword v42, off, s[0:3], 0 offset:44
	s_waitcnt vmcnt(0)
	ds_write_b64 v41, v[43:44]
.LBB83_119:
	s_or_b32 exec_lo, exec_lo, s4
	s_waitcnt lgkmcnt(0)
	s_waitcnt_vscnt null, 0x0
	s_barrier
	buffer_gl0_inv
	s_clause 0x1b
	buffer_load_dword v51, off, s[0:3], 0 offset:48
	buffer_load_dword v52, off, s[0:3], 0 offset:52
	;; [unrolled: 1-line block ×28, first 2 shown]
	ds_read_b128 v[43:46], v42 offset:208
	s_clause 0x1
	buffer_load_dword v79, off, s[0:3], 0 offset:40
	buffer_load_dword v80, off, s[0:3], 0 offset:44
	ds_read_b128 v[47:50], v42 offset:224
	s_mov_b32 s4, exec_lo
	s_waitcnt vmcnt(28) lgkmcnt(1)
	v_fma_f64 v[43:44], v[51:52], v[43:44], 0
	s_waitcnt vmcnt(26)
	v_fma_f64 v[43:44], v[53:54], v[45:46], v[43:44]
	s_waitcnt vmcnt(24) lgkmcnt(0)
	v_fma_f64 v[43:44], v[55:56], v[47:48], v[43:44]
	s_waitcnt vmcnt(22)
	v_fma_f64 v[51:52], v[57:58], v[49:50], v[43:44]
	ds_read_b128 v[43:46], v42 offset:240
	ds_read_b128 v[47:50], v42 offset:256
	s_waitcnt vmcnt(20) lgkmcnt(1)
	v_fma_f64 v[43:44], v[59:60], v[43:44], v[51:52]
	s_waitcnt vmcnt(18)
	v_fma_f64 v[43:44], v[61:62], v[45:46], v[43:44]
	s_waitcnt vmcnt(16) lgkmcnt(0)
	v_fma_f64 v[43:44], v[63:64], v[47:48], v[43:44]
	s_waitcnt vmcnt(11)
	v_fma_f64 v[51:52], v[65:66], v[49:50], v[43:44]
	ds_read_b128 v[43:46], v42 offset:272
	ds_read_b128 v[47:50], v42 offset:288
	s_waitcnt vmcnt(10) lgkmcnt(1)
	v_fma_f64 v[43:44], v[71:72], v[43:44], v[51:52]
	s_waitcnt vmcnt(9)
	v_fma_f64 v[43:44], v[69:70], v[45:46], v[43:44]
	s_waitcnt vmcnt(8) lgkmcnt(0)
	v_fma_f64 v[43:44], v[67:68], v[47:48], v[43:44]
	s_waitcnt vmcnt(4)
	v_fma_f64 v[46:47], v[73:74], v[49:50], v[43:44]
	ds_read_b128 v[42:45], v42 offset:304
	s_waitcnt vmcnt(3) lgkmcnt(0)
	v_fma_f64 v[42:43], v[77:78], v[42:43], v[46:47]
	s_waitcnt vmcnt(2)
	v_fma_f64 v[42:43], v[75:76], v[44:45], v[42:43]
	s_waitcnt vmcnt(0)
	v_add_f64 v[42:43], v[79:80], -v[42:43]
	buffer_store_dword v43, off, s[0:3], 0 offset:44
	buffer_store_dword v42, off, s[0:3], 0 offset:40
	v_cmpx_lt_u32_e32 4, v0
	s_cbranch_execz .LBB83_121
; %bb.120:
	s_clause 0x1
	buffer_load_dword v42, off, s[0:3], 0 offset:32
	buffer_load_dword v43, off, s[0:3], 0 offset:36
	v_mov_b32_e32 v44, 0
	buffer_store_dword v44, off, s[0:3], 0 offset:32
	buffer_store_dword v44, off, s[0:3], 0 offset:36
	s_waitcnt vmcnt(0)
	ds_write_b64 v41, v[42:43]
.LBB83_121:
	s_or_b32 exec_lo, exec_lo, s4
	s_waitcnt lgkmcnt(0)
	s_waitcnt_vscnt null, 0x0
	s_barrier
	buffer_gl0_inv
	s_clause 0x1c
	buffer_load_dword v51, off, s[0:3], 0 offset:40
	buffer_load_dword v52, off, s[0:3], 0 offset:44
	;; [unrolled: 1-line block ×29, first 2 shown]
	v_mov_b32_e32 v42, 0
	buffer_load_dword v76, off, s[0:3], 0 offset:156
	s_mov_b32 s4, exec_lo
	ds_read2_b64 v[43:46], v42 offset0:25 offset1:26
	ds_read2_b64 v[47:50], v42 offset0:27 offset1:28
	s_waitcnt vmcnt(28) lgkmcnt(1)
	v_fma_f64 v[43:44], v[51:52], v[43:44], 0
	s_clause 0x1
	buffer_load_dword v51, off, s[0:3], 0 offset:32
	buffer_load_dword v52, off, s[0:3], 0 offset:36
	s_waitcnt vmcnt(28)
	v_fma_f64 v[43:44], v[53:54], v[45:46], v[43:44]
	s_waitcnt vmcnt(26) lgkmcnt(0)
	v_fma_f64 v[43:44], v[55:56], v[47:48], v[43:44]
	s_waitcnt vmcnt(24)
	v_fma_f64 v[53:54], v[57:58], v[49:50], v[43:44]
	ds_read2_b64 v[43:46], v42 offset0:29 offset1:30
	ds_read2_b64 v[47:50], v42 offset0:31 offset1:32
	s_waitcnt vmcnt(22) lgkmcnt(1)
	v_fma_f64 v[43:44], v[59:60], v[43:44], v[53:54]
	s_waitcnt vmcnt(20)
	v_fma_f64 v[43:44], v[61:62], v[45:46], v[43:44]
	s_waitcnt vmcnt(18) lgkmcnt(0)
	v_fma_f64 v[43:44], v[63:64], v[47:48], v[43:44]
	s_waitcnt vmcnt(13)
	v_fma_f64 v[53:54], v[65:66], v[49:50], v[43:44]
	ds_read2_b64 v[43:46], v42 offset0:33 offset1:34
	ds_read2_b64 v[47:50], v42 offset0:35 offset1:36
	s_waitcnt vmcnt(12) lgkmcnt(1)
	v_fma_f64 v[43:44], v[71:72], v[43:44], v[53:54]
	s_waitcnt vmcnt(11)
	v_fma_f64 v[43:44], v[69:70], v[45:46], v[43:44]
	s_waitcnt vmcnt(10) lgkmcnt(0)
	v_fma_f64 v[43:44], v[67:68], v[47:48], v[43:44]
	s_waitcnt vmcnt(5)
	v_fma_f64 v[47:48], v[73:74], v[49:50], v[43:44]
	ds_read2_b64 v[43:46], v42 offset0:37 offset1:38
	ds_read_b64 v[49:50], v42 offset:312
	s_waitcnt vmcnt(4) lgkmcnt(1)
	v_fma_f64 v[43:44], v[79:80], v[43:44], v[47:48]
	s_waitcnt vmcnt(3)
	v_fma_f64 v[43:44], v[77:78], v[45:46], v[43:44]
	s_waitcnt vmcnt(2) lgkmcnt(0)
	v_fma_f64 v[43:44], v[75:76], v[49:50], v[43:44]
	s_waitcnt vmcnt(0)
	v_add_f64 v[43:44], v[51:52], -v[43:44]
	buffer_store_dword v44, off, s[0:3], 0 offset:36
	buffer_store_dword v43, off, s[0:3], 0 offset:32
	v_cmpx_lt_u32_e32 3, v0
	s_cbranch_execz .LBB83_123
; %bb.122:
	s_clause 0x1
	buffer_load_dword v43, off, s[0:3], 0 offset:24
	buffer_load_dword v44, off, s[0:3], 0 offset:28
	buffer_store_dword v42, off, s[0:3], 0 offset:24
	buffer_store_dword v42, off, s[0:3], 0 offset:28
	s_waitcnt vmcnt(0)
	ds_write_b64 v41, v[43:44]
.LBB83_123:
	s_or_b32 exec_lo, exec_lo, s4
	s_waitcnt lgkmcnt(0)
	s_waitcnt_vscnt null, 0x0
	s_barrier
	buffer_gl0_inv
	s_clause 0x1c
	buffer_load_dword v51, off, s[0:3], 0 offset:32
	buffer_load_dword v52, off, s[0:3], 0 offset:36
	;; [unrolled: 1-line block ×29, first 2 shown]
	ds_read_b128 v[43:46], v42 offset:192
	ds_read_b128 v[47:50], v42 offset:208
	buffer_load_dword v76, off, s[0:3], 0 offset:148
	s_mov_b32 s4, exec_lo
	s_waitcnt vmcnt(28) lgkmcnt(1)
	v_fma_f64 v[43:44], v[51:52], v[43:44], 0
	s_clause 0x1
	buffer_load_dword v52, off, s[0:3], 0 offset:156
	buffer_load_dword v51, off, s[0:3], 0 offset:152
	s_waitcnt vmcnt(28)
	v_fma_f64 v[43:44], v[53:54], v[45:46], v[43:44]
	s_clause 0x1
	buffer_load_dword v53, off, s[0:3], 0 offset:24
	buffer_load_dword v54, off, s[0:3], 0 offset:28
	s_waitcnt vmcnt(28) lgkmcnt(0)
	v_fma_f64 v[43:44], v[55:56], v[47:48], v[43:44]
	s_waitcnt vmcnt(26)
	v_fma_f64 v[55:56], v[57:58], v[49:50], v[43:44]
	ds_read_b128 v[43:46], v42 offset:224
	ds_read_b128 v[47:50], v42 offset:240
	s_waitcnt vmcnt(24) lgkmcnt(1)
	v_fma_f64 v[43:44], v[59:60], v[43:44], v[55:56]
	s_waitcnt vmcnt(22)
	v_fma_f64 v[43:44], v[61:62], v[45:46], v[43:44]
	s_waitcnt vmcnt(20) lgkmcnt(0)
	v_fma_f64 v[43:44], v[63:64], v[47:48], v[43:44]
	s_waitcnt vmcnt(15)
	v_fma_f64 v[55:56], v[65:66], v[49:50], v[43:44]
	ds_read_b128 v[43:46], v42 offset:256
	ds_read_b128 v[47:50], v42 offset:272
	s_waitcnt vmcnt(14) lgkmcnt(1)
	v_fma_f64 v[43:44], v[71:72], v[43:44], v[55:56]
	s_waitcnt vmcnt(13)
	v_fma_f64 v[43:44], v[69:70], v[45:46], v[43:44]
	;; [unrolled: 10-line block ×3, first 2 shown]
	s_waitcnt vmcnt(4) lgkmcnt(0)
	v_fma_f64 v[42:43], v[75:76], v[47:48], v[42:43]
	s_waitcnt vmcnt(2)
	v_fma_f64 v[42:43], v[51:52], v[49:50], v[42:43]
	s_waitcnt vmcnt(0)
	v_add_f64 v[42:43], v[53:54], -v[42:43]
	buffer_store_dword v43, off, s[0:3], 0 offset:28
	buffer_store_dword v42, off, s[0:3], 0 offset:24
	v_cmpx_lt_u32_e32 2, v0
	s_cbranch_execz .LBB83_125
; %bb.124:
	s_clause 0x1
	buffer_load_dword v42, off, s[0:3], 0 offset:16
	buffer_load_dword v43, off, s[0:3], 0 offset:20
	v_mov_b32_e32 v44, 0
	buffer_store_dword v44, off, s[0:3], 0 offset:16
	buffer_store_dword v44, off, s[0:3], 0 offset:20
	s_waitcnt vmcnt(0)
	ds_write_b64 v41, v[42:43]
.LBB83_125:
	s_or_b32 exec_lo, exec_lo, s4
	s_waitcnt lgkmcnt(0)
	s_waitcnt_vscnt null, 0x0
	s_barrier
	buffer_gl0_inv
	s_clause 0x1c
	buffer_load_dword v51, off, s[0:3], 0 offset:24
	buffer_load_dword v52, off, s[0:3], 0 offset:28
	;; [unrolled: 1-line block ×29, first 2 shown]
	v_mov_b32_e32 v42, 0
	buffer_load_dword v76, off, s[0:3], 0 offset:140
	s_mov_b32 s4, exec_lo
	ds_read2_b64 v[43:46], v42 offset0:23 offset1:24
	ds_read2_b64 v[47:50], v42 offset0:25 offset1:26
	s_waitcnt vmcnt(28) lgkmcnt(1)
	v_fma_f64 v[43:44], v[51:52], v[43:44], 0
	s_clause 0x3
	buffer_load_dword v52, off, s[0:3], 0 offset:148
	buffer_load_dword v81, off, s[0:3], 0 offset:152
	;; [unrolled: 1-line block ×4, first 2 shown]
	s_waitcnt vmcnt(30)
	v_fma_f64 v[43:44], v[53:54], v[45:46], v[43:44]
	s_clause 0x1
	buffer_load_dword v53, off, s[0:3], 0 offset:16
	buffer_load_dword v54, off, s[0:3], 0 offset:20
	s_waitcnt vmcnt(30) lgkmcnt(0)
	v_fma_f64 v[43:44], v[55:56], v[47:48], v[43:44]
	s_waitcnt vmcnt(28)
	v_fma_f64 v[55:56], v[57:58], v[49:50], v[43:44]
	ds_read2_b64 v[43:46], v42 offset0:27 offset1:28
	ds_read2_b64 v[47:50], v42 offset0:29 offset1:30
	s_waitcnt vmcnt(26) lgkmcnt(1)
	v_fma_f64 v[43:44], v[59:60], v[43:44], v[55:56]
	s_waitcnt vmcnt(24)
	v_fma_f64 v[43:44], v[61:62], v[45:46], v[43:44]
	s_waitcnt vmcnt(22) lgkmcnt(0)
	v_fma_f64 v[43:44], v[63:64], v[47:48], v[43:44]
	s_waitcnt vmcnt(17)
	v_fma_f64 v[55:56], v[65:66], v[49:50], v[43:44]
	ds_read2_b64 v[43:46], v42 offset0:31 offset1:32
	ds_read2_b64 v[47:50], v42 offset0:33 offset1:34
	s_waitcnt vmcnt(16) lgkmcnt(1)
	v_fma_f64 v[43:44], v[71:72], v[43:44], v[55:56]
	s_waitcnt vmcnt(15)
	v_fma_f64 v[43:44], v[69:70], v[45:46], v[43:44]
	s_waitcnt vmcnt(14) lgkmcnt(0)
	v_fma_f64 v[43:44], v[67:68], v[47:48], v[43:44]
	s_waitcnt vmcnt(9)
	v_fma_f64 v[55:56], v[73:74], v[49:50], v[43:44]
	ds_read2_b64 v[43:46], v42 offset0:35 offset1:36
	ds_read2_b64 v[47:50], v42 offset0:37 offset1:38
	s_waitcnt vmcnt(8) lgkmcnt(1)
	v_fma_f64 v[43:44], v[79:80], v[43:44], v[55:56]
	s_waitcnt vmcnt(7)
	v_fma_f64 v[43:44], v[77:78], v[45:46], v[43:44]
	ds_read_b64 v[45:46], v42 offset:312
	s_waitcnt vmcnt(6) lgkmcnt(1)
	v_fma_f64 v[43:44], v[75:76], v[47:48], v[43:44]
	s_waitcnt vmcnt(3)
	v_fma_f64 v[43:44], v[51:52], v[49:50], v[43:44]
	s_waitcnt vmcnt(2) lgkmcnt(0)
	v_fma_f64 v[43:44], v[81:82], v[45:46], v[43:44]
	s_waitcnt vmcnt(0)
	v_add_f64 v[43:44], v[53:54], -v[43:44]
	buffer_store_dword v44, off, s[0:3], 0 offset:20
	buffer_store_dword v43, off, s[0:3], 0 offset:16
	v_cmpx_lt_u32_e32 1, v0
	s_cbranch_execz .LBB83_127
; %bb.126:
	s_clause 0x1
	buffer_load_dword v43, off, s[0:3], 0 offset:8
	buffer_load_dword v44, off, s[0:3], 0 offset:12
	buffer_store_dword v42, off, s[0:3], 0 offset:8
	buffer_store_dword v42, off, s[0:3], 0 offset:12
	s_waitcnt vmcnt(0)
	ds_write_b64 v41, v[43:44]
.LBB83_127:
	s_or_b32 exec_lo, exec_lo, s4
	s_waitcnt lgkmcnt(0)
	s_waitcnt_vscnt null, 0x0
	s_barrier
	buffer_gl0_inv
	s_clause 0x1c
	buffer_load_dword v51, off, s[0:3], 0 offset:16
	buffer_load_dword v52, off, s[0:3], 0 offset:20
	;; [unrolled: 1-line block ×29, first 2 shown]
	ds_read_b128 v[43:46], v42 offset:176
	ds_read_b128 v[47:50], v42 offset:192
	buffer_load_dword v76, off, s[0:3], 0 offset:132
	s_mov_b32 s4, exec_lo
	s_waitcnt vmcnt(28) lgkmcnt(1)
	v_fma_f64 v[43:44], v[51:52], v[43:44], 0
	s_clause 0x5
	buffer_load_dword v52, off, s[0:3], 0 offset:140
	buffer_load_dword v81, off, s[0:3], 0 offset:152
	;; [unrolled: 1-line block ×6, first 2 shown]
	s_waitcnt vmcnt(32)
	v_fma_f64 v[43:44], v[53:54], v[45:46], v[43:44]
	s_waitcnt vmcnt(30) lgkmcnt(0)
	v_fma_f64 v[43:44], v[55:56], v[47:48], v[43:44]
	s_waitcnt vmcnt(28)
	v_fma_f64 v[53:54], v[57:58], v[49:50], v[43:44]
	ds_read_b128 v[43:46], v42 offset:208
	s_clause 0x1
	buffer_load_dword v55, off, s[0:3], 0 offset:8
	buffer_load_dword v56, off, s[0:3], 0 offset:12
	ds_read_b128 v[47:50], v42 offset:224
	s_waitcnt vmcnt(28) lgkmcnt(1)
	v_fma_f64 v[43:44], v[59:60], v[43:44], v[53:54]
	s_waitcnt vmcnt(26)
	v_fma_f64 v[43:44], v[61:62], v[45:46], v[43:44]
	s_waitcnt vmcnt(24) lgkmcnt(0)
	v_fma_f64 v[43:44], v[63:64], v[47:48], v[43:44]
	s_waitcnt vmcnt(19)
	v_fma_f64 v[53:54], v[65:66], v[49:50], v[43:44]
	ds_read_b128 v[43:46], v42 offset:240
	ds_read_b128 v[47:50], v42 offset:256
	s_waitcnt vmcnt(18) lgkmcnt(1)
	v_fma_f64 v[43:44], v[71:72], v[43:44], v[53:54]
	s_waitcnt vmcnt(17)
	v_fma_f64 v[43:44], v[69:70], v[45:46], v[43:44]
	s_waitcnt vmcnt(16) lgkmcnt(0)
	v_fma_f64 v[43:44], v[67:68], v[47:48], v[43:44]
	s_waitcnt vmcnt(11)
	v_fma_f64 v[53:54], v[73:74], v[49:50], v[43:44]
	ds_read_b128 v[43:46], v42 offset:272
	;; [unrolled: 10-line block ×3, first 2 shown]
	s_waitcnt vmcnt(3) lgkmcnt(0)
	v_fma_f64 v[42:43], v[83:84], v[42:43], v[46:47]
	s_waitcnt vmcnt(2)
	v_fma_f64 v[42:43], v[81:82], v[44:45], v[42:43]
	s_waitcnt vmcnt(0)
	v_add_f64 v[42:43], v[55:56], -v[42:43]
	buffer_store_dword v43, off, s[0:3], 0 offset:12
	buffer_store_dword v42, off, s[0:3], 0 offset:8
	v_cmpx_ne_u32_e32 0, v0
	s_cbranch_execz .LBB83_129
; %bb.128:
	s_clause 0x1
	buffer_load_dword v42, off, s[0:3], 0
	buffer_load_dword v43, off, s[0:3], 0 offset:4
	v_mov_b32_e32 v0, 0
	buffer_store_dword v0, off, s[0:3], 0
	buffer_store_dword v0, off, s[0:3], 0 offset:4
	s_waitcnt vmcnt(0)
	ds_write_b64 v41, v[42:43]
.LBB83_129:
	s_or_b32 exec_lo, exec_lo, s4
	s_waitcnt lgkmcnt(0)
	s_waitcnt_vscnt null, 0x0
	s_barrier
	buffer_gl0_inv
	s_clause 0x1c
	buffer_load_dword v49, off, s[0:3], 0 offset:8
	buffer_load_dword v50, off, s[0:3], 0 offset:12
	;; [unrolled: 1-line block ×29, first 2 shown]
	v_mov_b32_e32 v0, 0
	buffer_load_dword v74, off, s[0:3], 0 offset:124
	s_and_b32 vcc_lo, exec_lo, s16
	ds_read2_b64 v[41:44], v0 offset0:21 offset1:22
	ds_read2_b64 v[45:48], v0 offset0:23 offset1:24
	s_waitcnt vmcnt(28) lgkmcnt(1)
	v_fma_f64 v[49:50], v[49:50], v[41:42], 0
	s_clause 0x6
	buffer_load_dword v80, off, s[0:3], 0 offset:132
	buffer_load_dword v81, off, s[0:3], 0 offset:152
	;; [unrolled: 1-line block ×7, first 2 shown]
	s_waitcnt vmcnt(33)
	v_fma_f64 v[42:43], v[51:52], v[43:44], v[49:50]
	s_waitcnt vmcnt(31) lgkmcnt(0)
	v_fma_f64 v[43:44], v[53:54], v[45:46], v[42:43]
	buffer_load_dword v42, off, s[0:3], 0 offset:148
	s_waitcnt vmcnt(30)
	v_fma_f64 v[51:52], v[55:56], v[47:48], v[43:44]
	ds_read2_b64 v[43:46], v0 offset0:25 offset1:26
	ds_read2_b64 v[47:50], v0 offset0:27 offset1:28
	s_waitcnt vmcnt(28) lgkmcnt(1)
	v_fma_f64 v[43:44], v[57:58], v[43:44], v[51:52]
	s_clause 0x1
	buffer_load_dword v51, off, s[0:3], 0
	buffer_load_dword v52, off, s[0:3], 0 offset:4
	s_waitcnt vmcnt(28)
	v_fma_f64 v[43:44], v[59:60], v[45:46], v[43:44]
	s_waitcnt vmcnt(26) lgkmcnt(0)
	v_fma_f64 v[43:44], v[61:62], v[47:48], v[43:44]
	s_waitcnt vmcnt(21)
	v_fma_f64 v[53:54], v[63:64], v[49:50], v[43:44]
	ds_read2_b64 v[43:46], v0 offset0:29 offset1:30
	ds_read2_b64 v[47:50], v0 offset0:31 offset1:32
	s_waitcnt vmcnt(20) lgkmcnt(1)
	v_fma_f64 v[43:44], v[69:70], v[43:44], v[53:54]
	s_waitcnt vmcnt(19)
	v_fma_f64 v[43:44], v[67:68], v[45:46], v[43:44]
	s_waitcnt vmcnt(18) lgkmcnt(0)
	v_fma_f64 v[43:44], v[65:66], v[47:48], v[43:44]
	s_waitcnt vmcnt(13)
	v_fma_f64 v[53:54], v[71:72], v[49:50], v[43:44]
	ds_read2_b64 v[43:46], v0 offset0:33 offset1:34
	ds_read2_b64 v[47:50], v0 offset0:35 offset1:36
	s_waitcnt vmcnt(12) lgkmcnt(1)
	v_fma_f64 v[43:44], v[77:78], v[43:44], v[53:54]
	s_waitcnt vmcnt(11)
	v_fma_f64 v[43:44], v[75:76], v[45:46], v[43:44]
	s_waitcnt vmcnt(10) lgkmcnt(0)
	v_fma_f64 v[43:44], v[73:74], v[47:48], v[43:44]
	s_waitcnt vmcnt(5)
	v_fma_f64 v[47:48], v[79:80], v[49:50], v[43:44]
	ds_read2_b64 v[43:46], v0 offset0:37 offset1:38
	ds_read_b64 v[49:50], v0 offset:312
	s_waitcnt vmcnt(4) lgkmcnt(1)
	v_fma_f64 v[43:44], v[83:84], v[43:44], v[47:48]
	s_waitcnt vmcnt(2)
	v_fma_f64 v[43:44], v[41:42], v[45:46], v[43:44]
	s_waitcnt lgkmcnt(0)
	v_fma_f64 v[43:44], v[81:82], v[49:50], v[43:44]
	s_waitcnt vmcnt(0)
	v_add_f64 v[43:44], v[51:52], -v[43:44]
	buffer_store_dword v44, off, s[0:3], 0 offset:4
	buffer_store_dword v43, off, s[0:3], 0
	s_cbranch_vccz .LBB83_168
; %bb.130:
	global_load_dword v0, v0, s[12:13] offset:72
	s_waitcnt vmcnt(0)
	v_add_nc_u32_e32 v0, -1, v0
	v_cmp_ne_u32_e32 vcc_lo, 18, v0
	s_cbranch_vccz .LBB83_132
; %bb.131:
	v_lshlrev_b32_e32 v0, 3, v0
	s_clause 0x1
	buffer_load_dword v43, v0, s[0:3], 0 offen offset:4
	buffer_load_dword v44, v0, s[0:3], 0 offen
	s_waitcnt vmcnt(1)
	buffer_store_dword v43, off, s[0:3], 0 offset:148
	s_waitcnt vmcnt(0)
	buffer_store_dword v44, off, s[0:3], 0 offset:144
	buffer_store_dword v42, v0, s[0:3], 0 offen offset:4
	buffer_store_dword v41, v0, s[0:3], 0 offen
.LBB83_132:
	v_mov_b32_e32 v0, 0
	global_load_dword v41, v0, s[12:13] offset:68
	s_waitcnt vmcnt(0)
	v_add_nc_u32_e32 v41, -1, v41
	v_cmp_eq_u32_e32 vcc_lo, 17, v41
	s_cbranch_vccnz .LBB83_134
; %bb.133:
	v_lshlrev_b32_e32 v41, 3, v41
	s_clause 0x3
	buffer_load_dword v42, v41, s[0:3], 0 offen
	buffer_load_dword v43, v41, s[0:3], 0 offen offset:4
	buffer_load_dword v44, off, s[0:3], 0 offset:136
	buffer_load_dword v45, off, s[0:3], 0 offset:140
	s_waitcnt vmcnt(3)
	buffer_store_dword v42, off, s[0:3], 0 offset:136
	s_waitcnt vmcnt(2)
	buffer_store_dword v43, off, s[0:3], 0 offset:140
	s_waitcnt vmcnt(1)
	buffer_store_dword v44, v41, s[0:3], 0 offen
	s_waitcnt vmcnt(0)
	buffer_store_dword v45, v41, s[0:3], 0 offen offset:4
.LBB83_134:
	global_load_dword v0, v0, s[12:13] offset:64
	s_waitcnt vmcnt(0)
	v_add_nc_u32_e32 v0, -1, v0
	v_cmp_eq_u32_e32 vcc_lo, 16, v0
	s_cbranch_vccnz .LBB83_136
; %bb.135:
	v_lshlrev_b32_e32 v0, 3, v0
	s_clause 0x3
	buffer_load_dword v41, v0, s[0:3], 0 offen
	buffer_load_dword v42, v0, s[0:3], 0 offen offset:4
	buffer_load_dword v43, off, s[0:3], 0 offset:132
	buffer_load_dword v44, off, s[0:3], 0 offset:128
	s_waitcnt vmcnt(3)
	buffer_store_dword v41, off, s[0:3], 0 offset:128
	s_waitcnt vmcnt(2)
	buffer_store_dword v42, off, s[0:3], 0 offset:132
	s_waitcnt vmcnt(1)
	buffer_store_dword v43, v0, s[0:3], 0 offen offset:4
	s_waitcnt vmcnt(0)
	buffer_store_dword v44, v0, s[0:3], 0 offen
.LBB83_136:
	v_mov_b32_e32 v0, 0
	global_load_dword v41, v0, s[12:13] offset:60
	s_waitcnt vmcnt(0)
	v_add_nc_u32_e32 v41, -1, v41
	v_cmp_eq_u32_e32 vcc_lo, 15, v41
	s_cbranch_vccnz .LBB83_138
; %bb.137:
	v_lshlrev_b32_e32 v41, 3, v41
	s_clause 0x3
	buffer_load_dword v42, v41, s[0:3], 0 offen
	buffer_load_dword v43, v41, s[0:3], 0 offen offset:4
	buffer_load_dword v44, off, s[0:3], 0 offset:120
	buffer_load_dword v45, off, s[0:3], 0 offset:124
	s_waitcnt vmcnt(3)
	buffer_store_dword v42, off, s[0:3], 0 offset:120
	s_waitcnt vmcnt(2)
	buffer_store_dword v43, off, s[0:3], 0 offset:124
	s_waitcnt vmcnt(1)
	buffer_store_dword v44, v41, s[0:3], 0 offen
	s_waitcnt vmcnt(0)
	buffer_store_dword v45, v41, s[0:3], 0 offen offset:4
.LBB83_138:
	global_load_dword v0, v0, s[12:13] offset:56
	s_waitcnt vmcnt(0)
	v_add_nc_u32_e32 v0, -1, v0
	v_cmp_eq_u32_e32 vcc_lo, 14, v0
	s_cbranch_vccnz .LBB83_140
; %bb.139:
	v_lshlrev_b32_e32 v0, 3, v0
	s_clause 0x3
	buffer_load_dword v41, v0, s[0:3], 0 offen
	buffer_load_dword v42, v0, s[0:3], 0 offen offset:4
	buffer_load_dword v43, off, s[0:3], 0 offset:116
	buffer_load_dword v44, off, s[0:3], 0 offset:112
	s_waitcnt vmcnt(3)
	buffer_store_dword v41, off, s[0:3], 0 offset:112
	s_waitcnt vmcnt(2)
	buffer_store_dword v42, off, s[0:3], 0 offset:116
	s_waitcnt vmcnt(1)
	buffer_store_dword v43, v0, s[0:3], 0 offen offset:4
	s_waitcnt vmcnt(0)
	buffer_store_dword v44, v0, s[0:3], 0 offen
.LBB83_140:
	;; [unrolled: 43-line block ×8, first 2 shown]
	v_mov_b32_e32 v0, 0
	global_load_dword v41, v0, s[12:13] offset:4
	s_waitcnt vmcnt(0)
	v_add_nc_u32_e32 v41, -1, v41
	v_cmp_eq_u32_e32 vcc_lo, 1, v41
	s_cbranch_vccnz .LBB83_166
; %bb.165:
	v_lshlrev_b32_e32 v41, 3, v41
	s_clause 0x3
	buffer_load_dword v42, v41, s[0:3], 0 offen
	buffer_load_dword v43, v41, s[0:3], 0 offen offset:4
	buffer_load_dword v44, off, s[0:3], 0 offset:8
	buffer_load_dword v45, off, s[0:3], 0 offset:12
	s_waitcnt vmcnt(3)
	buffer_store_dword v42, off, s[0:3], 0 offset:8
	s_waitcnt vmcnt(2)
	buffer_store_dword v43, off, s[0:3], 0 offset:12
	s_waitcnt vmcnt(1)
	buffer_store_dword v44, v41, s[0:3], 0 offen
	s_waitcnt vmcnt(0)
	buffer_store_dword v45, v41, s[0:3], 0 offen offset:4
.LBB83_166:
	global_load_dword v0, v0, s[12:13]
	s_clause 0x1
	buffer_load_dword v43, off, s[0:3], 0
	buffer_load_dword v44, off, s[0:3], 0 offset:4
	s_waitcnt vmcnt(2)
	v_add_nc_u32_e32 v0, -1, v0
	v_cmp_eq_u32_e32 vcc_lo, 0, v0
	s_cbranch_vccnz .LBB83_168
; %bb.167:
	v_lshlrev_b32_e32 v0, 3, v0
	s_clause 0x1
	buffer_load_dword v41, v0, s[0:3], 0 offen offset:4
	buffer_load_dword v42, v0, s[0:3], 0 offen
	s_waitcnt vmcnt(1)
	buffer_store_dword v41, off, s[0:3], 0 offset:4
	s_waitcnt vmcnt(0)
	buffer_store_dword v42, off, s[0:3], 0
	buffer_store_dword v44, v0, s[0:3], 0 offen offset:4
	buffer_store_dword v43, v0, s[0:3], 0 offen
	s_clause 0x1
	buffer_load_dword v43, off, s[0:3], 0
	buffer_load_dword v44, off, s[0:3], 0 offset:4
.LBB83_168:
	s_waitcnt vmcnt(0)
	flat_store_dwordx2 v[1:2], v[43:44]
	s_clause 0x1
	buffer_load_dword v0, off, s[0:3], 0 offset:8
	buffer_load_dword v1, off, s[0:3], 0 offset:12
	s_waitcnt vmcnt(0)
	flat_store_dwordx2 v[3:4], v[0:1]
	s_clause 0x1
	buffer_load_dword v0, off, s[0:3], 0 offset:16
	buffer_load_dword v1, off, s[0:3], 0 offset:20
	s_waitcnt vmcnt(0)
	flat_store_dwordx2 v[5:6], v[0:1]
	s_clause 0x1
	buffer_load_dword v0, off, s[0:3], 0 offset:24
	buffer_load_dword v1, off, s[0:3], 0 offset:28
	s_waitcnt vmcnt(0)
	flat_store_dwordx2 v[7:8], v[0:1]
	s_clause 0x1
	buffer_load_dword v0, off, s[0:3], 0 offset:32
	buffer_load_dword v1, off, s[0:3], 0 offset:36
	s_waitcnt vmcnt(0)
	flat_store_dwordx2 v[9:10], v[0:1]
	s_clause 0x1
	buffer_load_dword v0, off, s[0:3], 0 offset:40
	buffer_load_dword v1, off, s[0:3], 0 offset:44
	s_waitcnt vmcnt(0)
	flat_store_dwordx2 v[11:12], v[0:1]
	s_clause 0x1
	buffer_load_dword v0, off, s[0:3], 0 offset:48
	buffer_load_dword v1, off, s[0:3], 0 offset:52
	s_waitcnt vmcnt(0)
	flat_store_dwordx2 v[13:14], v[0:1]
	s_clause 0x1
	buffer_load_dword v0, off, s[0:3], 0 offset:56
	buffer_load_dword v1, off, s[0:3], 0 offset:60
	s_waitcnt vmcnt(0)
	flat_store_dwordx2 v[15:16], v[0:1]
	s_clause 0x1
	buffer_load_dword v0, off, s[0:3], 0 offset:64
	buffer_load_dword v1, off, s[0:3], 0 offset:68
	s_waitcnt vmcnt(0)
	flat_store_dwordx2 v[17:18], v[0:1]
	s_clause 0x1
	buffer_load_dword v0, off, s[0:3], 0 offset:72
	buffer_load_dword v1, off, s[0:3], 0 offset:76
	s_waitcnt vmcnt(0)
	flat_store_dwordx2 v[19:20], v[0:1]
	s_clause 0x1
	buffer_load_dword v0, off, s[0:3], 0 offset:80
	buffer_load_dword v1, off, s[0:3], 0 offset:84
	s_waitcnt vmcnt(0)
	flat_store_dwordx2 v[21:22], v[0:1]
	s_clause 0x1
	buffer_load_dword v0, off, s[0:3], 0 offset:88
	buffer_load_dword v1, off, s[0:3], 0 offset:92
	s_waitcnt vmcnt(0)
	flat_store_dwordx2 v[23:24], v[0:1]
	s_clause 0x1
	buffer_load_dword v0, off, s[0:3], 0 offset:96
	buffer_load_dword v1, off, s[0:3], 0 offset:100
	s_waitcnt vmcnt(0)
	flat_store_dwordx2 v[25:26], v[0:1]
	s_clause 0x1
	buffer_load_dword v0, off, s[0:3], 0 offset:104
	buffer_load_dword v1, off, s[0:3], 0 offset:108
	s_waitcnt vmcnt(0)
	flat_store_dwordx2 v[27:28], v[0:1]
	s_clause 0x1
	buffer_load_dword v0, off, s[0:3], 0 offset:112
	buffer_load_dword v1, off, s[0:3], 0 offset:116
	s_waitcnt vmcnt(0)
	flat_store_dwordx2 v[29:30], v[0:1]
	s_clause 0x1
	buffer_load_dword v0, off, s[0:3], 0 offset:120
	buffer_load_dword v1, off, s[0:3], 0 offset:124
	s_waitcnt vmcnt(0)
	flat_store_dwordx2 v[31:32], v[0:1]
	s_clause 0x1
	buffer_load_dword v0, off, s[0:3], 0 offset:128
	buffer_load_dword v1, off, s[0:3], 0 offset:132
	s_waitcnt vmcnt(0)
	flat_store_dwordx2 v[33:34], v[0:1]
	s_clause 0x1
	buffer_load_dword v0, off, s[0:3], 0 offset:136
	buffer_load_dword v1, off, s[0:3], 0 offset:140
	s_waitcnt vmcnt(0)
	flat_store_dwordx2 v[35:36], v[0:1]
	s_clause 0x1
	buffer_load_dword v0, off, s[0:3], 0 offset:144
	buffer_load_dword v1, off, s[0:3], 0 offset:148
	s_waitcnt vmcnt(0)
	flat_store_dwordx2 v[37:38], v[0:1]
	s_clause 0x1
	buffer_load_dword v0, off, s[0:3], 0 offset:152
	buffer_load_dword v1, off, s[0:3], 0 offset:156
	s_waitcnt vmcnt(0)
	flat_store_dwordx2 v[39:40], v[0:1]
	s_endpgm
	.section	.rodata,"a",@progbits
	.p2align	6, 0x0
	.amdhsa_kernel _ZN9rocsolver6v33100L18getri_kernel_smallILi20EdPKPdEEvT1_iilPiilS6_bb
		.amdhsa_group_segment_fixed_size 328
		.amdhsa_private_segment_fixed_size 176
		.amdhsa_kernarg_size 60
		.amdhsa_user_sgpr_count 6
		.amdhsa_user_sgpr_private_segment_buffer 1
		.amdhsa_user_sgpr_dispatch_ptr 0
		.amdhsa_user_sgpr_queue_ptr 0
		.amdhsa_user_sgpr_kernarg_segment_ptr 1
		.amdhsa_user_sgpr_dispatch_id 0
		.amdhsa_user_sgpr_flat_scratch_init 0
		.amdhsa_user_sgpr_private_segment_size 0
		.amdhsa_wavefront_size32 1
		.amdhsa_uses_dynamic_stack 0
		.amdhsa_system_sgpr_private_segment_wavefront_offset 1
		.amdhsa_system_sgpr_workgroup_id_x 1
		.amdhsa_system_sgpr_workgroup_id_y 0
		.amdhsa_system_sgpr_workgroup_id_z 0
		.amdhsa_system_sgpr_workgroup_info 0
		.amdhsa_system_vgpr_workitem_id 0
		.amdhsa_next_free_vgpr 85
		.amdhsa_next_free_sgpr 20
		.amdhsa_reserve_vcc 1
		.amdhsa_reserve_flat_scratch 0
		.amdhsa_float_round_mode_32 0
		.amdhsa_float_round_mode_16_64 0
		.amdhsa_float_denorm_mode_32 3
		.amdhsa_float_denorm_mode_16_64 3
		.amdhsa_dx10_clamp 1
		.amdhsa_ieee_mode 1
		.amdhsa_fp16_overflow 0
		.amdhsa_workgroup_processor_mode 1
		.amdhsa_memory_ordered 1
		.amdhsa_forward_progress 1
		.amdhsa_shared_vgpr_count 0
		.amdhsa_exception_fp_ieee_invalid_op 0
		.amdhsa_exception_fp_denorm_src 0
		.amdhsa_exception_fp_ieee_div_zero 0
		.amdhsa_exception_fp_ieee_overflow 0
		.amdhsa_exception_fp_ieee_underflow 0
		.amdhsa_exception_fp_ieee_inexact 0
		.amdhsa_exception_int_div_zero 0
	.end_amdhsa_kernel
	.section	.text._ZN9rocsolver6v33100L18getri_kernel_smallILi20EdPKPdEEvT1_iilPiilS6_bb,"axG",@progbits,_ZN9rocsolver6v33100L18getri_kernel_smallILi20EdPKPdEEvT1_iilPiilS6_bb,comdat
.Lfunc_end83:
	.size	_ZN9rocsolver6v33100L18getri_kernel_smallILi20EdPKPdEEvT1_iilPiilS6_bb, .Lfunc_end83-_ZN9rocsolver6v33100L18getri_kernel_smallILi20EdPKPdEEvT1_iilPiilS6_bb
                                        ; -- End function
	.set _ZN9rocsolver6v33100L18getri_kernel_smallILi20EdPKPdEEvT1_iilPiilS6_bb.num_vgpr, 85
	.set _ZN9rocsolver6v33100L18getri_kernel_smallILi20EdPKPdEEvT1_iilPiilS6_bb.num_agpr, 0
	.set _ZN9rocsolver6v33100L18getri_kernel_smallILi20EdPKPdEEvT1_iilPiilS6_bb.numbered_sgpr, 20
	.set _ZN9rocsolver6v33100L18getri_kernel_smallILi20EdPKPdEEvT1_iilPiilS6_bb.num_named_barrier, 0
	.set _ZN9rocsolver6v33100L18getri_kernel_smallILi20EdPKPdEEvT1_iilPiilS6_bb.private_seg_size, 176
	.set _ZN9rocsolver6v33100L18getri_kernel_smallILi20EdPKPdEEvT1_iilPiilS6_bb.uses_vcc, 1
	.set _ZN9rocsolver6v33100L18getri_kernel_smallILi20EdPKPdEEvT1_iilPiilS6_bb.uses_flat_scratch, 0
	.set _ZN9rocsolver6v33100L18getri_kernel_smallILi20EdPKPdEEvT1_iilPiilS6_bb.has_dyn_sized_stack, 0
	.set _ZN9rocsolver6v33100L18getri_kernel_smallILi20EdPKPdEEvT1_iilPiilS6_bb.has_recursion, 0
	.set _ZN9rocsolver6v33100L18getri_kernel_smallILi20EdPKPdEEvT1_iilPiilS6_bb.has_indirect_call, 0
	.section	.AMDGPU.csdata,"",@progbits
; Kernel info:
; codeLenInByte = 17536
; TotalNumSgprs: 22
; NumVgprs: 85
; ScratchSize: 176
; MemoryBound: 0
; FloatMode: 240
; IeeeMode: 1
; LDSByteSize: 328 bytes/workgroup (compile time only)
; SGPRBlocks: 0
; VGPRBlocks: 10
; NumSGPRsForWavesPerEU: 22
; NumVGPRsForWavesPerEU: 85
; Occupancy: 10
; WaveLimiterHint : 1
; COMPUTE_PGM_RSRC2:SCRATCH_EN: 1
; COMPUTE_PGM_RSRC2:USER_SGPR: 6
; COMPUTE_PGM_RSRC2:TRAP_HANDLER: 0
; COMPUTE_PGM_RSRC2:TGID_X_EN: 1
; COMPUTE_PGM_RSRC2:TGID_Y_EN: 0
; COMPUTE_PGM_RSRC2:TGID_Z_EN: 0
; COMPUTE_PGM_RSRC2:TIDIG_COMP_CNT: 0
	.section	.text._ZN9rocsolver6v33100L18getri_kernel_smallILi21EdPKPdEEvT1_iilPiilS6_bb,"axG",@progbits,_ZN9rocsolver6v33100L18getri_kernel_smallILi21EdPKPdEEvT1_iilPiilS6_bb,comdat
	.globl	_ZN9rocsolver6v33100L18getri_kernel_smallILi21EdPKPdEEvT1_iilPiilS6_bb ; -- Begin function _ZN9rocsolver6v33100L18getri_kernel_smallILi21EdPKPdEEvT1_iilPiilS6_bb
	.p2align	8
	.type	_ZN9rocsolver6v33100L18getri_kernel_smallILi21EdPKPdEEvT1_iilPiilS6_bb,@function
_ZN9rocsolver6v33100L18getri_kernel_smallILi21EdPKPdEEvT1_iilPiilS6_bb: ; @_ZN9rocsolver6v33100L18getri_kernel_smallILi21EdPKPdEEvT1_iilPiilS6_bb
; %bb.0:
	s_add_u32 s0, s0, s7
	s_addc_u32 s1, s1, 0
	s_mov_b32 s7, exec_lo
	v_cmpx_gt_u32_e32 21, v0
	s_cbranch_execz .LBB84_94
; %bb.1:
	s_clause 0x2
	s_load_dword s17, s[4:5], 0x38
	s_load_dwordx2 s[12:13], s[4:5], 0x0
	s_load_dwordx4 s[8:11], s[4:5], 0x28
	s_waitcnt lgkmcnt(0)
	s_bitcmp1_b32 s17, 8
	s_cselect_b32 s16, -1, 0
	s_ashr_i32 s7, s6, 31
	s_lshl_b64 s[14:15], s[6:7], 3
	s_add_u32 s12, s12, s14
	s_addc_u32 s13, s13, s15
	s_load_dwordx2 s[14:15], s[12:13], 0x0
	s_bfe_u32 s12, s17, 0x10008
	s_cmp_eq_u32 s12, 0
                                        ; implicit-def: $sgpr12_sgpr13
	s_cbranch_scc1 .LBB84_3
; %bb.2:
	s_clause 0x1
	s_load_dword s12, s[4:5], 0x20
	s_load_dwordx2 s[18:19], s[4:5], 0x18
	s_mul_i32 s13, s8, s7
	s_mul_hi_u32 s17, s8, s6
	s_mul_i32 s9, s9, s6
	s_add_i32 s13, s17, s13
	s_mul_i32 s8, s8, s6
	s_add_i32 s9, s13, s9
	s_lshl_b64 s[8:9], s[8:9], 2
	s_waitcnt lgkmcnt(0)
	s_ashr_i32 s13, s12, 31
	s_add_u32 s17, s18, s8
	s_addc_u32 s18, s19, s9
	s_lshl_b64 s[8:9], s[12:13], 2
	s_add_u32 s12, s17, s8
	s_addc_u32 s13, s18, s9
.LBB84_3:
	s_clause 0x1
	s_load_dwordx2 s[8:9], s[4:5], 0x8
	s_load_dword s4, s[4:5], 0x38
	v_lshlrev_b32_e32 v45, 3, v0
	s_waitcnt lgkmcnt(0)
	s_ashr_i32 s19, s8, 31
	s_mov_b32 s18, s8
	v_add3_u32 v9, s9, s9, v0
	s_lshl_b64 s[18:19], s[18:19], 3
	s_add_u32 s5, s14, s18
	s_addc_u32 s8, s15, s19
	v_add_co_u32 v1, s14, s5, v45
	v_add_co_ci_u32_e64 v2, null, s8, 0, s14
	s_mov_b32 s14, s9
	s_ashr_i32 s15, s9, 31
	v_ashrrev_i32_e32 v10, 31, v9
	flat_load_dwordx2 v[5:6], v[1:2]
	s_lshl_b64 s[14:15], s[14:15], 3
	v_add_nc_u32_e32 v12, s9, v9
	v_add_co_u32 v3, vcc_lo, v1, s14
	v_add_co_ci_u32_e64 v4, null, s15, v2, vcc_lo
	v_ashrrev_i32_e32 v13, 31, v12
	s_bitcmp0_b32 s4, 0
	s_waitcnt vmcnt(0) lgkmcnt(0)
	buffer_store_dword v6, off, s[0:3], 0 offset:4
	buffer_store_dword v5, off, s[0:3], 0
	flat_load_dwordx2 v[7:8], v[3:4]
	v_lshlrev_b64 v[5:6], 3, v[9:10]
	s_waitcnt vmcnt(0) lgkmcnt(0)
	buffer_store_dword v8, off, s[0:3], 0 offset:12
	buffer_store_dword v7, off, s[0:3], 0 offset:8
	v_add_co_u32 v5, vcc_lo, s5, v5
	v_add_co_ci_u32_e64 v6, null, s8, v6, vcc_lo
	v_lshlrev_b64 v[7:8], 3, v[12:13]
	flat_load_dwordx2 v[10:11], v[5:6]
	s_waitcnt vmcnt(0) lgkmcnt(0)
	buffer_store_dword v11, off, s[0:3], 0 offset:20
	buffer_store_dword v10, off, s[0:3], 0 offset:16
	v_add_co_u32 v7, vcc_lo, s5, v7
	v_add_co_ci_u32_e64 v8, null, s8, v8, vcc_lo
	v_add_nc_u32_e32 v11, s9, v12
	flat_load_dwordx2 v[13:14], v[7:8]
	s_waitcnt vmcnt(0) lgkmcnt(0)
	buffer_store_dword v14, off, s[0:3], 0 offset:28
	buffer_store_dword v13, off, s[0:3], 0 offset:24
	v_ashrrev_i32_e32 v12, 31, v11
	v_add_nc_u32_e32 v15, s9, v11
	v_lshlrev_b64 v[9:10], 3, v[11:12]
	v_ashrrev_i32_e32 v16, 31, v15
	v_add_nc_u32_e32 v18, s9, v15
	v_add_co_u32 v9, vcc_lo, s5, v9
	v_add_co_ci_u32_e64 v10, null, s8, v10, vcc_lo
	v_lshlrev_b64 v[11:12], 3, v[15:16]
	v_ashrrev_i32_e32 v19, 31, v18
	flat_load_dwordx2 v[13:14], v[9:10]
	s_waitcnt vmcnt(0) lgkmcnt(0)
	buffer_store_dword v14, off, s[0:3], 0 offset:36
	buffer_store_dword v13, off, s[0:3], 0 offset:32
	v_add_co_u32 v11, vcc_lo, s5, v11
	v_add_co_ci_u32_e64 v12, null, s8, v12, vcc_lo
	v_lshlrev_b64 v[13:14], 3, v[18:19]
	flat_load_dwordx2 v[16:17], v[11:12]
	s_waitcnt vmcnt(0) lgkmcnt(0)
	buffer_store_dword v17, off, s[0:3], 0 offset:44
	buffer_store_dword v16, off, s[0:3], 0 offset:40
	v_add_co_u32 v13, vcc_lo, s5, v13
	v_add_co_ci_u32_e64 v14, null, s8, v14, vcc_lo
	v_add_nc_u32_e32 v17, s9, v18
	flat_load_dwordx2 v[19:20], v[13:14]
	s_waitcnt vmcnt(0) lgkmcnt(0)
	buffer_store_dword v20, off, s[0:3], 0 offset:52
	buffer_store_dword v19, off, s[0:3], 0 offset:48
	v_ashrrev_i32_e32 v18, 31, v17
	v_add_nc_u32_e32 v21, s9, v17
	v_lshlrev_b64 v[15:16], 3, v[17:18]
	v_ashrrev_i32_e32 v22, 31, v21
	v_add_nc_u32_e32 v24, s9, v21
	v_add_co_u32 v15, vcc_lo, s5, v15
	v_add_co_ci_u32_e64 v16, null, s8, v16, vcc_lo
	v_lshlrev_b64 v[17:18], 3, v[21:22]
	v_ashrrev_i32_e32 v25, 31, v24
	flat_load_dwordx2 v[19:20], v[15:16]
	;; [unrolled: 27-line block ×5, first 2 shown]
	s_waitcnt vmcnt(0) lgkmcnt(0)
	buffer_store_dword v38, off, s[0:3], 0 offset:132
	buffer_store_dword v37, off, s[0:3], 0 offset:128
	v_add_co_u32 v35, vcc_lo, s5, v35
	v_add_co_ci_u32_e64 v36, null, s8, v36, vcc_lo
	v_lshlrev_b64 v[37:38], 3, v[42:43]
	flat_load_dwordx2 v[40:41], v[35:36]
	s_waitcnt vmcnt(0) lgkmcnt(0)
	buffer_store_dword v41, off, s[0:3], 0 offset:140
	buffer_store_dword v40, off, s[0:3], 0 offset:136
	v_add_co_u32 v37, vcc_lo, s5, v37
	v_add_co_ci_u32_e64 v38, null, s8, v38, vcc_lo
	v_add_nc_u32_e32 v41, s9, v42
	flat_load_dwordx2 v[43:44], v[37:38]
	s_waitcnt vmcnt(0) lgkmcnt(0)
	buffer_store_dword v44, off, s[0:3], 0 offset:148
	buffer_store_dword v43, off, s[0:3], 0 offset:144
	v_ashrrev_i32_e32 v42, 31, v41
	v_lshlrev_b64 v[39:40], 3, v[41:42]
	v_add_nc_u32_e32 v41, s9, v41
	v_add_co_u32 v39, vcc_lo, s5, v39
	v_add_co_ci_u32_e64 v40, null, s8, v40, vcc_lo
	v_ashrrev_i32_e32 v42, 31, v41
	flat_load_dwordx2 v[43:44], v[39:40]
	s_waitcnt vmcnt(0) lgkmcnt(0)
	buffer_store_dword v44, off, s[0:3], 0 offset:156
	buffer_store_dword v43, off, s[0:3], 0 offset:152
	v_lshlrev_b64 v[41:42], 3, v[41:42]
	v_add_co_u32 v41, vcc_lo, s5, v41
	v_add_co_ci_u32_e64 v42, null, s8, v42, vcc_lo
	s_mov_b32 s5, -1
	flat_load_dwordx2 v[43:44], v[41:42]
	s_waitcnt vmcnt(0) lgkmcnt(0)
	buffer_store_dword v44, off, s[0:3], 0 offset:164
	buffer_store_dword v43, off, s[0:3], 0 offset:160
	s_cbranch_scc1 .LBB84_92
; %bb.4:
	v_cmp_eq_u32_e64 s4, 0, v0
	s_and_saveexec_b32 s5, s4
; %bb.5:
	v_mov_b32_e32 v43, 0
	ds_write_b32 v43, v43 offset:168
; %bb.6:
	s_or_b32 exec_lo, exec_lo, s5
	v_lshl_add_u32 v43, v0, 3, 0
	s_waitcnt lgkmcnt(0)
	s_waitcnt_vscnt null, 0x0
	s_barrier
	buffer_gl0_inv
	s_mov_b32 s8, exec_lo
	s_clause 0x1
	buffer_load_dword v46, v43, s[0:3], 0 offen
	buffer_load_dword v47, v43, s[0:3], 0 offen offset:4
	s_waitcnt vmcnt(0)
	v_cmpx_eq_f64_e32 0, v[46:47]
	s_cbranch_execz .LBB84_10
; %bb.7:
	v_mov_b32_e32 v44, 0
	s_mov_b32 s9, 0
	ds_read_b32 v46, v44 offset:168
	s_waitcnt lgkmcnt(0)
	v_readfirstlane_b32 s5, v46
	v_add_nc_u32_e32 v46, 1, v0
	s_cmp_eq_u32 s5, 0
	v_cmp_gt_i32_e32 vcc_lo, s5, v46
	s_cselect_b32 s14, -1, 0
	s_or_b32 s14, s14, vcc_lo
	s_and_b32 exec_lo, exec_lo, s14
	s_cbranch_execz .LBB84_10
; %bb.8:
	v_mov_b32_e32 v47, s5
.LBB84_9:                               ; =>This Inner Loop Header: Depth=1
	ds_cmpst_rtn_b32 v47, v44, v47, v46 offset:168
	s_waitcnt lgkmcnt(0)
	v_cmp_ne_u32_e32 vcc_lo, 0, v47
	v_cmp_le_i32_e64 s5, v47, v46
	s_and_b32 s5, vcc_lo, s5
	s_and_b32 s5, exec_lo, s5
	s_or_b32 s9, s5, s9
	s_andn2_b32 exec_lo, exec_lo, s9
	s_cbranch_execnz .LBB84_9
.LBB84_10:
	s_or_b32 exec_lo, exec_lo, s8
	v_mov_b32_e32 v44, 0
	s_barrier
	buffer_gl0_inv
	ds_read_b32 v46, v44 offset:168
	s_and_saveexec_b32 s5, s4
	s_cbranch_execz .LBB84_12
; %bb.11:
	s_lshl_b64 s[8:9], s[6:7], 2
	s_add_u32 s8, s10, s8
	s_addc_u32 s9, s11, s9
	s_waitcnt lgkmcnt(0)
	global_store_dword v44, v46, s[8:9]
.LBB84_12:
	s_or_b32 exec_lo, exec_lo, s5
	s_waitcnt lgkmcnt(0)
	v_cmp_ne_u32_e32 vcc_lo, 0, v46
	s_mov_b32 s5, 0
	s_cbranch_vccnz .LBB84_92
; %bb.13:
	s_clause 0x1
	buffer_load_dword v46, v43, s[0:3], 0 offen
	buffer_load_dword v47, v43, s[0:3], 0 offen offset:4
	s_waitcnt vmcnt(0)
	v_div_scale_f64 v[48:49], null, v[46:47], v[46:47], 1.0
	v_div_scale_f64 v[54:55], vcc_lo, 1.0, v[46:47], 1.0
	v_rcp_f64_e32 v[50:51], v[48:49]
	v_fma_f64 v[52:53], -v[48:49], v[50:51], 1.0
	v_fma_f64 v[50:51], v[50:51], v[52:53], v[50:51]
	v_fma_f64 v[52:53], -v[48:49], v[50:51], 1.0
	v_fma_f64 v[50:51], v[50:51], v[52:53], v[50:51]
	v_mul_f64 v[52:53], v[54:55], v[50:51]
	v_fma_f64 v[48:49], -v[48:49], v[52:53], v[54:55]
	v_div_fmas_f64 v[48:49], v[48:49], v[50:51], v[52:53]
	v_div_fixup_f64 v[47:48], v[48:49], v[46:47], 1.0
	v_add_nc_u32_e32 v46, 0xb0, v45
	buffer_store_dword v48, v43, s[0:3], 0 offen offset:4
	buffer_store_dword v47, v43, s[0:3], 0 offen
	s_clause 0x1
	buffer_load_dword v50, off, s[0:3], 0 offset:12
	buffer_load_dword v49, off, s[0:3], 0 offset:8
	v_xor_b32_e32 v48, 0x80000000, v48
	s_waitcnt vmcnt(0)
	ds_write2_b64 v45, v[47:48], v[49:50] offset1:22
	s_waitcnt lgkmcnt(0)
	s_waitcnt_vscnt null, 0x0
	s_barrier
	buffer_gl0_inv
	s_and_saveexec_b32 s5, s4
	s_cbranch_execz .LBB84_15
; %bb.14:
	s_clause 0x1
	buffer_load_dword v47, v43, s[0:3], 0 offen
	buffer_load_dword v48, v43, s[0:3], 0 offen offset:4
	ds_read_b64 v[49:50], v46
	v_mov_b32_e32 v44, 0
	ds_read_b64 v[51:52], v44 offset:8
	s_waitcnt vmcnt(0) lgkmcnt(1)
	v_fma_f64 v[47:48], v[47:48], v[49:50], 0
	s_waitcnt lgkmcnt(0)
	v_mul_f64 v[47:48], v[47:48], v[51:52]
	buffer_store_dword v47, off, s[0:3], 0 offset:8
	buffer_store_dword v48, off, s[0:3], 0 offset:12
.LBB84_15:
	s_or_b32 exec_lo, exec_lo, s5
	s_waitcnt_vscnt null, 0x0
	s_barrier
	buffer_gl0_inv
	s_clause 0x1
	buffer_load_dword v47, off, s[0:3], 0 offset:16
	buffer_load_dword v48, off, s[0:3], 0 offset:20
	s_mov_b32 s5, exec_lo
	s_waitcnt vmcnt(0)
	ds_write_b64 v46, v[47:48]
	s_waitcnt lgkmcnt(0)
	s_barrier
	buffer_gl0_inv
	v_cmpx_gt_u32_e32 2, v0
	s_cbranch_execz .LBB84_19
; %bb.16:
	s_clause 0x1
	buffer_load_dword v47, v43, s[0:3], 0 offen
	buffer_load_dword v48, v43, s[0:3], 0 offen offset:4
	ds_read_b64 v[43:44], v46
	s_waitcnt vmcnt(0) lgkmcnt(0)
	v_fma_f64 v[43:44], v[47:48], v[43:44], 0
	s_and_saveexec_b32 s8, s4
	s_cbranch_execz .LBB84_18
; %bb.17:
	s_clause 0x1
	buffer_load_dword v47, off, s[0:3], 0 offset:8
	buffer_load_dword v48, off, s[0:3], 0 offset:12
	v_mov_b32_e32 v49, 0
	ds_read_b64 v[49:50], v49 offset:184
	s_waitcnt vmcnt(0) lgkmcnt(0)
	v_fma_f64 v[43:44], v[47:48], v[49:50], v[43:44]
.LBB84_18:
	s_or_b32 exec_lo, exec_lo, s8
	v_mov_b32_e32 v47, 0
	ds_read_b64 v[47:48], v47 offset:16
	s_waitcnt lgkmcnt(0)
	v_mul_f64 v[43:44], v[43:44], v[47:48]
	buffer_store_dword v44, off, s[0:3], 0 offset:20
	buffer_store_dword v43, off, s[0:3], 0 offset:16
.LBB84_19:
	s_or_b32 exec_lo, exec_lo, s5
	s_waitcnt_vscnt null, 0x0
	s_barrier
	buffer_gl0_inv
	s_clause 0x1
	buffer_load_dword v43, off, s[0:3], 0 offset:24
	buffer_load_dword v44, off, s[0:3], 0 offset:28
	v_add_nc_u32_e32 v47, -1, v0
	s_mov_b32 s4, exec_lo
	s_waitcnt vmcnt(0)
	ds_write_b64 v46, v[43:44]
	s_waitcnt lgkmcnt(0)
	s_barrier
	buffer_gl0_inv
	v_cmpx_gt_u32_e32 3, v0
	s_cbranch_execz .LBB84_23
; %bb.20:
	v_mov_b32_e32 v43, 0
	v_add_nc_u32_e32 v48, -1, v0
	v_add_nc_u32_e32 v49, 0xb0, v45
	v_mov_b32_e32 v44, 0
	v_mov_b32_e32 v50, v45
	s_mov_b32 s5, 0
.LBB84_21:                              ; =>This Inner Loop Header: Depth=1
	s_clause 0x1
	buffer_load_dword v51, v50, s[0:3], 0 offen
	buffer_load_dword v52, v50, s[0:3], 0 offen offset:4
	ds_read_b64 v[53:54], v49
	v_add_nc_u32_e32 v48, 1, v48
	v_add_nc_u32_e32 v49, 8, v49
	v_add_nc_u32_e32 v50, 8, v50
	v_cmp_lt_u32_e32 vcc_lo, 1, v48
	s_or_b32 s5, vcc_lo, s5
	s_waitcnt vmcnt(0) lgkmcnt(0)
	v_fma_f64 v[43:44], v[51:52], v[53:54], v[43:44]
	s_andn2_b32 exec_lo, exec_lo, s5
	s_cbranch_execnz .LBB84_21
; %bb.22:
	s_or_b32 exec_lo, exec_lo, s5
	v_mov_b32_e32 v48, 0
	ds_read_b64 v[48:49], v48 offset:24
	s_waitcnt lgkmcnt(0)
	v_mul_f64 v[43:44], v[43:44], v[48:49]
	buffer_store_dword v44, off, s[0:3], 0 offset:28
	buffer_store_dword v43, off, s[0:3], 0 offset:24
.LBB84_23:
	s_or_b32 exec_lo, exec_lo, s4
	s_waitcnt_vscnt null, 0x0
	s_barrier
	buffer_gl0_inv
	s_clause 0x1
	buffer_load_dword v43, off, s[0:3], 0 offset:32
	buffer_load_dword v44, off, s[0:3], 0 offset:36
	s_mov_b32 s4, exec_lo
	s_waitcnt vmcnt(0)
	ds_write_b64 v46, v[43:44]
	s_waitcnt lgkmcnt(0)
	s_barrier
	buffer_gl0_inv
	v_cmpx_gt_u32_e32 4, v0
	s_cbranch_execz .LBB84_27
; %bb.24:
	v_mov_b32_e32 v43, 0
	v_add_nc_u32_e32 v48, -1, v0
	v_add_nc_u32_e32 v49, 0xb0, v45
	v_mov_b32_e32 v44, 0
	v_mov_b32_e32 v50, v45
	s_mov_b32 s5, 0
.LBB84_25:                              ; =>This Inner Loop Header: Depth=1
	s_clause 0x1
	buffer_load_dword v51, v50, s[0:3], 0 offen
	buffer_load_dword v52, v50, s[0:3], 0 offen offset:4
	ds_read_b64 v[53:54], v49
	v_add_nc_u32_e32 v48, 1, v48
	v_add_nc_u32_e32 v49, 8, v49
	v_add_nc_u32_e32 v50, 8, v50
	v_cmp_lt_u32_e32 vcc_lo, 2, v48
	s_or_b32 s5, vcc_lo, s5
	s_waitcnt vmcnt(0) lgkmcnt(0)
	v_fma_f64 v[43:44], v[51:52], v[53:54], v[43:44]
	s_andn2_b32 exec_lo, exec_lo, s5
	s_cbranch_execnz .LBB84_25
; %bb.26:
	s_or_b32 exec_lo, exec_lo, s5
	v_mov_b32_e32 v48, 0
	ds_read_b64 v[48:49], v48 offset:32
	s_waitcnt lgkmcnt(0)
	v_mul_f64 v[43:44], v[43:44], v[48:49]
	buffer_store_dword v44, off, s[0:3], 0 offset:36
	buffer_store_dword v43, off, s[0:3], 0 offset:32
.LBB84_27:
	s_or_b32 exec_lo, exec_lo, s4
	s_waitcnt_vscnt null, 0x0
	s_barrier
	buffer_gl0_inv
	s_clause 0x1
	buffer_load_dword v43, off, s[0:3], 0 offset:40
	buffer_load_dword v44, off, s[0:3], 0 offset:44
	;; [unrolled: 45-line block ×17, first 2 shown]
	s_mov_b32 s4, exec_lo
	s_waitcnt vmcnt(0)
	ds_write_b64 v46, v[43:44]
	s_waitcnt lgkmcnt(0)
	s_barrier
	buffer_gl0_inv
	v_cmpx_ne_u32_e32 20, v0
	s_cbranch_execz .LBB84_91
; %bb.88:
	v_mov_b32_e32 v43, 0
	v_mov_b32_e32 v44, 0
	s_mov_b32 s5, 0
.LBB84_89:                              ; =>This Inner Loop Header: Depth=1
	s_clause 0x1
	buffer_load_dword v48, v45, s[0:3], 0 offen
	buffer_load_dword v49, v45, s[0:3], 0 offen offset:4
	ds_read_b64 v[50:51], v46
	v_add_nc_u32_e32 v47, 1, v47
	v_add_nc_u32_e32 v46, 8, v46
	;; [unrolled: 1-line block ×3, first 2 shown]
	v_cmp_lt_u32_e32 vcc_lo, 18, v47
	s_or_b32 s5, vcc_lo, s5
	s_waitcnt vmcnt(0) lgkmcnt(0)
	v_fma_f64 v[43:44], v[48:49], v[50:51], v[43:44]
	s_andn2_b32 exec_lo, exec_lo, s5
	s_cbranch_execnz .LBB84_89
; %bb.90:
	s_or_b32 exec_lo, exec_lo, s5
	v_mov_b32_e32 v45, 0
	ds_read_b64 v[45:46], v45 offset:160
	s_waitcnt lgkmcnt(0)
	v_mul_f64 v[43:44], v[43:44], v[45:46]
	buffer_store_dword v44, off, s[0:3], 0 offset:164
	buffer_store_dword v43, off, s[0:3], 0 offset:160
.LBB84_91:
	s_or_b32 exec_lo, exec_lo, s4
	s_mov_b32 s5, -1
	s_waitcnt_vscnt null, 0x0
	s_barrier
	buffer_gl0_inv
.LBB84_92:
	s_and_b32 vcc_lo, exec_lo, s5
	s_cbranch_vccz .LBB84_94
; %bb.93:
	s_lshl_b64 s[4:5], s[6:7], 2
	v_mov_b32_e32 v43, 0
	s_add_u32 s4, s10, s4
	s_addc_u32 s5, s11, s5
	global_load_dword v43, v43, s[4:5]
	s_waitcnt vmcnt(0)
	v_cmp_ne_u32_e32 vcc_lo, 0, v43
	s_cbranch_vccz .LBB84_95
.LBB84_94:
	s_endpgm
.LBB84_95:
	v_lshl_add_u32 v43, v0, 3, 0xb0
	s_mov_b32 s4, exec_lo
	v_cmpx_eq_u32_e32 20, v0
	s_cbranch_execz .LBB84_97
; %bb.96:
	s_clause 0x1
	buffer_load_dword v44, off, s[0:3], 0 offset:152
	buffer_load_dword v45, off, s[0:3], 0 offset:156
	v_mov_b32_e32 v46, 0
	buffer_store_dword v46, off, s[0:3], 0 offset:152
	buffer_store_dword v46, off, s[0:3], 0 offset:156
	s_waitcnt vmcnt(0)
	ds_write_b64 v43, v[44:45]
.LBB84_97:
	s_or_b32 exec_lo, exec_lo, s4
	s_waitcnt lgkmcnt(0)
	s_waitcnt_vscnt null, 0x0
	s_barrier
	buffer_gl0_inv
	s_clause 0x3
	buffer_load_dword v45, off, s[0:3], 0 offset:160
	buffer_load_dword v46, off, s[0:3], 0 offset:164
	;; [unrolled: 1-line block ×4, first 2 shown]
	v_mov_b32_e32 v44, 0
	s_mov_b32 s4, exec_lo
	ds_read_b64 v[49:50], v44 offset:336
	s_waitcnt vmcnt(2) lgkmcnt(0)
	v_fma_f64 v[45:46], v[45:46], v[49:50], 0
	s_waitcnt vmcnt(0)
	v_add_f64 v[45:46], v[47:48], -v[45:46]
	buffer_store_dword v45, off, s[0:3], 0 offset:152
	buffer_store_dword v46, off, s[0:3], 0 offset:156
	v_cmpx_lt_u32_e32 18, v0
	s_cbranch_execz .LBB84_99
; %bb.98:
	s_clause 0x1
	buffer_load_dword v45, off, s[0:3], 0 offset:144
	buffer_load_dword v46, off, s[0:3], 0 offset:148
	buffer_store_dword v44, off, s[0:3], 0 offset:144
	buffer_store_dword v44, off, s[0:3], 0 offset:148
	s_waitcnt vmcnt(0)
	ds_write_b64 v43, v[45:46]
.LBB84_99:
	s_or_b32 exec_lo, exec_lo, s4
	s_waitcnt lgkmcnt(0)
	s_waitcnt_vscnt null, 0x0
	s_barrier
	buffer_gl0_inv
	s_clause 0x5
	buffer_load_dword v48, off, s[0:3], 0 offset:152
	buffer_load_dword v49, off, s[0:3], 0 offset:156
	;; [unrolled: 1-line block ×6, first 2 shown]
	ds_read2_b64 v[44:47], v44 offset0:41 offset1:42
	s_mov_b32 s4, exec_lo
	s_waitcnt vmcnt(4) lgkmcnt(0)
	v_fma_f64 v[44:45], v[48:49], v[44:45], 0
	s_waitcnt vmcnt(2)
	v_fma_f64 v[44:45], v[50:51], v[46:47], v[44:45]
	s_waitcnt vmcnt(0)
	v_add_f64 v[44:45], v[52:53], -v[44:45]
	buffer_store_dword v44, off, s[0:3], 0 offset:144
	buffer_store_dword v45, off, s[0:3], 0 offset:148
	v_cmpx_lt_u32_e32 17, v0
	s_cbranch_execz .LBB84_101
; %bb.100:
	s_clause 0x1
	buffer_load_dword v44, off, s[0:3], 0 offset:136
	buffer_load_dword v45, off, s[0:3], 0 offset:140
	v_mov_b32_e32 v46, 0
	buffer_store_dword v46, off, s[0:3], 0 offset:136
	buffer_store_dword v46, off, s[0:3], 0 offset:140
	s_waitcnt vmcnt(0)
	ds_write_b64 v43, v[44:45]
.LBB84_101:
	s_or_b32 exec_lo, exec_lo, s4
	s_waitcnt lgkmcnt(0)
	s_waitcnt_vscnt null, 0x0
	s_barrier
	buffer_gl0_inv
	s_clause 0x7
	buffer_load_dword v49, off, s[0:3], 0 offset:144
	buffer_load_dword v50, off, s[0:3], 0 offset:148
	;; [unrolled: 1-line block ×8, first 2 shown]
	v_mov_b32_e32 v44, 0
	ds_read_b128 v[45:48], v44 offset:320
	ds_read_b64 v[57:58], v44 offset:336
	s_mov_b32 s4, exec_lo
	s_waitcnt vmcnt(6) lgkmcnt(1)
	v_fma_f64 v[45:46], v[49:50], v[45:46], 0
	s_waitcnt vmcnt(4)
	v_fma_f64 v[45:46], v[51:52], v[47:48], v[45:46]
	s_waitcnt vmcnt(2) lgkmcnt(0)
	v_fma_f64 v[45:46], v[53:54], v[57:58], v[45:46]
	s_waitcnt vmcnt(0)
	v_add_f64 v[45:46], v[55:56], -v[45:46]
	buffer_store_dword v45, off, s[0:3], 0 offset:136
	buffer_store_dword v46, off, s[0:3], 0 offset:140
	v_cmpx_lt_u32_e32 16, v0
	s_cbranch_execz .LBB84_103
; %bb.102:
	s_clause 0x1
	buffer_load_dword v45, off, s[0:3], 0 offset:128
	buffer_load_dword v46, off, s[0:3], 0 offset:132
	buffer_store_dword v44, off, s[0:3], 0 offset:128
	buffer_store_dword v44, off, s[0:3], 0 offset:132
	s_waitcnt vmcnt(0)
	ds_write_b64 v43, v[45:46]
.LBB84_103:
	s_or_b32 exec_lo, exec_lo, s4
	s_waitcnt lgkmcnt(0)
	s_waitcnt_vscnt null, 0x0
	s_barrier
	buffer_gl0_inv
	s_clause 0x9
	buffer_load_dword v53, off, s[0:3], 0 offset:136
	buffer_load_dword v54, off, s[0:3], 0 offset:140
	;; [unrolled: 1-line block ×10, first 2 shown]
	ds_read2_b64 v[45:48], v44 offset0:39 offset1:40
	ds_read2_b64 v[49:52], v44 offset0:41 offset1:42
	s_mov_b32 s4, exec_lo
	s_waitcnt vmcnt(8) lgkmcnt(1)
	v_fma_f64 v[44:45], v[53:54], v[45:46], 0
	s_waitcnt vmcnt(6)
	v_fma_f64 v[44:45], v[55:56], v[47:48], v[44:45]
	s_waitcnt vmcnt(4) lgkmcnt(0)
	v_fma_f64 v[44:45], v[57:58], v[49:50], v[44:45]
	s_waitcnt vmcnt(2)
	v_fma_f64 v[44:45], v[59:60], v[51:52], v[44:45]
	s_waitcnt vmcnt(0)
	v_add_f64 v[44:45], v[61:62], -v[44:45]
	buffer_store_dword v44, off, s[0:3], 0 offset:128
	buffer_store_dword v45, off, s[0:3], 0 offset:132
	v_cmpx_lt_u32_e32 15, v0
	s_cbranch_execz .LBB84_105
; %bb.104:
	s_clause 0x1
	buffer_load_dword v44, off, s[0:3], 0 offset:120
	buffer_load_dword v45, off, s[0:3], 0 offset:124
	v_mov_b32_e32 v46, 0
	buffer_store_dword v46, off, s[0:3], 0 offset:120
	buffer_store_dword v46, off, s[0:3], 0 offset:124
	s_waitcnt vmcnt(0)
	ds_write_b64 v43, v[44:45]
.LBB84_105:
	s_or_b32 exec_lo, exec_lo, s4
	s_waitcnt lgkmcnt(0)
	s_waitcnt_vscnt null, 0x0
	s_barrier
	buffer_gl0_inv
	s_clause 0xb
	buffer_load_dword v53, off, s[0:3], 0 offset:128
	buffer_load_dword v54, off, s[0:3], 0 offset:132
	;; [unrolled: 1-line block ×12, first 2 shown]
	v_mov_b32_e32 v44, 0
	ds_read_b128 v[45:48], v44 offset:304
	ds_read_b128 v[49:52], v44 offset:320
	s_mov_b32 s4, exec_lo
	s_waitcnt vmcnt(10) lgkmcnt(1)
	v_fma_f64 v[45:46], v[53:54], v[45:46], 0
	s_waitcnt vmcnt(8)
	v_fma_f64 v[45:46], v[55:56], v[47:48], v[45:46]
	ds_read_b64 v[47:48], v44 offset:336
	s_waitcnt vmcnt(6) lgkmcnt(1)
	v_fma_f64 v[45:46], v[57:58], v[49:50], v[45:46]
	s_waitcnt vmcnt(4)
	v_fma_f64 v[45:46], v[59:60], v[51:52], v[45:46]
	s_waitcnt vmcnt(2) lgkmcnt(0)
	v_fma_f64 v[45:46], v[61:62], v[47:48], v[45:46]
	s_waitcnt vmcnt(0)
	v_add_f64 v[45:46], v[63:64], -v[45:46]
	buffer_store_dword v45, off, s[0:3], 0 offset:120
	buffer_store_dword v46, off, s[0:3], 0 offset:124
	v_cmpx_lt_u32_e32 14, v0
	s_cbranch_execz .LBB84_107
; %bb.106:
	s_clause 0x1
	buffer_load_dword v45, off, s[0:3], 0 offset:112
	buffer_load_dword v46, off, s[0:3], 0 offset:116
	buffer_store_dword v44, off, s[0:3], 0 offset:112
	buffer_store_dword v44, off, s[0:3], 0 offset:116
	s_waitcnt vmcnt(0)
	ds_write_b64 v43, v[45:46]
.LBB84_107:
	s_or_b32 exec_lo, exec_lo, s4
	s_waitcnt lgkmcnt(0)
	s_waitcnt_vscnt null, 0x0
	s_barrier
	buffer_gl0_inv
	s_clause 0xd
	buffer_load_dword v53, off, s[0:3], 0 offset:120
	buffer_load_dword v54, off, s[0:3], 0 offset:124
	buffer_load_dword v55, off, s[0:3], 0 offset:128
	buffer_load_dword v56, off, s[0:3], 0 offset:132
	buffer_load_dword v57, off, s[0:3], 0 offset:136
	buffer_load_dword v58, off, s[0:3], 0 offset:140
	buffer_load_dword v59, off, s[0:3], 0 offset:144
	buffer_load_dword v60, off, s[0:3], 0 offset:148
	buffer_load_dword v61, off, s[0:3], 0 offset:152
	buffer_load_dword v62, off, s[0:3], 0 offset:156
	buffer_load_dword v63, off, s[0:3], 0 offset:160
	buffer_load_dword v64, off, s[0:3], 0 offset:164
	buffer_load_dword v65, off, s[0:3], 0 offset:112
	buffer_load_dword v66, off, s[0:3], 0 offset:116
	ds_read2_b64 v[45:48], v44 offset0:37 offset1:38
	ds_read2_b64 v[49:52], v44 offset0:39 offset1:40
	s_mov_b32 s4, exec_lo
	s_waitcnt vmcnt(12) lgkmcnt(1)
	v_fma_f64 v[45:46], v[53:54], v[45:46], 0
	s_waitcnt vmcnt(10)
	v_fma_f64 v[45:46], v[55:56], v[47:48], v[45:46]
	s_waitcnt vmcnt(8) lgkmcnt(0)
	v_fma_f64 v[45:46], v[57:58], v[49:50], v[45:46]
	s_waitcnt vmcnt(6)
	v_fma_f64 v[48:49], v[59:60], v[51:52], v[45:46]
	ds_read2_b64 v[44:47], v44 offset0:41 offset1:42
	s_waitcnt vmcnt(4) lgkmcnt(0)
	v_fma_f64 v[44:45], v[61:62], v[44:45], v[48:49]
	s_waitcnt vmcnt(2)
	v_fma_f64 v[44:45], v[63:64], v[46:47], v[44:45]
	s_waitcnt vmcnt(0)
	v_add_f64 v[44:45], v[65:66], -v[44:45]
	buffer_store_dword v44, off, s[0:3], 0 offset:112
	buffer_store_dword v45, off, s[0:3], 0 offset:116
	v_cmpx_lt_u32_e32 13, v0
	s_cbranch_execz .LBB84_109
; %bb.108:
	s_clause 0x1
	buffer_load_dword v44, off, s[0:3], 0 offset:104
	buffer_load_dword v45, off, s[0:3], 0 offset:108
	v_mov_b32_e32 v46, 0
	buffer_store_dword v46, off, s[0:3], 0 offset:104
	buffer_store_dword v46, off, s[0:3], 0 offset:108
	s_waitcnt vmcnt(0)
	ds_write_b64 v43, v[44:45]
.LBB84_109:
	s_or_b32 exec_lo, exec_lo, s4
	s_waitcnt lgkmcnt(0)
	s_waitcnt_vscnt null, 0x0
	s_barrier
	buffer_gl0_inv
	s_clause 0xf
	buffer_load_dword v53, off, s[0:3], 0 offset:112
	buffer_load_dword v54, off, s[0:3], 0 offset:116
	buffer_load_dword v55, off, s[0:3], 0 offset:120
	buffer_load_dword v56, off, s[0:3], 0 offset:124
	buffer_load_dword v57, off, s[0:3], 0 offset:128
	buffer_load_dword v58, off, s[0:3], 0 offset:132
	buffer_load_dword v59, off, s[0:3], 0 offset:136
	buffer_load_dword v60, off, s[0:3], 0 offset:140
	buffer_load_dword v61, off, s[0:3], 0 offset:144
	buffer_load_dword v62, off, s[0:3], 0 offset:148
	buffer_load_dword v63, off, s[0:3], 0 offset:152
	buffer_load_dword v64, off, s[0:3], 0 offset:156
	buffer_load_dword v65, off, s[0:3], 0 offset:160
	buffer_load_dword v66, off, s[0:3], 0 offset:164
	buffer_load_dword v67, off, s[0:3], 0 offset:104
	buffer_load_dword v68, off, s[0:3], 0 offset:108
	v_mov_b32_e32 v44, 0
	ds_read_b128 v[45:48], v44 offset:288
	ds_read_b128 v[49:52], v44 offset:304
	s_mov_b32 s4, exec_lo
	s_waitcnt vmcnt(14) lgkmcnt(1)
	v_fma_f64 v[45:46], v[53:54], v[45:46], 0
	s_waitcnt vmcnt(12)
	v_fma_f64 v[45:46], v[55:56], v[47:48], v[45:46]
	s_waitcnt vmcnt(10) lgkmcnt(0)
	v_fma_f64 v[45:46], v[57:58], v[49:50], v[45:46]
	s_waitcnt vmcnt(8)
	v_fma_f64 v[49:50], v[59:60], v[51:52], v[45:46]
	ds_read_b128 v[45:48], v44 offset:320
	ds_read_b64 v[51:52], v44 offset:336
	s_waitcnt vmcnt(6) lgkmcnt(1)
	v_fma_f64 v[45:46], v[61:62], v[45:46], v[49:50]
	s_waitcnt vmcnt(4)
	v_fma_f64 v[45:46], v[63:64], v[47:48], v[45:46]
	s_waitcnt vmcnt(2) lgkmcnt(0)
	v_fma_f64 v[45:46], v[65:66], v[51:52], v[45:46]
	s_waitcnt vmcnt(0)
	v_add_f64 v[45:46], v[67:68], -v[45:46]
	buffer_store_dword v45, off, s[0:3], 0 offset:104
	buffer_store_dword v46, off, s[0:3], 0 offset:108
	v_cmpx_lt_u32_e32 12, v0
	s_cbranch_execz .LBB84_111
; %bb.110:
	s_clause 0x1
	buffer_load_dword v45, off, s[0:3], 0 offset:96
	buffer_load_dword v46, off, s[0:3], 0 offset:100
	buffer_store_dword v44, off, s[0:3], 0 offset:96
	buffer_store_dword v44, off, s[0:3], 0 offset:100
	s_waitcnt vmcnt(0)
	ds_write_b64 v43, v[45:46]
.LBB84_111:
	s_or_b32 exec_lo, exec_lo, s4
	s_waitcnt lgkmcnt(0)
	s_waitcnt_vscnt null, 0x0
	s_barrier
	buffer_gl0_inv
	s_clause 0x11
	buffer_load_dword v53, off, s[0:3], 0 offset:104
	buffer_load_dword v54, off, s[0:3], 0 offset:108
	buffer_load_dword v55, off, s[0:3], 0 offset:112
	buffer_load_dword v56, off, s[0:3], 0 offset:116
	buffer_load_dword v57, off, s[0:3], 0 offset:120
	buffer_load_dword v58, off, s[0:3], 0 offset:124
	buffer_load_dword v59, off, s[0:3], 0 offset:128
	buffer_load_dword v60, off, s[0:3], 0 offset:132
	buffer_load_dword v61, off, s[0:3], 0 offset:136
	buffer_load_dword v62, off, s[0:3], 0 offset:140
	buffer_load_dword v63, off, s[0:3], 0 offset:144
	buffer_load_dword v64, off, s[0:3], 0 offset:148
	buffer_load_dword v65, off, s[0:3], 0 offset:152
	buffer_load_dword v66, off, s[0:3], 0 offset:156
	buffer_load_dword v68, off, s[0:3], 0 offset:164
	buffer_load_dword v67, off, s[0:3], 0 offset:160
	buffer_load_dword v69, off, s[0:3], 0 offset:96
	buffer_load_dword v70, off, s[0:3], 0 offset:100
	ds_read2_b64 v[45:48], v44 offset0:35 offset1:36
	ds_read2_b64 v[49:52], v44 offset0:37 offset1:38
	s_mov_b32 s4, exec_lo
	s_waitcnt vmcnt(16) lgkmcnt(1)
	v_fma_f64 v[45:46], v[53:54], v[45:46], 0
	s_waitcnt vmcnt(14)
	v_fma_f64 v[45:46], v[55:56], v[47:48], v[45:46]
	s_waitcnt vmcnt(12) lgkmcnt(0)
	v_fma_f64 v[45:46], v[57:58], v[49:50], v[45:46]
	s_waitcnt vmcnt(10)
	v_fma_f64 v[53:54], v[59:60], v[51:52], v[45:46]
	ds_read2_b64 v[45:48], v44 offset0:39 offset1:40
	ds_read2_b64 v[49:52], v44 offset0:41 offset1:42
	s_waitcnt vmcnt(8) lgkmcnt(1)
	v_fma_f64 v[44:45], v[61:62], v[45:46], v[53:54]
	s_waitcnt vmcnt(6)
	v_fma_f64 v[44:45], v[63:64], v[47:48], v[44:45]
	s_waitcnt vmcnt(4) lgkmcnt(0)
	v_fma_f64 v[44:45], v[65:66], v[49:50], v[44:45]
	s_waitcnt vmcnt(2)
	v_fma_f64 v[44:45], v[67:68], v[51:52], v[44:45]
	s_waitcnt vmcnt(0)
	v_add_f64 v[44:45], v[69:70], -v[44:45]
	buffer_store_dword v44, off, s[0:3], 0 offset:96
	buffer_store_dword v45, off, s[0:3], 0 offset:100
	v_cmpx_lt_u32_e32 11, v0
	s_cbranch_execz .LBB84_113
; %bb.112:
	s_clause 0x1
	buffer_load_dword v44, off, s[0:3], 0 offset:88
	buffer_load_dword v45, off, s[0:3], 0 offset:92
	v_mov_b32_e32 v46, 0
	buffer_store_dword v46, off, s[0:3], 0 offset:88
	buffer_store_dword v46, off, s[0:3], 0 offset:92
	s_waitcnt vmcnt(0)
	ds_write_b64 v43, v[44:45]
.LBB84_113:
	s_or_b32 exec_lo, exec_lo, s4
	s_waitcnt lgkmcnt(0)
	s_waitcnt_vscnt null, 0x0
	s_barrier
	buffer_gl0_inv
	s_clause 0x13
	buffer_load_dword v53, off, s[0:3], 0 offset:96
	buffer_load_dword v54, off, s[0:3], 0 offset:100
	;; [unrolled: 1-line block ×20, first 2 shown]
	v_mov_b32_e32 v44, 0
	ds_read_b128 v[45:48], v44 offset:272
	ds_read_b128 v[49:52], v44 offset:288
	s_mov_b32 s4, exec_lo
	s_waitcnt vmcnt(18) lgkmcnt(1)
	v_fma_f64 v[45:46], v[53:54], v[45:46], 0
	s_waitcnt vmcnt(16)
	v_fma_f64 v[45:46], v[55:56], v[47:48], v[45:46]
	s_waitcnt vmcnt(14) lgkmcnt(0)
	v_fma_f64 v[45:46], v[57:58], v[49:50], v[45:46]
	s_waitcnt vmcnt(12)
	v_fma_f64 v[53:54], v[59:60], v[51:52], v[45:46]
	ds_read_b128 v[45:48], v44 offset:304
	ds_read_b128 v[49:52], v44 offset:320
	s_waitcnt vmcnt(10) lgkmcnt(1)
	v_fma_f64 v[45:46], v[61:62], v[45:46], v[53:54]
	s_waitcnt vmcnt(8)
	v_fma_f64 v[45:46], v[63:64], v[47:48], v[45:46]
	ds_read_b64 v[47:48], v44 offset:336
	s_waitcnt vmcnt(6) lgkmcnt(1)
	v_fma_f64 v[45:46], v[65:66], v[49:50], v[45:46]
	s_waitcnt vmcnt(3)
	v_fma_f64 v[45:46], v[67:68], v[51:52], v[45:46]
	s_waitcnt vmcnt(2) lgkmcnt(0)
	v_fma_f64 v[45:46], v[69:70], v[47:48], v[45:46]
	s_waitcnt vmcnt(0)
	v_add_f64 v[45:46], v[71:72], -v[45:46]
	buffer_store_dword v45, off, s[0:3], 0 offset:88
	buffer_store_dword v46, off, s[0:3], 0 offset:92
	v_cmpx_lt_u32_e32 10, v0
	s_cbranch_execz .LBB84_115
; %bb.114:
	s_clause 0x1
	buffer_load_dword v45, off, s[0:3], 0 offset:80
	buffer_load_dword v46, off, s[0:3], 0 offset:84
	buffer_store_dword v44, off, s[0:3], 0 offset:80
	buffer_store_dword v44, off, s[0:3], 0 offset:84
	s_waitcnt vmcnt(0)
	ds_write_b64 v43, v[45:46]
.LBB84_115:
	s_or_b32 exec_lo, exec_lo, s4
	s_waitcnt lgkmcnt(0)
	s_waitcnt_vscnt null, 0x0
	s_barrier
	buffer_gl0_inv
	s_clause 0x15
	buffer_load_dword v53, off, s[0:3], 0 offset:88
	buffer_load_dword v54, off, s[0:3], 0 offset:92
	;; [unrolled: 1-line block ×22, first 2 shown]
	ds_read2_b64 v[45:48], v44 offset0:33 offset1:34
	ds_read2_b64 v[49:52], v44 offset0:35 offset1:36
	s_mov_b32 s4, exec_lo
	s_waitcnt vmcnt(20) lgkmcnt(1)
	v_fma_f64 v[45:46], v[53:54], v[45:46], 0
	s_waitcnt vmcnt(18)
	v_fma_f64 v[45:46], v[55:56], v[47:48], v[45:46]
	s_waitcnt vmcnt(16) lgkmcnt(0)
	v_fma_f64 v[45:46], v[57:58], v[49:50], v[45:46]
	s_waitcnt vmcnt(14)
	v_fma_f64 v[53:54], v[59:60], v[51:52], v[45:46]
	ds_read2_b64 v[45:48], v44 offset0:37 offset1:38
	ds_read2_b64 v[49:52], v44 offset0:39 offset1:40
	s_waitcnt vmcnt(12) lgkmcnt(1)
	v_fma_f64 v[45:46], v[61:62], v[45:46], v[53:54]
	s_waitcnt vmcnt(10)
	v_fma_f64 v[45:46], v[63:64], v[47:48], v[45:46]
	s_waitcnt vmcnt(8) lgkmcnt(0)
	v_fma_f64 v[45:46], v[65:66], v[49:50], v[45:46]
	s_waitcnt vmcnt(4)
	v_fma_f64 v[48:49], v[67:68], v[51:52], v[45:46]
	ds_read2_b64 v[44:47], v44 offset0:41 offset1:42
	s_waitcnt vmcnt(3) lgkmcnt(0)
	v_fma_f64 v[44:45], v[71:72], v[44:45], v[48:49]
	s_waitcnt vmcnt(2)
	v_fma_f64 v[44:45], v[69:70], v[46:47], v[44:45]
	s_waitcnt vmcnt(0)
	v_add_f64 v[44:45], v[73:74], -v[44:45]
	buffer_store_dword v44, off, s[0:3], 0 offset:80
	buffer_store_dword v45, off, s[0:3], 0 offset:84
	v_cmpx_lt_u32_e32 9, v0
	s_cbranch_execz .LBB84_117
; %bb.116:
	s_clause 0x1
	buffer_load_dword v44, off, s[0:3], 0 offset:72
	buffer_load_dword v45, off, s[0:3], 0 offset:76
	v_mov_b32_e32 v46, 0
	buffer_store_dword v46, off, s[0:3], 0 offset:72
	buffer_store_dword v46, off, s[0:3], 0 offset:76
	s_waitcnt vmcnt(0)
	ds_write_b64 v43, v[44:45]
.LBB84_117:
	s_or_b32 exec_lo, exec_lo, s4
	s_waitcnt lgkmcnt(0)
	s_waitcnt_vscnt null, 0x0
	s_barrier
	buffer_gl0_inv
	s_clause 0x17
	buffer_load_dword v53, off, s[0:3], 0 offset:80
	buffer_load_dword v54, off, s[0:3], 0 offset:84
	;; [unrolled: 1-line block ×24, first 2 shown]
	v_mov_b32_e32 v44, 0
	ds_read_b128 v[45:48], v44 offset:256
	ds_read_b128 v[49:52], v44 offset:272
	s_mov_b32 s4, exec_lo
	s_waitcnt vmcnt(22) lgkmcnt(1)
	v_fma_f64 v[45:46], v[53:54], v[45:46], 0
	s_waitcnt vmcnt(20)
	v_fma_f64 v[45:46], v[55:56], v[47:48], v[45:46]
	s_waitcnt vmcnt(18) lgkmcnt(0)
	v_fma_f64 v[45:46], v[57:58], v[49:50], v[45:46]
	s_waitcnt vmcnt(16)
	v_fma_f64 v[53:54], v[59:60], v[51:52], v[45:46]
	ds_read_b128 v[45:48], v44 offset:288
	ds_read_b128 v[49:52], v44 offset:304
	s_waitcnt vmcnt(14) lgkmcnt(1)
	v_fma_f64 v[45:46], v[61:62], v[45:46], v[53:54]
	s_waitcnt vmcnt(12)
	v_fma_f64 v[45:46], v[63:64], v[47:48], v[45:46]
	s_waitcnt vmcnt(10) lgkmcnt(0)
	v_fma_f64 v[45:46], v[65:66], v[49:50], v[45:46]
	s_waitcnt vmcnt(5)
	v_fma_f64 v[49:50], v[67:68], v[51:52], v[45:46]
	ds_read_b128 v[45:48], v44 offset:320
	ds_read_b64 v[51:52], v44 offset:336
	s_waitcnt vmcnt(4) lgkmcnt(1)
	v_fma_f64 v[45:46], v[73:74], v[45:46], v[49:50]
	s_waitcnt vmcnt(3)
	v_fma_f64 v[45:46], v[71:72], v[47:48], v[45:46]
	s_waitcnt vmcnt(2) lgkmcnt(0)
	v_fma_f64 v[45:46], v[69:70], v[51:52], v[45:46]
	s_waitcnt vmcnt(0)
	v_add_f64 v[45:46], v[75:76], -v[45:46]
	buffer_store_dword v46, off, s[0:3], 0 offset:76
	buffer_store_dword v45, off, s[0:3], 0 offset:72
	v_cmpx_lt_u32_e32 8, v0
	s_cbranch_execz .LBB84_119
; %bb.118:
	s_clause 0x1
	buffer_load_dword v45, off, s[0:3], 0 offset:64
	buffer_load_dword v46, off, s[0:3], 0 offset:68
	buffer_store_dword v44, off, s[0:3], 0 offset:64
	buffer_store_dword v44, off, s[0:3], 0 offset:68
	s_waitcnt vmcnt(0)
	ds_write_b64 v43, v[45:46]
.LBB84_119:
	s_or_b32 exec_lo, exec_lo, s4
	s_waitcnt lgkmcnt(0)
	s_waitcnt_vscnt null, 0x0
	s_barrier
	buffer_gl0_inv
	s_clause 0x19
	buffer_load_dword v53, off, s[0:3], 0 offset:72
	buffer_load_dword v54, off, s[0:3], 0 offset:76
	;; [unrolled: 1-line block ×26, first 2 shown]
	ds_read2_b64 v[45:48], v44 offset0:31 offset1:32
	ds_read2_b64 v[49:52], v44 offset0:33 offset1:34
	s_mov_b32 s4, exec_lo
	s_waitcnt vmcnt(24) lgkmcnt(1)
	v_fma_f64 v[45:46], v[53:54], v[45:46], 0
	s_waitcnt vmcnt(22)
	v_fma_f64 v[45:46], v[55:56], v[47:48], v[45:46]
	s_waitcnt vmcnt(20) lgkmcnt(0)
	v_fma_f64 v[45:46], v[57:58], v[49:50], v[45:46]
	s_waitcnt vmcnt(18)
	v_fma_f64 v[53:54], v[59:60], v[51:52], v[45:46]
	ds_read2_b64 v[45:48], v44 offset0:35 offset1:36
	ds_read2_b64 v[49:52], v44 offset0:37 offset1:38
	s_waitcnt vmcnt(16) lgkmcnt(1)
	v_fma_f64 v[45:46], v[61:62], v[45:46], v[53:54]
	s_waitcnt vmcnt(14)
	v_fma_f64 v[45:46], v[63:64], v[47:48], v[45:46]
	s_waitcnt vmcnt(12) lgkmcnt(0)
	v_fma_f64 v[45:46], v[65:66], v[49:50], v[45:46]
	s_waitcnt vmcnt(7)
	v_fma_f64 v[53:54], v[67:68], v[51:52], v[45:46]
	ds_read2_b64 v[45:48], v44 offset0:39 offset1:40
	ds_read2_b64 v[49:52], v44 offset0:41 offset1:42
	s_waitcnt vmcnt(6) lgkmcnt(1)
	v_fma_f64 v[44:45], v[73:74], v[45:46], v[53:54]
	s_waitcnt vmcnt(5)
	v_fma_f64 v[44:45], v[71:72], v[47:48], v[44:45]
	s_waitcnt vmcnt(4) lgkmcnt(0)
	v_fma_f64 v[44:45], v[69:70], v[49:50], v[44:45]
	s_waitcnt vmcnt(2)
	v_fma_f64 v[44:45], v[75:76], v[51:52], v[44:45]
	s_waitcnt vmcnt(0)
	v_add_f64 v[44:45], v[77:78], -v[44:45]
	buffer_store_dword v45, off, s[0:3], 0 offset:68
	buffer_store_dword v44, off, s[0:3], 0 offset:64
	v_cmpx_lt_u32_e32 7, v0
	s_cbranch_execz .LBB84_121
; %bb.120:
	s_clause 0x1
	buffer_load_dword v44, off, s[0:3], 0 offset:56
	buffer_load_dword v45, off, s[0:3], 0 offset:60
	v_mov_b32_e32 v46, 0
	buffer_store_dword v46, off, s[0:3], 0 offset:56
	buffer_store_dword v46, off, s[0:3], 0 offset:60
	s_waitcnt vmcnt(0)
	ds_write_b64 v43, v[44:45]
.LBB84_121:
	s_or_b32 exec_lo, exec_lo, s4
	s_waitcnt lgkmcnt(0)
	s_waitcnt_vscnt null, 0x0
	s_barrier
	buffer_gl0_inv
	s_clause 0x1b
	buffer_load_dword v53, off, s[0:3], 0 offset:64
	buffer_load_dword v54, off, s[0:3], 0 offset:68
	;; [unrolled: 1-line block ×28, first 2 shown]
	v_mov_b32_e32 v44, 0
	ds_read_b128 v[45:48], v44 offset:240
	ds_read_b128 v[49:52], v44 offset:256
	s_mov_b32 s4, exec_lo
	s_waitcnt vmcnt(26) lgkmcnt(1)
	v_fma_f64 v[45:46], v[53:54], v[45:46], 0
	s_waitcnt vmcnt(24)
	v_fma_f64 v[45:46], v[55:56], v[47:48], v[45:46]
	s_waitcnt vmcnt(22) lgkmcnt(0)
	v_fma_f64 v[45:46], v[57:58], v[49:50], v[45:46]
	s_waitcnt vmcnt(20)
	v_fma_f64 v[53:54], v[59:60], v[51:52], v[45:46]
	ds_read_b128 v[45:48], v44 offset:272
	ds_read_b128 v[49:52], v44 offset:288
	s_waitcnt vmcnt(18) lgkmcnt(1)
	v_fma_f64 v[45:46], v[61:62], v[45:46], v[53:54]
	s_waitcnt vmcnt(16)
	v_fma_f64 v[45:46], v[63:64], v[47:48], v[45:46]
	s_waitcnt vmcnt(14) lgkmcnt(0)
	v_fma_f64 v[45:46], v[65:66], v[49:50], v[45:46]
	s_waitcnt vmcnt(9)
	v_fma_f64 v[53:54], v[67:68], v[51:52], v[45:46]
	ds_read_b128 v[45:48], v44 offset:304
	ds_read_b128 v[49:52], v44 offset:320
	s_waitcnt vmcnt(8) lgkmcnt(1)
	v_fma_f64 v[45:46], v[73:74], v[45:46], v[53:54]
	s_waitcnt vmcnt(7)
	v_fma_f64 v[45:46], v[71:72], v[47:48], v[45:46]
	ds_read_b64 v[47:48], v44 offset:336
	s_waitcnt vmcnt(6) lgkmcnt(1)
	v_fma_f64 v[45:46], v[69:70], v[49:50], v[45:46]
	s_waitcnt vmcnt(3)
	v_fma_f64 v[45:46], v[75:76], v[51:52], v[45:46]
	s_waitcnt vmcnt(2) lgkmcnt(0)
	v_fma_f64 v[45:46], v[77:78], v[47:48], v[45:46]
	s_waitcnt vmcnt(0)
	v_add_f64 v[45:46], v[79:80], -v[45:46]
	buffer_store_dword v46, off, s[0:3], 0 offset:60
	buffer_store_dword v45, off, s[0:3], 0 offset:56
	v_cmpx_lt_u32_e32 6, v0
	s_cbranch_execz .LBB84_123
; %bb.122:
	s_clause 0x1
	buffer_load_dword v45, off, s[0:3], 0 offset:48
	buffer_load_dword v46, off, s[0:3], 0 offset:52
	buffer_store_dword v44, off, s[0:3], 0 offset:48
	buffer_store_dword v44, off, s[0:3], 0 offset:52
	s_waitcnt vmcnt(0)
	ds_write_b64 v43, v[45:46]
.LBB84_123:
	s_or_b32 exec_lo, exec_lo, s4
	s_waitcnt lgkmcnt(0)
	s_waitcnt_vscnt null, 0x0
	s_barrier
	buffer_gl0_inv
	s_clause 0x1b
	buffer_load_dword v53, off, s[0:3], 0 offset:56
	buffer_load_dword v54, off, s[0:3], 0 offset:60
	;; [unrolled: 1-line block ×28, first 2 shown]
	ds_read2_b64 v[45:48], v44 offset0:29 offset1:30
	s_clause 0x1
	buffer_load_dword v81, off, s[0:3], 0 offset:48
	buffer_load_dword v82, off, s[0:3], 0 offset:52
	ds_read2_b64 v[49:52], v44 offset0:31 offset1:32
	s_mov_b32 s4, exec_lo
	s_waitcnt vmcnt(28) lgkmcnt(1)
	v_fma_f64 v[45:46], v[53:54], v[45:46], 0
	s_waitcnt vmcnt(26)
	v_fma_f64 v[45:46], v[55:56], v[47:48], v[45:46]
	s_waitcnt vmcnt(24) lgkmcnt(0)
	v_fma_f64 v[45:46], v[57:58], v[49:50], v[45:46]
	s_waitcnt vmcnt(22)
	v_fma_f64 v[53:54], v[59:60], v[51:52], v[45:46]
	ds_read2_b64 v[45:48], v44 offset0:33 offset1:34
	ds_read2_b64 v[49:52], v44 offset0:35 offset1:36
	s_waitcnt vmcnt(20) lgkmcnt(1)
	v_fma_f64 v[45:46], v[61:62], v[45:46], v[53:54]
	s_waitcnt vmcnt(18)
	v_fma_f64 v[45:46], v[63:64], v[47:48], v[45:46]
	s_waitcnt vmcnt(16) lgkmcnt(0)
	v_fma_f64 v[45:46], v[65:66], v[49:50], v[45:46]
	s_waitcnt vmcnt(11)
	v_fma_f64 v[53:54], v[67:68], v[51:52], v[45:46]
	ds_read2_b64 v[45:48], v44 offset0:37 offset1:38
	ds_read2_b64 v[49:52], v44 offset0:39 offset1:40
	s_waitcnt vmcnt(10) lgkmcnt(1)
	v_fma_f64 v[45:46], v[73:74], v[45:46], v[53:54]
	s_waitcnt vmcnt(9)
	v_fma_f64 v[45:46], v[71:72], v[47:48], v[45:46]
	s_waitcnt vmcnt(8) lgkmcnt(0)
	v_fma_f64 v[45:46], v[69:70], v[49:50], v[45:46]
	s_waitcnt vmcnt(4)
	v_fma_f64 v[48:49], v[75:76], v[51:52], v[45:46]
	ds_read2_b64 v[44:47], v44 offset0:41 offset1:42
	s_waitcnt vmcnt(3) lgkmcnt(0)
	v_fma_f64 v[44:45], v[79:80], v[44:45], v[48:49]
	s_waitcnt vmcnt(2)
	v_fma_f64 v[44:45], v[77:78], v[46:47], v[44:45]
	s_waitcnt vmcnt(0)
	v_add_f64 v[44:45], v[81:82], -v[44:45]
	buffer_store_dword v45, off, s[0:3], 0 offset:52
	buffer_store_dword v44, off, s[0:3], 0 offset:48
	v_cmpx_lt_u32_e32 5, v0
	s_cbranch_execz .LBB84_125
; %bb.124:
	s_clause 0x1
	buffer_load_dword v44, off, s[0:3], 0 offset:40
	buffer_load_dword v45, off, s[0:3], 0 offset:44
	v_mov_b32_e32 v46, 0
	buffer_store_dword v46, off, s[0:3], 0 offset:40
	buffer_store_dword v46, off, s[0:3], 0 offset:44
	s_waitcnt vmcnt(0)
	ds_write_b64 v43, v[44:45]
.LBB84_125:
	s_or_b32 exec_lo, exec_lo, s4
	s_waitcnt lgkmcnt(0)
	s_waitcnt_vscnt null, 0x0
	s_barrier
	buffer_gl0_inv
	s_clause 0x1c
	buffer_load_dword v53, off, s[0:3], 0 offset:48
	buffer_load_dword v54, off, s[0:3], 0 offset:52
	;; [unrolled: 1-line block ×29, first 2 shown]
	v_mov_b32_e32 v44, 0
	buffer_load_dword v78, off, s[0:3], 0 offset:164
	s_mov_b32 s4, exec_lo
	ds_read_b128 v[45:48], v44 offset:224
	ds_read_b128 v[49:52], v44 offset:240
	s_waitcnt vmcnt(28) lgkmcnt(1)
	v_fma_f64 v[45:46], v[53:54], v[45:46], 0
	s_clause 0x1
	buffer_load_dword v53, off, s[0:3], 0 offset:40
	buffer_load_dword v54, off, s[0:3], 0 offset:44
	s_waitcnt vmcnt(28)
	v_fma_f64 v[45:46], v[55:56], v[47:48], v[45:46]
	s_waitcnt vmcnt(26) lgkmcnt(0)
	v_fma_f64 v[45:46], v[57:58], v[49:50], v[45:46]
	s_waitcnt vmcnt(24)
	v_fma_f64 v[55:56], v[59:60], v[51:52], v[45:46]
	ds_read_b128 v[45:48], v44 offset:256
	ds_read_b128 v[49:52], v44 offset:272
	s_waitcnt vmcnt(22) lgkmcnt(1)
	v_fma_f64 v[45:46], v[61:62], v[45:46], v[55:56]
	s_waitcnt vmcnt(20)
	v_fma_f64 v[45:46], v[63:64], v[47:48], v[45:46]
	s_waitcnt vmcnt(18) lgkmcnt(0)
	v_fma_f64 v[45:46], v[65:66], v[49:50], v[45:46]
	s_waitcnt vmcnt(13)
	v_fma_f64 v[55:56], v[67:68], v[51:52], v[45:46]
	ds_read_b128 v[45:48], v44 offset:288
	ds_read_b128 v[49:52], v44 offset:304
	s_waitcnt vmcnt(12) lgkmcnt(1)
	v_fma_f64 v[45:46], v[73:74], v[45:46], v[55:56]
	s_waitcnt vmcnt(11)
	v_fma_f64 v[45:46], v[71:72], v[47:48], v[45:46]
	s_waitcnt vmcnt(10) lgkmcnt(0)
	v_fma_f64 v[45:46], v[69:70], v[49:50], v[45:46]
	s_waitcnt vmcnt(5)
	v_fma_f64 v[49:50], v[75:76], v[51:52], v[45:46]
	ds_read_b128 v[45:48], v44 offset:320
	ds_read_b64 v[51:52], v44 offset:336
	s_waitcnt vmcnt(4) lgkmcnt(1)
	v_fma_f64 v[45:46], v[81:82], v[45:46], v[49:50]
	s_waitcnt vmcnt(3)
	v_fma_f64 v[45:46], v[79:80], v[47:48], v[45:46]
	s_waitcnt vmcnt(2) lgkmcnt(0)
	v_fma_f64 v[45:46], v[77:78], v[51:52], v[45:46]
	s_waitcnt vmcnt(0)
	v_add_f64 v[45:46], v[53:54], -v[45:46]
	buffer_store_dword v46, off, s[0:3], 0 offset:44
	buffer_store_dword v45, off, s[0:3], 0 offset:40
	v_cmpx_lt_u32_e32 4, v0
	s_cbranch_execz .LBB84_127
; %bb.126:
	s_clause 0x1
	buffer_load_dword v45, off, s[0:3], 0 offset:32
	buffer_load_dword v46, off, s[0:3], 0 offset:36
	buffer_store_dword v44, off, s[0:3], 0 offset:32
	buffer_store_dword v44, off, s[0:3], 0 offset:36
	s_waitcnt vmcnt(0)
	ds_write_b64 v43, v[45:46]
.LBB84_127:
	s_or_b32 exec_lo, exec_lo, s4
	s_waitcnt lgkmcnt(0)
	s_waitcnt_vscnt null, 0x0
	s_barrier
	buffer_gl0_inv
	s_clause 0x1c
	buffer_load_dword v53, off, s[0:3], 0 offset:40
	buffer_load_dword v54, off, s[0:3], 0 offset:44
	;; [unrolled: 1-line block ×29, first 2 shown]
	ds_read2_b64 v[45:48], v44 offset0:27 offset1:28
	ds_read2_b64 v[49:52], v44 offset0:29 offset1:30
	buffer_load_dword v78, off, s[0:3], 0 offset:156
	s_mov_b32 s4, exec_lo
	s_waitcnt vmcnt(28) lgkmcnt(1)
	v_fma_f64 v[45:46], v[53:54], v[45:46], 0
	s_clause 0x1
	buffer_load_dword v54, off, s[0:3], 0 offset:164
	buffer_load_dword v53, off, s[0:3], 0 offset:160
	s_waitcnt vmcnt(28)
	v_fma_f64 v[45:46], v[55:56], v[47:48], v[45:46]
	s_clause 0x1
	buffer_load_dword v55, off, s[0:3], 0 offset:32
	buffer_load_dword v56, off, s[0:3], 0 offset:36
	s_waitcnt vmcnt(28) lgkmcnt(0)
	v_fma_f64 v[45:46], v[57:58], v[49:50], v[45:46]
	s_waitcnt vmcnt(26)
	v_fma_f64 v[57:58], v[59:60], v[51:52], v[45:46]
	ds_read2_b64 v[45:48], v44 offset0:31 offset1:32
	ds_read2_b64 v[49:52], v44 offset0:33 offset1:34
	s_waitcnt vmcnt(24) lgkmcnt(1)
	v_fma_f64 v[45:46], v[61:62], v[45:46], v[57:58]
	s_waitcnt vmcnt(22)
	v_fma_f64 v[45:46], v[63:64], v[47:48], v[45:46]
	s_waitcnt vmcnt(20) lgkmcnt(0)
	v_fma_f64 v[45:46], v[65:66], v[49:50], v[45:46]
	s_waitcnt vmcnt(15)
	v_fma_f64 v[57:58], v[67:68], v[51:52], v[45:46]
	ds_read2_b64 v[45:48], v44 offset0:35 offset1:36
	ds_read2_b64 v[49:52], v44 offset0:37 offset1:38
	s_waitcnt vmcnt(14) lgkmcnt(1)
	v_fma_f64 v[45:46], v[73:74], v[45:46], v[57:58]
	s_waitcnt vmcnt(13)
	v_fma_f64 v[45:46], v[71:72], v[47:48], v[45:46]
	;; [unrolled: 10-line block ×3, first 2 shown]
	s_waitcnt vmcnt(4) lgkmcnt(0)
	v_fma_f64 v[44:45], v[77:78], v[49:50], v[44:45]
	s_waitcnt vmcnt(2)
	v_fma_f64 v[44:45], v[53:54], v[51:52], v[44:45]
	s_waitcnt vmcnt(0)
	v_add_f64 v[44:45], v[55:56], -v[44:45]
	buffer_store_dword v45, off, s[0:3], 0 offset:36
	buffer_store_dword v44, off, s[0:3], 0 offset:32
	v_cmpx_lt_u32_e32 3, v0
	s_cbranch_execz .LBB84_129
; %bb.128:
	s_clause 0x1
	buffer_load_dword v44, off, s[0:3], 0 offset:24
	buffer_load_dword v45, off, s[0:3], 0 offset:28
	v_mov_b32_e32 v46, 0
	buffer_store_dword v46, off, s[0:3], 0 offset:24
	buffer_store_dword v46, off, s[0:3], 0 offset:28
	s_waitcnt vmcnt(0)
	ds_write_b64 v43, v[44:45]
.LBB84_129:
	s_or_b32 exec_lo, exec_lo, s4
	s_waitcnt lgkmcnt(0)
	s_waitcnt_vscnt null, 0x0
	s_barrier
	buffer_gl0_inv
	s_clause 0x1c
	buffer_load_dword v53, off, s[0:3], 0 offset:32
	buffer_load_dword v54, off, s[0:3], 0 offset:36
	;; [unrolled: 1-line block ×29, first 2 shown]
	v_mov_b32_e32 v44, 0
	buffer_load_dword v78, off, s[0:3], 0 offset:148
	s_mov_b32 s4, exec_lo
	ds_read_b128 v[45:48], v44 offset:208
	ds_read_b128 v[49:52], v44 offset:224
	s_waitcnt vmcnt(28) lgkmcnt(1)
	v_fma_f64 v[45:46], v[53:54], v[45:46], 0
	s_clause 0x3
	buffer_load_dword v54, off, s[0:3], 0 offset:156
	buffer_load_dword v83, off, s[0:3], 0 offset:160
	;; [unrolled: 1-line block ×4, first 2 shown]
	s_waitcnt vmcnt(30)
	v_fma_f64 v[45:46], v[55:56], v[47:48], v[45:46]
	s_clause 0x1
	buffer_load_dword v55, off, s[0:3], 0 offset:24
	buffer_load_dword v56, off, s[0:3], 0 offset:28
	s_waitcnt vmcnt(30) lgkmcnt(0)
	v_fma_f64 v[45:46], v[57:58], v[49:50], v[45:46]
	s_waitcnt vmcnt(28)
	v_fma_f64 v[57:58], v[59:60], v[51:52], v[45:46]
	ds_read_b128 v[45:48], v44 offset:240
	ds_read_b128 v[49:52], v44 offset:256
	s_waitcnt vmcnt(26) lgkmcnt(1)
	v_fma_f64 v[45:46], v[61:62], v[45:46], v[57:58]
	s_waitcnt vmcnt(24)
	v_fma_f64 v[45:46], v[63:64], v[47:48], v[45:46]
	s_waitcnt vmcnt(22) lgkmcnt(0)
	v_fma_f64 v[45:46], v[65:66], v[49:50], v[45:46]
	s_waitcnt vmcnt(17)
	v_fma_f64 v[57:58], v[67:68], v[51:52], v[45:46]
	ds_read_b128 v[45:48], v44 offset:272
	ds_read_b128 v[49:52], v44 offset:288
	s_waitcnt vmcnt(16) lgkmcnt(1)
	v_fma_f64 v[45:46], v[73:74], v[45:46], v[57:58]
	s_waitcnt vmcnt(15)
	v_fma_f64 v[45:46], v[71:72], v[47:48], v[45:46]
	;; [unrolled: 10-line block ×3, first 2 shown]
	ds_read_b64 v[47:48], v44 offset:336
	s_waitcnt vmcnt(6) lgkmcnt(1)
	v_fma_f64 v[45:46], v[77:78], v[49:50], v[45:46]
	s_waitcnt vmcnt(3)
	v_fma_f64 v[45:46], v[53:54], v[51:52], v[45:46]
	s_waitcnt vmcnt(2) lgkmcnt(0)
	v_fma_f64 v[45:46], v[83:84], v[47:48], v[45:46]
	s_waitcnt vmcnt(0)
	v_add_f64 v[45:46], v[55:56], -v[45:46]
	buffer_store_dword v46, off, s[0:3], 0 offset:28
	buffer_store_dword v45, off, s[0:3], 0 offset:24
	v_cmpx_lt_u32_e32 2, v0
	s_cbranch_execz .LBB84_131
; %bb.130:
	s_clause 0x1
	buffer_load_dword v45, off, s[0:3], 0 offset:16
	buffer_load_dword v46, off, s[0:3], 0 offset:20
	buffer_store_dword v44, off, s[0:3], 0 offset:16
	buffer_store_dword v44, off, s[0:3], 0 offset:20
	s_waitcnt vmcnt(0)
	ds_write_b64 v43, v[45:46]
.LBB84_131:
	s_or_b32 exec_lo, exec_lo, s4
	s_waitcnt lgkmcnt(0)
	s_waitcnt_vscnt null, 0x0
	s_barrier
	buffer_gl0_inv
	s_clause 0x1c
	buffer_load_dword v53, off, s[0:3], 0 offset:24
	buffer_load_dword v54, off, s[0:3], 0 offset:28
	;; [unrolled: 1-line block ×29, first 2 shown]
	ds_read2_b64 v[45:48], v44 offset0:25 offset1:26
	ds_read2_b64 v[49:52], v44 offset0:27 offset1:28
	buffer_load_dword v78, off, s[0:3], 0 offset:140
	s_mov_b32 s4, exec_lo
	s_waitcnt vmcnt(28) lgkmcnt(1)
	v_fma_f64 v[45:46], v[53:54], v[45:46], 0
	s_clause 0x5
	buffer_load_dword v54, off, s[0:3], 0 offset:148
	buffer_load_dword v83, off, s[0:3], 0 offset:160
	;; [unrolled: 1-line block ×6, first 2 shown]
	s_waitcnt vmcnt(32)
	v_fma_f64 v[45:46], v[55:56], v[47:48], v[45:46]
	s_waitcnt vmcnt(30) lgkmcnt(0)
	v_fma_f64 v[45:46], v[57:58], v[49:50], v[45:46]
	s_waitcnt vmcnt(28)
	v_fma_f64 v[55:56], v[59:60], v[51:52], v[45:46]
	ds_read2_b64 v[45:48], v44 offset0:29 offset1:30
	s_clause 0x1
	buffer_load_dword v57, off, s[0:3], 0 offset:16
	buffer_load_dword v58, off, s[0:3], 0 offset:20
	ds_read2_b64 v[49:52], v44 offset0:31 offset1:32
	s_waitcnt vmcnt(28) lgkmcnt(1)
	v_fma_f64 v[45:46], v[61:62], v[45:46], v[55:56]
	s_waitcnt vmcnt(26)
	v_fma_f64 v[45:46], v[63:64], v[47:48], v[45:46]
	s_waitcnt vmcnt(24) lgkmcnt(0)
	v_fma_f64 v[45:46], v[65:66], v[49:50], v[45:46]
	s_waitcnt vmcnt(19)
	v_fma_f64 v[55:56], v[67:68], v[51:52], v[45:46]
	ds_read2_b64 v[45:48], v44 offset0:33 offset1:34
	ds_read2_b64 v[49:52], v44 offset0:35 offset1:36
	s_waitcnt vmcnt(18) lgkmcnt(1)
	v_fma_f64 v[45:46], v[73:74], v[45:46], v[55:56]
	s_waitcnt vmcnt(17)
	v_fma_f64 v[45:46], v[71:72], v[47:48], v[45:46]
	s_waitcnt vmcnt(16) lgkmcnt(0)
	v_fma_f64 v[45:46], v[69:70], v[49:50], v[45:46]
	s_waitcnt vmcnt(11)
	v_fma_f64 v[55:56], v[75:76], v[51:52], v[45:46]
	ds_read2_b64 v[45:48], v44 offset0:37 offset1:38
	;; [unrolled: 10-line block ×3, first 2 shown]
	s_waitcnt vmcnt(3) lgkmcnt(0)
	v_fma_f64 v[44:45], v[85:86], v[44:45], v[48:49]
	s_waitcnt vmcnt(2)
	v_fma_f64 v[44:45], v[83:84], v[46:47], v[44:45]
	s_waitcnt vmcnt(0)
	v_add_f64 v[44:45], v[57:58], -v[44:45]
	buffer_store_dword v45, off, s[0:3], 0 offset:20
	buffer_store_dword v44, off, s[0:3], 0 offset:16
	v_cmpx_lt_u32_e32 1, v0
	s_cbranch_execz .LBB84_133
; %bb.132:
	s_clause 0x1
	buffer_load_dword v44, off, s[0:3], 0 offset:8
	buffer_load_dword v45, off, s[0:3], 0 offset:12
	v_mov_b32_e32 v46, 0
	buffer_store_dword v46, off, s[0:3], 0 offset:8
	buffer_store_dword v46, off, s[0:3], 0 offset:12
	s_waitcnt vmcnt(0)
	ds_write_b64 v43, v[44:45]
.LBB84_133:
	s_or_b32 exec_lo, exec_lo, s4
	s_waitcnt lgkmcnt(0)
	s_waitcnt_vscnt null, 0x0
	s_barrier
	buffer_gl0_inv
	s_clause 0x1c
	buffer_load_dword v54, off, s[0:3], 0 offset:16
	buffer_load_dword v55, off, s[0:3], 0 offset:20
	;; [unrolled: 1-line block ×29, first 2 shown]
	v_mov_b32_e32 v45, 0
	buffer_load_dword v79, off, s[0:3], 0 offset:132
	s_mov_b32 s4, exec_lo
	ds_read_b128 v[46:49], v45 offset:192
	ds_read_b128 v[50:53], v45 offset:208
	s_waitcnt vmcnt(28) lgkmcnt(1)
	v_fma_f64 v[46:47], v[54:55], v[46:47], 0
	s_clause 0x7
	buffer_load_dword v55, off, s[0:3], 0 offset:140
	buffer_load_dword v84, off, s[0:3], 0 offset:160
	;; [unrolled: 1-line block ×8, first 2 shown]
	s_waitcnt vmcnt(34)
	v_fma_f64 v[46:47], v[56:57], v[48:49], v[46:47]
	s_waitcnt vmcnt(32) lgkmcnt(0)
	v_fma_f64 v[46:47], v[58:59], v[50:51], v[46:47]
	s_waitcnt vmcnt(30)
	v_fma_f64 v[56:57], v[60:61], v[52:53], v[46:47]
	ds_read_b128 v[46:49], v45 offset:224
	ds_read_b128 v[50:53], v45 offset:240
	s_waitcnt vmcnt(28) lgkmcnt(1)
	v_fma_f64 v[46:47], v[62:63], v[46:47], v[56:57]
	s_clause 0x1
	buffer_load_dword v56, off, s[0:3], 0 offset:8
	buffer_load_dword v57, off, s[0:3], 0 offset:12
	s_waitcnt vmcnt(28)
	v_fma_f64 v[46:47], v[64:65], v[48:49], v[46:47]
	s_waitcnt vmcnt(26) lgkmcnt(0)
	v_fma_f64 v[46:47], v[66:67], v[50:51], v[46:47]
	s_waitcnt vmcnt(21)
	v_fma_f64 v[58:59], v[68:69], v[52:53], v[46:47]
	ds_read_b128 v[46:49], v45 offset:256
	ds_read_b128 v[50:53], v45 offset:272
	s_waitcnt vmcnt(20) lgkmcnt(1)
	v_fma_f64 v[46:47], v[74:75], v[46:47], v[58:59]
	s_waitcnt vmcnt(19)
	v_fma_f64 v[46:47], v[72:73], v[48:49], v[46:47]
	s_waitcnt vmcnt(18) lgkmcnt(0)
	v_fma_f64 v[46:47], v[70:71], v[50:51], v[46:47]
	s_waitcnt vmcnt(13)
	v_fma_f64 v[58:59], v[76:77], v[52:53], v[46:47]
	ds_read_b128 v[46:49], v45 offset:288
	ds_read_b128 v[50:53], v45 offset:304
	s_waitcnt vmcnt(12) lgkmcnt(1)
	v_fma_f64 v[46:47], v[82:83], v[46:47], v[58:59]
	s_waitcnt vmcnt(11)
	v_fma_f64 v[46:47], v[80:81], v[48:49], v[46:47]
	s_waitcnt vmcnt(10) lgkmcnt(0)
	v_fma_f64 v[46:47], v[78:79], v[50:51], v[46:47]
	s_waitcnt vmcnt(5)
	v_fma_f64 v[50:51], v[54:55], v[52:53], v[46:47]
	ds_read_b128 v[46:49], v45 offset:320
	ds_read_b64 v[52:53], v45 offset:336
	s_waitcnt vmcnt(4) lgkmcnt(1)
	v_fma_f64 v[46:47], v[88:89], v[46:47], v[50:51]
	s_waitcnt vmcnt(3)
	v_fma_f64 v[46:47], v[86:87], v[48:49], v[46:47]
	s_waitcnt vmcnt(2) lgkmcnt(0)
	v_fma_f64 v[46:47], v[84:85], v[52:53], v[46:47]
	s_waitcnt vmcnt(0)
	v_add_f64 v[46:47], v[56:57], -v[46:47]
	buffer_store_dword v47, off, s[0:3], 0 offset:12
	buffer_store_dword v46, off, s[0:3], 0 offset:8
	v_cmpx_ne_u32_e32 0, v0
	s_cbranch_execz .LBB84_135
; %bb.134:
	s_clause 0x1
	buffer_load_dword v46, off, s[0:3], 0
	buffer_load_dword v47, off, s[0:3], 0 offset:4
	buffer_store_dword v45, off, s[0:3], 0
	buffer_store_dword v45, off, s[0:3], 0 offset:4
	s_waitcnt vmcnt(0)
	ds_write_b64 v43, v[46:47]
.LBB84_135:
	s_or_b32 exec_lo, exec_lo, s4
	s_waitcnt lgkmcnt(0)
	s_waitcnt_vscnt null, 0x0
	s_barrier
	buffer_gl0_inv
	s_clause 0x1c
	buffer_load_dword v43, off, s[0:3], 0 offset:8
	buffer_load_dword v44, off, s[0:3], 0 offset:12
	;; [unrolled: 1-line block ×29, first 2 shown]
	ds_read2_b64 v[46:49], v45 offset0:23 offset1:24
	ds_read2_b64 v[50:53], v45 offset0:25 offset1:26
	buffer_load_dword v77, off, s[0:3], 0 offset:124
	s_and_b32 vcc_lo, exec_lo, s16
	s_waitcnt vmcnt(28) lgkmcnt(1)
	v_fma_f64 v[46:47], v[43:44], v[46:47], 0
	s_clause 0x7
	buffer_load_dword v83, off, s[0:3], 0 offset:132
	buffer_load_dword v43, off, s[0:3], 0 offset:152
	;; [unrolled: 1-line block ×8, first 2 shown]
	s_waitcnt vmcnt(34)
	v_fma_f64 v[46:47], v[54:55], v[48:49], v[46:47]
	s_waitcnt vmcnt(32) lgkmcnt(0)
	v_fma_f64 v[46:47], v[56:57], v[50:51], v[46:47]
	s_waitcnt vmcnt(30)
	v_fma_f64 v[54:55], v[58:59], v[52:53], v[46:47]
	ds_read2_b64 v[46:49], v45 offset0:27 offset1:28
	ds_read2_b64 v[50:53], v45 offset0:29 offset1:30
	s_waitcnt vmcnt(28) lgkmcnt(1)
	v_fma_f64 v[46:47], v[60:61], v[46:47], v[54:55]
	s_clause 0x3
	buffer_load_dword v55, off, s[0:3], 0 offset:164
	buffer_load_dword v54, off, s[0:3], 0 offset:160
	buffer_load_dword v56, off, s[0:3], 0
	buffer_load_dword v57, off, s[0:3], 0 offset:4
	s_waitcnt vmcnt(30)
	v_fma_f64 v[46:47], v[62:63], v[48:49], v[46:47]
	s_waitcnt vmcnt(28) lgkmcnt(0)
	v_fma_f64 v[46:47], v[64:65], v[50:51], v[46:47]
	s_waitcnt vmcnt(23)
	v_fma_f64 v[58:59], v[66:67], v[52:53], v[46:47]
	ds_read2_b64 v[46:49], v45 offset0:31 offset1:32
	ds_read2_b64 v[50:53], v45 offset0:33 offset1:34
	s_waitcnt vmcnt(22) lgkmcnt(1)
	v_fma_f64 v[46:47], v[72:73], v[46:47], v[58:59]
	s_waitcnt vmcnt(21)
	v_fma_f64 v[46:47], v[70:71], v[48:49], v[46:47]
	s_waitcnt vmcnt(20) lgkmcnt(0)
	v_fma_f64 v[46:47], v[68:69], v[50:51], v[46:47]
	s_waitcnt vmcnt(15)
	v_fma_f64 v[58:59], v[74:75], v[52:53], v[46:47]
	ds_read2_b64 v[46:49], v45 offset0:35 offset1:36
	ds_read2_b64 v[50:53], v45 offset0:37 offset1:38
	s_waitcnt vmcnt(14) lgkmcnt(1)
	v_fma_f64 v[46:47], v[80:81], v[46:47], v[58:59]
	;; [unrolled: 10-line block ×3, first 2 shown]
	s_waitcnt vmcnt(5)
	v_fma_f64 v[45:46], v[84:85], v[48:49], v[45:46]
	s_waitcnt vmcnt(4) lgkmcnt(0)
	v_fma_f64 v[45:46], v[43:44], v[50:51], v[45:46]
	s_waitcnt vmcnt(2)
	v_fma_f64 v[45:46], v[54:55], v[52:53], v[45:46]
	s_waitcnt vmcnt(0)
	v_add_f64 v[45:46], v[56:57], -v[45:46]
	buffer_store_dword v46, off, s[0:3], 0 offset:4
	buffer_store_dword v45, off, s[0:3], 0
	s_cbranch_vccz .LBB84_176
; %bb.136:
	v_mov_b32_e32 v0, 0
	global_load_dword v45, v0, s[12:13] offset:76
	s_waitcnt vmcnt(0)
	v_add_nc_u32_e32 v45, -1, v45
	v_cmp_ne_u32_e32 vcc_lo, 19, v45
	s_cbranch_vccz .LBB84_138
; %bb.137:
	v_lshlrev_b32_e32 v45, 3, v45
	s_clause 0x1
	buffer_load_dword v46, v45, s[0:3], 0 offen
	buffer_load_dword v47, v45, s[0:3], 0 offen offset:4
	s_waitcnt vmcnt(1)
	buffer_store_dword v46, off, s[0:3], 0 offset:152
	s_waitcnt vmcnt(0)
	buffer_store_dword v47, off, s[0:3], 0 offset:156
	buffer_store_dword v43, v45, s[0:3], 0 offen
	buffer_store_dword v44, v45, s[0:3], 0 offen offset:4
.LBB84_138:
	global_load_dword v0, v0, s[12:13] offset:72
	s_waitcnt vmcnt(0)
	v_add_nc_u32_e32 v0, -1, v0
	v_cmp_eq_u32_e32 vcc_lo, 18, v0
	s_cbranch_vccnz .LBB84_140
; %bb.139:
	v_lshlrev_b32_e32 v0, 3, v0
	s_clause 0x3
	buffer_load_dword v43, v0, s[0:3], 0 offen
	buffer_load_dword v44, v0, s[0:3], 0 offen offset:4
	buffer_load_dword v45, off, s[0:3], 0 offset:148
	buffer_load_dword v46, off, s[0:3], 0 offset:144
	s_waitcnt vmcnt(3)
	buffer_store_dword v43, off, s[0:3], 0 offset:144
	s_waitcnt vmcnt(2)
	buffer_store_dword v44, off, s[0:3], 0 offset:148
	s_waitcnt vmcnt(1)
	buffer_store_dword v45, v0, s[0:3], 0 offen offset:4
	s_waitcnt vmcnt(0)
	buffer_store_dword v46, v0, s[0:3], 0 offen
.LBB84_140:
	v_mov_b32_e32 v0, 0
	global_load_dword v43, v0, s[12:13] offset:68
	s_waitcnt vmcnt(0)
	v_add_nc_u32_e32 v43, -1, v43
	v_cmp_eq_u32_e32 vcc_lo, 17, v43
	s_cbranch_vccnz .LBB84_142
; %bb.141:
	v_lshlrev_b32_e32 v43, 3, v43
	s_clause 0x3
	buffer_load_dword v44, v43, s[0:3], 0 offen
	buffer_load_dword v45, v43, s[0:3], 0 offen offset:4
	buffer_load_dword v46, off, s[0:3], 0 offset:136
	buffer_load_dword v47, off, s[0:3], 0 offset:140
	s_waitcnt vmcnt(3)
	buffer_store_dword v44, off, s[0:3], 0 offset:136
	s_waitcnt vmcnt(2)
	buffer_store_dword v45, off, s[0:3], 0 offset:140
	s_waitcnt vmcnt(1)
	buffer_store_dword v46, v43, s[0:3], 0 offen
	s_waitcnt vmcnt(0)
	buffer_store_dword v47, v43, s[0:3], 0 offen offset:4
.LBB84_142:
	global_load_dword v0, v0, s[12:13] offset:64
	s_waitcnt vmcnt(0)
	v_add_nc_u32_e32 v0, -1, v0
	v_cmp_eq_u32_e32 vcc_lo, 16, v0
	s_cbranch_vccnz .LBB84_144
; %bb.143:
	v_lshlrev_b32_e32 v0, 3, v0
	s_clause 0x3
	buffer_load_dword v43, v0, s[0:3], 0 offen
	buffer_load_dword v44, v0, s[0:3], 0 offen offset:4
	buffer_load_dword v45, off, s[0:3], 0 offset:132
	buffer_load_dword v46, off, s[0:3], 0 offset:128
	s_waitcnt vmcnt(3)
	buffer_store_dword v43, off, s[0:3], 0 offset:128
	s_waitcnt vmcnt(2)
	buffer_store_dword v44, off, s[0:3], 0 offset:132
	s_waitcnt vmcnt(1)
	buffer_store_dword v45, v0, s[0:3], 0 offen offset:4
	s_waitcnt vmcnt(0)
	buffer_store_dword v46, v0, s[0:3], 0 offen
.LBB84_144:
	v_mov_b32_e32 v0, 0
	global_load_dword v43, v0, s[12:13] offset:60
	s_waitcnt vmcnt(0)
	v_add_nc_u32_e32 v43, -1, v43
	v_cmp_eq_u32_e32 vcc_lo, 15, v43
	s_cbranch_vccnz .LBB84_146
; %bb.145:
	v_lshlrev_b32_e32 v43, 3, v43
	s_clause 0x3
	buffer_load_dword v44, v43, s[0:3], 0 offen
	buffer_load_dword v45, v43, s[0:3], 0 offen offset:4
	buffer_load_dword v46, off, s[0:3], 0 offset:120
	buffer_load_dword v47, off, s[0:3], 0 offset:124
	s_waitcnt vmcnt(3)
	buffer_store_dword v44, off, s[0:3], 0 offset:120
	s_waitcnt vmcnt(2)
	buffer_store_dword v45, off, s[0:3], 0 offset:124
	s_waitcnt vmcnt(1)
	buffer_store_dword v46, v43, s[0:3], 0 offen
	s_waitcnt vmcnt(0)
	buffer_store_dword v47, v43, s[0:3], 0 offen offset:4
.LBB84_146:
	;; [unrolled: 43-line block ×9, first 2 shown]
	global_load_dword v0, v0, s[12:13]
	s_clause 0x1
	buffer_load_dword v45, off, s[0:3], 0
	buffer_load_dword v46, off, s[0:3], 0 offset:4
	s_waitcnt vmcnt(2)
	v_add_nc_u32_e32 v0, -1, v0
	v_cmp_eq_u32_e32 vcc_lo, 0, v0
	s_cbranch_vccnz .LBB84_176
; %bb.175:
	v_lshlrev_b32_e32 v0, 3, v0
	s_clause 0x1
	buffer_load_dword v43, v0, s[0:3], 0 offen offset:4
	buffer_load_dword v44, v0, s[0:3], 0 offen
	s_waitcnt vmcnt(1)
	buffer_store_dword v43, off, s[0:3], 0 offset:4
	s_waitcnt vmcnt(0)
	buffer_store_dword v44, off, s[0:3], 0
	buffer_store_dword v46, v0, s[0:3], 0 offen offset:4
	buffer_store_dword v45, v0, s[0:3], 0 offen
	s_clause 0x1
	buffer_load_dword v45, off, s[0:3], 0
	buffer_load_dword v46, off, s[0:3], 0 offset:4
.LBB84_176:
	s_waitcnt vmcnt(0)
	flat_store_dwordx2 v[1:2], v[45:46]
	s_clause 0x1
	buffer_load_dword v0, off, s[0:3], 0 offset:8
	buffer_load_dword v1, off, s[0:3], 0 offset:12
	s_waitcnt vmcnt(0)
	flat_store_dwordx2 v[3:4], v[0:1]
	s_clause 0x1
	buffer_load_dword v0, off, s[0:3], 0 offset:16
	buffer_load_dword v1, off, s[0:3], 0 offset:20
	;; [unrolled: 5-line block ×20, first 2 shown]
	s_waitcnt vmcnt(0)
	flat_store_dwordx2 v[41:42], v[0:1]
	s_endpgm
	.section	.rodata,"a",@progbits
	.p2align	6, 0x0
	.amdhsa_kernel _ZN9rocsolver6v33100L18getri_kernel_smallILi21EdPKPdEEvT1_iilPiilS6_bb
		.amdhsa_group_segment_fixed_size 344
		.amdhsa_private_segment_fixed_size 176
		.amdhsa_kernarg_size 60
		.amdhsa_user_sgpr_count 6
		.amdhsa_user_sgpr_private_segment_buffer 1
		.amdhsa_user_sgpr_dispatch_ptr 0
		.amdhsa_user_sgpr_queue_ptr 0
		.amdhsa_user_sgpr_kernarg_segment_ptr 1
		.amdhsa_user_sgpr_dispatch_id 0
		.amdhsa_user_sgpr_flat_scratch_init 0
		.amdhsa_user_sgpr_private_segment_size 0
		.amdhsa_wavefront_size32 1
		.amdhsa_uses_dynamic_stack 0
		.amdhsa_system_sgpr_private_segment_wavefront_offset 1
		.amdhsa_system_sgpr_workgroup_id_x 1
		.amdhsa_system_sgpr_workgroup_id_y 0
		.amdhsa_system_sgpr_workgroup_id_z 0
		.amdhsa_system_sgpr_workgroup_info 0
		.amdhsa_system_vgpr_workitem_id 0
		.amdhsa_next_free_vgpr 90
		.amdhsa_next_free_sgpr 20
		.amdhsa_reserve_vcc 1
		.amdhsa_reserve_flat_scratch 0
		.amdhsa_float_round_mode_32 0
		.amdhsa_float_round_mode_16_64 0
		.amdhsa_float_denorm_mode_32 3
		.amdhsa_float_denorm_mode_16_64 3
		.amdhsa_dx10_clamp 1
		.amdhsa_ieee_mode 1
		.amdhsa_fp16_overflow 0
		.amdhsa_workgroup_processor_mode 1
		.amdhsa_memory_ordered 1
		.amdhsa_forward_progress 1
		.amdhsa_shared_vgpr_count 0
		.amdhsa_exception_fp_ieee_invalid_op 0
		.amdhsa_exception_fp_denorm_src 0
		.amdhsa_exception_fp_ieee_div_zero 0
		.amdhsa_exception_fp_ieee_overflow 0
		.amdhsa_exception_fp_ieee_underflow 0
		.amdhsa_exception_fp_ieee_inexact 0
		.amdhsa_exception_int_div_zero 0
	.end_amdhsa_kernel
	.section	.text._ZN9rocsolver6v33100L18getri_kernel_smallILi21EdPKPdEEvT1_iilPiilS6_bb,"axG",@progbits,_ZN9rocsolver6v33100L18getri_kernel_smallILi21EdPKPdEEvT1_iilPiilS6_bb,comdat
.Lfunc_end84:
	.size	_ZN9rocsolver6v33100L18getri_kernel_smallILi21EdPKPdEEvT1_iilPiilS6_bb, .Lfunc_end84-_ZN9rocsolver6v33100L18getri_kernel_smallILi21EdPKPdEEvT1_iilPiilS6_bb
                                        ; -- End function
	.set _ZN9rocsolver6v33100L18getri_kernel_smallILi21EdPKPdEEvT1_iilPiilS6_bb.num_vgpr, 90
	.set _ZN9rocsolver6v33100L18getri_kernel_smallILi21EdPKPdEEvT1_iilPiilS6_bb.num_agpr, 0
	.set _ZN9rocsolver6v33100L18getri_kernel_smallILi21EdPKPdEEvT1_iilPiilS6_bb.numbered_sgpr, 20
	.set _ZN9rocsolver6v33100L18getri_kernel_smallILi21EdPKPdEEvT1_iilPiilS6_bb.num_named_barrier, 0
	.set _ZN9rocsolver6v33100L18getri_kernel_smallILi21EdPKPdEEvT1_iilPiilS6_bb.private_seg_size, 176
	.set _ZN9rocsolver6v33100L18getri_kernel_smallILi21EdPKPdEEvT1_iilPiilS6_bb.uses_vcc, 1
	.set _ZN9rocsolver6v33100L18getri_kernel_smallILi21EdPKPdEEvT1_iilPiilS6_bb.uses_flat_scratch, 0
	.set _ZN9rocsolver6v33100L18getri_kernel_smallILi21EdPKPdEEvT1_iilPiilS6_bb.has_dyn_sized_stack, 0
	.set _ZN9rocsolver6v33100L18getri_kernel_smallILi21EdPKPdEEvT1_iilPiilS6_bb.has_recursion, 0
	.set _ZN9rocsolver6v33100L18getri_kernel_smallILi21EdPKPdEEvT1_iilPiilS6_bb.has_indirect_call, 0
	.section	.AMDGPU.csdata,"",@progbits
; Kernel info:
; codeLenInByte = 18744
; TotalNumSgprs: 22
; NumVgprs: 90
; ScratchSize: 176
; MemoryBound: 0
; FloatMode: 240
; IeeeMode: 1
; LDSByteSize: 344 bytes/workgroup (compile time only)
; SGPRBlocks: 0
; VGPRBlocks: 11
; NumSGPRsForWavesPerEU: 22
; NumVGPRsForWavesPerEU: 90
; Occupancy: 10
; WaveLimiterHint : 1
; COMPUTE_PGM_RSRC2:SCRATCH_EN: 1
; COMPUTE_PGM_RSRC2:USER_SGPR: 6
; COMPUTE_PGM_RSRC2:TRAP_HANDLER: 0
; COMPUTE_PGM_RSRC2:TGID_X_EN: 1
; COMPUTE_PGM_RSRC2:TGID_Y_EN: 0
; COMPUTE_PGM_RSRC2:TGID_Z_EN: 0
; COMPUTE_PGM_RSRC2:TIDIG_COMP_CNT: 0
	.section	.text._ZN9rocsolver6v33100L18getri_kernel_smallILi22EdPKPdEEvT1_iilPiilS6_bb,"axG",@progbits,_ZN9rocsolver6v33100L18getri_kernel_smallILi22EdPKPdEEvT1_iilPiilS6_bb,comdat
	.globl	_ZN9rocsolver6v33100L18getri_kernel_smallILi22EdPKPdEEvT1_iilPiilS6_bb ; -- Begin function _ZN9rocsolver6v33100L18getri_kernel_smallILi22EdPKPdEEvT1_iilPiilS6_bb
	.p2align	8
	.type	_ZN9rocsolver6v33100L18getri_kernel_smallILi22EdPKPdEEvT1_iilPiilS6_bb,@function
_ZN9rocsolver6v33100L18getri_kernel_smallILi22EdPKPdEEvT1_iilPiilS6_bb: ; @_ZN9rocsolver6v33100L18getri_kernel_smallILi22EdPKPdEEvT1_iilPiilS6_bb
; %bb.0:
	s_add_u32 s0, s0, s7
	s_addc_u32 s1, s1, 0
	s_mov_b32 s7, exec_lo
	v_cmpx_gt_u32_e32 22, v0
	s_cbranch_execz .LBB85_98
; %bb.1:
	s_clause 0x2
	s_load_dword s17, s[4:5], 0x38
	s_load_dwordx2 s[12:13], s[4:5], 0x0
	s_load_dwordx4 s[8:11], s[4:5], 0x28
	s_waitcnt lgkmcnt(0)
	s_bitcmp1_b32 s17, 8
	s_cselect_b32 s16, -1, 0
	s_ashr_i32 s7, s6, 31
	s_lshl_b64 s[14:15], s[6:7], 3
	s_add_u32 s12, s12, s14
	s_addc_u32 s13, s13, s15
	s_load_dwordx2 s[14:15], s[12:13], 0x0
	s_bfe_u32 s12, s17, 0x10008
	s_cmp_eq_u32 s12, 0
                                        ; implicit-def: $sgpr12_sgpr13
	s_cbranch_scc1 .LBB85_3
; %bb.2:
	s_clause 0x1
	s_load_dword s12, s[4:5], 0x20
	s_load_dwordx2 s[18:19], s[4:5], 0x18
	s_mul_i32 s13, s8, s7
	s_mul_hi_u32 s17, s8, s6
	s_mul_i32 s9, s9, s6
	s_add_i32 s13, s17, s13
	s_mul_i32 s8, s8, s6
	s_add_i32 s9, s13, s9
	s_lshl_b64 s[8:9], s[8:9], 2
	s_waitcnt lgkmcnt(0)
	s_ashr_i32 s13, s12, 31
	s_add_u32 s17, s18, s8
	s_addc_u32 s18, s19, s9
	s_lshl_b64 s[8:9], s[12:13], 2
	s_add_u32 s12, s17, s8
	s_addc_u32 s13, s18, s9
.LBB85_3:
	s_clause 0x1
	s_load_dwordx2 s[8:9], s[4:5], 0x8
	s_load_dword s4, s[4:5], 0x38
	v_lshlrev_b32_e32 v47, 3, v0
	s_waitcnt lgkmcnt(0)
	s_ashr_i32 s19, s8, 31
	s_mov_b32 s18, s8
	v_add3_u32 v9, s9, s9, v0
	s_lshl_b64 s[18:19], s[18:19], 3
	s_add_u32 s5, s14, s18
	s_addc_u32 s8, s15, s19
	v_add_co_u32 v1, s14, s5, v47
	v_add_co_ci_u32_e64 v2, null, s8, 0, s14
	s_mov_b32 s14, s9
	s_ashr_i32 s15, s9, 31
	v_ashrrev_i32_e32 v10, 31, v9
	flat_load_dwordx2 v[5:6], v[1:2]
	s_lshl_b64 s[14:15], s[14:15], 3
	v_add_nc_u32_e32 v12, s9, v9
	v_add_co_u32 v3, vcc_lo, v1, s14
	v_add_co_ci_u32_e64 v4, null, s15, v2, vcc_lo
	v_ashrrev_i32_e32 v13, 31, v12
	s_bitcmp0_b32 s4, 0
	s_waitcnt vmcnt(0) lgkmcnt(0)
	buffer_store_dword v6, off, s[0:3], 0 offset:4
	buffer_store_dword v5, off, s[0:3], 0
	flat_load_dwordx2 v[7:8], v[3:4]
	v_lshlrev_b64 v[5:6], 3, v[9:10]
	s_waitcnt vmcnt(0) lgkmcnt(0)
	buffer_store_dword v8, off, s[0:3], 0 offset:12
	buffer_store_dword v7, off, s[0:3], 0 offset:8
	v_add_co_u32 v5, vcc_lo, s5, v5
	v_add_co_ci_u32_e64 v6, null, s8, v6, vcc_lo
	v_lshlrev_b64 v[7:8], 3, v[12:13]
	flat_load_dwordx2 v[10:11], v[5:6]
	s_waitcnt vmcnt(0) lgkmcnt(0)
	buffer_store_dword v11, off, s[0:3], 0 offset:20
	buffer_store_dword v10, off, s[0:3], 0 offset:16
	v_add_co_u32 v7, vcc_lo, s5, v7
	v_add_co_ci_u32_e64 v8, null, s8, v8, vcc_lo
	v_add_nc_u32_e32 v11, s9, v12
	flat_load_dwordx2 v[13:14], v[7:8]
	s_waitcnt vmcnt(0) lgkmcnt(0)
	buffer_store_dword v14, off, s[0:3], 0 offset:28
	buffer_store_dword v13, off, s[0:3], 0 offset:24
	v_ashrrev_i32_e32 v12, 31, v11
	v_add_nc_u32_e32 v15, s9, v11
	v_lshlrev_b64 v[9:10], 3, v[11:12]
	v_ashrrev_i32_e32 v16, 31, v15
	v_add_nc_u32_e32 v18, s9, v15
	v_add_co_u32 v9, vcc_lo, s5, v9
	v_add_co_ci_u32_e64 v10, null, s8, v10, vcc_lo
	v_lshlrev_b64 v[11:12], 3, v[15:16]
	v_ashrrev_i32_e32 v19, 31, v18
	flat_load_dwordx2 v[13:14], v[9:10]
	s_waitcnt vmcnt(0) lgkmcnt(0)
	buffer_store_dword v14, off, s[0:3], 0 offset:36
	buffer_store_dword v13, off, s[0:3], 0 offset:32
	v_add_co_u32 v11, vcc_lo, s5, v11
	v_add_co_ci_u32_e64 v12, null, s8, v12, vcc_lo
	v_lshlrev_b64 v[13:14], 3, v[18:19]
	flat_load_dwordx2 v[16:17], v[11:12]
	s_waitcnt vmcnt(0) lgkmcnt(0)
	buffer_store_dword v17, off, s[0:3], 0 offset:44
	buffer_store_dword v16, off, s[0:3], 0 offset:40
	v_add_co_u32 v13, vcc_lo, s5, v13
	v_add_co_ci_u32_e64 v14, null, s8, v14, vcc_lo
	v_add_nc_u32_e32 v17, s9, v18
	flat_load_dwordx2 v[19:20], v[13:14]
	s_waitcnt vmcnt(0) lgkmcnt(0)
	buffer_store_dword v20, off, s[0:3], 0 offset:52
	buffer_store_dword v19, off, s[0:3], 0 offset:48
	v_ashrrev_i32_e32 v18, 31, v17
	v_add_nc_u32_e32 v21, s9, v17
	v_lshlrev_b64 v[15:16], 3, v[17:18]
	v_ashrrev_i32_e32 v22, 31, v21
	v_add_nc_u32_e32 v24, s9, v21
	v_add_co_u32 v15, vcc_lo, s5, v15
	v_add_co_ci_u32_e64 v16, null, s8, v16, vcc_lo
	v_lshlrev_b64 v[17:18], 3, v[21:22]
	v_ashrrev_i32_e32 v25, 31, v24
	flat_load_dwordx2 v[19:20], v[15:16]
	;; [unrolled: 27-line block ×5, first 2 shown]
	s_waitcnt vmcnt(0) lgkmcnt(0)
	buffer_store_dword v38, off, s[0:3], 0 offset:132
	buffer_store_dword v37, off, s[0:3], 0 offset:128
	v_add_co_u32 v35, vcc_lo, s5, v35
	v_add_co_ci_u32_e64 v36, null, s8, v36, vcc_lo
	v_lshlrev_b64 v[37:38], 3, v[42:43]
	flat_load_dwordx2 v[40:41], v[35:36]
	s_waitcnt vmcnt(0) lgkmcnt(0)
	buffer_store_dword v41, off, s[0:3], 0 offset:140
	buffer_store_dword v40, off, s[0:3], 0 offset:136
	v_add_co_u32 v37, vcc_lo, s5, v37
	v_add_co_ci_u32_e64 v38, null, s8, v38, vcc_lo
	v_add_nc_u32_e32 v41, s9, v42
	flat_load_dwordx2 v[43:44], v[37:38]
	s_waitcnt vmcnt(0) lgkmcnt(0)
	buffer_store_dword v44, off, s[0:3], 0 offset:148
	buffer_store_dword v43, off, s[0:3], 0 offset:144
	v_ashrrev_i32_e32 v42, 31, v41
	v_add_nc_u32_e32 v45, s9, v41
	v_lshlrev_b64 v[39:40], 3, v[41:42]
	v_ashrrev_i32_e32 v46, 31, v45
	v_add_co_u32 v39, vcc_lo, s5, v39
	v_add_co_ci_u32_e64 v40, null, s8, v40, vcc_lo
	v_lshlrev_b64 v[41:42], 3, v[45:46]
	flat_load_dwordx2 v[43:44], v[39:40]
	s_waitcnt vmcnt(0) lgkmcnt(0)
	buffer_store_dword v44, off, s[0:3], 0 offset:156
	buffer_store_dword v43, off, s[0:3], 0 offset:152
	v_add_co_u32 v41, vcc_lo, s5, v41
	v_add_co_ci_u32_e64 v42, null, s8, v42, vcc_lo
	v_add_nc_u32_e32 v43, s9, v45
	flat_load_dwordx2 v[48:49], v[41:42]
	s_waitcnt vmcnt(0) lgkmcnt(0)
	buffer_store_dword v49, off, s[0:3], 0 offset:164
	buffer_store_dword v48, off, s[0:3], 0 offset:160
	v_ashrrev_i32_e32 v44, 31, v43
	v_lshlrev_b64 v[43:44], 3, v[43:44]
	v_add_co_u32 v43, vcc_lo, s5, v43
	v_add_co_ci_u32_e64 v44, null, s8, v44, vcc_lo
	s_mov_b32 s5, -1
	flat_load_dwordx2 v[45:46], v[43:44]
	s_waitcnt vmcnt(0) lgkmcnt(0)
	buffer_store_dword v46, off, s[0:3], 0 offset:172
	buffer_store_dword v45, off, s[0:3], 0 offset:168
	s_cbranch_scc1 .LBB85_96
; %bb.4:
	v_cmp_eq_u32_e64 s4, 0, v0
	s_and_saveexec_b32 s5, s4
; %bb.5:
	v_mov_b32_e32 v45, 0
	ds_write_b32 v45, v45 offset:352
; %bb.6:
	s_or_b32 exec_lo, exec_lo, s5
	v_lshl_add_u32 v45, v0, 3, 0
	s_waitcnt lgkmcnt(0)
	s_waitcnt_vscnt null, 0x0
	s_barrier
	buffer_gl0_inv
	s_mov_b32 s8, exec_lo
	s_clause 0x1
	buffer_load_dword v48, v45, s[0:3], 0 offen
	buffer_load_dword v49, v45, s[0:3], 0 offen offset:4
	s_waitcnt vmcnt(0)
	v_cmpx_eq_f64_e32 0, v[48:49]
	s_cbranch_execz .LBB85_10
; %bb.7:
	v_mov_b32_e32 v46, 0
	s_mov_b32 s9, 0
	ds_read_b32 v48, v46 offset:352
	s_waitcnt lgkmcnt(0)
	v_readfirstlane_b32 s5, v48
	v_add_nc_u32_e32 v48, 1, v0
	s_cmp_eq_u32 s5, 0
	v_cmp_gt_i32_e32 vcc_lo, s5, v48
	s_cselect_b32 s14, -1, 0
	s_or_b32 s14, s14, vcc_lo
	s_and_b32 exec_lo, exec_lo, s14
	s_cbranch_execz .LBB85_10
; %bb.8:
	v_mov_b32_e32 v49, s5
.LBB85_9:                               ; =>This Inner Loop Header: Depth=1
	ds_cmpst_rtn_b32 v49, v46, v49, v48 offset:352
	s_waitcnt lgkmcnt(0)
	v_cmp_ne_u32_e32 vcc_lo, 0, v49
	v_cmp_le_i32_e64 s5, v49, v48
	s_and_b32 s5, vcc_lo, s5
	s_and_b32 s5, exec_lo, s5
	s_or_b32 s9, s5, s9
	s_andn2_b32 exec_lo, exec_lo, s9
	s_cbranch_execnz .LBB85_9
.LBB85_10:
	s_or_b32 exec_lo, exec_lo, s8
	v_mov_b32_e32 v46, 0
	s_barrier
	buffer_gl0_inv
	ds_read_b32 v48, v46 offset:352
	s_and_saveexec_b32 s5, s4
	s_cbranch_execz .LBB85_12
; %bb.11:
	s_lshl_b64 s[8:9], s[6:7], 2
	s_add_u32 s8, s10, s8
	s_addc_u32 s9, s11, s9
	s_waitcnt lgkmcnt(0)
	global_store_dword v46, v48, s[8:9]
.LBB85_12:
	s_or_b32 exec_lo, exec_lo, s5
	s_waitcnt lgkmcnt(0)
	v_cmp_ne_u32_e32 vcc_lo, 0, v48
	s_mov_b32 s5, 0
	s_cbranch_vccnz .LBB85_96
; %bb.13:
	s_clause 0x1
	buffer_load_dword v48, v45, s[0:3], 0 offen
	buffer_load_dword v49, v45, s[0:3], 0 offen offset:4
	s_waitcnt vmcnt(0)
	v_div_scale_f64 v[50:51], null, v[48:49], v[48:49], 1.0
	v_div_scale_f64 v[56:57], vcc_lo, 1.0, v[48:49], 1.0
	v_rcp_f64_e32 v[52:53], v[50:51]
	v_fma_f64 v[54:55], -v[50:51], v[52:53], 1.0
	v_fma_f64 v[52:53], v[52:53], v[54:55], v[52:53]
	v_fma_f64 v[54:55], -v[50:51], v[52:53], 1.0
	v_fma_f64 v[52:53], v[52:53], v[54:55], v[52:53]
	v_mul_f64 v[54:55], v[56:57], v[52:53]
	v_fma_f64 v[50:51], -v[50:51], v[54:55], v[56:57]
	v_div_fmas_f64 v[50:51], v[50:51], v[52:53], v[54:55]
	v_div_fixup_f64 v[49:50], v[50:51], v[48:49], 1.0
	v_add_nc_u32_e32 v48, 0xb0, v47
	buffer_store_dword v50, v45, s[0:3], 0 offen offset:4
	buffer_store_dword v49, v45, s[0:3], 0 offen
	s_clause 0x1
	buffer_load_dword v52, off, s[0:3], 0 offset:12
	buffer_load_dword v51, off, s[0:3], 0 offset:8
	v_xor_b32_e32 v50, 0x80000000, v50
	s_waitcnt vmcnt(0)
	ds_write2_b64 v47, v[49:50], v[51:52] offset1:22
	s_waitcnt lgkmcnt(0)
	s_waitcnt_vscnt null, 0x0
	s_barrier
	buffer_gl0_inv
	s_and_saveexec_b32 s5, s4
	s_cbranch_execz .LBB85_15
; %bb.14:
	s_clause 0x1
	buffer_load_dword v49, v45, s[0:3], 0 offen
	buffer_load_dword v50, v45, s[0:3], 0 offen offset:4
	ds_read_b64 v[51:52], v48
	v_mov_b32_e32 v46, 0
	ds_read_b64 v[53:54], v46 offset:8
	s_waitcnt vmcnt(0) lgkmcnt(1)
	v_fma_f64 v[49:50], v[49:50], v[51:52], 0
	s_waitcnt lgkmcnt(0)
	v_mul_f64 v[49:50], v[49:50], v[53:54]
	buffer_store_dword v49, off, s[0:3], 0 offset:8
	buffer_store_dword v50, off, s[0:3], 0 offset:12
.LBB85_15:
	s_or_b32 exec_lo, exec_lo, s5
	s_waitcnt_vscnt null, 0x0
	s_barrier
	buffer_gl0_inv
	s_clause 0x1
	buffer_load_dword v49, off, s[0:3], 0 offset:16
	buffer_load_dword v50, off, s[0:3], 0 offset:20
	s_mov_b32 s5, exec_lo
	s_waitcnt vmcnt(0)
	ds_write_b64 v48, v[49:50]
	s_waitcnt lgkmcnt(0)
	s_barrier
	buffer_gl0_inv
	v_cmpx_gt_u32_e32 2, v0
	s_cbranch_execz .LBB85_19
; %bb.16:
	s_clause 0x1
	buffer_load_dword v49, v45, s[0:3], 0 offen
	buffer_load_dword v50, v45, s[0:3], 0 offen offset:4
	ds_read_b64 v[45:46], v48
	s_waitcnt vmcnt(0) lgkmcnt(0)
	v_fma_f64 v[45:46], v[49:50], v[45:46], 0
	s_and_saveexec_b32 s8, s4
	s_cbranch_execz .LBB85_18
; %bb.17:
	s_clause 0x1
	buffer_load_dword v49, off, s[0:3], 0 offset:8
	buffer_load_dword v50, off, s[0:3], 0 offset:12
	v_mov_b32_e32 v51, 0
	ds_read_b64 v[51:52], v51 offset:184
	s_waitcnt vmcnt(0) lgkmcnt(0)
	v_fma_f64 v[45:46], v[49:50], v[51:52], v[45:46]
.LBB85_18:
	s_or_b32 exec_lo, exec_lo, s8
	v_mov_b32_e32 v49, 0
	ds_read_b64 v[49:50], v49 offset:16
	s_waitcnt lgkmcnt(0)
	v_mul_f64 v[45:46], v[45:46], v[49:50]
	buffer_store_dword v46, off, s[0:3], 0 offset:20
	buffer_store_dword v45, off, s[0:3], 0 offset:16
.LBB85_19:
	s_or_b32 exec_lo, exec_lo, s5
	s_waitcnt_vscnt null, 0x0
	s_barrier
	buffer_gl0_inv
	s_clause 0x1
	buffer_load_dword v45, off, s[0:3], 0 offset:24
	buffer_load_dword v46, off, s[0:3], 0 offset:28
	v_add_nc_u32_e32 v49, -1, v0
	s_mov_b32 s4, exec_lo
	s_waitcnt vmcnt(0)
	ds_write_b64 v48, v[45:46]
	s_waitcnt lgkmcnt(0)
	s_barrier
	buffer_gl0_inv
	v_cmpx_gt_u32_e32 3, v0
	s_cbranch_execz .LBB85_23
; %bb.20:
	v_mov_b32_e32 v45, 0
	v_add_nc_u32_e32 v50, -1, v0
	v_add_nc_u32_e32 v51, 0xb0, v47
	v_mov_b32_e32 v46, 0
	v_mov_b32_e32 v52, v47
	s_mov_b32 s5, 0
.LBB85_21:                              ; =>This Inner Loop Header: Depth=1
	s_clause 0x1
	buffer_load_dword v53, v52, s[0:3], 0 offen
	buffer_load_dword v54, v52, s[0:3], 0 offen offset:4
	ds_read_b64 v[55:56], v51
	v_add_nc_u32_e32 v50, 1, v50
	v_add_nc_u32_e32 v51, 8, v51
	v_add_nc_u32_e32 v52, 8, v52
	v_cmp_lt_u32_e32 vcc_lo, 1, v50
	s_or_b32 s5, vcc_lo, s5
	s_waitcnt vmcnt(0) lgkmcnt(0)
	v_fma_f64 v[45:46], v[53:54], v[55:56], v[45:46]
	s_andn2_b32 exec_lo, exec_lo, s5
	s_cbranch_execnz .LBB85_21
; %bb.22:
	s_or_b32 exec_lo, exec_lo, s5
	v_mov_b32_e32 v50, 0
	ds_read_b64 v[50:51], v50 offset:24
	s_waitcnt lgkmcnt(0)
	v_mul_f64 v[45:46], v[45:46], v[50:51]
	buffer_store_dword v46, off, s[0:3], 0 offset:28
	buffer_store_dword v45, off, s[0:3], 0 offset:24
.LBB85_23:
	s_or_b32 exec_lo, exec_lo, s4
	s_waitcnt_vscnt null, 0x0
	s_barrier
	buffer_gl0_inv
	s_clause 0x1
	buffer_load_dword v45, off, s[0:3], 0 offset:32
	buffer_load_dword v46, off, s[0:3], 0 offset:36
	s_mov_b32 s4, exec_lo
	s_waitcnt vmcnt(0)
	ds_write_b64 v48, v[45:46]
	s_waitcnt lgkmcnt(0)
	s_barrier
	buffer_gl0_inv
	v_cmpx_gt_u32_e32 4, v0
	s_cbranch_execz .LBB85_27
; %bb.24:
	v_mov_b32_e32 v45, 0
	v_add_nc_u32_e32 v50, -1, v0
	v_add_nc_u32_e32 v51, 0xb0, v47
	v_mov_b32_e32 v46, 0
	v_mov_b32_e32 v52, v47
	s_mov_b32 s5, 0
.LBB85_25:                              ; =>This Inner Loop Header: Depth=1
	s_clause 0x1
	buffer_load_dword v53, v52, s[0:3], 0 offen
	buffer_load_dword v54, v52, s[0:3], 0 offen offset:4
	ds_read_b64 v[55:56], v51
	v_add_nc_u32_e32 v50, 1, v50
	v_add_nc_u32_e32 v51, 8, v51
	v_add_nc_u32_e32 v52, 8, v52
	v_cmp_lt_u32_e32 vcc_lo, 2, v50
	s_or_b32 s5, vcc_lo, s5
	s_waitcnt vmcnt(0) lgkmcnt(0)
	v_fma_f64 v[45:46], v[53:54], v[55:56], v[45:46]
	s_andn2_b32 exec_lo, exec_lo, s5
	s_cbranch_execnz .LBB85_25
; %bb.26:
	s_or_b32 exec_lo, exec_lo, s5
	v_mov_b32_e32 v50, 0
	ds_read_b64 v[50:51], v50 offset:32
	s_waitcnt lgkmcnt(0)
	v_mul_f64 v[45:46], v[45:46], v[50:51]
	buffer_store_dword v46, off, s[0:3], 0 offset:36
	buffer_store_dword v45, off, s[0:3], 0 offset:32
.LBB85_27:
	s_or_b32 exec_lo, exec_lo, s4
	s_waitcnt_vscnt null, 0x0
	s_barrier
	buffer_gl0_inv
	s_clause 0x1
	buffer_load_dword v45, off, s[0:3], 0 offset:40
	buffer_load_dword v46, off, s[0:3], 0 offset:44
	;; [unrolled: 45-line block ×18, first 2 shown]
	s_mov_b32 s4, exec_lo
	s_waitcnt vmcnt(0)
	ds_write_b64 v48, v[45:46]
	s_waitcnt lgkmcnt(0)
	s_barrier
	buffer_gl0_inv
	v_cmpx_ne_u32_e32 21, v0
	s_cbranch_execz .LBB85_95
; %bb.92:
	v_mov_b32_e32 v45, 0
	v_mov_b32_e32 v46, 0
	s_mov_b32 s5, 0
.LBB85_93:                              ; =>This Inner Loop Header: Depth=1
	s_clause 0x1
	buffer_load_dword v50, v47, s[0:3], 0 offen
	buffer_load_dword v51, v47, s[0:3], 0 offen offset:4
	ds_read_b64 v[52:53], v48
	v_add_nc_u32_e32 v49, 1, v49
	v_add_nc_u32_e32 v48, 8, v48
	v_add_nc_u32_e32 v47, 8, v47
	v_cmp_lt_u32_e32 vcc_lo, 19, v49
	s_or_b32 s5, vcc_lo, s5
	s_waitcnt vmcnt(0) lgkmcnt(0)
	v_fma_f64 v[45:46], v[50:51], v[52:53], v[45:46]
	s_andn2_b32 exec_lo, exec_lo, s5
	s_cbranch_execnz .LBB85_93
; %bb.94:
	s_or_b32 exec_lo, exec_lo, s5
	v_mov_b32_e32 v47, 0
	ds_read_b64 v[47:48], v47 offset:168
	s_waitcnt lgkmcnt(0)
	v_mul_f64 v[45:46], v[45:46], v[47:48]
	buffer_store_dword v46, off, s[0:3], 0 offset:172
	buffer_store_dword v45, off, s[0:3], 0 offset:168
.LBB85_95:
	s_or_b32 exec_lo, exec_lo, s4
	s_mov_b32 s5, -1
	s_waitcnt_vscnt null, 0x0
	s_barrier
	buffer_gl0_inv
.LBB85_96:
	s_and_b32 vcc_lo, exec_lo, s5
	s_cbranch_vccz .LBB85_98
; %bb.97:
	s_lshl_b64 s[4:5], s[6:7], 2
	v_mov_b32_e32 v45, 0
	s_add_u32 s4, s10, s4
	s_addc_u32 s5, s11, s5
	global_load_dword v45, v45, s[4:5]
	s_waitcnt vmcnt(0)
	v_cmp_ne_u32_e32 vcc_lo, 0, v45
	s_cbranch_vccz .LBB85_99
.LBB85_98:
	s_endpgm
.LBB85_99:
	v_lshl_add_u32 v45, v0, 3, 0xb0
	s_mov_b32 s4, exec_lo
	v_cmpx_eq_u32_e32 21, v0
	s_cbranch_execz .LBB85_101
; %bb.100:
	s_clause 0x1
	buffer_load_dword v46, off, s[0:3], 0 offset:160
	buffer_load_dword v47, off, s[0:3], 0 offset:164
	v_mov_b32_e32 v48, 0
	buffer_store_dword v48, off, s[0:3], 0 offset:160
	buffer_store_dword v48, off, s[0:3], 0 offset:164
	s_waitcnt vmcnt(0)
	ds_write_b64 v45, v[46:47]
.LBB85_101:
	s_or_b32 exec_lo, exec_lo, s4
	s_waitcnt lgkmcnt(0)
	s_waitcnt_vscnt null, 0x0
	s_barrier
	buffer_gl0_inv
	s_clause 0x3
	buffer_load_dword v47, off, s[0:3], 0 offset:168
	buffer_load_dword v48, off, s[0:3], 0 offset:172
	;; [unrolled: 1-line block ×4, first 2 shown]
	v_mov_b32_e32 v46, 0
	s_mov_b32 s4, exec_lo
	ds_read_b64 v[51:52], v46 offset:344
	s_waitcnt vmcnt(2) lgkmcnt(0)
	v_fma_f64 v[47:48], v[47:48], v[51:52], 0
	s_waitcnt vmcnt(0)
	v_add_f64 v[47:48], v[49:50], -v[47:48]
	buffer_store_dword v47, off, s[0:3], 0 offset:160
	buffer_store_dword v48, off, s[0:3], 0 offset:164
	v_cmpx_lt_u32_e32 19, v0
	s_cbranch_execz .LBB85_103
; %bb.102:
	s_clause 0x1
	buffer_load_dword v47, off, s[0:3], 0 offset:152
	buffer_load_dword v48, off, s[0:3], 0 offset:156
	buffer_store_dword v46, off, s[0:3], 0 offset:152
	buffer_store_dword v46, off, s[0:3], 0 offset:156
	s_waitcnt vmcnt(0)
	ds_write_b64 v45, v[47:48]
.LBB85_103:
	s_or_b32 exec_lo, exec_lo, s4
	s_waitcnt lgkmcnt(0)
	s_waitcnt_vscnt null, 0x0
	s_barrier
	buffer_gl0_inv
	s_clause 0x5
	buffer_load_dword v50, off, s[0:3], 0 offset:160
	buffer_load_dword v51, off, s[0:3], 0 offset:164
	;; [unrolled: 1-line block ×6, first 2 shown]
	ds_read_b128 v[46:49], v46 offset:336
	s_mov_b32 s4, exec_lo
	s_waitcnt vmcnt(4) lgkmcnt(0)
	v_fma_f64 v[46:47], v[50:51], v[46:47], 0
	s_waitcnt vmcnt(2)
	v_fma_f64 v[46:47], v[52:53], v[48:49], v[46:47]
	s_waitcnt vmcnt(0)
	v_add_f64 v[46:47], v[54:55], -v[46:47]
	buffer_store_dword v46, off, s[0:3], 0 offset:152
	buffer_store_dword v47, off, s[0:3], 0 offset:156
	v_cmpx_lt_u32_e32 18, v0
	s_cbranch_execz .LBB85_105
; %bb.104:
	s_clause 0x1
	buffer_load_dword v46, off, s[0:3], 0 offset:144
	buffer_load_dword v47, off, s[0:3], 0 offset:148
	v_mov_b32_e32 v48, 0
	buffer_store_dword v48, off, s[0:3], 0 offset:144
	buffer_store_dword v48, off, s[0:3], 0 offset:148
	s_waitcnt vmcnt(0)
	ds_write_b64 v45, v[46:47]
.LBB85_105:
	s_or_b32 exec_lo, exec_lo, s4
	s_waitcnt lgkmcnt(0)
	s_waitcnt_vscnt null, 0x0
	s_barrier
	buffer_gl0_inv
	s_clause 0x7
	buffer_load_dword v51, off, s[0:3], 0 offset:152
	buffer_load_dword v52, off, s[0:3], 0 offset:156
	;; [unrolled: 1-line block ×8, first 2 shown]
	v_mov_b32_e32 v46, 0
	ds_read2_b64 v[47:50], v46 offset0:41 offset1:42
	ds_read_b64 v[59:60], v46 offset:344
	s_mov_b32 s4, exec_lo
	s_waitcnt vmcnt(6) lgkmcnt(1)
	v_fma_f64 v[47:48], v[51:52], v[47:48], 0
	s_waitcnt vmcnt(4)
	v_fma_f64 v[47:48], v[53:54], v[49:50], v[47:48]
	s_waitcnt vmcnt(2) lgkmcnt(0)
	v_fma_f64 v[47:48], v[55:56], v[59:60], v[47:48]
	s_waitcnt vmcnt(0)
	v_add_f64 v[47:48], v[57:58], -v[47:48]
	buffer_store_dword v47, off, s[0:3], 0 offset:144
	buffer_store_dword v48, off, s[0:3], 0 offset:148
	v_cmpx_lt_u32_e32 17, v0
	s_cbranch_execz .LBB85_107
; %bb.106:
	s_clause 0x1
	buffer_load_dword v47, off, s[0:3], 0 offset:136
	buffer_load_dword v48, off, s[0:3], 0 offset:140
	buffer_store_dword v46, off, s[0:3], 0 offset:136
	buffer_store_dword v46, off, s[0:3], 0 offset:140
	s_waitcnt vmcnt(0)
	ds_write_b64 v45, v[47:48]
.LBB85_107:
	s_or_b32 exec_lo, exec_lo, s4
	s_waitcnt lgkmcnt(0)
	s_waitcnt_vscnt null, 0x0
	s_barrier
	buffer_gl0_inv
	s_clause 0x9
	buffer_load_dword v55, off, s[0:3], 0 offset:144
	buffer_load_dword v56, off, s[0:3], 0 offset:148
	;; [unrolled: 1-line block ×10, first 2 shown]
	ds_read_b128 v[47:50], v46 offset:320
	ds_read_b128 v[51:54], v46 offset:336
	s_mov_b32 s4, exec_lo
	s_waitcnt vmcnt(8) lgkmcnt(1)
	v_fma_f64 v[46:47], v[55:56], v[47:48], 0
	s_waitcnt vmcnt(6)
	v_fma_f64 v[46:47], v[57:58], v[49:50], v[46:47]
	s_waitcnt vmcnt(4) lgkmcnt(0)
	v_fma_f64 v[46:47], v[59:60], v[51:52], v[46:47]
	s_waitcnt vmcnt(2)
	v_fma_f64 v[46:47], v[61:62], v[53:54], v[46:47]
	s_waitcnt vmcnt(0)
	v_add_f64 v[46:47], v[63:64], -v[46:47]
	buffer_store_dword v46, off, s[0:3], 0 offset:136
	buffer_store_dword v47, off, s[0:3], 0 offset:140
	v_cmpx_lt_u32_e32 16, v0
	s_cbranch_execz .LBB85_109
; %bb.108:
	s_clause 0x1
	buffer_load_dword v46, off, s[0:3], 0 offset:128
	buffer_load_dword v47, off, s[0:3], 0 offset:132
	v_mov_b32_e32 v48, 0
	buffer_store_dword v48, off, s[0:3], 0 offset:128
	buffer_store_dword v48, off, s[0:3], 0 offset:132
	s_waitcnt vmcnt(0)
	ds_write_b64 v45, v[46:47]
.LBB85_109:
	s_or_b32 exec_lo, exec_lo, s4
	s_waitcnt lgkmcnt(0)
	s_waitcnt_vscnt null, 0x0
	s_barrier
	buffer_gl0_inv
	s_clause 0xb
	buffer_load_dword v55, off, s[0:3], 0 offset:136
	buffer_load_dword v56, off, s[0:3], 0 offset:140
	;; [unrolled: 1-line block ×12, first 2 shown]
	v_mov_b32_e32 v46, 0
	ds_read2_b64 v[47:50], v46 offset0:39 offset1:40
	ds_read2_b64 v[51:54], v46 offset0:41 offset1:42
	s_mov_b32 s4, exec_lo
	s_waitcnt vmcnt(10) lgkmcnt(1)
	v_fma_f64 v[47:48], v[55:56], v[47:48], 0
	s_waitcnt vmcnt(8)
	v_fma_f64 v[47:48], v[57:58], v[49:50], v[47:48]
	ds_read_b64 v[49:50], v46 offset:344
	s_waitcnt vmcnt(6) lgkmcnt(1)
	v_fma_f64 v[47:48], v[59:60], v[51:52], v[47:48]
	s_waitcnt vmcnt(4)
	v_fma_f64 v[47:48], v[61:62], v[53:54], v[47:48]
	s_waitcnt vmcnt(2) lgkmcnt(0)
	v_fma_f64 v[47:48], v[63:64], v[49:50], v[47:48]
	s_waitcnt vmcnt(0)
	v_add_f64 v[47:48], v[65:66], -v[47:48]
	buffer_store_dword v47, off, s[0:3], 0 offset:128
	buffer_store_dword v48, off, s[0:3], 0 offset:132
	v_cmpx_lt_u32_e32 15, v0
	s_cbranch_execz .LBB85_111
; %bb.110:
	s_clause 0x1
	buffer_load_dword v47, off, s[0:3], 0 offset:120
	buffer_load_dword v48, off, s[0:3], 0 offset:124
	buffer_store_dword v46, off, s[0:3], 0 offset:120
	buffer_store_dword v46, off, s[0:3], 0 offset:124
	s_waitcnt vmcnt(0)
	ds_write_b64 v45, v[47:48]
.LBB85_111:
	s_or_b32 exec_lo, exec_lo, s4
	s_waitcnt lgkmcnt(0)
	s_waitcnt_vscnt null, 0x0
	s_barrier
	buffer_gl0_inv
	s_clause 0xd
	buffer_load_dword v55, off, s[0:3], 0 offset:128
	buffer_load_dword v56, off, s[0:3], 0 offset:132
	;; [unrolled: 1-line block ×14, first 2 shown]
	ds_read_b128 v[47:50], v46 offset:304
	ds_read_b128 v[51:54], v46 offset:320
	s_mov_b32 s4, exec_lo
	s_waitcnt vmcnt(12) lgkmcnt(1)
	v_fma_f64 v[47:48], v[55:56], v[47:48], 0
	s_waitcnt vmcnt(10)
	v_fma_f64 v[47:48], v[57:58], v[49:50], v[47:48]
	s_waitcnt vmcnt(8) lgkmcnt(0)
	v_fma_f64 v[47:48], v[59:60], v[51:52], v[47:48]
	s_waitcnt vmcnt(6)
	v_fma_f64 v[50:51], v[61:62], v[53:54], v[47:48]
	ds_read_b128 v[46:49], v46 offset:336
	s_waitcnt vmcnt(4) lgkmcnt(0)
	v_fma_f64 v[46:47], v[63:64], v[46:47], v[50:51]
	s_waitcnt vmcnt(2)
	v_fma_f64 v[46:47], v[65:66], v[48:49], v[46:47]
	s_waitcnt vmcnt(0)
	v_add_f64 v[46:47], v[67:68], -v[46:47]
	buffer_store_dword v46, off, s[0:3], 0 offset:120
	buffer_store_dword v47, off, s[0:3], 0 offset:124
	v_cmpx_lt_u32_e32 14, v0
	s_cbranch_execz .LBB85_113
; %bb.112:
	s_clause 0x1
	buffer_load_dword v46, off, s[0:3], 0 offset:112
	buffer_load_dword v47, off, s[0:3], 0 offset:116
	v_mov_b32_e32 v48, 0
	buffer_store_dword v48, off, s[0:3], 0 offset:112
	buffer_store_dword v48, off, s[0:3], 0 offset:116
	s_waitcnt vmcnt(0)
	ds_write_b64 v45, v[46:47]
.LBB85_113:
	s_or_b32 exec_lo, exec_lo, s4
	s_waitcnt lgkmcnt(0)
	s_waitcnt_vscnt null, 0x0
	s_barrier
	buffer_gl0_inv
	s_clause 0xf
	buffer_load_dword v55, off, s[0:3], 0 offset:120
	buffer_load_dword v56, off, s[0:3], 0 offset:124
	;; [unrolled: 1-line block ×16, first 2 shown]
	v_mov_b32_e32 v46, 0
	ds_read2_b64 v[47:50], v46 offset0:37 offset1:38
	ds_read2_b64 v[51:54], v46 offset0:39 offset1:40
	s_mov_b32 s4, exec_lo
	s_waitcnt vmcnt(14) lgkmcnt(1)
	v_fma_f64 v[47:48], v[55:56], v[47:48], 0
	s_waitcnt vmcnt(12)
	v_fma_f64 v[47:48], v[57:58], v[49:50], v[47:48]
	s_waitcnt vmcnt(10) lgkmcnt(0)
	v_fma_f64 v[47:48], v[59:60], v[51:52], v[47:48]
	s_waitcnt vmcnt(8)
	v_fma_f64 v[51:52], v[61:62], v[53:54], v[47:48]
	ds_read2_b64 v[47:50], v46 offset0:41 offset1:42
	ds_read_b64 v[53:54], v46 offset:344
	s_waitcnt vmcnt(6) lgkmcnt(1)
	v_fma_f64 v[47:48], v[63:64], v[47:48], v[51:52]
	s_waitcnt vmcnt(4)
	v_fma_f64 v[47:48], v[65:66], v[49:50], v[47:48]
	s_waitcnt vmcnt(2) lgkmcnt(0)
	v_fma_f64 v[47:48], v[67:68], v[53:54], v[47:48]
	s_waitcnt vmcnt(0)
	v_add_f64 v[47:48], v[69:70], -v[47:48]
	buffer_store_dword v47, off, s[0:3], 0 offset:112
	buffer_store_dword v48, off, s[0:3], 0 offset:116
	v_cmpx_lt_u32_e32 13, v0
	s_cbranch_execz .LBB85_115
; %bb.114:
	s_clause 0x1
	buffer_load_dword v47, off, s[0:3], 0 offset:104
	buffer_load_dword v48, off, s[0:3], 0 offset:108
	buffer_store_dword v46, off, s[0:3], 0 offset:104
	buffer_store_dword v46, off, s[0:3], 0 offset:108
	s_waitcnt vmcnt(0)
	ds_write_b64 v45, v[47:48]
.LBB85_115:
	s_or_b32 exec_lo, exec_lo, s4
	s_waitcnt lgkmcnt(0)
	s_waitcnt_vscnt null, 0x0
	s_barrier
	buffer_gl0_inv
	s_clause 0x11
	buffer_load_dword v55, off, s[0:3], 0 offset:112
	buffer_load_dword v56, off, s[0:3], 0 offset:116
	;; [unrolled: 1-line block ×18, first 2 shown]
	ds_read_b128 v[47:50], v46 offset:288
	ds_read_b128 v[51:54], v46 offset:304
	s_mov_b32 s4, exec_lo
	s_waitcnt vmcnt(16) lgkmcnt(1)
	v_fma_f64 v[47:48], v[55:56], v[47:48], 0
	s_waitcnt vmcnt(14)
	v_fma_f64 v[47:48], v[57:58], v[49:50], v[47:48]
	s_waitcnt vmcnt(12) lgkmcnt(0)
	v_fma_f64 v[47:48], v[59:60], v[51:52], v[47:48]
	s_waitcnt vmcnt(10)
	v_fma_f64 v[55:56], v[61:62], v[53:54], v[47:48]
	ds_read_b128 v[47:50], v46 offset:320
	ds_read_b128 v[51:54], v46 offset:336
	s_waitcnt vmcnt(8) lgkmcnt(1)
	v_fma_f64 v[46:47], v[63:64], v[47:48], v[55:56]
	s_waitcnt vmcnt(6)
	v_fma_f64 v[46:47], v[65:66], v[49:50], v[46:47]
	s_waitcnt vmcnt(4) lgkmcnt(0)
	v_fma_f64 v[46:47], v[67:68], v[51:52], v[46:47]
	s_waitcnt vmcnt(2)
	v_fma_f64 v[46:47], v[69:70], v[53:54], v[46:47]
	s_waitcnt vmcnt(0)
	v_add_f64 v[46:47], v[71:72], -v[46:47]
	buffer_store_dword v46, off, s[0:3], 0 offset:104
	buffer_store_dword v47, off, s[0:3], 0 offset:108
	v_cmpx_lt_u32_e32 12, v0
	s_cbranch_execz .LBB85_117
; %bb.116:
	s_clause 0x1
	buffer_load_dword v46, off, s[0:3], 0 offset:96
	buffer_load_dword v47, off, s[0:3], 0 offset:100
	v_mov_b32_e32 v48, 0
	buffer_store_dword v48, off, s[0:3], 0 offset:96
	buffer_store_dword v48, off, s[0:3], 0 offset:100
	s_waitcnt vmcnt(0)
	ds_write_b64 v45, v[46:47]
.LBB85_117:
	s_or_b32 exec_lo, exec_lo, s4
	s_waitcnt lgkmcnt(0)
	s_waitcnt_vscnt null, 0x0
	s_barrier
	buffer_gl0_inv
	s_clause 0x13
	buffer_load_dword v55, off, s[0:3], 0 offset:104
	buffer_load_dword v56, off, s[0:3], 0 offset:108
	;; [unrolled: 1-line block ×20, first 2 shown]
	v_mov_b32_e32 v46, 0
	ds_read2_b64 v[47:50], v46 offset0:35 offset1:36
	ds_read2_b64 v[51:54], v46 offset0:37 offset1:38
	s_mov_b32 s4, exec_lo
	s_waitcnt vmcnt(18) lgkmcnt(1)
	v_fma_f64 v[47:48], v[55:56], v[47:48], 0
	s_waitcnt vmcnt(16)
	v_fma_f64 v[47:48], v[57:58], v[49:50], v[47:48]
	s_waitcnt vmcnt(14) lgkmcnt(0)
	v_fma_f64 v[47:48], v[59:60], v[51:52], v[47:48]
	s_waitcnt vmcnt(12)
	v_fma_f64 v[55:56], v[61:62], v[53:54], v[47:48]
	ds_read2_b64 v[47:50], v46 offset0:39 offset1:40
	ds_read2_b64 v[51:54], v46 offset0:41 offset1:42
	s_waitcnt vmcnt(10) lgkmcnt(1)
	v_fma_f64 v[47:48], v[63:64], v[47:48], v[55:56]
	s_waitcnt vmcnt(8)
	v_fma_f64 v[47:48], v[65:66], v[49:50], v[47:48]
	ds_read_b64 v[49:50], v46 offset:344
	s_waitcnt vmcnt(6) lgkmcnt(1)
	v_fma_f64 v[47:48], v[67:68], v[51:52], v[47:48]
	s_waitcnt vmcnt(3)
	v_fma_f64 v[47:48], v[69:70], v[53:54], v[47:48]
	s_waitcnt vmcnt(2) lgkmcnt(0)
	v_fma_f64 v[47:48], v[71:72], v[49:50], v[47:48]
	s_waitcnt vmcnt(0)
	v_add_f64 v[47:48], v[73:74], -v[47:48]
	buffer_store_dword v47, off, s[0:3], 0 offset:96
	buffer_store_dword v48, off, s[0:3], 0 offset:100
	v_cmpx_lt_u32_e32 11, v0
	s_cbranch_execz .LBB85_119
; %bb.118:
	s_clause 0x1
	buffer_load_dword v47, off, s[0:3], 0 offset:88
	buffer_load_dword v48, off, s[0:3], 0 offset:92
	buffer_store_dword v46, off, s[0:3], 0 offset:88
	buffer_store_dword v46, off, s[0:3], 0 offset:92
	s_waitcnt vmcnt(0)
	ds_write_b64 v45, v[47:48]
.LBB85_119:
	s_or_b32 exec_lo, exec_lo, s4
	s_waitcnt lgkmcnt(0)
	s_waitcnt_vscnt null, 0x0
	s_barrier
	buffer_gl0_inv
	s_clause 0x15
	buffer_load_dword v55, off, s[0:3], 0 offset:96
	buffer_load_dword v56, off, s[0:3], 0 offset:100
	;; [unrolled: 1-line block ×22, first 2 shown]
	ds_read_b128 v[47:50], v46 offset:272
	ds_read_b128 v[51:54], v46 offset:288
	s_mov_b32 s4, exec_lo
	s_waitcnt vmcnt(20) lgkmcnt(1)
	v_fma_f64 v[47:48], v[55:56], v[47:48], 0
	s_waitcnt vmcnt(18)
	v_fma_f64 v[47:48], v[57:58], v[49:50], v[47:48]
	s_waitcnt vmcnt(16) lgkmcnt(0)
	v_fma_f64 v[47:48], v[59:60], v[51:52], v[47:48]
	s_waitcnt vmcnt(14)
	v_fma_f64 v[55:56], v[61:62], v[53:54], v[47:48]
	ds_read_b128 v[47:50], v46 offset:304
	ds_read_b128 v[51:54], v46 offset:320
	s_waitcnt vmcnt(12) lgkmcnt(1)
	v_fma_f64 v[47:48], v[63:64], v[47:48], v[55:56]
	s_waitcnt vmcnt(10)
	v_fma_f64 v[47:48], v[65:66], v[49:50], v[47:48]
	s_waitcnt vmcnt(8) lgkmcnt(0)
	v_fma_f64 v[47:48], v[67:68], v[51:52], v[47:48]
	s_waitcnt vmcnt(4)
	v_fma_f64 v[50:51], v[69:70], v[53:54], v[47:48]
	ds_read_b128 v[46:49], v46 offset:336
	s_waitcnt vmcnt(3) lgkmcnt(0)
	v_fma_f64 v[46:47], v[73:74], v[46:47], v[50:51]
	s_waitcnt vmcnt(2)
	v_fma_f64 v[46:47], v[71:72], v[48:49], v[46:47]
	s_waitcnt vmcnt(0)
	v_add_f64 v[46:47], v[75:76], -v[46:47]
	buffer_store_dword v46, off, s[0:3], 0 offset:88
	buffer_store_dword v47, off, s[0:3], 0 offset:92
	v_cmpx_lt_u32_e32 10, v0
	s_cbranch_execz .LBB85_121
; %bb.120:
	s_clause 0x1
	buffer_load_dword v46, off, s[0:3], 0 offset:80
	buffer_load_dword v47, off, s[0:3], 0 offset:84
	v_mov_b32_e32 v48, 0
	buffer_store_dword v48, off, s[0:3], 0 offset:80
	buffer_store_dword v48, off, s[0:3], 0 offset:84
	s_waitcnt vmcnt(0)
	ds_write_b64 v45, v[46:47]
.LBB85_121:
	s_or_b32 exec_lo, exec_lo, s4
	s_waitcnt lgkmcnt(0)
	s_waitcnt_vscnt null, 0x0
	s_barrier
	buffer_gl0_inv
	s_clause 0x17
	buffer_load_dword v55, off, s[0:3], 0 offset:88
	buffer_load_dword v56, off, s[0:3], 0 offset:92
	;; [unrolled: 1-line block ×24, first 2 shown]
	v_mov_b32_e32 v46, 0
	ds_read2_b64 v[47:50], v46 offset0:33 offset1:34
	ds_read2_b64 v[51:54], v46 offset0:35 offset1:36
	s_mov_b32 s4, exec_lo
	s_waitcnt vmcnt(22) lgkmcnt(1)
	v_fma_f64 v[47:48], v[55:56], v[47:48], 0
	s_waitcnt vmcnt(20)
	v_fma_f64 v[47:48], v[57:58], v[49:50], v[47:48]
	s_waitcnt vmcnt(18) lgkmcnt(0)
	v_fma_f64 v[47:48], v[59:60], v[51:52], v[47:48]
	s_waitcnt vmcnt(16)
	v_fma_f64 v[55:56], v[61:62], v[53:54], v[47:48]
	ds_read2_b64 v[47:50], v46 offset0:37 offset1:38
	ds_read2_b64 v[51:54], v46 offset0:39 offset1:40
	s_waitcnt vmcnt(14) lgkmcnt(1)
	v_fma_f64 v[47:48], v[63:64], v[47:48], v[55:56]
	s_waitcnt vmcnt(12)
	v_fma_f64 v[47:48], v[65:66], v[49:50], v[47:48]
	s_waitcnt vmcnt(10) lgkmcnt(0)
	v_fma_f64 v[47:48], v[67:68], v[51:52], v[47:48]
	s_waitcnt vmcnt(5)
	v_fma_f64 v[51:52], v[69:70], v[53:54], v[47:48]
	ds_read2_b64 v[47:50], v46 offset0:41 offset1:42
	ds_read_b64 v[53:54], v46 offset:344
	s_waitcnt vmcnt(4) lgkmcnt(1)
	v_fma_f64 v[47:48], v[75:76], v[47:48], v[51:52]
	s_waitcnt vmcnt(3)
	v_fma_f64 v[47:48], v[73:74], v[49:50], v[47:48]
	s_waitcnt vmcnt(2) lgkmcnt(0)
	v_fma_f64 v[47:48], v[71:72], v[53:54], v[47:48]
	s_waitcnt vmcnt(0)
	v_add_f64 v[47:48], v[77:78], -v[47:48]
	buffer_store_dword v48, off, s[0:3], 0 offset:84
	buffer_store_dword v47, off, s[0:3], 0 offset:80
	v_cmpx_lt_u32_e32 9, v0
	s_cbranch_execz .LBB85_123
; %bb.122:
	s_clause 0x1
	buffer_load_dword v47, off, s[0:3], 0 offset:72
	buffer_load_dword v48, off, s[0:3], 0 offset:76
	buffer_store_dword v46, off, s[0:3], 0 offset:72
	buffer_store_dword v46, off, s[0:3], 0 offset:76
	s_waitcnt vmcnt(0)
	ds_write_b64 v45, v[47:48]
.LBB85_123:
	s_or_b32 exec_lo, exec_lo, s4
	s_waitcnt lgkmcnt(0)
	s_waitcnt_vscnt null, 0x0
	s_barrier
	buffer_gl0_inv
	s_clause 0x19
	buffer_load_dword v55, off, s[0:3], 0 offset:80
	buffer_load_dword v56, off, s[0:3], 0 offset:84
	;; [unrolled: 1-line block ×26, first 2 shown]
	ds_read_b128 v[47:50], v46 offset:256
	ds_read_b128 v[51:54], v46 offset:272
	s_mov_b32 s4, exec_lo
	s_waitcnt vmcnt(24) lgkmcnt(1)
	v_fma_f64 v[47:48], v[55:56], v[47:48], 0
	s_waitcnt vmcnt(22)
	v_fma_f64 v[47:48], v[57:58], v[49:50], v[47:48]
	s_waitcnt vmcnt(20) lgkmcnt(0)
	v_fma_f64 v[47:48], v[59:60], v[51:52], v[47:48]
	s_waitcnt vmcnt(18)
	v_fma_f64 v[55:56], v[61:62], v[53:54], v[47:48]
	ds_read_b128 v[47:50], v46 offset:288
	ds_read_b128 v[51:54], v46 offset:304
	s_waitcnt vmcnt(16) lgkmcnt(1)
	v_fma_f64 v[47:48], v[63:64], v[47:48], v[55:56]
	s_waitcnt vmcnt(14)
	v_fma_f64 v[47:48], v[65:66], v[49:50], v[47:48]
	s_waitcnt vmcnt(12) lgkmcnt(0)
	v_fma_f64 v[47:48], v[67:68], v[51:52], v[47:48]
	s_waitcnt vmcnt(7)
	v_fma_f64 v[55:56], v[69:70], v[53:54], v[47:48]
	ds_read_b128 v[47:50], v46 offset:320
	ds_read_b128 v[51:54], v46 offset:336
	s_waitcnt vmcnt(6) lgkmcnt(1)
	v_fma_f64 v[46:47], v[75:76], v[47:48], v[55:56]
	s_waitcnt vmcnt(5)
	v_fma_f64 v[46:47], v[73:74], v[49:50], v[46:47]
	s_waitcnt vmcnt(4) lgkmcnt(0)
	v_fma_f64 v[46:47], v[71:72], v[51:52], v[46:47]
	s_waitcnt vmcnt(2)
	v_fma_f64 v[46:47], v[77:78], v[53:54], v[46:47]
	s_waitcnt vmcnt(0)
	v_add_f64 v[46:47], v[79:80], -v[46:47]
	buffer_store_dword v47, off, s[0:3], 0 offset:76
	buffer_store_dword v46, off, s[0:3], 0 offset:72
	v_cmpx_lt_u32_e32 8, v0
	s_cbranch_execz .LBB85_125
; %bb.124:
	s_clause 0x1
	buffer_load_dword v46, off, s[0:3], 0 offset:64
	buffer_load_dword v47, off, s[0:3], 0 offset:68
	v_mov_b32_e32 v48, 0
	buffer_store_dword v48, off, s[0:3], 0 offset:64
	buffer_store_dword v48, off, s[0:3], 0 offset:68
	s_waitcnt vmcnt(0)
	ds_write_b64 v45, v[46:47]
.LBB85_125:
	s_or_b32 exec_lo, exec_lo, s4
	s_waitcnt lgkmcnt(0)
	s_waitcnt_vscnt null, 0x0
	s_barrier
	buffer_gl0_inv
	s_clause 0x1b
	buffer_load_dword v55, off, s[0:3], 0 offset:72
	buffer_load_dword v56, off, s[0:3], 0 offset:76
	;; [unrolled: 1-line block ×28, first 2 shown]
	v_mov_b32_e32 v46, 0
	ds_read2_b64 v[47:50], v46 offset0:31 offset1:32
	ds_read2_b64 v[51:54], v46 offset0:33 offset1:34
	s_mov_b32 s4, exec_lo
	s_waitcnt vmcnt(26) lgkmcnt(1)
	v_fma_f64 v[47:48], v[55:56], v[47:48], 0
	s_waitcnt vmcnt(24)
	v_fma_f64 v[47:48], v[57:58], v[49:50], v[47:48]
	s_waitcnt vmcnt(22) lgkmcnt(0)
	v_fma_f64 v[47:48], v[59:60], v[51:52], v[47:48]
	s_waitcnt vmcnt(20)
	v_fma_f64 v[55:56], v[61:62], v[53:54], v[47:48]
	ds_read2_b64 v[47:50], v46 offset0:35 offset1:36
	ds_read2_b64 v[51:54], v46 offset0:37 offset1:38
	s_waitcnt vmcnt(18) lgkmcnt(1)
	v_fma_f64 v[47:48], v[63:64], v[47:48], v[55:56]
	s_waitcnt vmcnt(16)
	v_fma_f64 v[47:48], v[65:66], v[49:50], v[47:48]
	s_waitcnt vmcnt(14) lgkmcnt(0)
	v_fma_f64 v[47:48], v[67:68], v[51:52], v[47:48]
	s_waitcnt vmcnt(9)
	v_fma_f64 v[55:56], v[69:70], v[53:54], v[47:48]
	ds_read2_b64 v[47:50], v46 offset0:39 offset1:40
	ds_read2_b64 v[51:54], v46 offset0:41 offset1:42
	s_waitcnt vmcnt(8) lgkmcnt(1)
	v_fma_f64 v[47:48], v[75:76], v[47:48], v[55:56]
	s_waitcnt vmcnt(7)
	v_fma_f64 v[47:48], v[73:74], v[49:50], v[47:48]
	ds_read_b64 v[49:50], v46 offset:344
	s_waitcnt vmcnt(6) lgkmcnt(1)
	v_fma_f64 v[47:48], v[71:72], v[51:52], v[47:48]
	s_waitcnt vmcnt(3)
	v_fma_f64 v[47:48], v[77:78], v[53:54], v[47:48]
	s_waitcnt vmcnt(2) lgkmcnt(0)
	v_fma_f64 v[47:48], v[79:80], v[49:50], v[47:48]
	s_waitcnt vmcnt(0)
	v_add_f64 v[47:48], v[81:82], -v[47:48]
	buffer_store_dword v48, off, s[0:3], 0 offset:68
	buffer_store_dword v47, off, s[0:3], 0 offset:64
	v_cmpx_lt_u32_e32 7, v0
	s_cbranch_execz .LBB85_127
; %bb.126:
	s_clause 0x1
	buffer_load_dword v47, off, s[0:3], 0 offset:56
	buffer_load_dword v48, off, s[0:3], 0 offset:60
	buffer_store_dword v46, off, s[0:3], 0 offset:56
	buffer_store_dword v46, off, s[0:3], 0 offset:60
	s_waitcnt vmcnt(0)
	ds_write_b64 v45, v[47:48]
.LBB85_127:
	s_or_b32 exec_lo, exec_lo, s4
	s_waitcnt lgkmcnt(0)
	s_waitcnt_vscnt null, 0x0
	s_barrier
	buffer_gl0_inv
	s_clause 0x1b
	buffer_load_dword v55, off, s[0:3], 0 offset:64
	buffer_load_dword v56, off, s[0:3], 0 offset:68
	;; [unrolled: 1-line block ×28, first 2 shown]
	ds_read_b128 v[47:50], v46 offset:240
	s_clause 0x1
	buffer_load_dword v83, off, s[0:3], 0 offset:56
	buffer_load_dword v84, off, s[0:3], 0 offset:60
	ds_read_b128 v[51:54], v46 offset:256
	s_mov_b32 s4, exec_lo
	s_waitcnt vmcnt(28) lgkmcnt(1)
	v_fma_f64 v[47:48], v[55:56], v[47:48], 0
	s_waitcnt vmcnt(26)
	v_fma_f64 v[47:48], v[57:58], v[49:50], v[47:48]
	s_waitcnt vmcnt(24) lgkmcnt(0)
	v_fma_f64 v[47:48], v[59:60], v[51:52], v[47:48]
	s_waitcnt vmcnt(22)
	v_fma_f64 v[55:56], v[61:62], v[53:54], v[47:48]
	ds_read_b128 v[47:50], v46 offset:272
	ds_read_b128 v[51:54], v46 offset:288
	s_waitcnt vmcnt(20) lgkmcnt(1)
	v_fma_f64 v[47:48], v[63:64], v[47:48], v[55:56]
	s_waitcnt vmcnt(18)
	v_fma_f64 v[47:48], v[65:66], v[49:50], v[47:48]
	s_waitcnt vmcnt(16) lgkmcnt(0)
	v_fma_f64 v[47:48], v[67:68], v[51:52], v[47:48]
	s_waitcnt vmcnt(11)
	v_fma_f64 v[55:56], v[69:70], v[53:54], v[47:48]
	ds_read_b128 v[47:50], v46 offset:304
	ds_read_b128 v[51:54], v46 offset:320
	s_waitcnt vmcnt(10) lgkmcnt(1)
	v_fma_f64 v[47:48], v[75:76], v[47:48], v[55:56]
	s_waitcnt vmcnt(9)
	v_fma_f64 v[47:48], v[73:74], v[49:50], v[47:48]
	s_waitcnt vmcnt(8) lgkmcnt(0)
	v_fma_f64 v[47:48], v[71:72], v[51:52], v[47:48]
	s_waitcnt vmcnt(4)
	v_fma_f64 v[50:51], v[77:78], v[53:54], v[47:48]
	ds_read_b128 v[46:49], v46 offset:336
	s_waitcnt vmcnt(3) lgkmcnt(0)
	v_fma_f64 v[46:47], v[81:82], v[46:47], v[50:51]
	s_waitcnt vmcnt(2)
	v_fma_f64 v[46:47], v[79:80], v[48:49], v[46:47]
	s_waitcnt vmcnt(0)
	v_add_f64 v[46:47], v[83:84], -v[46:47]
	buffer_store_dword v47, off, s[0:3], 0 offset:60
	buffer_store_dword v46, off, s[0:3], 0 offset:56
	v_cmpx_lt_u32_e32 6, v0
	s_cbranch_execz .LBB85_129
; %bb.128:
	s_clause 0x1
	buffer_load_dword v46, off, s[0:3], 0 offset:48
	buffer_load_dword v47, off, s[0:3], 0 offset:52
	v_mov_b32_e32 v48, 0
	buffer_store_dword v48, off, s[0:3], 0 offset:48
	buffer_store_dword v48, off, s[0:3], 0 offset:52
	s_waitcnt vmcnt(0)
	ds_write_b64 v45, v[46:47]
.LBB85_129:
	s_or_b32 exec_lo, exec_lo, s4
	s_waitcnt lgkmcnt(0)
	s_waitcnt_vscnt null, 0x0
	s_barrier
	buffer_gl0_inv
	s_clause 0x1c
	buffer_load_dword v55, off, s[0:3], 0 offset:56
	buffer_load_dword v56, off, s[0:3], 0 offset:60
	;; [unrolled: 1-line block ×29, first 2 shown]
	v_mov_b32_e32 v46, 0
	buffer_load_dword v80, off, s[0:3], 0 offset:172
	s_mov_b32 s4, exec_lo
	ds_read2_b64 v[47:50], v46 offset0:29 offset1:30
	ds_read2_b64 v[51:54], v46 offset0:31 offset1:32
	s_waitcnt vmcnt(28) lgkmcnt(1)
	v_fma_f64 v[47:48], v[55:56], v[47:48], 0
	s_clause 0x1
	buffer_load_dword v55, off, s[0:3], 0 offset:48
	buffer_load_dword v56, off, s[0:3], 0 offset:52
	s_waitcnt vmcnt(28)
	v_fma_f64 v[47:48], v[57:58], v[49:50], v[47:48]
	s_waitcnt vmcnt(26) lgkmcnt(0)
	v_fma_f64 v[47:48], v[59:60], v[51:52], v[47:48]
	s_waitcnt vmcnt(24)
	v_fma_f64 v[57:58], v[61:62], v[53:54], v[47:48]
	ds_read2_b64 v[47:50], v46 offset0:33 offset1:34
	ds_read2_b64 v[51:54], v46 offset0:35 offset1:36
	s_waitcnt vmcnt(22) lgkmcnt(1)
	v_fma_f64 v[47:48], v[63:64], v[47:48], v[57:58]
	s_waitcnt vmcnt(20)
	v_fma_f64 v[47:48], v[65:66], v[49:50], v[47:48]
	s_waitcnt vmcnt(18) lgkmcnt(0)
	v_fma_f64 v[47:48], v[67:68], v[51:52], v[47:48]
	s_waitcnt vmcnt(13)
	v_fma_f64 v[57:58], v[69:70], v[53:54], v[47:48]
	ds_read2_b64 v[47:50], v46 offset0:37 offset1:38
	ds_read2_b64 v[51:54], v46 offset0:39 offset1:40
	s_waitcnt vmcnt(12) lgkmcnt(1)
	v_fma_f64 v[47:48], v[75:76], v[47:48], v[57:58]
	s_waitcnt vmcnt(11)
	v_fma_f64 v[47:48], v[73:74], v[49:50], v[47:48]
	s_waitcnt vmcnt(10) lgkmcnt(0)
	v_fma_f64 v[47:48], v[71:72], v[51:52], v[47:48]
	s_waitcnt vmcnt(5)
	v_fma_f64 v[51:52], v[77:78], v[53:54], v[47:48]
	ds_read2_b64 v[47:50], v46 offset0:41 offset1:42
	ds_read_b64 v[53:54], v46 offset:344
	s_waitcnt vmcnt(4) lgkmcnt(1)
	v_fma_f64 v[47:48], v[83:84], v[47:48], v[51:52]
	s_waitcnt vmcnt(3)
	v_fma_f64 v[47:48], v[81:82], v[49:50], v[47:48]
	s_waitcnt vmcnt(2) lgkmcnt(0)
	v_fma_f64 v[47:48], v[79:80], v[53:54], v[47:48]
	s_waitcnt vmcnt(0)
	v_add_f64 v[47:48], v[55:56], -v[47:48]
	buffer_store_dword v48, off, s[0:3], 0 offset:52
	buffer_store_dword v47, off, s[0:3], 0 offset:48
	v_cmpx_lt_u32_e32 5, v0
	s_cbranch_execz .LBB85_131
; %bb.130:
	s_clause 0x1
	buffer_load_dword v47, off, s[0:3], 0 offset:40
	buffer_load_dword v48, off, s[0:3], 0 offset:44
	buffer_store_dword v46, off, s[0:3], 0 offset:40
	buffer_store_dword v46, off, s[0:3], 0 offset:44
	s_waitcnt vmcnt(0)
	ds_write_b64 v45, v[47:48]
.LBB85_131:
	s_or_b32 exec_lo, exec_lo, s4
	s_waitcnt lgkmcnt(0)
	s_waitcnt_vscnt null, 0x0
	s_barrier
	buffer_gl0_inv
	s_clause 0x1c
	buffer_load_dword v55, off, s[0:3], 0 offset:48
	buffer_load_dword v56, off, s[0:3], 0 offset:52
	;; [unrolled: 1-line block ×29, first 2 shown]
	ds_read_b128 v[47:50], v46 offset:224
	ds_read_b128 v[51:54], v46 offset:240
	buffer_load_dword v80, off, s[0:3], 0 offset:164
	s_mov_b32 s4, exec_lo
	s_waitcnt vmcnt(28) lgkmcnt(1)
	v_fma_f64 v[47:48], v[55:56], v[47:48], 0
	s_clause 0x1
	buffer_load_dword v56, off, s[0:3], 0 offset:172
	buffer_load_dword v55, off, s[0:3], 0 offset:168
	s_waitcnt vmcnt(28)
	v_fma_f64 v[47:48], v[57:58], v[49:50], v[47:48]
	s_clause 0x1
	buffer_load_dword v57, off, s[0:3], 0 offset:40
	buffer_load_dword v58, off, s[0:3], 0 offset:44
	s_waitcnt vmcnt(28) lgkmcnt(0)
	v_fma_f64 v[47:48], v[59:60], v[51:52], v[47:48]
	s_waitcnt vmcnt(26)
	v_fma_f64 v[59:60], v[61:62], v[53:54], v[47:48]
	ds_read_b128 v[47:50], v46 offset:256
	ds_read_b128 v[51:54], v46 offset:272
	s_waitcnt vmcnt(24) lgkmcnt(1)
	v_fma_f64 v[47:48], v[63:64], v[47:48], v[59:60]
	s_waitcnt vmcnt(22)
	v_fma_f64 v[47:48], v[65:66], v[49:50], v[47:48]
	s_waitcnt vmcnt(20) lgkmcnt(0)
	v_fma_f64 v[47:48], v[67:68], v[51:52], v[47:48]
	s_waitcnt vmcnt(15)
	v_fma_f64 v[59:60], v[69:70], v[53:54], v[47:48]
	ds_read_b128 v[47:50], v46 offset:288
	ds_read_b128 v[51:54], v46 offset:304
	s_waitcnt vmcnt(14) lgkmcnt(1)
	v_fma_f64 v[47:48], v[75:76], v[47:48], v[59:60]
	s_waitcnt vmcnt(13)
	v_fma_f64 v[47:48], v[73:74], v[49:50], v[47:48]
	;; [unrolled: 10-line block ×3, first 2 shown]
	s_waitcnt vmcnt(4) lgkmcnt(0)
	v_fma_f64 v[46:47], v[79:80], v[51:52], v[46:47]
	s_waitcnt vmcnt(2)
	v_fma_f64 v[46:47], v[55:56], v[53:54], v[46:47]
	s_waitcnt vmcnt(0)
	v_add_f64 v[46:47], v[57:58], -v[46:47]
	buffer_store_dword v47, off, s[0:3], 0 offset:44
	buffer_store_dword v46, off, s[0:3], 0 offset:40
	v_cmpx_lt_u32_e32 4, v0
	s_cbranch_execz .LBB85_133
; %bb.132:
	s_clause 0x1
	buffer_load_dword v46, off, s[0:3], 0 offset:32
	buffer_load_dword v47, off, s[0:3], 0 offset:36
	v_mov_b32_e32 v48, 0
	buffer_store_dword v48, off, s[0:3], 0 offset:32
	buffer_store_dword v48, off, s[0:3], 0 offset:36
	s_waitcnt vmcnt(0)
	ds_write_b64 v45, v[46:47]
.LBB85_133:
	s_or_b32 exec_lo, exec_lo, s4
	s_waitcnt lgkmcnt(0)
	s_waitcnt_vscnt null, 0x0
	s_barrier
	buffer_gl0_inv
	s_clause 0x1c
	buffer_load_dword v55, off, s[0:3], 0 offset:40
	buffer_load_dword v56, off, s[0:3], 0 offset:44
	;; [unrolled: 1-line block ×29, first 2 shown]
	v_mov_b32_e32 v46, 0
	buffer_load_dword v80, off, s[0:3], 0 offset:156
	s_mov_b32 s4, exec_lo
	ds_read2_b64 v[47:50], v46 offset0:27 offset1:28
	ds_read2_b64 v[51:54], v46 offset0:29 offset1:30
	s_waitcnt vmcnt(28) lgkmcnt(1)
	v_fma_f64 v[47:48], v[55:56], v[47:48], 0
	s_clause 0x3
	buffer_load_dword v56, off, s[0:3], 0 offset:164
	buffer_load_dword v85, off, s[0:3], 0 offset:168
	;; [unrolled: 1-line block ×4, first 2 shown]
	s_waitcnt vmcnt(30)
	v_fma_f64 v[47:48], v[57:58], v[49:50], v[47:48]
	s_clause 0x1
	buffer_load_dword v57, off, s[0:3], 0 offset:32
	buffer_load_dword v58, off, s[0:3], 0 offset:36
	s_waitcnt vmcnt(30) lgkmcnt(0)
	v_fma_f64 v[47:48], v[59:60], v[51:52], v[47:48]
	s_waitcnt vmcnt(28)
	v_fma_f64 v[59:60], v[61:62], v[53:54], v[47:48]
	ds_read2_b64 v[47:50], v46 offset0:31 offset1:32
	ds_read2_b64 v[51:54], v46 offset0:33 offset1:34
	s_waitcnt vmcnt(26) lgkmcnt(1)
	v_fma_f64 v[47:48], v[63:64], v[47:48], v[59:60]
	s_waitcnt vmcnt(24)
	v_fma_f64 v[47:48], v[65:66], v[49:50], v[47:48]
	s_waitcnt vmcnt(22) lgkmcnt(0)
	v_fma_f64 v[47:48], v[67:68], v[51:52], v[47:48]
	s_waitcnt vmcnt(17)
	v_fma_f64 v[59:60], v[69:70], v[53:54], v[47:48]
	ds_read2_b64 v[47:50], v46 offset0:35 offset1:36
	ds_read2_b64 v[51:54], v46 offset0:37 offset1:38
	s_waitcnt vmcnt(16) lgkmcnt(1)
	v_fma_f64 v[47:48], v[75:76], v[47:48], v[59:60]
	s_waitcnt vmcnt(15)
	v_fma_f64 v[47:48], v[73:74], v[49:50], v[47:48]
	;; [unrolled: 10-line block ×3, first 2 shown]
	ds_read_b64 v[49:50], v46 offset:344
	s_waitcnt vmcnt(6) lgkmcnt(1)
	v_fma_f64 v[47:48], v[79:80], v[51:52], v[47:48]
	s_waitcnt vmcnt(3)
	v_fma_f64 v[47:48], v[55:56], v[53:54], v[47:48]
	s_waitcnt vmcnt(2) lgkmcnt(0)
	v_fma_f64 v[47:48], v[85:86], v[49:50], v[47:48]
	s_waitcnt vmcnt(0)
	v_add_f64 v[47:48], v[57:58], -v[47:48]
	buffer_store_dword v48, off, s[0:3], 0 offset:36
	buffer_store_dword v47, off, s[0:3], 0 offset:32
	v_cmpx_lt_u32_e32 3, v0
	s_cbranch_execz .LBB85_135
; %bb.134:
	s_clause 0x1
	buffer_load_dword v47, off, s[0:3], 0 offset:24
	buffer_load_dword v48, off, s[0:3], 0 offset:28
	buffer_store_dword v46, off, s[0:3], 0 offset:24
	buffer_store_dword v46, off, s[0:3], 0 offset:28
	s_waitcnt vmcnt(0)
	ds_write_b64 v45, v[47:48]
.LBB85_135:
	s_or_b32 exec_lo, exec_lo, s4
	s_waitcnt lgkmcnt(0)
	s_waitcnt_vscnt null, 0x0
	s_barrier
	buffer_gl0_inv
	s_clause 0x1c
	buffer_load_dword v55, off, s[0:3], 0 offset:32
	buffer_load_dword v56, off, s[0:3], 0 offset:36
	;; [unrolled: 1-line block ×29, first 2 shown]
	ds_read_b128 v[47:50], v46 offset:208
	ds_read_b128 v[51:54], v46 offset:224
	buffer_load_dword v80, off, s[0:3], 0 offset:148
	s_mov_b32 s4, exec_lo
	s_waitcnt vmcnt(28) lgkmcnt(1)
	v_fma_f64 v[47:48], v[55:56], v[47:48], 0
	s_clause 0x5
	buffer_load_dword v56, off, s[0:3], 0 offset:156
	buffer_load_dword v85, off, s[0:3], 0 offset:168
	;; [unrolled: 1-line block ×6, first 2 shown]
	s_waitcnt vmcnt(32)
	v_fma_f64 v[47:48], v[57:58], v[49:50], v[47:48]
	s_waitcnt vmcnt(30) lgkmcnt(0)
	v_fma_f64 v[47:48], v[59:60], v[51:52], v[47:48]
	s_waitcnt vmcnt(28)
	v_fma_f64 v[57:58], v[61:62], v[53:54], v[47:48]
	ds_read_b128 v[47:50], v46 offset:240
	s_clause 0x1
	buffer_load_dword v59, off, s[0:3], 0 offset:24
	buffer_load_dword v60, off, s[0:3], 0 offset:28
	ds_read_b128 v[51:54], v46 offset:256
	s_waitcnt vmcnt(28) lgkmcnt(1)
	v_fma_f64 v[47:48], v[63:64], v[47:48], v[57:58]
	s_waitcnt vmcnt(26)
	v_fma_f64 v[47:48], v[65:66], v[49:50], v[47:48]
	s_waitcnt vmcnt(24) lgkmcnt(0)
	v_fma_f64 v[47:48], v[67:68], v[51:52], v[47:48]
	s_waitcnt vmcnt(19)
	v_fma_f64 v[57:58], v[69:70], v[53:54], v[47:48]
	ds_read_b128 v[47:50], v46 offset:272
	ds_read_b128 v[51:54], v46 offset:288
	s_waitcnt vmcnt(18) lgkmcnt(1)
	v_fma_f64 v[47:48], v[75:76], v[47:48], v[57:58]
	s_waitcnt vmcnt(17)
	v_fma_f64 v[47:48], v[73:74], v[49:50], v[47:48]
	s_waitcnt vmcnt(16) lgkmcnt(0)
	v_fma_f64 v[47:48], v[71:72], v[51:52], v[47:48]
	s_waitcnt vmcnt(11)
	v_fma_f64 v[57:58], v[77:78], v[53:54], v[47:48]
	ds_read_b128 v[47:50], v46 offset:304
	;; [unrolled: 10-line block ×3, first 2 shown]
	s_waitcnt vmcnt(3) lgkmcnt(0)
	v_fma_f64 v[46:47], v[87:88], v[46:47], v[50:51]
	s_waitcnt vmcnt(2)
	v_fma_f64 v[46:47], v[85:86], v[48:49], v[46:47]
	s_waitcnt vmcnt(0)
	v_add_f64 v[46:47], v[59:60], -v[46:47]
	buffer_store_dword v47, off, s[0:3], 0 offset:28
	buffer_store_dword v46, off, s[0:3], 0 offset:24
	v_cmpx_lt_u32_e32 2, v0
	s_cbranch_execz .LBB85_137
; %bb.136:
	s_clause 0x1
	buffer_load_dword v46, off, s[0:3], 0 offset:16
	buffer_load_dword v47, off, s[0:3], 0 offset:20
	v_mov_b32_e32 v48, 0
	buffer_store_dword v48, off, s[0:3], 0 offset:16
	buffer_store_dword v48, off, s[0:3], 0 offset:20
	s_waitcnt vmcnt(0)
	ds_write_b64 v45, v[46:47]
.LBB85_137:
	s_or_b32 exec_lo, exec_lo, s4
	s_waitcnt lgkmcnt(0)
	s_waitcnt_vscnt null, 0x0
	s_barrier
	buffer_gl0_inv
	s_clause 0x1c
	buffer_load_dword v55, off, s[0:3], 0 offset:24
	buffer_load_dword v56, off, s[0:3], 0 offset:28
	buffer_load_dword v57, off, s[0:3], 0 offset:32
	buffer_load_dword v58, off, s[0:3], 0 offset:36
	buffer_load_dword v59, off, s[0:3], 0 offset:40
	buffer_load_dword v60, off, s[0:3], 0 offset:44
	buffer_load_dword v61, off, s[0:3], 0 offset:48
	buffer_load_dword v62, off, s[0:3], 0 offset:52
	buffer_load_dword v63, off, s[0:3], 0 offset:56
	buffer_load_dword v64, off, s[0:3], 0 offset:60
	buffer_load_dword v65, off, s[0:3], 0 offset:64
	buffer_load_dword v66, off, s[0:3], 0 offset:68
	buffer_load_dword v67, off, s[0:3], 0 offset:72
	buffer_load_dword v68, off, s[0:3], 0 offset:76
	buffer_load_dword v70, off, s[0:3], 0 offset:84
	buffer_load_dword v71, off, s[0:3], 0 offset:104
	buffer_load_dword v73, off, s[0:3], 0 offset:96
	buffer_load_dword v75, off, s[0:3], 0 offset:88
	buffer_load_dword v69, off, s[0:3], 0 offset:80
	buffer_load_dword v76, off, s[0:3], 0 offset:92
	buffer_load_dword v74, off, s[0:3], 0 offset:100
	buffer_load_dword v72, off, s[0:3], 0 offset:108
	buffer_load_dword v78, off, s[0:3], 0 offset:116
	buffer_load_dword v79, off, s[0:3], 0 offset:136
	buffer_load_dword v81, off, s[0:3], 0 offset:128
	buffer_load_dword v83, off, s[0:3], 0 offset:120
	buffer_load_dword v77, off, s[0:3], 0 offset:112
	buffer_load_dword v84, off, s[0:3], 0 offset:124
	buffer_load_dword v82, off, s[0:3], 0 offset:132
	v_mov_b32_e32 v46, 0
	buffer_load_dword v80, off, s[0:3], 0 offset:140
	s_mov_b32 s4, exec_lo
	ds_read2_b64 v[47:50], v46 offset0:25 offset1:26
	ds_read2_b64 v[51:54], v46 offset0:27 offset1:28
	s_waitcnt vmcnt(28) lgkmcnt(1)
	v_fma_f64 v[47:48], v[55:56], v[47:48], 0
	s_clause 0x7
	buffer_load_dword v56, off, s[0:3], 0 offset:148
	buffer_load_dword v85, off, s[0:3], 0 offset:168
	;; [unrolled: 1-line block ×8, first 2 shown]
	s_waitcnt vmcnt(34)
	v_fma_f64 v[47:48], v[57:58], v[49:50], v[47:48]
	s_waitcnt vmcnt(32) lgkmcnt(0)
	v_fma_f64 v[47:48], v[59:60], v[51:52], v[47:48]
	s_waitcnt vmcnt(30)
	v_fma_f64 v[57:58], v[61:62], v[53:54], v[47:48]
	ds_read2_b64 v[47:50], v46 offset0:29 offset1:30
	ds_read2_b64 v[51:54], v46 offset0:31 offset1:32
	s_waitcnt vmcnt(28) lgkmcnt(1)
	v_fma_f64 v[47:48], v[63:64], v[47:48], v[57:58]
	s_clause 0x1
	buffer_load_dword v57, off, s[0:3], 0 offset:16
	buffer_load_dword v58, off, s[0:3], 0 offset:20
	s_waitcnt vmcnt(28)
	v_fma_f64 v[47:48], v[65:66], v[49:50], v[47:48]
	s_waitcnt vmcnt(26) lgkmcnt(0)
	v_fma_f64 v[47:48], v[67:68], v[51:52], v[47:48]
	s_waitcnt vmcnt(21)
	v_fma_f64 v[59:60], v[69:70], v[53:54], v[47:48]
	ds_read2_b64 v[47:50], v46 offset0:33 offset1:34
	ds_read2_b64 v[51:54], v46 offset0:35 offset1:36
	s_waitcnt vmcnt(20) lgkmcnt(1)
	v_fma_f64 v[47:48], v[75:76], v[47:48], v[59:60]
	s_waitcnt vmcnt(19)
	v_fma_f64 v[47:48], v[73:74], v[49:50], v[47:48]
	s_waitcnt vmcnt(18) lgkmcnt(0)
	v_fma_f64 v[47:48], v[71:72], v[51:52], v[47:48]
	s_waitcnt vmcnt(13)
	v_fma_f64 v[59:60], v[77:78], v[53:54], v[47:48]
	ds_read2_b64 v[47:50], v46 offset0:37 offset1:38
	ds_read2_b64 v[51:54], v46 offset0:39 offset1:40
	s_waitcnt vmcnt(12) lgkmcnt(1)
	v_fma_f64 v[47:48], v[83:84], v[47:48], v[59:60]
	s_waitcnt vmcnt(11)
	v_fma_f64 v[47:48], v[81:82], v[49:50], v[47:48]
	s_waitcnt vmcnt(10) lgkmcnt(0)
	v_fma_f64 v[47:48], v[79:80], v[51:52], v[47:48]
	s_waitcnt vmcnt(5)
	v_fma_f64 v[51:52], v[55:56], v[53:54], v[47:48]
	ds_read2_b64 v[47:50], v46 offset0:41 offset1:42
	ds_read_b64 v[53:54], v46 offset:344
	s_waitcnt vmcnt(4) lgkmcnt(1)
	v_fma_f64 v[47:48], v[89:90], v[47:48], v[51:52]
	s_waitcnt vmcnt(3)
	v_fma_f64 v[47:48], v[87:88], v[49:50], v[47:48]
	s_waitcnt vmcnt(2) lgkmcnt(0)
	v_fma_f64 v[47:48], v[85:86], v[53:54], v[47:48]
	s_waitcnt vmcnt(0)
	v_add_f64 v[47:48], v[57:58], -v[47:48]
	buffer_store_dword v48, off, s[0:3], 0 offset:20
	buffer_store_dword v47, off, s[0:3], 0 offset:16
	v_cmpx_lt_u32_e32 1, v0
	s_cbranch_execz .LBB85_139
; %bb.138:
	s_clause 0x1
	buffer_load_dword v47, off, s[0:3], 0 offset:8
	buffer_load_dword v48, off, s[0:3], 0 offset:12
	buffer_store_dword v46, off, s[0:3], 0 offset:8
	buffer_store_dword v46, off, s[0:3], 0 offset:12
	s_waitcnt vmcnt(0)
	ds_write_b64 v45, v[47:48]
.LBB85_139:
	s_or_b32 exec_lo, exec_lo, s4
	s_waitcnt lgkmcnt(0)
	s_waitcnt_vscnt null, 0x0
	s_barrier
	buffer_gl0_inv
	s_clause 0x1c
	buffer_load_dword v55, off, s[0:3], 0 offset:16
	buffer_load_dword v56, off, s[0:3], 0 offset:20
	;; [unrolled: 1-line block ×29, first 2 shown]
	ds_read_b128 v[47:50], v46 offset:192
	ds_read_b128 v[51:54], v46 offset:208
	buffer_load_dword v80, off, s[0:3], 0 offset:132
	s_mov_b32 s4, exec_lo
	s_waitcnt vmcnt(28) lgkmcnt(1)
	v_fma_f64 v[47:48], v[55:56], v[47:48], 0
	s_clause 0x7
	buffer_load_dword v56, off, s[0:3], 0 offset:140
	buffer_load_dword v85, off, s[0:3], 0 offset:160
	;; [unrolled: 1-line block ×8, first 2 shown]
	s_waitcnt vmcnt(34)
	v_fma_f64 v[47:48], v[57:58], v[49:50], v[47:48]
	s_waitcnt vmcnt(32) lgkmcnt(0)
	v_fma_f64 v[47:48], v[59:60], v[51:52], v[47:48]
	s_waitcnt vmcnt(30)
	v_fma_f64 v[57:58], v[61:62], v[53:54], v[47:48]
	ds_read_b128 v[47:50], v46 offset:224
	ds_read_b128 v[51:54], v46 offset:240
	s_waitcnt vmcnt(28) lgkmcnt(1)
	v_fma_f64 v[47:48], v[63:64], v[47:48], v[57:58]
	s_clause 0x3
	buffer_load_dword v58, off, s[0:3], 0 offset:172
	buffer_load_dword v57, off, s[0:3], 0 offset:168
	;; [unrolled: 1-line block ×4, first 2 shown]
	s_waitcnt vmcnt(30)
	v_fma_f64 v[47:48], v[65:66], v[49:50], v[47:48]
	s_waitcnt vmcnt(28) lgkmcnt(0)
	v_fma_f64 v[47:48], v[67:68], v[51:52], v[47:48]
	s_waitcnt vmcnt(23)
	v_fma_f64 v[61:62], v[69:70], v[53:54], v[47:48]
	ds_read_b128 v[47:50], v46 offset:256
	ds_read_b128 v[51:54], v46 offset:272
	s_waitcnt vmcnt(22) lgkmcnt(1)
	v_fma_f64 v[47:48], v[75:76], v[47:48], v[61:62]
	s_waitcnt vmcnt(21)
	v_fma_f64 v[47:48], v[73:74], v[49:50], v[47:48]
	s_waitcnt vmcnt(20) lgkmcnt(0)
	v_fma_f64 v[47:48], v[71:72], v[51:52], v[47:48]
	s_waitcnt vmcnt(15)
	v_fma_f64 v[61:62], v[77:78], v[53:54], v[47:48]
	ds_read_b128 v[47:50], v46 offset:288
	ds_read_b128 v[51:54], v46 offset:304
	s_waitcnt vmcnt(14) lgkmcnt(1)
	v_fma_f64 v[47:48], v[83:84], v[47:48], v[61:62]
	;; [unrolled: 10-line block ×3, first 2 shown]
	s_waitcnt vmcnt(5)
	v_fma_f64 v[46:47], v[87:88], v[49:50], v[46:47]
	s_waitcnt vmcnt(4) lgkmcnt(0)
	v_fma_f64 v[46:47], v[85:86], v[51:52], v[46:47]
	s_waitcnt vmcnt(2)
	v_fma_f64 v[46:47], v[57:58], v[53:54], v[46:47]
	s_waitcnt vmcnt(0)
	v_add_f64 v[46:47], v[59:60], -v[46:47]
	buffer_store_dword v47, off, s[0:3], 0 offset:12
	buffer_store_dword v46, off, s[0:3], 0 offset:8
	v_cmpx_ne_u32_e32 0, v0
	s_cbranch_execz .LBB85_141
; %bb.140:
	s_clause 0x1
	buffer_load_dword v46, off, s[0:3], 0
	buffer_load_dword v47, off, s[0:3], 0 offset:4
	v_mov_b32_e32 v0, 0
	buffer_store_dword v0, off, s[0:3], 0
	buffer_store_dword v0, off, s[0:3], 0 offset:4
	s_waitcnt vmcnt(0)
	ds_write_b64 v45, v[46:47]
.LBB85_141:
	s_or_b32 exec_lo, exec_lo, s4
	s_waitcnt lgkmcnt(0)
	s_waitcnt_vscnt null, 0x0
	s_barrier
	buffer_gl0_inv
	s_clause 0x1c
	buffer_load_dword v53, off, s[0:3], 0 offset:8
	buffer_load_dword v54, off, s[0:3], 0 offset:12
	;; [unrolled: 1-line block ×29, first 2 shown]
	v_mov_b32_e32 v0, 0
	buffer_load_dword v78, off, s[0:3], 0 offset:124
	s_and_b32 vcc_lo, exec_lo, s16
	ds_read2_b64 v[45:48], v0 offset0:23 offset1:24
	ds_read2_b64 v[49:52], v0 offset0:25 offset1:26
	s_clause 0x7
	buffer_load_dword v84, off, s[0:3], 0 offset:132
	buffer_load_dword v85, off, s[0:3], 0 offset:152
	;; [unrolled: 1-line block ×8, first 2 shown]
	s_waitcnt vmcnt(36) lgkmcnt(1)
	v_fma_f64 v[45:46], v[53:54], v[45:46], 0
	s_waitcnt vmcnt(34)
	v_fma_f64 v[45:46], v[55:56], v[47:48], v[45:46]
	s_waitcnt vmcnt(32) lgkmcnt(0)
	v_fma_f64 v[45:46], v[57:58], v[49:50], v[45:46]
	s_waitcnt vmcnt(30)
	v_fma_f64 v[53:54], v[59:60], v[51:52], v[45:46]
	ds_read2_b64 v[45:48], v0 offset0:27 offset1:28
	ds_read2_b64 v[49:52], v0 offset0:29 offset1:30
	s_waitcnt vmcnt(28) lgkmcnt(1)
	v_fma_f64 v[53:54], v[61:62], v[45:46], v[53:54]
	s_clause 0x5
	buffer_load_dword v46, off, s[0:3], 0 offset:164
	buffer_load_dword v55, off, s[0:3], 0 offset:168
	;; [unrolled: 1-line block ×4, first 2 shown]
	buffer_load_dword v57, off, s[0:3], 0
	buffer_load_dword v58, off, s[0:3], 0 offset:4
	s_waitcnt vmcnt(32)
	v_fma_f64 v[47:48], v[63:64], v[47:48], v[53:54]
	s_waitcnt vmcnt(30) lgkmcnt(0)
	v_fma_f64 v[47:48], v[65:66], v[49:50], v[47:48]
	s_waitcnt vmcnt(25)
	v_fma_f64 v[59:60], v[67:68], v[51:52], v[47:48]
	ds_read2_b64 v[47:50], v0 offset0:31 offset1:32
	ds_read2_b64 v[51:54], v0 offset0:33 offset1:34
	s_waitcnt vmcnt(24) lgkmcnt(1)
	v_fma_f64 v[47:48], v[73:74], v[47:48], v[59:60]
	s_waitcnt vmcnt(23)
	v_fma_f64 v[47:48], v[71:72], v[49:50], v[47:48]
	s_waitcnt vmcnt(22) lgkmcnt(0)
	v_fma_f64 v[47:48], v[69:70], v[51:52], v[47:48]
	s_waitcnt vmcnt(17)
	v_fma_f64 v[59:60], v[75:76], v[53:54], v[47:48]
	ds_read2_b64 v[47:50], v0 offset0:35 offset1:36
	ds_read2_b64 v[51:54], v0 offset0:37 offset1:38
	s_waitcnt vmcnt(16) lgkmcnt(1)
	v_fma_f64 v[47:48], v[81:82], v[47:48], v[59:60]
	;; [unrolled: 10-line block ×3, first 2 shown]
	s_waitcnt vmcnt(7)
	v_fma_f64 v[47:48], v[87:88], v[49:50], v[47:48]
	ds_read_b64 v[49:50], v0 offset:344
	s_waitcnt vmcnt(6) lgkmcnt(1)
	v_fma_f64 v[47:48], v[85:86], v[51:52], v[47:48]
	s_waitcnt vmcnt(3)
	v_fma_f64 v[47:48], v[45:46], v[53:54], v[47:48]
	s_waitcnt vmcnt(2) lgkmcnt(0)
	v_fma_f64 v[47:48], v[55:56], v[49:50], v[47:48]
	s_waitcnt vmcnt(0)
	v_add_f64 v[47:48], v[57:58], -v[47:48]
	buffer_store_dword v48, off, s[0:3], 0 offset:4
	buffer_store_dword v47, off, s[0:3], 0
	s_cbranch_vccz .LBB85_184
; %bb.142:
	global_load_dword v0, v0, s[12:13] offset:80
	s_waitcnt vmcnt(0)
	v_add_nc_u32_e32 v0, -1, v0
	v_cmp_ne_u32_e32 vcc_lo, 20, v0
	s_cbranch_vccz .LBB85_144
; %bb.143:
	v_lshlrev_b32_e32 v0, 3, v0
	s_clause 0x1
	buffer_load_dword v47, v0, s[0:3], 0 offen offset:4
	buffer_load_dword v48, v0, s[0:3], 0 offen
	s_waitcnt vmcnt(1)
	buffer_store_dword v47, off, s[0:3], 0 offset:164
	s_waitcnt vmcnt(0)
	buffer_store_dword v48, off, s[0:3], 0 offset:160
	buffer_store_dword v46, v0, s[0:3], 0 offen offset:4
	buffer_store_dword v45, v0, s[0:3], 0 offen
.LBB85_144:
	v_mov_b32_e32 v0, 0
	global_load_dword v45, v0, s[12:13] offset:76
	s_waitcnt vmcnt(0)
	v_add_nc_u32_e32 v45, -1, v45
	v_cmp_eq_u32_e32 vcc_lo, 19, v45
	s_cbranch_vccnz .LBB85_146
; %bb.145:
	v_lshlrev_b32_e32 v45, 3, v45
	s_clause 0x3
	buffer_load_dword v46, v45, s[0:3], 0 offen
	buffer_load_dword v47, v45, s[0:3], 0 offen offset:4
	buffer_load_dword v48, off, s[0:3], 0 offset:152
	buffer_load_dword v49, off, s[0:3], 0 offset:156
	s_waitcnt vmcnt(3)
	buffer_store_dword v46, off, s[0:3], 0 offset:152
	s_waitcnt vmcnt(2)
	buffer_store_dword v47, off, s[0:3], 0 offset:156
	s_waitcnt vmcnt(1)
	buffer_store_dword v48, v45, s[0:3], 0 offen
	s_waitcnt vmcnt(0)
	buffer_store_dword v49, v45, s[0:3], 0 offen offset:4
.LBB85_146:
	global_load_dword v0, v0, s[12:13] offset:72
	s_waitcnt vmcnt(0)
	v_add_nc_u32_e32 v0, -1, v0
	v_cmp_eq_u32_e32 vcc_lo, 18, v0
	s_cbranch_vccnz .LBB85_148
; %bb.147:
	v_lshlrev_b32_e32 v0, 3, v0
	s_clause 0x3
	buffer_load_dword v45, v0, s[0:3], 0 offen
	buffer_load_dword v46, v0, s[0:3], 0 offen offset:4
	buffer_load_dword v47, off, s[0:3], 0 offset:148
	buffer_load_dword v48, off, s[0:3], 0 offset:144
	s_waitcnt vmcnt(3)
	buffer_store_dword v45, off, s[0:3], 0 offset:144
	s_waitcnt vmcnt(2)
	buffer_store_dword v46, off, s[0:3], 0 offset:148
	s_waitcnt vmcnt(1)
	buffer_store_dword v47, v0, s[0:3], 0 offen offset:4
	s_waitcnt vmcnt(0)
	buffer_store_dword v48, v0, s[0:3], 0 offen
.LBB85_148:
	v_mov_b32_e32 v0, 0
	global_load_dword v45, v0, s[12:13] offset:68
	s_waitcnt vmcnt(0)
	v_add_nc_u32_e32 v45, -1, v45
	v_cmp_eq_u32_e32 vcc_lo, 17, v45
	s_cbranch_vccnz .LBB85_150
; %bb.149:
	v_lshlrev_b32_e32 v45, 3, v45
	s_clause 0x3
	buffer_load_dword v46, v45, s[0:3], 0 offen
	buffer_load_dword v47, v45, s[0:3], 0 offen offset:4
	buffer_load_dword v48, off, s[0:3], 0 offset:136
	buffer_load_dword v49, off, s[0:3], 0 offset:140
	s_waitcnt vmcnt(3)
	buffer_store_dword v46, off, s[0:3], 0 offset:136
	s_waitcnt vmcnt(2)
	buffer_store_dword v47, off, s[0:3], 0 offset:140
	s_waitcnt vmcnt(1)
	buffer_store_dword v48, v45, s[0:3], 0 offen
	s_waitcnt vmcnt(0)
	buffer_store_dword v49, v45, s[0:3], 0 offen offset:4
.LBB85_150:
	global_load_dword v0, v0, s[12:13] offset:64
	s_waitcnt vmcnt(0)
	v_add_nc_u32_e32 v0, -1, v0
	v_cmp_eq_u32_e32 vcc_lo, 16, v0
	s_cbranch_vccnz .LBB85_152
; %bb.151:
	v_lshlrev_b32_e32 v0, 3, v0
	s_clause 0x3
	buffer_load_dword v45, v0, s[0:3], 0 offen
	buffer_load_dword v46, v0, s[0:3], 0 offen offset:4
	buffer_load_dword v47, off, s[0:3], 0 offset:132
	buffer_load_dword v48, off, s[0:3], 0 offset:128
	s_waitcnt vmcnt(3)
	buffer_store_dword v45, off, s[0:3], 0 offset:128
	s_waitcnt vmcnt(2)
	buffer_store_dword v46, off, s[0:3], 0 offset:132
	s_waitcnt vmcnt(1)
	buffer_store_dword v47, v0, s[0:3], 0 offen offset:4
	s_waitcnt vmcnt(0)
	buffer_store_dword v48, v0, s[0:3], 0 offen
.LBB85_152:
	;; [unrolled: 43-line block ×9, first 2 shown]
	v_mov_b32_e32 v0, 0
	global_load_dword v45, v0, s[12:13] offset:4
	s_waitcnt vmcnt(0)
	v_add_nc_u32_e32 v45, -1, v45
	v_cmp_eq_u32_e32 vcc_lo, 1, v45
	s_cbranch_vccnz .LBB85_182
; %bb.181:
	v_lshlrev_b32_e32 v45, 3, v45
	s_clause 0x3
	buffer_load_dword v46, v45, s[0:3], 0 offen
	buffer_load_dword v47, v45, s[0:3], 0 offen offset:4
	buffer_load_dword v48, off, s[0:3], 0 offset:8
	buffer_load_dword v49, off, s[0:3], 0 offset:12
	s_waitcnt vmcnt(3)
	buffer_store_dword v46, off, s[0:3], 0 offset:8
	s_waitcnt vmcnt(2)
	buffer_store_dword v47, off, s[0:3], 0 offset:12
	s_waitcnt vmcnt(1)
	buffer_store_dword v48, v45, s[0:3], 0 offen
	s_waitcnt vmcnt(0)
	buffer_store_dword v49, v45, s[0:3], 0 offen offset:4
.LBB85_182:
	global_load_dword v0, v0, s[12:13]
	s_clause 0x1
	buffer_load_dword v47, off, s[0:3], 0
	buffer_load_dword v48, off, s[0:3], 0 offset:4
	s_waitcnt vmcnt(2)
	v_add_nc_u32_e32 v0, -1, v0
	v_cmp_eq_u32_e32 vcc_lo, 0, v0
	s_cbranch_vccnz .LBB85_184
; %bb.183:
	v_lshlrev_b32_e32 v0, 3, v0
	s_clause 0x1
	buffer_load_dword v45, v0, s[0:3], 0 offen offset:4
	buffer_load_dword v46, v0, s[0:3], 0 offen
	s_waitcnt vmcnt(1)
	buffer_store_dword v45, off, s[0:3], 0 offset:4
	s_waitcnt vmcnt(0)
	buffer_store_dword v46, off, s[0:3], 0
	buffer_store_dword v48, v0, s[0:3], 0 offen offset:4
	buffer_store_dword v47, v0, s[0:3], 0 offen
	s_clause 0x1
	buffer_load_dword v47, off, s[0:3], 0
	buffer_load_dword v48, off, s[0:3], 0 offset:4
.LBB85_184:
	s_waitcnt vmcnt(0)
	flat_store_dwordx2 v[1:2], v[47:48]
	s_clause 0x1
	buffer_load_dword v0, off, s[0:3], 0 offset:8
	buffer_load_dword v1, off, s[0:3], 0 offset:12
	s_waitcnt vmcnt(0)
	flat_store_dwordx2 v[3:4], v[0:1]
	s_clause 0x1
	buffer_load_dword v0, off, s[0:3], 0 offset:16
	buffer_load_dword v1, off, s[0:3], 0 offset:20
	;; [unrolled: 5-line block ×21, first 2 shown]
	s_waitcnt vmcnt(0)
	flat_store_dwordx2 v[43:44], v[0:1]
	s_endpgm
	.section	.rodata,"a",@progbits
	.p2align	6, 0x0
	.amdhsa_kernel _ZN9rocsolver6v33100L18getri_kernel_smallILi22EdPKPdEEvT1_iilPiilS6_bb
		.amdhsa_group_segment_fixed_size 360
		.amdhsa_private_segment_fixed_size 192
		.amdhsa_kernarg_size 60
		.amdhsa_user_sgpr_count 6
		.amdhsa_user_sgpr_private_segment_buffer 1
		.amdhsa_user_sgpr_dispatch_ptr 0
		.amdhsa_user_sgpr_queue_ptr 0
		.amdhsa_user_sgpr_kernarg_segment_ptr 1
		.amdhsa_user_sgpr_dispatch_id 0
		.amdhsa_user_sgpr_flat_scratch_init 0
		.amdhsa_user_sgpr_private_segment_size 0
		.amdhsa_wavefront_size32 1
		.amdhsa_uses_dynamic_stack 0
		.amdhsa_system_sgpr_private_segment_wavefront_offset 1
		.amdhsa_system_sgpr_workgroup_id_x 1
		.amdhsa_system_sgpr_workgroup_id_y 0
		.amdhsa_system_sgpr_workgroup_id_z 0
		.amdhsa_system_sgpr_workgroup_info 0
		.amdhsa_system_vgpr_workitem_id 0
		.amdhsa_next_free_vgpr 91
		.amdhsa_next_free_sgpr 20
		.amdhsa_reserve_vcc 1
		.amdhsa_reserve_flat_scratch 0
		.amdhsa_float_round_mode_32 0
		.amdhsa_float_round_mode_16_64 0
		.amdhsa_float_denorm_mode_32 3
		.amdhsa_float_denorm_mode_16_64 3
		.amdhsa_dx10_clamp 1
		.amdhsa_ieee_mode 1
		.amdhsa_fp16_overflow 0
		.amdhsa_workgroup_processor_mode 1
		.amdhsa_memory_ordered 1
		.amdhsa_forward_progress 1
		.amdhsa_shared_vgpr_count 0
		.amdhsa_exception_fp_ieee_invalid_op 0
		.amdhsa_exception_fp_denorm_src 0
		.amdhsa_exception_fp_ieee_div_zero 0
		.amdhsa_exception_fp_ieee_overflow 0
		.amdhsa_exception_fp_ieee_underflow 0
		.amdhsa_exception_fp_ieee_inexact 0
		.amdhsa_exception_int_div_zero 0
	.end_amdhsa_kernel
	.section	.text._ZN9rocsolver6v33100L18getri_kernel_smallILi22EdPKPdEEvT1_iilPiilS6_bb,"axG",@progbits,_ZN9rocsolver6v33100L18getri_kernel_smallILi22EdPKPdEEvT1_iilPiilS6_bb,comdat
.Lfunc_end85:
	.size	_ZN9rocsolver6v33100L18getri_kernel_smallILi22EdPKPdEEvT1_iilPiilS6_bb, .Lfunc_end85-_ZN9rocsolver6v33100L18getri_kernel_smallILi22EdPKPdEEvT1_iilPiilS6_bb
                                        ; -- End function
	.set _ZN9rocsolver6v33100L18getri_kernel_smallILi22EdPKPdEEvT1_iilPiilS6_bb.num_vgpr, 91
	.set _ZN9rocsolver6v33100L18getri_kernel_smallILi22EdPKPdEEvT1_iilPiilS6_bb.num_agpr, 0
	.set _ZN9rocsolver6v33100L18getri_kernel_smallILi22EdPKPdEEvT1_iilPiilS6_bb.numbered_sgpr, 20
	.set _ZN9rocsolver6v33100L18getri_kernel_smallILi22EdPKPdEEvT1_iilPiilS6_bb.num_named_barrier, 0
	.set _ZN9rocsolver6v33100L18getri_kernel_smallILi22EdPKPdEEvT1_iilPiilS6_bb.private_seg_size, 192
	.set _ZN9rocsolver6v33100L18getri_kernel_smallILi22EdPKPdEEvT1_iilPiilS6_bb.uses_vcc, 1
	.set _ZN9rocsolver6v33100L18getri_kernel_smallILi22EdPKPdEEvT1_iilPiilS6_bb.uses_flat_scratch, 0
	.set _ZN9rocsolver6v33100L18getri_kernel_smallILi22EdPKPdEEvT1_iilPiilS6_bb.has_dyn_sized_stack, 0
	.set _ZN9rocsolver6v33100L18getri_kernel_smallILi22EdPKPdEEvT1_iilPiilS6_bb.has_recursion, 0
	.set _ZN9rocsolver6v33100L18getri_kernel_smallILi22EdPKPdEEvT1_iilPiilS6_bb.has_indirect_call, 0
	.section	.AMDGPU.csdata,"",@progbits
; Kernel info:
; codeLenInByte = 19992
; TotalNumSgprs: 22
; NumVgprs: 91
; ScratchSize: 192
; MemoryBound: 0
; FloatMode: 240
; IeeeMode: 1
; LDSByteSize: 360 bytes/workgroup (compile time only)
; SGPRBlocks: 0
; VGPRBlocks: 11
; NumSGPRsForWavesPerEU: 22
; NumVGPRsForWavesPerEU: 91
; Occupancy: 10
; WaveLimiterHint : 1
; COMPUTE_PGM_RSRC2:SCRATCH_EN: 1
; COMPUTE_PGM_RSRC2:USER_SGPR: 6
; COMPUTE_PGM_RSRC2:TRAP_HANDLER: 0
; COMPUTE_PGM_RSRC2:TGID_X_EN: 1
; COMPUTE_PGM_RSRC2:TGID_Y_EN: 0
; COMPUTE_PGM_RSRC2:TGID_Z_EN: 0
; COMPUTE_PGM_RSRC2:TIDIG_COMP_CNT: 0
	.section	.text._ZN9rocsolver6v33100L18getri_kernel_smallILi23EdPKPdEEvT1_iilPiilS6_bb,"axG",@progbits,_ZN9rocsolver6v33100L18getri_kernel_smallILi23EdPKPdEEvT1_iilPiilS6_bb,comdat
	.globl	_ZN9rocsolver6v33100L18getri_kernel_smallILi23EdPKPdEEvT1_iilPiilS6_bb ; -- Begin function _ZN9rocsolver6v33100L18getri_kernel_smallILi23EdPKPdEEvT1_iilPiilS6_bb
	.p2align	8
	.type	_ZN9rocsolver6v33100L18getri_kernel_smallILi23EdPKPdEEvT1_iilPiilS6_bb,@function
_ZN9rocsolver6v33100L18getri_kernel_smallILi23EdPKPdEEvT1_iilPiilS6_bb: ; @_ZN9rocsolver6v33100L18getri_kernel_smallILi23EdPKPdEEvT1_iilPiilS6_bb
; %bb.0:
	s_add_u32 s0, s0, s7
	s_addc_u32 s1, s1, 0
	s_mov_b32 s7, exec_lo
	v_cmpx_gt_u32_e32 23, v0
	s_cbranch_execz .LBB86_102
; %bb.1:
	s_clause 0x2
	s_load_dword s17, s[4:5], 0x38
	s_load_dwordx2 s[12:13], s[4:5], 0x0
	s_load_dwordx4 s[8:11], s[4:5], 0x28
	s_waitcnt lgkmcnt(0)
	s_bitcmp1_b32 s17, 8
	s_cselect_b32 s16, -1, 0
	s_ashr_i32 s7, s6, 31
	s_lshl_b64 s[14:15], s[6:7], 3
	s_add_u32 s12, s12, s14
	s_addc_u32 s13, s13, s15
	s_load_dwordx2 s[14:15], s[12:13], 0x0
	s_bfe_u32 s12, s17, 0x10008
	s_cmp_eq_u32 s12, 0
                                        ; implicit-def: $sgpr12_sgpr13
	s_cbranch_scc1 .LBB86_3
; %bb.2:
	s_clause 0x1
	s_load_dword s12, s[4:5], 0x20
	s_load_dwordx2 s[18:19], s[4:5], 0x18
	s_mul_i32 s13, s8, s7
	s_mul_hi_u32 s17, s8, s6
	s_mul_i32 s9, s9, s6
	s_add_i32 s13, s17, s13
	s_mul_i32 s8, s8, s6
	s_add_i32 s9, s13, s9
	s_lshl_b64 s[8:9], s[8:9], 2
	s_waitcnt lgkmcnt(0)
	s_ashr_i32 s13, s12, 31
	s_add_u32 s17, s18, s8
	s_addc_u32 s18, s19, s9
	s_lshl_b64 s[8:9], s[12:13], 2
	s_add_u32 s12, s17, s8
	s_addc_u32 s13, s18, s9
.LBB86_3:
	s_clause 0x1
	s_load_dwordx2 s[8:9], s[4:5], 0x8
	s_load_dword s4, s[4:5], 0x38
	v_lshlrev_b32_e32 v49, 3, v0
	s_waitcnt lgkmcnt(0)
	s_ashr_i32 s19, s8, 31
	s_mov_b32 s18, s8
	v_add3_u32 v9, s9, s9, v0
	s_lshl_b64 s[18:19], s[18:19], 3
	s_add_u32 s5, s14, s18
	s_addc_u32 s8, s15, s19
	v_add_co_u32 v1, s14, s5, v49
	v_add_co_ci_u32_e64 v2, null, s8, 0, s14
	s_mov_b32 s14, s9
	s_ashr_i32 s15, s9, 31
	v_ashrrev_i32_e32 v10, 31, v9
	flat_load_dwordx2 v[5:6], v[1:2]
	s_lshl_b64 s[14:15], s[14:15], 3
	v_add_nc_u32_e32 v12, s9, v9
	v_add_co_u32 v3, vcc_lo, v1, s14
	v_add_co_ci_u32_e64 v4, null, s15, v2, vcc_lo
	v_ashrrev_i32_e32 v13, 31, v12
	s_bitcmp0_b32 s4, 0
	s_waitcnt vmcnt(0) lgkmcnt(0)
	buffer_store_dword v6, off, s[0:3], 0 offset:4
	buffer_store_dword v5, off, s[0:3], 0
	flat_load_dwordx2 v[7:8], v[3:4]
	v_lshlrev_b64 v[5:6], 3, v[9:10]
	s_waitcnt vmcnt(0) lgkmcnt(0)
	buffer_store_dword v8, off, s[0:3], 0 offset:12
	buffer_store_dword v7, off, s[0:3], 0 offset:8
	v_add_co_u32 v5, vcc_lo, s5, v5
	v_add_co_ci_u32_e64 v6, null, s8, v6, vcc_lo
	v_lshlrev_b64 v[7:8], 3, v[12:13]
	flat_load_dwordx2 v[10:11], v[5:6]
	s_waitcnt vmcnt(0) lgkmcnt(0)
	buffer_store_dword v11, off, s[0:3], 0 offset:20
	buffer_store_dword v10, off, s[0:3], 0 offset:16
	v_add_co_u32 v7, vcc_lo, s5, v7
	v_add_co_ci_u32_e64 v8, null, s8, v8, vcc_lo
	v_add_nc_u32_e32 v11, s9, v12
	flat_load_dwordx2 v[13:14], v[7:8]
	s_waitcnt vmcnt(0) lgkmcnt(0)
	buffer_store_dword v14, off, s[0:3], 0 offset:28
	buffer_store_dword v13, off, s[0:3], 0 offset:24
	v_ashrrev_i32_e32 v12, 31, v11
	v_add_nc_u32_e32 v15, s9, v11
	v_lshlrev_b64 v[9:10], 3, v[11:12]
	v_ashrrev_i32_e32 v16, 31, v15
	v_add_nc_u32_e32 v18, s9, v15
	v_add_co_u32 v9, vcc_lo, s5, v9
	v_add_co_ci_u32_e64 v10, null, s8, v10, vcc_lo
	v_lshlrev_b64 v[11:12], 3, v[15:16]
	v_ashrrev_i32_e32 v19, 31, v18
	flat_load_dwordx2 v[13:14], v[9:10]
	s_waitcnt vmcnt(0) lgkmcnt(0)
	buffer_store_dword v14, off, s[0:3], 0 offset:36
	buffer_store_dword v13, off, s[0:3], 0 offset:32
	v_add_co_u32 v11, vcc_lo, s5, v11
	v_add_co_ci_u32_e64 v12, null, s8, v12, vcc_lo
	v_lshlrev_b64 v[13:14], 3, v[18:19]
	flat_load_dwordx2 v[16:17], v[11:12]
	s_waitcnt vmcnt(0) lgkmcnt(0)
	buffer_store_dword v17, off, s[0:3], 0 offset:44
	buffer_store_dword v16, off, s[0:3], 0 offset:40
	v_add_co_u32 v13, vcc_lo, s5, v13
	v_add_co_ci_u32_e64 v14, null, s8, v14, vcc_lo
	v_add_nc_u32_e32 v17, s9, v18
	flat_load_dwordx2 v[19:20], v[13:14]
	s_waitcnt vmcnt(0) lgkmcnt(0)
	buffer_store_dword v20, off, s[0:3], 0 offset:52
	buffer_store_dword v19, off, s[0:3], 0 offset:48
	v_ashrrev_i32_e32 v18, 31, v17
	v_add_nc_u32_e32 v21, s9, v17
	v_lshlrev_b64 v[15:16], 3, v[17:18]
	v_ashrrev_i32_e32 v22, 31, v21
	v_add_nc_u32_e32 v24, s9, v21
	v_add_co_u32 v15, vcc_lo, s5, v15
	v_add_co_ci_u32_e64 v16, null, s8, v16, vcc_lo
	v_lshlrev_b64 v[17:18], 3, v[21:22]
	v_ashrrev_i32_e32 v25, 31, v24
	flat_load_dwordx2 v[19:20], v[15:16]
	;; [unrolled: 27-line block ×5, first 2 shown]
	s_waitcnt vmcnt(0) lgkmcnt(0)
	buffer_store_dword v38, off, s[0:3], 0 offset:132
	buffer_store_dword v37, off, s[0:3], 0 offset:128
	v_add_co_u32 v35, vcc_lo, s5, v35
	v_add_co_ci_u32_e64 v36, null, s8, v36, vcc_lo
	v_lshlrev_b64 v[37:38], 3, v[42:43]
	flat_load_dwordx2 v[40:41], v[35:36]
	s_waitcnt vmcnt(0) lgkmcnt(0)
	buffer_store_dword v41, off, s[0:3], 0 offset:140
	buffer_store_dword v40, off, s[0:3], 0 offset:136
	v_add_co_u32 v37, vcc_lo, s5, v37
	v_add_co_ci_u32_e64 v38, null, s8, v38, vcc_lo
	v_add_nc_u32_e32 v41, s9, v42
	flat_load_dwordx2 v[43:44], v[37:38]
	s_waitcnt vmcnt(0) lgkmcnt(0)
	buffer_store_dword v44, off, s[0:3], 0 offset:148
	buffer_store_dword v43, off, s[0:3], 0 offset:144
	v_ashrrev_i32_e32 v42, 31, v41
	v_add_nc_u32_e32 v45, s9, v41
	v_lshlrev_b64 v[39:40], 3, v[41:42]
	v_ashrrev_i32_e32 v46, 31, v45
	v_add_nc_u32_e32 v50, s9, v45
	v_add_co_u32 v39, vcc_lo, s5, v39
	v_add_co_ci_u32_e64 v40, null, s8, v40, vcc_lo
	v_lshlrev_b64 v[41:42], 3, v[45:46]
	v_ashrrev_i32_e32 v51, 31, v50
	v_add_nc_u32_e32 v45, s9, v50
	flat_load_dwordx2 v[43:44], v[39:40]
	s_waitcnt vmcnt(0) lgkmcnt(0)
	buffer_store_dword v44, off, s[0:3], 0 offset:156
	buffer_store_dword v43, off, s[0:3], 0 offset:152
	v_add_co_u32 v41, vcc_lo, s5, v41
	v_add_co_ci_u32_e64 v42, null, s8, v42, vcc_lo
	v_lshlrev_b64 v[43:44], 3, v[50:51]
	flat_load_dwordx2 v[46:47], v[41:42]
	s_waitcnt vmcnt(0) lgkmcnt(0)
	buffer_store_dword v47, off, s[0:3], 0 offset:164
	buffer_store_dword v46, off, s[0:3], 0 offset:160
	v_add_co_u32 v43, vcc_lo, s5, v43
	v_add_co_ci_u32_e64 v44, null, s8, v44, vcc_lo
	v_ashrrev_i32_e32 v46, 31, v45
	flat_load_dwordx2 v[47:48], v[43:44]
	s_waitcnt vmcnt(0) lgkmcnt(0)
	buffer_store_dword v48, off, s[0:3], 0 offset:172
	buffer_store_dword v47, off, s[0:3], 0 offset:168
	v_lshlrev_b64 v[45:46], 3, v[45:46]
	v_add_co_u32 v45, vcc_lo, s5, v45
	v_add_co_ci_u32_e64 v46, null, s8, v46, vcc_lo
	s_mov_b32 s5, -1
	flat_load_dwordx2 v[47:48], v[45:46]
	s_waitcnt vmcnt(0) lgkmcnt(0)
	buffer_store_dword v48, off, s[0:3], 0 offset:180
	buffer_store_dword v47, off, s[0:3], 0 offset:176
	s_cbranch_scc1 .LBB86_100
; %bb.4:
	v_cmp_eq_u32_e64 s4, 0, v0
	s_and_saveexec_b32 s5, s4
; %bb.5:
	v_mov_b32_e32 v47, 0
	ds_write_b32 v47, v47 offset:184
; %bb.6:
	s_or_b32 exec_lo, exec_lo, s5
	v_lshl_add_u32 v47, v0, 3, 0
	s_waitcnt lgkmcnt(0)
	s_waitcnt_vscnt null, 0x0
	s_barrier
	buffer_gl0_inv
	s_mov_b32 s8, exec_lo
	s_clause 0x1
	buffer_load_dword v50, v47, s[0:3], 0 offen
	buffer_load_dword v51, v47, s[0:3], 0 offen offset:4
	s_waitcnt vmcnt(0)
	v_cmpx_eq_f64_e32 0, v[50:51]
	s_cbranch_execz .LBB86_10
; %bb.7:
	v_mov_b32_e32 v48, 0
	s_mov_b32 s9, 0
	ds_read_b32 v50, v48 offset:184
	s_waitcnt lgkmcnt(0)
	v_readfirstlane_b32 s5, v50
	v_add_nc_u32_e32 v50, 1, v0
	s_cmp_eq_u32 s5, 0
	v_cmp_gt_i32_e32 vcc_lo, s5, v50
	s_cselect_b32 s14, -1, 0
	s_or_b32 s14, s14, vcc_lo
	s_and_b32 exec_lo, exec_lo, s14
	s_cbranch_execz .LBB86_10
; %bb.8:
	v_mov_b32_e32 v51, s5
.LBB86_9:                               ; =>This Inner Loop Header: Depth=1
	ds_cmpst_rtn_b32 v51, v48, v51, v50 offset:184
	s_waitcnt lgkmcnt(0)
	v_cmp_ne_u32_e32 vcc_lo, 0, v51
	v_cmp_le_i32_e64 s5, v51, v50
	s_and_b32 s5, vcc_lo, s5
	s_and_b32 s5, exec_lo, s5
	s_or_b32 s9, s5, s9
	s_andn2_b32 exec_lo, exec_lo, s9
	s_cbranch_execnz .LBB86_9
.LBB86_10:
	s_or_b32 exec_lo, exec_lo, s8
	v_mov_b32_e32 v48, 0
	s_barrier
	buffer_gl0_inv
	ds_read_b32 v50, v48 offset:184
	s_and_saveexec_b32 s5, s4
	s_cbranch_execz .LBB86_12
; %bb.11:
	s_lshl_b64 s[8:9], s[6:7], 2
	s_add_u32 s8, s10, s8
	s_addc_u32 s9, s11, s9
	s_waitcnt lgkmcnt(0)
	global_store_dword v48, v50, s[8:9]
.LBB86_12:
	s_or_b32 exec_lo, exec_lo, s5
	s_waitcnt lgkmcnt(0)
	v_cmp_ne_u32_e32 vcc_lo, 0, v50
	s_mov_b32 s5, 0
	s_cbranch_vccnz .LBB86_100
; %bb.13:
	s_clause 0x1
	buffer_load_dword v50, v47, s[0:3], 0 offen
	buffer_load_dword v51, v47, s[0:3], 0 offen offset:4
	s_waitcnt vmcnt(0)
	v_div_scale_f64 v[52:53], null, v[50:51], v[50:51], 1.0
	v_div_scale_f64 v[58:59], vcc_lo, 1.0, v[50:51], 1.0
	v_rcp_f64_e32 v[54:55], v[52:53]
	v_fma_f64 v[56:57], -v[52:53], v[54:55], 1.0
	v_fma_f64 v[54:55], v[54:55], v[56:57], v[54:55]
	v_fma_f64 v[56:57], -v[52:53], v[54:55], 1.0
	v_fma_f64 v[54:55], v[54:55], v[56:57], v[54:55]
	v_mul_f64 v[56:57], v[58:59], v[54:55]
	v_fma_f64 v[52:53], -v[52:53], v[56:57], v[58:59]
	v_div_fmas_f64 v[52:53], v[52:53], v[54:55], v[56:57]
	v_div_fixup_f64 v[51:52], v[52:53], v[50:51], 1.0
	v_add_nc_u32_e32 v50, 0xc0, v49
	buffer_store_dword v52, v47, s[0:3], 0 offen offset:4
	buffer_store_dword v51, v47, s[0:3], 0 offen
	s_clause 0x1
	buffer_load_dword v54, off, s[0:3], 0 offset:12
	buffer_load_dword v53, off, s[0:3], 0 offset:8
	v_xor_b32_e32 v52, 0x80000000, v52
	s_waitcnt vmcnt(0)
	ds_write2_b64 v49, v[51:52], v[53:54] offset1:24
	s_waitcnt lgkmcnt(0)
	s_waitcnt_vscnt null, 0x0
	s_barrier
	buffer_gl0_inv
	s_and_saveexec_b32 s5, s4
	s_cbranch_execz .LBB86_15
; %bb.14:
	s_clause 0x1
	buffer_load_dword v51, v47, s[0:3], 0 offen
	buffer_load_dword v52, v47, s[0:3], 0 offen offset:4
	ds_read_b64 v[53:54], v50
	v_mov_b32_e32 v48, 0
	ds_read_b64 v[55:56], v48 offset:8
	s_waitcnt vmcnt(0) lgkmcnt(1)
	v_fma_f64 v[51:52], v[51:52], v[53:54], 0
	s_waitcnt lgkmcnt(0)
	v_mul_f64 v[51:52], v[51:52], v[55:56]
	buffer_store_dword v51, off, s[0:3], 0 offset:8
	buffer_store_dword v52, off, s[0:3], 0 offset:12
.LBB86_15:
	s_or_b32 exec_lo, exec_lo, s5
	s_waitcnt_vscnt null, 0x0
	s_barrier
	buffer_gl0_inv
	s_clause 0x1
	buffer_load_dword v51, off, s[0:3], 0 offset:16
	buffer_load_dword v52, off, s[0:3], 0 offset:20
	s_mov_b32 s5, exec_lo
	s_waitcnt vmcnt(0)
	ds_write_b64 v50, v[51:52]
	s_waitcnt lgkmcnt(0)
	s_barrier
	buffer_gl0_inv
	v_cmpx_gt_u32_e32 2, v0
	s_cbranch_execz .LBB86_19
; %bb.16:
	s_clause 0x1
	buffer_load_dword v51, v47, s[0:3], 0 offen
	buffer_load_dword v52, v47, s[0:3], 0 offen offset:4
	ds_read_b64 v[47:48], v50
	s_waitcnt vmcnt(0) lgkmcnt(0)
	v_fma_f64 v[47:48], v[51:52], v[47:48], 0
	s_and_saveexec_b32 s8, s4
	s_cbranch_execz .LBB86_18
; %bb.17:
	s_clause 0x1
	buffer_load_dword v51, off, s[0:3], 0 offset:8
	buffer_load_dword v52, off, s[0:3], 0 offset:12
	v_mov_b32_e32 v53, 0
	ds_read_b64 v[53:54], v53 offset:200
	s_waitcnt vmcnt(0) lgkmcnt(0)
	v_fma_f64 v[47:48], v[51:52], v[53:54], v[47:48]
.LBB86_18:
	s_or_b32 exec_lo, exec_lo, s8
	v_mov_b32_e32 v51, 0
	ds_read_b64 v[51:52], v51 offset:16
	s_waitcnt lgkmcnt(0)
	v_mul_f64 v[47:48], v[47:48], v[51:52]
	buffer_store_dword v48, off, s[0:3], 0 offset:20
	buffer_store_dword v47, off, s[0:3], 0 offset:16
.LBB86_19:
	s_or_b32 exec_lo, exec_lo, s5
	s_waitcnt_vscnt null, 0x0
	s_barrier
	buffer_gl0_inv
	s_clause 0x1
	buffer_load_dword v47, off, s[0:3], 0 offset:24
	buffer_load_dword v48, off, s[0:3], 0 offset:28
	v_add_nc_u32_e32 v51, -1, v0
	s_mov_b32 s4, exec_lo
	s_waitcnt vmcnt(0)
	ds_write_b64 v50, v[47:48]
	s_waitcnt lgkmcnt(0)
	s_barrier
	buffer_gl0_inv
	v_cmpx_gt_u32_e32 3, v0
	s_cbranch_execz .LBB86_23
; %bb.20:
	v_mov_b32_e32 v47, 0
	v_add_nc_u32_e32 v52, -1, v0
	v_add_nc_u32_e32 v53, 0xc0, v49
	v_mov_b32_e32 v48, 0
	v_mov_b32_e32 v54, v49
	s_mov_b32 s5, 0
.LBB86_21:                              ; =>This Inner Loop Header: Depth=1
	s_clause 0x1
	buffer_load_dword v55, v54, s[0:3], 0 offen
	buffer_load_dword v56, v54, s[0:3], 0 offen offset:4
	ds_read_b64 v[57:58], v53
	v_add_nc_u32_e32 v52, 1, v52
	v_add_nc_u32_e32 v53, 8, v53
	v_add_nc_u32_e32 v54, 8, v54
	v_cmp_lt_u32_e32 vcc_lo, 1, v52
	s_or_b32 s5, vcc_lo, s5
	s_waitcnt vmcnt(0) lgkmcnt(0)
	v_fma_f64 v[47:48], v[55:56], v[57:58], v[47:48]
	s_andn2_b32 exec_lo, exec_lo, s5
	s_cbranch_execnz .LBB86_21
; %bb.22:
	s_or_b32 exec_lo, exec_lo, s5
	v_mov_b32_e32 v52, 0
	ds_read_b64 v[52:53], v52 offset:24
	s_waitcnt lgkmcnt(0)
	v_mul_f64 v[47:48], v[47:48], v[52:53]
	buffer_store_dword v48, off, s[0:3], 0 offset:28
	buffer_store_dword v47, off, s[0:3], 0 offset:24
.LBB86_23:
	s_or_b32 exec_lo, exec_lo, s4
	s_waitcnt_vscnt null, 0x0
	s_barrier
	buffer_gl0_inv
	s_clause 0x1
	buffer_load_dword v47, off, s[0:3], 0 offset:32
	buffer_load_dword v48, off, s[0:3], 0 offset:36
	s_mov_b32 s4, exec_lo
	s_waitcnt vmcnt(0)
	ds_write_b64 v50, v[47:48]
	s_waitcnt lgkmcnt(0)
	s_barrier
	buffer_gl0_inv
	v_cmpx_gt_u32_e32 4, v0
	s_cbranch_execz .LBB86_27
; %bb.24:
	v_mov_b32_e32 v47, 0
	v_add_nc_u32_e32 v52, -1, v0
	v_add_nc_u32_e32 v53, 0xc0, v49
	v_mov_b32_e32 v48, 0
	v_mov_b32_e32 v54, v49
	s_mov_b32 s5, 0
.LBB86_25:                              ; =>This Inner Loop Header: Depth=1
	s_clause 0x1
	buffer_load_dword v55, v54, s[0:3], 0 offen
	buffer_load_dword v56, v54, s[0:3], 0 offen offset:4
	ds_read_b64 v[57:58], v53
	v_add_nc_u32_e32 v52, 1, v52
	v_add_nc_u32_e32 v53, 8, v53
	v_add_nc_u32_e32 v54, 8, v54
	v_cmp_lt_u32_e32 vcc_lo, 2, v52
	s_or_b32 s5, vcc_lo, s5
	s_waitcnt vmcnt(0) lgkmcnt(0)
	v_fma_f64 v[47:48], v[55:56], v[57:58], v[47:48]
	s_andn2_b32 exec_lo, exec_lo, s5
	s_cbranch_execnz .LBB86_25
; %bb.26:
	s_or_b32 exec_lo, exec_lo, s5
	v_mov_b32_e32 v52, 0
	ds_read_b64 v[52:53], v52 offset:32
	s_waitcnt lgkmcnt(0)
	v_mul_f64 v[47:48], v[47:48], v[52:53]
	buffer_store_dword v48, off, s[0:3], 0 offset:36
	buffer_store_dword v47, off, s[0:3], 0 offset:32
.LBB86_27:
	s_or_b32 exec_lo, exec_lo, s4
	s_waitcnt_vscnt null, 0x0
	s_barrier
	buffer_gl0_inv
	s_clause 0x1
	buffer_load_dword v47, off, s[0:3], 0 offset:40
	buffer_load_dword v48, off, s[0:3], 0 offset:44
	;; [unrolled: 45-line block ×19, first 2 shown]
	s_mov_b32 s4, exec_lo
	s_waitcnt vmcnt(0)
	ds_write_b64 v50, v[47:48]
	s_waitcnt lgkmcnt(0)
	s_barrier
	buffer_gl0_inv
	v_cmpx_ne_u32_e32 22, v0
	s_cbranch_execz .LBB86_99
; %bb.96:
	v_mov_b32_e32 v47, 0
	v_mov_b32_e32 v48, 0
	s_mov_b32 s5, 0
.LBB86_97:                              ; =>This Inner Loop Header: Depth=1
	s_clause 0x1
	buffer_load_dword v52, v49, s[0:3], 0 offen
	buffer_load_dword v53, v49, s[0:3], 0 offen offset:4
	ds_read_b64 v[54:55], v50
	v_add_nc_u32_e32 v51, 1, v51
	v_add_nc_u32_e32 v50, 8, v50
	;; [unrolled: 1-line block ×3, first 2 shown]
	v_cmp_lt_u32_e32 vcc_lo, 20, v51
	s_or_b32 s5, vcc_lo, s5
	s_waitcnt vmcnt(0) lgkmcnt(0)
	v_fma_f64 v[47:48], v[52:53], v[54:55], v[47:48]
	s_andn2_b32 exec_lo, exec_lo, s5
	s_cbranch_execnz .LBB86_97
; %bb.98:
	s_or_b32 exec_lo, exec_lo, s5
	v_mov_b32_e32 v49, 0
	ds_read_b64 v[49:50], v49 offset:176
	s_waitcnt lgkmcnt(0)
	v_mul_f64 v[47:48], v[47:48], v[49:50]
	buffer_store_dword v48, off, s[0:3], 0 offset:180
	buffer_store_dword v47, off, s[0:3], 0 offset:176
.LBB86_99:
	s_or_b32 exec_lo, exec_lo, s4
	s_mov_b32 s5, -1
	s_waitcnt_vscnt null, 0x0
	s_barrier
	buffer_gl0_inv
.LBB86_100:
	s_and_b32 vcc_lo, exec_lo, s5
	s_cbranch_vccz .LBB86_102
; %bb.101:
	s_lshl_b64 s[4:5], s[6:7], 2
	v_mov_b32_e32 v47, 0
	s_add_u32 s4, s10, s4
	s_addc_u32 s5, s11, s5
	global_load_dword v47, v47, s[4:5]
	s_waitcnt vmcnt(0)
	v_cmp_ne_u32_e32 vcc_lo, 0, v47
	s_cbranch_vccz .LBB86_103
.LBB86_102:
	s_endpgm
.LBB86_103:
	v_lshl_add_u32 v47, v0, 3, 0xc0
	s_mov_b32 s4, exec_lo
	v_cmpx_eq_u32_e32 22, v0
	s_cbranch_execz .LBB86_105
; %bb.104:
	s_clause 0x1
	buffer_load_dword v48, off, s[0:3], 0 offset:168
	buffer_load_dword v49, off, s[0:3], 0 offset:172
	v_mov_b32_e32 v50, 0
	buffer_store_dword v50, off, s[0:3], 0 offset:168
	buffer_store_dword v50, off, s[0:3], 0 offset:172
	s_waitcnt vmcnt(0)
	ds_write_b64 v47, v[48:49]
.LBB86_105:
	s_or_b32 exec_lo, exec_lo, s4
	s_waitcnt lgkmcnt(0)
	s_waitcnt_vscnt null, 0x0
	s_barrier
	buffer_gl0_inv
	s_clause 0x3
	buffer_load_dword v49, off, s[0:3], 0 offset:176
	buffer_load_dword v50, off, s[0:3], 0 offset:180
	;; [unrolled: 1-line block ×4, first 2 shown]
	v_mov_b32_e32 v48, 0
	s_mov_b32 s4, exec_lo
	ds_read_b64 v[53:54], v48 offset:368
	s_waitcnt vmcnt(2) lgkmcnt(0)
	v_fma_f64 v[49:50], v[49:50], v[53:54], 0
	s_waitcnt vmcnt(0)
	v_add_f64 v[49:50], v[51:52], -v[49:50]
	buffer_store_dword v49, off, s[0:3], 0 offset:168
	buffer_store_dword v50, off, s[0:3], 0 offset:172
	v_cmpx_lt_u32_e32 20, v0
	s_cbranch_execz .LBB86_107
; %bb.106:
	s_clause 0x1
	buffer_load_dword v49, off, s[0:3], 0 offset:160
	buffer_load_dword v50, off, s[0:3], 0 offset:164
	buffer_store_dword v48, off, s[0:3], 0 offset:160
	buffer_store_dword v48, off, s[0:3], 0 offset:164
	s_waitcnt vmcnt(0)
	ds_write_b64 v47, v[49:50]
.LBB86_107:
	s_or_b32 exec_lo, exec_lo, s4
	s_waitcnt lgkmcnt(0)
	s_waitcnt_vscnt null, 0x0
	s_barrier
	buffer_gl0_inv
	s_clause 0x5
	buffer_load_dword v52, off, s[0:3], 0 offset:168
	buffer_load_dword v53, off, s[0:3], 0 offset:172
	buffer_load_dword v54, off, s[0:3], 0 offset:176
	buffer_load_dword v55, off, s[0:3], 0 offset:180
	buffer_load_dword v56, off, s[0:3], 0 offset:160
	buffer_load_dword v57, off, s[0:3], 0 offset:164
	ds_read2_b64 v[48:51], v48 offset0:45 offset1:46
	s_mov_b32 s4, exec_lo
	s_waitcnt vmcnt(4) lgkmcnt(0)
	v_fma_f64 v[48:49], v[52:53], v[48:49], 0
	s_waitcnt vmcnt(2)
	v_fma_f64 v[48:49], v[54:55], v[50:51], v[48:49]
	s_waitcnt vmcnt(0)
	v_add_f64 v[48:49], v[56:57], -v[48:49]
	buffer_store_dword v48, off, s[0:3], 0 offset:160
	buffer_store_dword v49, off, s[0:3], 0 offset:164
	v_cmpx_lt_u32_e32 19, v0
	s_cbranch_execz .LBB86_109
; %bb.108:
	s_clause 0x1
	buffer_load_dword v48, off, s[0:3], 0 offset:152
	buffer_load_dword v49, off, s[0:3], 0 offset:156
	v_mov_b32_e32 v50, 0
	buffer_store_dword v50, off, s[0:3], 0 offset:152
	buffer_store_dword v50, off, s[0:3], 0 offset:156
	s_waitcnt vmcnt(0)
	ds_write_b64 v47, v[48:49]
.LBB86_109:
	s_or_b32 exec_lo, exec_lo, s4
	s_waitcnt lgkmcnt(0)
	s_waitcnt_vscnt null, 0x0
	s_barrier
	buffer_gl0_inv
	s_clause 0x7
	buffer_load_dword v53, off, s[0:3], 0 offset:160
	buffer_load_dword v54, off, s[0:3], 0 offset:164
	;; [unrolled: 1-line block ×8, first 2 shown]
	v_mov_b32_e32 v48, 0
	ds_read_b128 v[49:52], v48 offset:352
	ds_read_b64 v[61:62], v48 offset:368
	s_mov_b32 s4, exec_lo
	s_waitcnt vmcnt(6) lgkmcnt(1)
	v_fma_f64 v[49:50], v[53:54], v[49:50], 0
	s_waitcnt vmcnt(4)
	v_fma_f64 v[49:50], v[55:56], v[51:52], v[49:50]
	s_waitcnt vmcnt(2) lgkmcnt(0)
	v_fma_f64 v[49:50], v[57:58], v[61:62], v[49:50]
	s_waitcnt vmcnt(0)
	v_add_f64 v[49:50], v[59:60], -v[49:50]
	buffer_store_dword v49, off, s[0:3], 0 offset:152
	buffer_store_dword v50, off, s[0:3], 0 offset:156
	v_cmpx_lt_u32_e32 18, v0
	s_cbranch_execz .LBB86_111
; %bb.110:
	s_clause 0x1
	buffer_load_dword v49, off, s[0:3], 0 offset:144
	buffer_load_dword v50, off, s[0:3], 0 offset:148
	buffer_store_dword v48, off, s[0:3], 0 offset:144
	buffer_store_dword v48, off, s[0:3], 0 offset:148
	s_waitcnt vmcnt(0)
	ds_write_b64 v47, v[49:50]
.LBB86_111:
	s_or_b32 exec_lo, exec_lo, s4
	s_waitcnt lgkmcnt(0)
	s_waitcnt_vscnt null, 0x0
	s_barrier
	buffer_gl0_inv
	s_clause 0x9
	buffer_load_dword v57, off, s[0:3], 0 offset:152
	buffer_load_dword v58, off, s[0:3], 0 offset:156
	;; [unrolled: 1-line block ×10, first 2 shown]
	ds_read2_b64 v[49:52], v48 offset0:43 offset1:44
	ds_read2_b64 v[53:56], v48 offset0:45 offset1:46
	s_mov_b32 s4, exec_lo
	s_waitcnt vmcnt(8) lgkmcnt(1)
	v_fma_f64 v[48:49], v[57:58], v[49:50], 0
	s_waitcnt vmcnt(6)
	v_fma_f64 v[48:49], v[59:60], v[51:52], v[48:49]
	s_waitcnt vmcnt(4) lgkmcnt(0)
	v_fma_f64 v[48:49], v[61:62], v[53:54], v[48:49]
	s_waitcnt vmcnt(2)
	v_fma_f64 v[48:49], v[63:64], v[55:56], v[48:49]
	s_waitcnt vmcnt(0)
	v_add_f64 v[48:49], v[65:66], -v[48:49]
	buffer_store_dword v48, off, s[0:3], 0 offset:144
	buffer_store_dword v49, off, s[0:3], 0 offset:148
	v_cmpx_lt_u32_e32 17, v0
	s_cbranch_execz .LBB86_113
; %bb.112:
	s_clause 0x1
	buffer_load_dword v48, off, s[0:3], 0 offset:136
	buffer_load_dword v49, off, s[0:3], 0 offset:140
	v_mov_b32_e32 v50, 0
	buffer_store_dword v50, off, s[0:3], 0 offset:136
	buffer_store_dword v50, off, s[0:3], 0 offset:140
	s_waitcnt vmcnt(0)
	ds_write_b64 v47, v[48:49]
.LBB86_113:
	s_or_b32 exec_lo, exec_lo, s4
	s_waitcnt lgkmcnt(0)
	s_waitcnt_vscnt null, 0x0
	s_barrier
	buffer_gl0_inv
	s_clause 0xb
	buffer_load_dword v57, off, s[0:3], 0 offset:144
	buffer_load_dword v58, off, s[0:3], 0 offset:148
	;; [unrolled: 1-line block ×12, first 2 shown]
	v_mov_b32_e32 v48, 0
	ds_read_b128 v[49:52], v48 offset:336
	ds_read_b128 v[53:56], v48 offset:352
	s_mov_b32 s4, exec_lo
	s_waitcnt vmcnt(10) lgkmcnt(1)
	v_fma_f64 v[49:50], v[57:58], v[49:50], 0
	s_waitcnt vmcnt(8)
	v_fma_f64 v[49:50], v[59:60], v[51:52], v[49:50]
	ds_read_b64 v[51:52], v48 offset:368
	s_waitcnt vmcnt(6) lgkmcnt(1)
	v_fma_f64 v[49:50], v[61:62], v[53:54], v[49:50]
	s_waitcnt vmcnt(4)
	v_fma_f64 v[49:50], v[63:64], v[55:56], v[49:50]
	s_waitcnt vmcnt(2) lgkmcnt(0)
	v_fma_f64 v[49:50], v[65:66], v[51:52], v[49:50]
	s_waitcnt vmcnt(0)
	v_add_f64 v[49:50], v[67:68], -v[49:50]
	buffer_store_dword v49, off, s[0:3], 0 offset:136
	buffer_store_dword v50, off, s[0:3], 0 offset:140
	v_cmpx_lt_u32_e32 16, v0
	s_cbranch_execz .LBB86_115
; %bb.114:
	s_clause 0x1
	buffer_load_dword v49, off, s[0:3], 0 offset:128
	buffer_load_dword v50, off, s[0:3], 0 offset:132
	buffer_store_dword v48, off, s[0:3], 0 offset:128
	buffer_store_dword v48, off, s[0:3], 0 offset:132
	s_waitcnt vmcnt(0)
	ds_write_b64 v47, v[49:50]
.LBB86_115:
	s_or_b32 exec_lo, exec_lo, s4
	s_waitcnt lgkmcnt(0)
	s_waitcnt_vscnt null, 0x0
	s_barrier
	buffer_gl0_inv
	s_clause 0xd
	buffer_load_dword v57, off, s[0:3], 0 offset:136
	buffer_load_dword v58, off, s[0:3], 0 offset:140
	;; [unrolled: 1-line block ×14, first 2 shown]
	ds_read2_b64 v[49:52], v48 offset0:41 offset1:42
	ds_read2_b64 v[53:56], v48 offset0:43 offset1:44
	s_mov_b32 s4, exec_lo
	s_waitcnt vmcnt(12) lgkmcnt(1)
	v_fma_f64 v[49:50], v[57:58], v[49:50], 0
	s_waitcnt vmcnt(10)
	v_fma_f64 v[49:50], v[59:60], v[51:52], v[49:50]
	s_waitcnt vmcnt(8) lgkmcnt(0)
	v_fma_f64 v[49:50], v[61:62], v[53:54], v[49:50]
	s_waitcnt vmcnt(6)
	v_fma_f64 v[52:53], v[63:64], v[55:56], v[49:50]
	ds_read2_b64 v[48:51], v48 offset0:45 offset1:46
	s_waitcnt vmcnt(4) lgkmcnt(0)
	v_fma_f64 v[48:49], v[65:66], v[48:49], v[52:53]
	s_waitcnt vmcnt(2)
	v_fma_f64 v[48:49], v[67:68], v[50:51], v[48:49]
	s_waitcnt vmcnt(0)
	v_add_f64 v[48:49], v[69:70], -v[48:49]
	buffer_store_dword v48, off, s[0:3], 0 offset:128
	buffer_store_dword v49, off, s[0:3], 0 offset:132
	v_cmpx_lt_u32_e32 15, v0
	s_cbranch_execz .LBB86_117
; %bb.116:
	s_clause 0x1
	buffer_load_dword v48, off, s[0:3], 0 offset:120
	buffer_load_dword v49, off, s[0:3], 0 offset:124
	v_mov_b32_e32 v50, 0
	buffer_store_dword v50, off, s[0:3], 0 offset:120
	buffer_store_dword v50, off, s[0:3], 0 offset:124
	s_waitcnt vmcnt(0)
	ds_write_b64 v47, v[48:49]
.LBB86_117:
	s_or_b32 exec_lo, exec_lo, s4
	s_waitcnt lgkmcnt(0)
	s_waitcnt_vscnt null, 0x0
	s_barrier
	buffer_gl0_inv
	s_clause 0xf
	buffer_load_dword v57, off, s[0:3], 0 offset:128
	buffer_load_dword v58, off, s[0:3], 0 offset:132
	;; [unrolled: 1-line block ×16, first 2 shown]
	v_mov_b32_e32 v48, 0
	ds_read_b128 v[49:52], v48 offset:320
	ds_read_b128 v[53:56], v48 offset:336
	s_mov_b32 s4, exec_lo
	s_waitcnt vmcnt(14) lgkmcnt(1)
	v_fma_f64 v[49:50], v[57:58], v[49:50], 0
	s_waitcnt vmcnt(12)
	v_fma_f64 v[49:50], v[59:60], v[51:52], v[49:50]
	s_waitcnt vmcnt(10) lgkmcnt(0)
	v_fma_f64 v[49:50], v[61:62], v[53:54], v[49:50]
	s_waitcnt vmcnt(8)
	v_fma_f64 v[53:54], v[63:64], v[55:56], v[49:50]
	ds_read_b128 v[49:52], v48 offset:352
	ds_read_b64 v[55:56], v48 offset:368
	s_waitcnt vmcnt(6) lgkmcnt(1)
	v_fma_f64 v[49:50], v[65:66], v[49:50], v[53:54]
	s_waitcnt vmcnt(4)
	v_fma_f64 v[49:50], v[67:68], v[51:52], v[49:50]
	s_waitcnt vmcnt(2) lgkmcnt(0)
	v_fma_f64 v[49:50], v[69:70], v[55:56], v[49:50]
	s_waitcnt vmcnt(0)
	v_add_f64 v[49:50], v[71:72], -v[49:50]
	buffer_store_dword v49, off, s[0:3], 0 offset:120
	buffer_store_dword v50, off, s[0:3], 0 offset:124
	v_cmpx_lt_u32_e32 14, v0
	s_cbranch_execz .LBB86_119
; %bb.118:
	s_clause 0x1
	buffer_load_dword v49, off, s[0:3], 0 offset:112
	buffer_load_dword v50, off, s[0:3], 0 offset:116
	buffer_store_dword v48, off, s[0:3], 0 offset:112
	buffer_store_dword v48, off, s[0:3], 0 offset:116
	s_waitcnt vmcnt(0)
	ds_write_b64 v47, v[49:50]
.LBB86_119:
	s_or_b32 exec_lo, exec_lo, s4
	s_waitcnt lgkmcnt(0)
	s_waitcnt_vscnt null, 0x0
	s_barrier
	buffer_gl0_inv
	s_clause 0x11
	buffer_load_dword v57, off, s[0:3], 0 offset:120
	buffer_load_dword v58, off, s[0:3], 0 offset:124
	;; [unrolled: 1-line block ×18, first 2 shown]
	ds_read2_b64 v[49:52], v48 offset0:39 offset1:40
	ds_read2_b64 v[53:56], v48 offset0:41 offset1:42
	s_mov_b32 s4, exec_lo
	s_waitcnt vmcnt(16) lgkmcnt(1)
	v_fma_f64 v[49:50], v[57:58], v[49:50], 0
	s_waitcnt vmcnt(14)
	v_fma_f64 v[49:50], v[59:60], v[51:52], v[49:50]
	s_waitcnt vmcnt(12) lgkmcnt(0)
	v_fma_f64 v[49:50], v[61:62], v[53:54], v[49:50]
	s_waitcnt vmcnt(10)
	v_fma_f64 v[57:58], v[63:64], v[55:56], v[49:50]
	ds_read2_b64 v[49:52], v48 offset0:43 offset1:44
	ds_read2_b64 v[53:56], v48 offset0:45 offset1:46
	s_waitcnt vmcnt(8) lgkmcnt(1)
	v_fma_f64 v[48:49], v[65:66], v[49:50], v[57:58]
	s_waitcnt vmcnt(6)
	v_fma_f64 v[48:49], v[67:68], v[51:52], v[48:49]
	s_waitcnt vmcnt(4) lgkmcnt(0)
	v_fma_f64 v[48:49], v[69:70], v[53:54], v[48:49]
	s_waitcnt vmcnt(2)
	v_fma_f64 v[48:49], v[71:72], v[55:56], v[48:49]
	s_waitcnt vmcnt(0)
	v_add_f64 v[48:49], v[73:74], -v[48:49]
	buffer_store_dword v48, off, s[0:3], 0 offset:112
	buffer_store_dword v49, off, s[0:3], 0 offset:116
	v_cmpx_lt_u32_e32 13, v0
	s_cbranch_execz .LBB86_121
; %bb.120:
	s_clause 0x1
	buffer_load_dword v48, off, s[0:3], 0 offset:104
	buffer_load_dword v49, off, s[0:3], 0 offset:108
	v_mov_b32_e32 v50, 0
	buffer_store_dword v50, off, s[0:3], 0 offset:104
	buffer_store_dword v50, off, s[0:3], 0 offset:108
	s_waitcnt vmcnt(0)
	ds_write_b64 v47, v[48:49]
.LBB86_121:
	s_or_b32 exec_lo, exec_lo, s4
	s_waitcnt lgkmcnt(0)
	s_waitcnt_vscnt null, 0x0
	s_barrier
	buffer_gl0_inv
	s_clause 0x13
	buffer_load_dword v57, off, s[0:3], 0 offset:112
	buffer_load_dword v58, off, s[0:3], 0 offset:116
	;; [unrolled: 1-line block ×20, first 2 shown]
	v_mov_b32_e32 v48, 0
	ds_read_b128 v[49:52], v48 offset:304
	ds_read_b128 v[53:56], v48 offset:320
	s_mov_b32 s4, exec_lo
	s_waitcnt vmcnt(18) lgkmcnt(1)
	v_fma_f64 v[49:50], v[57:58], v[49:50], 0
	s_waitcnt vmcnt(16)
	v_fma_f64 v[49:50], v[59:60], v[51:52], v[49:50]
	s_waitcnt vmcnt(14) lgkmcnt(0)
	v_fma_f64 v[49:50], v[61:62], v[53:54], v[49:50]
	s_waitcnt vmcnt(12)
	v_fma_f64 v[57:58], v[63:64], v[55:56], v[49:50]
	ds_read_b128 v[49:52], v48 offset:336
	ds_read_b128 v[53:56], v48 offset:352
	s_waitcnt vmcnt(10) lgkmcnt(1)
	v_fma_f64 v[49:50], v[65:66], v[49:50], v[57:58]
	s_waitcnt vmcnt(8)
	v_fma_f64 v[49:50], v[67:68], v[51:52], v[49:50]
	ds_read_b64 v[51:52], v48 offset:368
	s_waitcnt vmcnt(6) lgkmcnt(1)
	v_fma_f64 v[49:50], v[69:70], v[53:54], v[49:50]
	s_waitcnt vmcnt(3)
	v_fma_f64 v[49:50], v[71:72], v[55:56], v[49:50]
	s_waitcnt vmcnt(2) lgkmcnt(0)
	v_fma_f64 v[49:50], v[73:74], v[51:52], v[49:50]
	s_waitcnt vmcnt(0)
	v_add_f64 v[49:50], v[75:76], -v[49:50]
	buffer_store_dword v49, off, s[0:3], 0 offset:104
	buffer_store_dword v50, off, s[0:3], 0 offset:108
	v_cmpx_lt_u32_e32 12, v0
	s_cbranch_execz .LBB86_123
; %bb.122:
	s_clause 0x1
	buffer_load_dword v49, off, s[0:3], 0 offset:96
	buffer_load_dword v50, off, s[0:3], 0 offset:100
	buffer_store_dword v48, off, s[0:3], 0 offset:96
	buffer_store_dword v48, off, s[0:3], 0 offset:100
	s_waitcnt vmcnt(0)
	ds_write_b64 v47, v[49:50]
.LBB86_123:
	s_or_b32 exec_lo, exec_lo, s4
	s_waitcnt lgkmcnt(0)
	s_waitcnt_vscnt null, 0x0
	s_barrier
	buffer_gl0_inv
	s_clause 0x15
	buffer_load_dword v57, off, s[0:3], 0 offset:104
	buffer_load_dword v58, off, s[0:3], 0 offset:108
	;; [unrolled: 1-line block ×22, first 2 shown]
	ds_read2_b64 v[49:52], v48 offset0:37 offset1:38
	ds_read2_b64 v[53:56], v48 offset0:39 offset1:40
	s_mov_b32 s4, exec_lo
	s_waitcnt vmcnt(20) lgkmcnt(1)
	v_fma_f64 v[49:50], v[57:58], v[49:50], 0
	s_waitcnt vmcnt(18)
	v_fma_f64 v[49:50], v[59:60], v[51:52], v[49:50]
	s_waitcnt vmcnt(16) lgkmcnt(0)
	v_fma_f64 v[49:50], v[61:62], v[53:54], v[49:50]
	s_waitcnt vmcnt(14)
	v_fma_f64 v[57:58], v[63:64], v[55:56], v[49:50]
	ds_read2_b64 v[49:52], v48 offset0:41 offset1:42
	ds_read2_b64 v[53:56], v48 offset0:43 offset1:44
	s_waitcnt vmcnt(12) lgkmcnt(1)
	v_fma_f64 v[49:50], v[65:66], v[49:50], v[57:58]
	s_waitcnt vmcnt(10)
	v_fma_f64 v[49:50], v[67:68], v[51:52], v[49:50]
	s_waitcnt vmcnt(8) lgkmcnt(0)
	v_fma_f64 v[49:50], v[69:70], v[53:54], v[49:50]
	s_waitcnt vmcnt(4)
	v_fma_f64 v[52:53], v[71:72], v[55:56], v[49:50]
	ds_read2_b64 v[48:51], v48 offset0:45 offset1:46
	s_waitcnt vmcnt(3) lgkmcnt(0)
	v_fma_f64 v[48:49], v[75:76], v[48:49], v[52:53]
	s_waitcnt vmcnt(2)
	v_fma_f64 v[48:49], v[73:74], v[50:51], v[48:49]
	s_waitcnt vmcnt(0)
	v_add_f64 v[48:49], v[77:78], -v[48:49]
	buffer_store_dword v48, off, s[0:3], 0 offset:96
	buffer_store_dword v49, off, s[0:3], 0 offset:100
	v_cmpx_lt_u32_e32 11, v0
	s_cbranch_execz .LBB86_125
; %bb.124:
	s_clause 0x1
	buffer_load_dword v48, off, s[0:3], 0 offset:88
	buffer_load_dword v49, off, s[0:3], 0 offset:92
	v_mov_b32_e32 v50, 0
	buffer_store_dword v50, off, s[0:3], 0 offset:88
	buffer_store_dword v50, off, s[0:3], 0 offset:92
	s_waitcnt vmcnt(0)
	ds_write_b64 v47, v[48:49]
.LBB86_125:
	s_or_b32 exec_lo, exec_lo, s4
	s_waitcnt lgkmcnt(0)
	s_waitcnt_vscnt null, 0x0
	s_barrier
	buffer_gl0_inv
	s_clause 0x17
	buffer_load_dword v57, off, s[0:3], 0 offset:96
	buffer_load_dword v58, off, s[0:3], 0 offset:100
	;; [unrolled: 1-line block ×24, first 2 shown]
	v_mov_b32_e32 v48, 0
	ds_read_b128 v[49:52], v48 offset:288
	ds_read_b128 v[53:56], v48 offset:304
	s_mov_b32 s4, exec_lo
	s_waitcnt vmcnt(22) lgkmcnt(1)
	v_fma_f64 v[49:50], v[57:58], v[49:50], 0
	s_waitcnt vmcnt(20)
	v_fma_f64 v[49:50], v[59:60], v[51:52], v[49:50]
	s_waitcnt vmcnt(18) lgkmcnt(0)
	v_fma_f64 v[49:50], v[61:62], v[53:54], v[49:50]
	s_waitcnt vmcnt(16)
	v_fma_f64 v[57:58], v[63:64], v[55:56], v[49:50]
	ds_read_b128 v[49:52], v48 offset:320
	ds_read_b128 v[53:56], v48 offset:336
	s_waitcnt vmcnt(14) lgkmcnt(1)
	v_fma_f64 v[49:50], v[65:66], v[49:50], v[57:58]
	s_waitcnt vmcnt(12)
	v_fma_f64 v[49:50], v[67:68], v[51:52], v[49:50]
	s_waitcnt vmcnt(10) lgkmcnt(0)
	v_fma_f64 v[49:50], v[69:70], v[53:54], v[49:50]
	s_waitcnt vmcnt(5)
	v_fma_f64 v[53:54], v[71:72], v[55:56], v[49:50]
	ds_read_b128 v[49:52], v48 offset:352
	ds_read_b64 v[55:56], v48 offset:368
	s_waitcnt vmcnt(4) lgkmcnt(1)
	v_fma_f64 v[49:50], v[77:78], v[49:50], v[53:54]
	s_waitcnt vmcnt(3)
	v_fma_f64 v[49:50], v[75:76], v[51:52], v[49:50]
	s_waitcnt vmcnt(2) lgkmcnt(0)
	v_fma_f64 v[49:50], v[73:74], v[55:56], v[49:50]
	s_waitcnt vmcnt(0)
	v_add_f64 v[49:50], v[79:80], -v[49:50]
	buffer_store_dword v50, off, s[0:3], 0 offset:92
	buffer_store_dword v49, off, s[0:3], 0 offset:88
	v_cmpx_lt_u32_e32 10, v0
	s_cbranch_execz .LBB86_127
; %bb.126:
	s_clause 0x1
	buffer_load_dword v49, off, s[0:3], 0 offset:80
	buffer_load_dword v50, off, s[0:3], 0 offset:84
	buffer_store_dword v48, off, s[0:3], 0 offset:80
	buffer_store_dword v48, off, s[0:3], 0 offset:84
	s_waitcnt vmcnt(0)
	ds_write_b64 v47, v[49:50]
.LBB86_127:
	s_or_b32 exec_lo, exec_lo, s4
	s_waitcnt lgkmcnt(0)
	s_waitcnt_vscnt null, 0x0
	s_barrier
	buffer_gl0_inv
	s_clause 0x19
	buffer_load_dword v57, off, s[0:3], 0 offset:88
	buffer_load_dword v58, off, s[0:3], 0 offset:92
	;; [unrolled: 1-line block ×26, first 2 shown]
	ds_read2_b64 v[49:52], v48 offset0:35 offset1:36
	ds_read2_b64 v[53:56], v48 offset0:37 offset1:38
	s_mov_b32 s4, exec_lo
	s_waitcnt vmcnt(24) lgkmcnt(1)
	v_fma_f64 v[49:50], v[57:58], v[49:50], 0
	s_waitcnt vmcnt(22)
	v_fma_f64 v[49:50], v[59:60], v[51:52], v[49:50]
	s_waitcnt vmcnt(20) lgkmcnt(0)
	v_fma_f64 v[49:50], v[61:62], v[53:54], v[49:50]
	s_waitcnt vmcnt(18)
	v_fma_f64 v[57:58], v[63:64], v[55:56], v[49:50]
	ds_read2_b64 v[49:52], v48 offset0:39 offset1:40
	ds_read2_b64 v[53:56], v48 offset0:41 offset1:42
	s_waitcnt vmcnt(16) lgkmcnt(1)
	v_fma_f64 v[49:50], v[65:66], v[49:50], v[57:58]
	s_waitcnt vmcnt(14)
	v_fma_f64 v[49:50], v[67:68], v[51:52], v[49:50]
	s_waitcnt vmcnt(12) lgkmcnt(0)
	v_fma_f64 v[49:50], v[69:70], v[53:54], v[49:50]
	s_waitcnt vmcnt(7)
	v_fma_f64 v[57:58], v[71:72], v[55:56], v[49:50]
	ds_read2_b64 v[49:52], v48 offset0:43 offset1:44
	ds_read2_b64 v[53:56], v48 offset0:45 offset1:46
	s_waitcnt vmcnt(6) lgkmcnt(1)
	v_fma_f64 v[48:49], v[77:78], v[49:50], v[57:58]
	s_waitcnt vmcnt(5)
	v_fma_f64 v[48:49], v[75:76], v[51:52], v[48:49]
	s_waitcnt vmcnt(4) lgkmcnt(0)
	v_fma_f64 v[48:49], v[73:74], v[53:54], v[48:49]
	s_waitcnt vmcnt(2)
	v_fma_f64 v[48:49], v[79:80], v[55:56], v[48:49]
	s_waitcnt vmcnt(0)
	v_add_f64 v[48:49], v[81:82], -v[48:49]
	buffer_store_dword v49, off, s[0:3], 0 offset:84
	buffer_store_dword v48, off, s[0:3], 0 offset:80
	v_cmpx_lt_u32_e32 9, v0
	s_cbranch_execz .LBB86_129
; %bb.128:
	s_clause 0x1
	buffer_load_dword v48, off, s[0:3], 0 offset:72
	buffer_load_dword v49, off, s[0:3], 0 offset:76
	v_mov_b32_e32 v50, 0
	buffer_store_dword v50, off, s[0:3], 0 offset:72
	buffer_store_dword v50, off, s[0:3], 0 offset:76
	s_waitcnt vmcnt(0)
	ds_write_b64 v47, v[48:49]
.LBB86_129:
	s_or_b32 exec_lo, exec_lo, s4
	s_waitcnt lgkmcnt(0)
	s_waitcnt_vscnt null, 0x0
	s_barrier
	buffer_gl0_inv
	s_clause 0x1b
	buffer_load_dword v57, off, s[0:3], 0 offset:80
	buffer_load_dword v58, off, s[0:3], 0 offset:84
	;; [unrolled: 1-line block ×28, first 2 shown]
	v_mov_b32_e32 v48, 0
	ds_read_b128 v[49:52], v48 offset:272
	ds_read_b128 v[53:56], v48 offset:288
	s_mov_b32 s4, exec_lo
	s_waitcnt vmcnt(26) lgkmcnt(1)
	v_fma_f64 v[49:50], v[57:58], v[49:50], 0
	s_waitcnt vmcnt(24)
	v_fma_f64 v[49:50], v[59:60], v[51:52], v[49:50]
	s_waitcnt vmcnt(22) lgkmcnt(0)
	v_fma_f64 v[49:50], v[61:62], v[53:54], v[49:50]
	s_waitcnt vmcnt(20)
	v_fma_f64 v[57:58], v[63:64], v[55:56], v[49:50]
	ds_read_b128 v[49:52], v48 offset:304
	ds_read_b128 v[53:56], v48 offset:320
	s_waitcnt vmcnt(18) lgkmcnt(1)
	v_fma_f64 v[49:50], v[65:66], v[49:50], v[57:58]
	s_waitcnt vmcnt(16)
	v_fma_f64 v[49:50], v[67:68], v[51:52], v[49:50]
	s_waitcnt vmcnt(14) lgkmcnt(0)
	v_fma_f64 v[49:50], v[69:70], v[53:54], v[49:50]
	s_waitcnt vmcnt(9)
	v_fma_f64 v[57:58], v[71:72], v[55:56], v[49:50]
	ds_read_b128 v[49:52], v48 offset:336
	ds_read_b128 v[53:56], v48 offset:352
	s_waitcnt vmcnt(8) lgkmcnt(1)
	v_fma_f64 v[49:50], v[77:78], v[49:50], v[57:58]
	s_waitcnt vmcnt(7)
	v_fma_f64 v[49:50], v[75:76], v[51:52], v[49:50]
	ds_read_b64 v[51:52], v48 offset:368
	s_waitcnt vmcnt(6) lgkmcnt(1)
	v_fma_f64 v[49:50], v[73:74], v[53:54], v[49:50]
	s_waitcnt vmcnt(3)
	v_fma_f64 v[49:50], v[79:80], v[55:56], v[49:50]
	s_waitcnt vmcnt(2) lgkmcnt(0)
	v_fma_f64 v[49:50], v[81:82], v[51:52], v[49:50]
	s_waitcnt vmcnt(0)
	v_add_f64 v[49:50], v[83:84], -v[49:50]
	buffer_store_dword v50, off, s[0:3], 0 offset:76
	buffer_store_dword v49, off, s[0:3], 0 offset:72
	v_cmpx_lt_u32_e32 8, v0
	s_cbranch_execz .LBB86_131
; %bb.130:
	s_clause 0x1
	buffer_load_dword v49, off, s[0:3], 0 offset:64
	buffer_load_dword v50, off, s[0:3], 0 offset:68
	buffer_store_dword v48, off, s[0:3], 0 offset:64
	buffer_store_dword v48, off, s[0:3], 0 offset:68
	s_waitcnt vmcnt(0)
	ds_write_b64 v47, v[49:50]
.LBB86_131:
	s_or_b32 exec_lo, exec_lo, s4
	s_waitcnt lgkmcnt(0)
	s_waitcnt_vscnt null, 0x0
	s_barrier
	buffer_gl0_inv
	s_clause 0x1b
	buffer_load_dword v57, off, s[0:3], 0 offset:72
	buffer_load_dword v58, off, s[0:3], 0 offset:76
	;; [unrolled: 1-line block ×28, first 2 shown]
	ds_read2_b64 v[49:52], v48 offset0:33 offset1:34
	s_clause 0x1
	buffer_load_dword v85, off, s[0:3], 0 offset:64
	buffer_load_dword v86, off, s[0:3], 0 offset:68
	ds_read2_b64 v[53:56], v48 offset0:35 offset1:36
	s_mov_b32 s4, exec_lo
	s_waitcnt vmcnt(28) lgkmcnt(1)
	v_fma_f64 v[49:50], v[57:58], v[49:50], 0
	s_waitcnt vmcnt(26)
	v_fma_f64 v[49:50], v[59:60], v[51:52], v[49:50]
	s_waitcnt vmcnt(24) lgkmcnt(0)
	v_fma_f64 v[49:50], v[61:62], v[53:54], v[49:50]
	s_waitcnt vmcnt(22)
	v_fma_f64 v[57:58], v[63:64], v[55:56], v[49:50]
	ds_read2_b64 v[49:52], v48 offset0:37 offset1:38
	ds_read2_b64 v[53:56], v48 offset0:39 offset1:40
	s_waitcnt vmcnt(20) lgkmcnt(1)
	v_fma_f64 v[49:50], v[65:66], v[49:50], v[57:58]
	s_waitcnt vmcnt(18)
	v_fma_f64 v[49:50], v[67:68], v[51:52], v[49:50]
	s_waitcnt vmcnt(16) lgkmcnt(0)
	v_fma_f64 v[49:50], v[69:70], v[53:54], v[49:50]
	s_waitcnt vmcnt(11)
	v_fma_f64 v[57:58], v[71:72], v[55:56], v[49:50]
	ds_read2_b64 v[49:52], v48 offset0:41 offset1:42
	ds_read2_b64 v[53:56], v48 offset0:43 offset1:44
	s_waitcnt vmcnt(10) lgkmcnt(1)
	v_fma_f64 v[49:50], v[77:78], v[49:50], v[57:58]
	s_waitcnt vmcnt(9)
	v_fma_f64 v[49:50], v[75:76], v[51:52], v[49:50]
	s_waitcnt vmcnt(8) lgkmcnt(0)
	v_fma_f64 v[49:50], v[73:74], v[53:54], v[49:50]
	s_waitcnt vmcnt(4)
	v_fma_f64 v[52:53], v[79:80], v[55:56], v[49:50]
	ds_read2_b64 v[48:51], v48 offset0:45 offset1:46
	s_waitcnt vmcnt(3) lgkmcnt(0)
	v_fma_f64 v[48:49], v[83:84], v[48:49], v[52:53]
	s_waitcnt vmcnt(2)
	v_fma_f64 v[48:49], v[81:82], v[50:51], v[48:49]
	s_waitcnt vmcnt(0)
	v_add_f64 v[48:49], v[85:86], -v[48:49]
	buffer_store_dword v49, off, s[0:3], 0 offset:68
	buffer_store_dword v48, off, s[0:3], 0 offset:64
	v_cmpx_lt_u32_e32 7, v0
	s_cbranch_execz .LBB86_133
; %bb.132:
	s_clause 0x1
	buffer_load_dword v48, off, s[0:3], 0 offset:56
	buffer_load_dword v49, off, s[0:3], 0 offset:60
	v_mov_b32_e32 v50, 0
	buffer_store_dword v50, off, s[0:3], 0 offset:56
	buffer_store_dword v50, off, s[0:3], 0 offset:60
	s_waitcnt vmcnt(0)
	ds_write_b64 v47, v[48:49]
.LBB86_133:
	s_or_b32 exec_lo, exec_lo, s4
	s_waitcnt lgkmcnt(0)
	s_waitcnt_vscnt null, 0x0
	s_barrier
	buffer_gl0_inv
	s_clause 0x1c
	buffer_load_dword v57, off, s[0:3], 0 offset:64
	buffer_load_dword v58, off, s[0:3], 0 offset:68
	;; [unrolled: 1-line block ×29, first 2 shown]
	v_mov_b32_e32 v48, 0
	buffer_load_dword v82, off, s[0:3], 0 offset:180
	s_mov_b32 s4, exec_lo
	ds_read_b128 v[49:52], v48 offset:256
	ds_read_b128 v[53:56], v48 offset:272
	s_waitcnt vmcnt(28) lgkmcnt(1)
	v_fma_f64 v[49:50], v[57:58], v[49:50], 0
	s_clause 0x1
	buffer_load_dword v57, off, s[0:3], 0 offset:56
	buffer_load_dword v58, off, s[0:3], 0 offset:60
	s_waitcnt vmcnt(28)
	v_fma_f64 v[49:50], v[59:60], v[51:52], v[49:50]
	s_waitcnt vmcnt(26) lgkmcnt(0)
	v_fma_f64 v[49:50], v[61:62], v[53:54], v[49:50]
	s_waitcnt vmcnt(24)
	v_fma_f64 v[59:60], v[63:64], v[55:56], v[49:50]
	ds_read_b128 v[49:52], v48 offset:288
	ds_read_b128 v[53:56], v48 offset:304
	s_waitcnt vmcnt(22) lgkmcnt(1)
	v_fma_f64 v[49:50], v[65:66], v[49:50], v[59:60]
	s_waitcnt vmcnt(20)
	v_fma_f64 v[49:50], v[67:68], v[51:52], v[49:50]
	s_waitcnt vmcnt(18) lgkmcnt(0)
	v_fma_f64 v[49:50], v[69:70], v[53:54], v[49:50]
	s_waitcnt vmcnt(13)
	v_fma_f64 v[59:60], v[71:72], v[55:56], v[49:50]
	ds_read_b128 v[49:52], v48 offset:320
	ds_read_b128 v[53:56], v48 offset:336
	s_waitcnt vmcnt(12) lgkmcnt(1)
	v_fma_f64 v[49:50], v[77:78], v[49:50], v[59:60]
	s_waitcnt vmcnt(11)
	v_fma_f64 v[49:50], v[75:76], v[51:52], v[49:50]
	s_waitcnt vmcnt(10) lgkmcnt(0)
	v_fma_f64 v[49:50], v[73:74], v[53:54], v[49:50]
	s_waitcnt vmcnt(5)
	v_fma_f64 v[53:54], v[79:80], v[55:56], v[49:50]
	ds_read_b128 v[49:52], v48 offset:352
	ds_read_b64 v[55:56], v48 offset:368
	s_waitcnt vmcnt(4) lgkmcnt(1)
	v_fma_f64 v[49:50], v[85:86], v[49:50], v[53:54]
	s_waitcnt vmcnt(3)
	v_fma_f64 v[49:50], v[83:84], v[51:52], v[49:50]
	s_waitcnt vmcnt(2) lgkmcnt(0)
	v_fma_f64 v[49:50], v[81:82], v[55:56], v[49:50]
	s_waitcnt vmcnt(0)
	v_add_f64 v[49:50], v[57:58], -v[49:50]
	buffer_store_dword v50, off, s[0:3], 0 offset:60
	buffer_store_dword v49, off, s[0:3], 0 offset:56
	v_cmpx_lt_u32_e32 6, v0
	s_cbranch_execz .LBB86_135
; %bb.134:
	s_clause 0x1
	buffer_load_dword v49, off, s[0:3], 0 offset:48
	buffer_load_dword v50, off, s[0:3], 0 offset:52
	buffer_store_dword v48, off, s[0:3], 0 offset:48
	buffer_store_dword v48, off, s[0:3], 0 offset:52
	s_waitcnt vmcnt(0)
	ds_write_b64 v47, v[49:50]
.LBB86_135:
	s_or_b32 exec_lo, exec_lo, s4
	s_waitcnt lgkmcnt(0)
	s_waitcnt_vscnt null, 0x0
	s_barrier
	buffer_gl0_inv
	s_clause 0x1c
	buffer_load_dword v57, off, s[0:3], 0 offset:56
	buffer_load_dword v58, off, s[0:3], 0 offset:60
	;; [unrolled: 1-line block ×29, first 2 shown]
	ds_read2_b64 v[49:52], v48 offset0:31 offset1:32
	ds_read2_b64 v[53:56], v48 offset0:33 offset1:34
	buffer_load_dword v82, off, s[0:3], 0 offset:172
	s_mov_b32 s4, exec_lo
	s_waitcnt vmcnt(28) lgkmcnt(1)
	v_fma_f64 v[49:50], v[57:58], v[49:50], 0
	s_clause 0x1
	buffer_load_dword v58, off, s[0:3], 0 offset:180
	buffer_load_dword v57, off, s[0:3], 0 offset:176
	s_waitcnt vmcnt(28)
	v_fma_f64 v[49:50], v[59:60], v[51:52], v[49:50]
	s_clause 0x1
	buffer_load_dword v59, off, s[0:3], 0 offset:48
	buffer_load_dword v60, off, s[0:3], 0 offset:52
	s_waitcnt vmcnt(28) lgkmcnt(0)
	v_fma_f64 v[49:50], v[61:62], v[53:54], v[49:50]
	s_waitcnt vmcnt(26)
	v_fma_f64 v[61:62], v[63:64], v[55:56], v[49:50]
	ds_read2_b64 v[49:52], v48 offset0:35 offset1:36
	ds_read2_b64 v[53:56], v48 offset0:37 offset1:38
	s_waitcnt vmcnt(24) lgkmcnt(1)
	v_fma_f64 v[49:50], v[65:66], v[49:50], v[61:62]
	s_waitcnt vmcnt(22)
	v_fma_f64 v[49:50], v[67:68], v[51:52], v[49:50]
	s_waitcnt vmcnt(20) lgkmcnt(0)
	v_fma_f64 v[49:50], v[69:70], v[53:54], v[49:50]
	s_waitcnt vmcnt(15)
	v_fma_f64 v[61:62], v[71:72], v[55:56], v[49:50]
	ds_read2_b64 v[49:52], v48 offset0:39 offset1:40
	ds_read2_b64 v[53:56], v48 offset0:41 offset1:42
	s_waitcnt vmcnt(14) lgkmcnt(1)
	v_fma_f64 v[49:50], v[77:78], v[49:50], v[61:62]
	s_waitcnt vmcnt(13)
	v_fma_f64 v[49:50], v[75:76], v[51:52], v[49:50]
	;; [unrolled: 10-line block ×3, first 2 shown]
	s_waitcnt vmcnt(4) lgkmcnt(0)
	v_fma_f64 v[48:49], v[81:82], v[53:54], v[48:49]
	s_waitcnt vmcnt(2)
	v_fma_f64 v[48:49], v[57:58], v[55:56], v[48:49]
	s_waitcnt vmcnt(0)
	v_add_f64 v[48:49], v[59:60], -v[48:49]
	buffer_store_dword v49, off, s[0:3], 0 offset:52
	buffer_store_dword v48, off, s[0:3], 0 offset:48
	v_cmpx_lt_u32_e32 5, v0
	s_cbranch_execz .LBB86_137
; %bb.136:
	s_clause 0x1
	buffer_load_dword v48, off, s[0:3], 0 offset:40
	buffer_load_dword v49, off, s[0:3], 0 offset:44
	v_mov_b32_e32 v50, 0
	buffer_store_dword v50, off, s[0:3], 0 offset:40
	buffer_store_dword v50, off, s[0:3], 0 offset:44
	s_waitcnt vmcnt(0)
	ds_write_b64 v47, v[48:49]
.LBB86_137:
	s_or_b32 exec_lo, exec_lo, s4
	s_waitcnt lgkmcnt(0)
	s_waitcnt_vscnt null, 0x0
	s_barrier
	buffer_gl0_inv
	s_clause 0x1c
	buffer_load_dword v57, off, s[0:3], 0 offset:48
	buffer_load_dword v58, off, s[0:3], 0 offset:52
	;; [unrolled: 1-line block ×29, first 2 shown]
	v_mov_b32_e32 v48, 0
	buffer_load_dword v82, off, s[0:3], 0 offset:164
	s_mov_b32 s4, exec_lo
	ds_read_b128 v[49:52], v48 offset:240
	ds_read_b128 v[53:56], v48 offset:256
	s_waitcnt vmcnt(28) lgkmcnt(1)
	v_fma_f64 v[49:50], v[57:58], v[49:50], 0
	s_clause 0x3
	buffer_load_dword v58, off, s[0:3], 0 offset:172
	buffer_load_dword v87, off, s[0:3], 0 offset:176
	buffer_load_dword v57, off, s[0:3], 0 offset:168
	buffer_load_dword v88, off, s[0:3], 0 offset:180
	s_waitcnt vmcnt(30)
	v_fma_f64 v[49:50], v[59:60], v[51:52], v[49:50]
	s_clause 0x1
	buffer_load_dword v59, off, s[0:3], 0 offset:40
	buffer_load_dword v60, off, s[0:3], 0 offset:44
	s_waitcnt vmcnt(30) lgkmcnt(0)
	v_fma_f64 v[49:50], v[61:62], v[53:54], v[49:50]
	s_waitcnt vmcnt(28)
	v_fma_f64 v[61:62], v[63:64], v[55:56], v[49:50]
	ds_read_b128 v[49:52], v48 offset:272
	ds_read_b128 v[53:56], v48 offset:288
	s_waitcnt vmcnt(26) lgkmcnt(1)
	v_fma_f64 v[49:50], v[65:66], v[49:50], v[61:62]
	s_waitcnt vmcnt(24)
	v_fma_f64 v[49:50], v[67:68], v[51:52], v[49:50]
	s_waitcnt vmcnt(22) lgkmcnt(0)
	v_fma_f64 v[49:50], v[69:70], v[53:54], v[49:50]
	s_waitcnt vmcnt(17)
	v_fma_f64 v[61:62], v[71:72], v[55:56], v[49:50]
	ds_read_b128 v[49:52], v48 offset:304
	ds_read_b128 v[53:56], v48 offset:320
	s_waitcnt vmcnt(16) lgkmcnt(1)
	v_fma_f64 v[49:50], v[77:78], v[49:50], v[61:62]
	s_waitcnt vmcnt(15)
	v_fma_f64 v[49:50], v[75:76], v[51:52], v[49:50]
	s_waitcnt vmcnt(14) lgkmcnt(0)
	v_fma_f64 v[49:50], v[73:74], v[53:54], v[49:50]
	s_waitcnt vmcnt(9)
	v_fma_f64 v[61:62], v[79:80], v[55:56], v[49:50]
	ds_read_b128 v[49:52], v48 offset:336
	ds_read_b128 v[53:56], v48 offset:352
	s_waitcnt vmcnt(8) lgkmcnt(1)
	v_fma_f64 v[49:50], v[85:86], v[49:50], v[61:62]
	s_waitcnt vmcnt(7)
	v_fma_f64 v[49:50], v[83:84], v[51:52], v[49:50]
	ds_read_b64 v[51:52], v48 offset:368
	s_waitcnt vmcnt(6) lgkmcnt(1)
	v_fma_f64 v[49:50], v[81:82], v[53:54], v[49:50]
	s_waitcnt vmcnt(3)
	v_fma_f64 v[49:50], v[57:58], v[55:56], v[49:50]
	s_waitcnt vmcnt(2) lgkmcnt(0)
	v_fma_f64 v[49:50], v[87:88], v[51:52], v[49:50]
	s_waitcnt vmcnt(0)
	v_add_f64 v[49:50], v[59:60], -v[49:50]
	buffer_store_dword v50, off, s[0:3], 0 offset:44
	buffer_store_dword v49, off, s[0:3], 0 offset:40
	v_cmpx_lt_u32_e32 4, v0
	s_cbranch_execz .LBB86_139
; %bb.138:
	s_clause 0x1
	buffer_load_dword v49, off, s[0:3], 0 offset:32
	buffer_load_dword v50, off, s[0:3], 0 offset:36
	buffer_store_dword v48, off, s[0:3], 0 offset:32
	buffer_store_dword v48, off, s[0:3], 0 offset:36
	s_waitcnt vmcnt(0)
	ds_write_b64 v47, v[49:50]
.LBB86_139:
	s_or_b32 exec_lo, exec_lo, s4
	s_waitcnt lgkmcnt(0)
	s_waitcnt_vscnt null, 0x0
	s_barrier
	buffer_gl0_inv
	s_clause 0x1c
	buffer_load_dword v57, off, s[0:3], 0 offset:40
	buffer_load_dword v58, off, s[0:3], 0 offset:44
	;; [unrolled: 1-line block ×29, first 2 shown]
	ds_read2_b64 v[49:52], v48 offset0:29 offset1:30
	ds_read2_b64 v[53:56], v48 offset0:31 offset1:32
	buffer_load_dword v82, off, s[0:3], 0 offset:156
	s_mov_b32 s4, exec_lo
	s_waitcnt vmcnt(28) lgkmcnt(1)
	v_fma_f64 v[49:50], v[57:58], v[49:50], 0
	s_clause 0x5
	buffer_load_dword v58, off, s[0:3], 0 offset:164
	buffer_load_dword v87, off, s[0:3], 0 offset:176
	;; [unrolled: 1-line block ×6, first 2 shown]
	s_waitcnt vmcnt(32)
	v_fma_f64 v[49:50], v[59:60], v[51:52], v[49:50]
	s_waitcnt vmcnt(30) lgkmcnt(0)
	v_fma_f64 v[49:50], v[61:62], v[53:54], v[49:50]
	s_waitcnt vmcnt(28)
	v_fma_f64 v[59:60], v[63:64], v[55:56], v[49:50]
	ds_read2_b64 v[49:52], v48 offset0:33 offset1:34
	s_clause 0x1
	buffer_load_dword v61, off, s[0:3], 0 offset:32
	buffer_load_dword v62, off, s[0:3], 0 offset:36
	ds_read2_b64 v[53:56], v48 offset0:35 offset1:36
	s_waitcnt vmcnt(28) lgkmcnt(1)
	v_fma_f64 v[49:50], v[65:66], v[49:50], v[59:60]
	s_waitcnt vmcnt(26)
	v_fma_f64 v[49:50], v[67:68], v[51:52], v[49:50]
	s_waitcnt vmcnt(24) lgkmcnt(0)
	v_fma_f64 v[49:50], v[69:70], v[53:54], v[49:50]
	s_waitcnt vmcnt(19)
	v_fma_f64 v[59:60], v[71:72], v[55:56], v[49:50]
	ds_read2_b64 v[49:52], v48 offset0:37 offset1:38
	ds_read2_b64 v[53:56], v48 offset0:39 offset1:40
	s_waitcnt vmcnt(18) lgkmcnt(1)
	v_fma_f64 v[49:50], v[77:78], v[49:50], v[59:60]
	s_waitcnt vmcnt(17)
	v_fma_f64 v[49:50], v[75:76], v[51:52], v[49:50]
	s_waitcnt vmcnt(16) lgkmcnt(0)
	v_fma_f64 v[49:50], v[73:74], v[53:54], v[49:50]
	s_waitcnt vmcnt(11)
	v_fma_f64 v[59:60], v[79:80], v[55:56], v[49:50]
	ds_read2_b64 v[49:52], v48 offset0:41 offset1:42
	;; [unrolled: 10-line block ×3, first 2 shown]
	s_waitcnt vmcnt(3) lgkmcnt(0)
	v_fma_f64 v[48:49], v[89:90], v[48:49], v[52:53]
	s_waitcnt vmcnt(2)
	v_fma_f64 v[48:49], v[87:88], v[50:51], v[48:49]
	s_waitcnt vmcnt(0)
	v_add_f64 v[48:49], v[61:62], -v[48:49]
	buffer_store_dword v49, off, s[0:3], 0 offset:36
	buffer_store_dword v48, off, s[0:3], 0 offset:32
	v_cmpx_lt_u32_e32 3, v0
	s_cbranch_execz .LBB86_141
; %bb.140:
	s_clause 0x1
	buffer_load_dword v48, off, s[0:3], 0 offset:24
	buffer_load_dword v49, off, s[0:3], 0 offset:28
	v_mov_b32_e32 v50, 0
	buffer_store_dword v50, off, s[0:3], 0 offset:24
	buffer_store_dword v50, off, s[0:3], 0 offset:28
	s_waitcnt vmcnt(0)
	ds_write_b64 v47, v[48:49]
.LBB86_141:
	s_or_b32 exec_lo, exec_lo, s4
	s_waitcnt lgkmcnt(0)
	s_waitcnt_vscnt null, 0x0
	s_barrier
	buffer_gl0_inv
	s_clause 0x1c
	buffer_load_dword v57, off, s[0:3], 0 offset:32
	buffer_load_dword v58, off, s[0:3], 0 offset:36
	;; [unrolled: 1-line block ×29, first 2 shown]
	v_mov_b32_e32 v48, 0
	buffer_load_dword v82, off, s[0:3], 0 offset:148
	s_mov_b32 s4, exec_lo
	ds_read_b128 v[49:52], v48 offset:224
	ds_read_b128 v[53:56], v48 offset:240
	s_waitcnt vmcnt(28) lgkmcnt(1)
	v_fma_f64 v[49:50], v[57:58], v[49:50], 0
	s_clause 0x7
	buffer_load_dword v58, off, s[0:3], 0 offset:156
	buffer_load_dword v87, off, s[0:3], 0 offset:176
	;; [unrolled: 1-line block ×8, first 2 shown]
	s_waitcnt vmcnt(34)
	v_fma_f64 v[49:50], v[59:60], v[51:52], v[49:50]
	s_waitcnt vmcnt(32) lgkmcnt(0)
	v_fma_f64 v[49:50], v[61:62], v[53:54], v[49:50]
	s_waitcnt vmcnt(30)
	v_fma_f64 v[59:60], v[63:64], v[55:56], v[49:50]
	ds_read_b128 v[49:52], v48 offset:256
	ds_read_b128 v[53:56], v48 offset:272
	s_waitcnt vmcnt(28) lgkmcnt(1)
	v_fma_f64 v[49:50], v[65:66], v[49:50], v[59:60]
	s_clause 0x1
	buffer_load_dword v59, off, s[0:3], 0 offset:24
	buffer_load_dword v60, off, s[0:3], 0 offset:28
	s_waitcnt vmcnt(28)
	v_fma_f64 v[49:50], v[67:68], v[51:52], v[49:50]
	s_waitcnt vmcnt(26) lgkmcnt(0)
	v_fma_f64 v[49:50], v[69:70], v[53:54], v[49:50]
	s_waitcnt vmcnt(21)
	v_fma_f64 v[61:62], v[71:72], v[55:56], v[49:50]
	ds_read_b128 v[49:52], v48 offset:288
	ds_read_b128 v[53:56], v48 offset:304
	s_waitcnt vmcnt(20) lgkmcnt(1)
	v_fma_f64 v[49:50], v[77:78], v[49:50], v[61:62]
	s_waitcnt vmcnt(19)
	v_fma_f64 v[49:50], v[75:76], v[51:52], v[49:50]
	s_waitcnt vmcnt(18) lgkmcnt(0)
	v_fma_f64 v[49:50], v[73:74], v[53:54], v[49:50]
	s_waitcnt vmcnt(13)
	v_fma_f64 v[61:62], v[79:80], v[55:56], v[49:50]
	ds_read_b128 v[49:52], v48 offset:320
	ds_read_b128 v[53:56], v48 offset:336
	s_waitcnt vmcnt(12) lgkmcnt(1)
	v_fma_f64 v[49:50], v[85:86], v[49:50], v[61:62]
	s_waitcnt vmcnt(11)
	v_fma_f64 v[49:50], v[83:84], v[51:52], v[49:50]
	s_waitcnt vmcnt(10) lgkmcnt(0)
	v_fma_f64 v[49:50], v[81:82], v[53:54], v[49:50]
	s_waitcnt vmcnt(5)
	v_fma_f64 v[53:54], v[57:58], v[55:56], v[49:50]
	ds_read_b128 v[49:52], v48 offset:352
	ds_read_b64 v[55:56], v48 offset:368
	s_waitcnt vmcnt(4) lgkmcnt(1)
	v_fma_f64 v[49:50], v[91:92], v[49:50], v[53:54]
	s_waitcnt vmcnt(3)
	v_fma_f64 v[49:50], v[89:90], v[51:52], v[49:50]
	s_waitcnt vmcnt(2) lgkmcnt(0)
	v_fma_f64 v[49:50], v[87:88], v[55:56], v[49:50]
	s_waitcnt vmcnt(0)
	v_add_f64 v[49:50], v[59:60], -v[49:50]
	buffer_store_dword v50, off, s[0:3], 0 offset:28
	buffer_store_dword v49, off, s[0:3], 0 offset:24
	v_cmpx_lt_u32_e32 2, v0
	s_cbranch_execz .LBB86_143
; %bb.142:
	s_clause 0x1
	buffer_load_dword v49, off, s[0:3], 0 offset:16
	buffer_load_dword v50, off, s[0:3], 0 offset:20
	buffer_store_dword v48, off, s[0:3], 0 offset:16
	buffer_store_dword v48, off, s[0:3], 0 offset:20
	s_waitcnt vmcnt(0)
	ds_write_b64 v47, v[49:50]
.LBB86_143:
	s_or_b32 exec_lo, exec_lo, s4
	s_waitcnt lgkmcnt(0)
	s_waitcnt_vscnt null, 0x0
	s_barrier
	buffer_gl0_inv
	s_clause 0x1c
	buffer_load_dword v57, off, s[0:3], 0 offset:24
	buffer_load_dword v58, off, s[0:3], 0 offset:28
	;; [unrolled: 1-line block ×29, first 2 shown]
	ds_read2_b64 v[49:52], v48 offset0:27 offset1:28
	ds_read2_b64 v[53:56], v48 offset0:29 offset1:30
	buffer_load_dword v82, off, s[0:3], 0 offset:140
	s_mov_b32 s4, exec_lo
	s_waitcnt vmcnt(28) lgkmcnt(1)
	v_fma_f64 v[49:50], v[57:58], v[49:50], 0
	s_clause 0x7
	buffer_load_dword v58, off, s[0:3], 0 offset:148
	buffer_load_dword v87, off, s[0:3], 0 offset:168
	;; [unrolled: 1-line block ×8, first 2 shown]
	s_waitcnt vmcnt(34)
	v_fma_f64 v[49:50], v[59:60], v[51:52], v[49:50]
	s_waitcnt vmcnt(32) lgkmcnt(0)
	v_fma_f64 v[49:50], v[61:62], v[53:54], v[49:50]
	s_waitcnt vmcnt(30)
	v_fma_f64 v[59:60], v[63:64], v[55:56], v[49:50]
	ds_read2_b64 v[49:52], v48 offset0:31 offset1:32
	ds_read2_b64 v[53:56], v48 offset0:33 offset1:34
	s_waitcnt vmcnt(28) lgkmcnt(1)
	v_fma_f64 v[49:50], v[65:66], v[49:50], v[59:60]
	s_clause 0x3
	buffer_load_dword v60, off, s[0:3], 0 offset:180
	buffer_load_dword v59, off, s[0:3], 0 offset:176
	;; [unrolled: 1-line block ×4, first 2 shown]
	s_waitcnt vmcnt(30)
	v_fma_f64 v[49:50], v[67:68], v[51:52], v[49:50]
	s_waitcnt vmcnt(28) lgkmcnt(0)
	v_fma_f64 v[49:50], v[69:70], v[53:54], v[49:50]
	s_waitcnt vmcnt(23)
	v_fma_f64 v[63:64], v[71:72], v[55:56], v[49:50]
	ds_read2_b64 v[49:52], v48 offset0:35 offset1:36
	ds_read2_b64 v[53:56], v48 offset0:37 offset1:38
	s_waitcnt vmcnt(22) lgkmcnt(1)
	v_fma_f64 v[49:50], v[77:78], v[49:50], v[63:64]
	s_waitcnt vmcnt(21)
	v_fma_f64 v[49:50], v[75:76], v[51:52], v[49:50]
	s_waitcnt vmcnt(20) lgkmcnt(0)
	v_fma_f64 v[49:50], v[73:74], v[53:54], v[49:50]
	s_waitcnt vmcnt(15)
	v_fma_f64 v[63:64], v[79:80], v[55:56], v[49:50]
	ds_read2_b64 v[49:52], v48 offset0:39 offset1:40
	ds_read2_b64 v[53:56], v48 offset0:41 offset1:42
	s_waitcnt vmcnt(14) lgkmcnt(1)
	v_fma_f64 v[49:50], v[85:86], v[49:50], v[63:64]
	;; [unrolled: 10-line block ×3, first 2 shown]
	s_waitcnt vmcnt(5)
	v_fma_f64 v[48:49], v[89:90], v[51:52], v[48:49]
	s_waitcnt vmcnt(4) lgkmcnt(0)
	v_fma_f64 v[48:49], v[87:88], v[53:54], v[48:49]
	s_waitcnt vmcnt(2)
	v_fma_f64 v[48:49], v[59:60], v[55:56], v[48:49]
	s_waitcnt vmcnt(0)
	v_add_f64 v[48:49], v[61:62], -v[48:49]
	buffer_store_dword v49, off, s[0:3], 0 offset:20
	buffer_store_dword v48, off, s[0:3], 0 offset:16
	v_cmpx_lt_u32_e32 1, v0
	s_cbranch_execz .LBB86_145
; %bb.144:
	s_clause 0x1
	buffer_load_dword v48, off, s[0:3], 0 offset:8
	buffer_load_dword v49, off, s[0:3], 0 offset:12
	v_mov_b32_e32 v50, 0
	buffer_store_dword v50, off, s[0:3], 0 offset:8
	buffer_store_dword v50, off, s[0:3], 0 offset:12
	s_waitcnt vmcnt(0)
	ds_write_b64 v47, v[48:49]
.LBB86_145:
	s_or_b32 exec_lo, exec_lo, s4
	s_waitcnt lgkmcnt(0)
	s_waitcnt_vscnt null, 0x0
	s_barrier
	buffer_gl0_inv
	s_clause 0x1c
	buffer_load_dword v58, off, s[0:3], 0 offset:16
	buffer_load_dword v59, off, s[0:3], 0 offset:20
	;; [unrolled: 1-line block ×29, first 2 shown]
	v_mov_b32_e32 v49, 0
	buffer_load_dword v83, off, s[0:3], 0 offset:132
	s_mov_b32 s4, exec_lo
	ds_read_b128 v[50:53], v49 offset:208
	ds_read_b128 v[54:57], v49 offset:224
	s_waitcnt vmcnt(28) lgkmcnt(1)
	v_fma_f64 v[50:51], v[58:59], v[50:51], 0
	s_clause 0x7
	buffer_load_dword v59, off, s[0:3], 0 offset:140
	buffer_load_dword v88, off, s[0:3], 0 offset:160
	;; [unrolled: 1-line block ×8, first 2 shown]
	s_waitcnt vmcnt(34)
	v_fma_f64 v[50:51], v[60:61], v[52:53], v[50:51]
	s_waitcnt vmcnt(32) lgkmcnt(0)
	v_fma_f64 v[50:51], v[62:63], v[54:55], v[50:51]
	s_waitcnt vmcnt(30)
	v_fma_f64 v[60:61], v[64:65], v[56:57], v[50:51]
	ds_read_b128 v[50:53], v49 offset:240
	ds_read_b128 v[54:57], v49 offset:256
	s_waitcnt vmcnt(28) lgkmcnt(1)
	v_fma_f64 v[50:51], v[66:67], v[50:51], v[60:61]
	s_clause 0x5
	buffer_load_dword v61, off, s[0:3], 0 offset:172
	buffer_load_dword v62, off, s[0:3], 0 offset:176
	;; [unrolled: 1-line block ×6, first 2 shown]
	s_waitcnt vmcnt(32)
	v_fma_f64 v[50:51], v[68:69], v[52:53], v[50:51]
	s_waitcnt vmcnt(30) lgkmcnt(0)
	v_fma_f64 v[50:51], v[70:71], v[54:55], v[50:51]
	s_waitcnt vmcnt(25)
	v_fma_f64 v[66:67], v[72:73], v[56:57], v[50:51]
	ds_read_b128 v[50:53], v49 offset:272
	ds_read_b128 v[54:57], v49 offset:288
	s_waitcnt vmcnt(24) lgkmcnt(1)
	v_fma_f64 v[50:51], v[78:79], v[50:51], v[66:67]
	s_waitcnt vmcnt(23)
	v_fma_f64 v[50:51], v[76:77], v[52:53], v[50:51]
	s_waitcnt vmcnt(22) lgkmcnt(0)
	v_fma_f64 v[50:51], v[74:75], v[54:55], v[50:51]
	s_waitcnt vmcnt(17)
	v_fma_f64 v[66:67], v[80:81], v[56:57], v[50:51]
	ds_read_b128 v[50:53], v49 offset:304
	ds_read_b128 v[54:57], v49 offset:320
	s_waitcnt vmcnt(16) lgkmcnt(1)
	v_fma_f64 v[50:51], v[86:87], v[50:51], v[66:67]
	;; [unrolled: 10-line block ×3, first 2 shown]
	s_waitcnt vmcnt(7)
	v_fma_f64 v[50:51], v[90:91], v[52:53], v[50:51]
	ds_read_b64 v[52:53], v49 offset:368
	s_waitcnt vmcnt(6) lgkmcnt(1)
	v_fma_f64 v[50:51], v[88:89], v[54:55], v[50:51]
	s_waitcnt vmcnt(3)
	v_fma_f64 v[50:51], v[60:61], v[56:57], v[50:51]
	s_waitcnt vmcnt(2) lgkmcnt(0)
	v_fma_f64 v[50:51], v[62:63], v[52:53], v[50:51]
	s_waitcnt vmcnt(0)
	v_add_f64 v[50:51], v[64:65], -v[50:51]
	buffer_store_dword v51, off, s[0:3], 0 offset:12
	buffer_store_dword v50, off, s[0:3], 0 offset:8
	v_cmpx_ne_u32_e32 0, v0
	s_cbranch_execz .LBB86_147
; %bb.146:
	s_clause 0x1
	buffer_load_dword v50, off, s[0:3], 0
	buffer_load_dword v51, off, s[0:3], 0 offset:4
	buffer_store_dword v49, off, s[0:3], 0
	buffer_store_dword v49, off, s[0:3], 0 offset:4
	s_waitcnt vmcnt(0)
	ds_write_b64 v47, v[50:51]
.LBB86_147:
	s_or_b32 exec_lo, exec_lo, s4
	s_waitcnt lgkmcnt(0)
	s_waitcnt_vscnt null, 0x0
	s_barrier
	buffer_gl0_inv
	s_clause 0x1c
	buffer_load_dword v47, off, s[0:3], 0 offset:8
	buffer_load_dword v48, off, s[0:3], 0 offset:12
	;; [unrolled: 1-line block ×29, first 2 shown]
	ds_read2_b64 v[50:53], v49 offset0:25 offset1:26
	ds_read2_b64 v[54:57], v49 offset0:27 offset1:28
	s_clause 0x8
	buffer_load_dword v81, off, s[0:3], 0 offset:124
	buffer_load_dword v87, off, s[0:3], 0 offset:132
	;; [unrolled: 1-line block ×9, first 2 shown]
	s_and_b32 vcc_lo, exec_lo, s16
	s_waitcnt vmcnt(36) lgkmcnt(1)
	v_fma_f64 v[47:48], v[47:48], v[50:51], 0
	s_waitcnt vmcnt(34)
	v_fma_f64 v[47:48], v[58:59], v[52:53], v[47:48]
	ds_read2_b64 v[50:53], v49 offset0:29 offset1:30
	s_waitcnt vmcnt(32) lgkmcnt(1)
	v_fma_f64 v[47:48], v[60:61], v[54:55], v[47:48]
	s_waitcnt vmcnt(30)
	v_fma_f64 v[47:48], v[62:63], v[56:57], v[47:48]
	ds_read2_b64 v[54:57], v49 offset0:31 offset1:32
	s_waitcnt vmcnt(28) lgkmcnt(1)
	v_fma_f64 v[50:51], v[64:65], v[50:51], v[47:48]
	s_clause 0x5
	buffer_load_dword v59, off, s[0:3], 0 offset:164
	buffer_load_dword v60, off, s[0:3], 0 offset:176
	;; [unrolled: 1-line block ×6, first 2 shown]
	s_waitcnt vmcnt(32)
	v_fma_f64 v[50:51], v[66:67], v[52:53], v[50:51]
	s_waitcnt vmcnt(30) lgkmcnt(0)
	v_fma_f64 v[50:51], v[68:69], v[54:55], v[50:51]
	s_waitcnt vmcnt(25)
	v_fma_f64 v[62:63], v[70:71], v[56:57], v[50:51]
	ds_read2_b64 v[50:53], v49 offset0:33 offset1:34
	s_clause 0x1
	buffer_load_dword v64, off, s[0:3], 0
	buffer_load_dword v65, off, s[0:3], 0 offset:4
	ds_read2_b64 v[54:57], v49 offset0:35 offset1:36
	s_waitcnt vmcnt(26) lgkmcnt(1)
	v_fma_f64 v[50:51], v[76:77], v[50:51], v[62:63]
	s_waitcnt vmcnt(25)
	v_fma_f64 v[50:51], v[74:75], v[52:53], v[50:51]
	s_waitcnt vmcnt(24) lgkmcnt(0)
	v_fma_f64 v[50:51], v[72:73], v[54:55], v[50:51]
	s_waitcnt vmcnt(19)
	v_fma_f64 v[62:63], v[78:79], v[56:57], v[50:51]
	ds_read2_b64 v[50:53], v49 offset0:37 offset1:38
	ds_read2_b64 v[54:57], v49 offset0:39 offset1:40
	s_waitcnt vmcnt(18) lgkmcnt(1)
	v_fma_f64 v[50:51], v[84:85], v[50:51], v[62:63]
	s_waitcnt vmcnt(17)
	v_fma_f64 v[50:51], v[82:83], v[52:53], v[50:51]
	s_waitcnt vmcnt(16) lgkmcnt(0)
	v_fma_f64 v[50:51], v[80:81], v[54:55], v[50:51]
	s_waitcnt vmcnt(11)
	v_fma_f64 v[62:63], v[86:87], v[56:57], v[50:51]
	ds_read2_b64 v[50:53], v49 offset0:41 offset1:42
	;; [unrolled: 10-line block ×3, first 2 shown]
	s_waitcnt vmcnt(3) lgkmcnt(0)
	v_fma_f64 v[49:50], v[47:48], v[49:50], v[53:54]
	s_waitcnt vmcnt(2)
	v_fma_f64 v[49:50], v[60:61], v[51:52], v[49:50]
	s_waitcnt vmcnt(0)
	v_add_f64 v[49:50], v[64:65], -v[49:50]
	buffer_store_dword v50, off, s[0:3], 0 offset:4
	buffer_store_dword v49, off, s[0:3], 0
	s_cbranch_vccz .LBB86_192
; %bb.148:
	v_mov_b32_e32 v0, 0
	global_load_dword v49, v0, s[12:13] offset:84
	s_waitcnt vmcnt(0)
	v_add_nc_u32_e32 v49, -1, v49
	v_cmp_ne_u32_e32 vcc_lo, 21, v49
	s_cbranch_vccz .LBB86_150
; %bb.149:
	v_lshlrev_b32_e32 v49, 3, v49
	s_clause 0x1
	buffer_load_dword v50, v49, s[0:3], 0 offen
	buffer_load_dword v51, v49, s[0:3], 0 offen offset:4
	s_waitcnt vmcnt(1)
	buffer_store_dword v50, off, s[0:3], 0 offset:168
	s_waitcnt vmcnt(0)
	buffer_store_dword v51, off, s[0:3], 0 offset:172
	buffer_store_dword v47, v49, s[0:3], 0 offen
	buffer_store_dword v48, v49, s[0:3], 0 offen offset:4
.LBB86_150:
	global_load_dword v0, v0, s[12:13] offset:80
	s_waitcnt vmcnt(0)
	v_add_nc_u32_e32 v0, -1, v0
	v_cmp_eq_u32_e32 vcc_lo, 20, v0
	s_cbranch_vccnz .LBB86_152
; %bb.151:
	v_lshlrev_b32_e32 v0, 3, v0
	s_clause 0x3
	buffer_load_dword v47, v0, s[0:3], 0 offen
	buffer_load_dword v48, v0, s[0:3], 0 offen offset:4
	buffer_load_dword v49, off, s[0:3], 0 offset:164
	buffer_load_dword v50, off, s[0:3], 0 offset:160
	s_waitcnt vmcnt(3)
	buffer_store_dword v47, off, s[0:3], 0 offset:160
	s_waitcnt vmcnt(2)
	buffer_store_dword v48, off, s[0:3], 0 offset:164
	s_waitcnt vmcnt(1)
	buffer_store_dword v49, v0, s[0:3], 0 offen offset:4
	s_waitcnt vmcnt(0)
	buffer_store_dword v50, v0, s[0:3], 0 offen
.LBB86_152:
	v_mov_b32_e32 v0, 0
	global_load_dword v47, v0, s[12:13] offset:76
	s_waitcnt vmcnt(0)
	v_add_nc_u32_e32 v47, -1, v47
	v_cmp_eq_u32_e32 vcc_lo, 19, v47
	s_cbranch_vccnz .LBB86_154
; %bb.153:
	v_lshlrev_b32_e32 v47, 3, v47
	s_clause 0x3
	buffer_load_dword v48, v47, s[0:3], 0 offen
	buffer_load_dword v49, v47, s[0:3], 0 offen offset:4
	buffer_load_dword v50, off, s[0:3], 0 offset:152
	buffer_load_dword v51, off, s[0:3], 0 offset:156
	s_waitcnt vmcnt(3)
	buffer_store_dword v48, off, s[0:3], 0 offset:152
	s_waitcnt vmcnt(2)
	buffer_store_dword v49, off, s[0:3], 0 offset:156
	s_waitcnt vmcnt(1)
	buffer_store_dword v50, v47, s[0:3], 0 offen
	s_waitcnt vmcnt(0)
	buffer_store_dword v51, v47, s[0:3], 0 offen offset:4
.LBB86_154:
	global_load_dword v0, v0, s[12:13] offset:72
	s_waitcnt vmcnt(0)
	v_add_nc_u32_e32 v0, -1, v0
	v_cmp_eq_u32_e32 vcc_lo, 18, v0
	s_cbranch_vccnz .LBB86_156
; %bb.155:
	v_lshlrev_b32_e32 v0, 3, v0
	s_clause 0x3
	buffer_load_dword v47, v0, s[0:3], 0 offen
	buffer_load_dword v48, v0, s[0:3], 0 offen offset:4
	buffer_load_dword v49, off, s[0:3], 0 offset:148
	buffer_load_dword v50, off, s[0:3], 0 offset:144
	s_waitcnt vmcnt(3)
	buffer_store_dword v47, off, s[0:3], 0 offset:144
	s_waitcnt vmcnt(2)
	buffer_store_dword v48, off, s[0:3], 0 offset:148
	s_waitcnt vmcnt(1)
	buffer_store_dword v49, v0, s[0:3], 0 offen offset:4
	s_waitcnt vmcnt(0)
	buffer_store_dword v50, v0, s[0:3], 0 offen
.LBB86_156:
	v_mov_b32_e32 v0, 0
	global_load_dword v47, v0, s[12:13] offset:68
	s_waitcnt vmcnt(0)
	v_add_nc_u32_e32 v47, -1, v47
	v_cmp_eq_u32_e32 vcc_lo, 17, v47
	s_cbranch_vccnz .LBB86_158
; %bb.157:
	v_lshlrev_b32_e32 v47, 3, v47
	s_clause 0x3
	buffer_load_dword v48, v47, s[0:3], 0 offen
	buffer_load_dword v49, v47, s[0:3], 0 offen offset:4
	buffer_load_dword v50, off, s[0:3], 0 offset:136
	buffer_load_dword v51, off, s[0:3], 0 offset:140
	s_waitcnt vmcnt(3)
	buffer_store_dword v48, off, s[0:3], 0 offset:136
	s_waitcnt vmcnt(2)
	buffer_store_dword v49, off, s[0:3], 0 offset:140
	s_waitcnt vmcnt(1)
	buffer_store_dword v50, v47, s[0:3], 0 offen
	s_waitcnt vmcnt(0)
	buffer_store_dword v51, v47, s[0:3], 0 offen offset:4
.LBB86_158:
	;; [unrolled: 43-line block ×10, first 2 shown]
	global_load_dword v0, v0, s[12:13]
	s_clause 0x1
	buffer_load_dword v49, off, s[0:3], 0
	buffer_load_dword v50, off, s[0:3], 0 offset:4
	s_waitcnt vmcnt(2)
	v_add_nc_u32_e32 v0, -1, v0
	v_cmp_eq_u32_e32 vcc_lo, 0, v0
	s_cbranch_vccnz .LBB86_192
; %bb.191:
	v_lshlrev_b32_e32 v0, 3, v0
	s_clause 0x1
	buffer_load_dword v47, v0, s[0:3], 0 offen offset:4
	buffer_load_dword v48, v0, s[0:3], 0 offen
	s_waitcnt vmcnt(1)
	buffer_store_dword v47, off, s[0:3], 0 offset:4
	s_waitcnt vmcnt(0)
	buffer_store_dword v48, off, s[0:3], 0
	buffer_store_dword v50, v0, s[0:3], 0 offen offset:4
	buffer_store_dword v49, v0, s[0:3], 0 offen
	s_clause 0x1
	buffer_load_dword v49, off, s[0:3], 0
	buffer_load_dword v50, off, s[0:3], 0 offset:4
.LBB86_192:
	s_waitcnt vmcnt(0)
	flat_store_dwordx2 v[1:2], v[49:50]
	s_clause 0x1
	buffer_load_dword v0, off, s[0:3], 0 offset:8
	buffer_load_dword v1, off, s[0:3], 0 offset:12
	s_waitcnt vmcnt(0)
	flat_store_dwordx2 v[3:4], v[0:1]
	s_clause 0x1
	buffer_load_dword v0, off, s[0:3], 0 offset:16
	buffer_load_dword v1, off, s[0:3], 0 offset:20
	;; [unrolled: 5-line block ×22, first 2 shown]
	s_waitcnt vmcnt(0)
	flat_store_dwordx2 v[45:46], v[0:1]
	s_endpgm
	.section	.rodata,"a",@progbits
	.p2align	6, 0x0
	.amdhsa_kernel _ZN9rocsolver6v33100L18getri_kernel_smallILi23EdPKPdEEvT1_iilPiilS6_bb
		.amdhsa_group_segment_fixed_size 376
		.amdhsa_private_segment_fixed_size 192
		.amdhsa_kernarg_size 60
		.amdhsa_user_sgpr_count 6
		.amdhsa_user_sgpr_private_segment_buffer 1
		.amdhsa_user_sgpr_dispatch_ptr 0
		.amdhsa_user_sgpr_queue_ptr 0
		.amdhsa_user_sgpr_kernarg_segment_ptr 1
		.amdhsa_user_sgpr_dispatch_id 0
		.amdhsa_user_sgpr_flat_scratch_init 0
		.amdhsa_user_sgpr_private_segment_size 0
		.amdhsa_wavefront_size32 1
		.amdhsa_uses_dynamic_stack 0
		.amdhsa_system_sgpr_private_segment_wavefront_offset 1
		.amdhsa_system_sgpr_workgroup_id_x 1
		.amdhsa_system_sgpr_workgroup_id_y 0
		.amdhsa_system_sgpr_workgroup_id_z 0
		.amdhsa_system_sgpr_workgroup_info 0
		.amdhsa_system_vgpr_workitem_id 0
		.amdhsa_next_free_vgpr 94
		.amdhsa_next_free_sgpr 20
		.amdhsa_reserve_vcc 1
		.amdhsa_reserve_flat_scratch 0
		.amdhsa_float_round_mode_32 0
		.amdhsa_float_round_mode_16_64 0
		.amdhsa_float_denorm_mode_32 3
		.amdhsa_float_denorm_mode_16_64 3
		.amdhsa_dx10_clamp 1
		.amdhsa_ieee_mode 1
		.amdhsa_fp16_overflow 0
		.amdhsa_workgroup_processor_mode 1
		.amdhsa_memory_ordered 1
		.amdhsa_forward_progress 1
		.amdhsa_shared_vgpr_count 0
		.amdhsa_exception_fp_ieee_invalid_op 0
		.amdhsa_exception_fp_denorm_src 0
		.amdhsa_exception_fp_ieee_div_zero 0
		.amdhsa_exception_fp_ieee_overflow 0
		.amdhsa_exception_fp_ieee_underflow 0
		.amdhsa_exception_fp_ieee_inexact 0
		.amdhsa_exception_int_div_zero 0
	.end_amdhsa_kernel
	.section	.text._ZN9rocsolver6v33100L18getri_kernel_smallILi23EdPKPdEEvT1_iilPiilS6_bb,"axG",@progbits,_ZN9rocsolver6v33100L18getri_kernel_smallILi23EdPKPdEEvT1_iilPiilS6_bb,comdat
.Lfunc_end86:
	.size	_ZN9rocsolver6v33100L18getri_kernel_smallILi23EdPKPdEEvT1_iilPiilS6_bb, .Lfunc_end86-_ZN9rocsolver6v33100L18getri_kernel_smallILi23EdPKPdEEvT1_iilPiilS6_bb
                                        ; -- End function
	.set _ZN9rocsolver6v33100L18getri_kernel_smallILi23EdPKPdEEvT1_iilPiilS6_bb.num_vgpr, 94
	.set _ZN9rocsolver6v33100L18getri_kernel_smallILi23EdPKPdEEvT1_iilPiilS6_bb.num_agpr, 0
	.set _ZN9rocsolver6v33100L18getri_kernel_smallILi23EdPKPdEEvT1_iilPiilS6_bb.numbered_sgpr, 20
	.set _ZN9rocsolver6v33100L18getri_kernel_smallILi23EdPKPdEEvT1_iilPiilS6_bb.num_named_barrier, 0
	.set _ZN9rocsolver6v33100L18getri_kernel_smallILi23EdPKPdEEvT1_iilPiilS6_bb.private_seg_size, 192
	.set _ZN9rocsolver6v33100L18getri_kernel_smallILi23EdPKPdEEvT1_iilPiilS6_bb.uses_vcc, 1
	.set _ZN9rocsolver6v33100L18getri_kernel_smallILi23EdPKPdEEvT1_iilPiilS6_bb.uses_flat_scratch, 0
	.set _ZN9rocsolver6v33100L18getri_kernel_smallILi23EdPKPdEEvT1_iilPiilS6_bb.has_dyn_sized_stack, 0
	.set _ZN9rocsolver6v33100L18getri_kernel_smallILi23EdPKPdEEvT1_iilPiilS6_bb.has_recursion, 0
	.set _ZN9rocsolver6v33100L18getri_kernel_smallILi23EdPKPdEEvT1_iilPiilS6_bb.has_indirect_call, 0
	.section	.AMDGPU.csdata,"",@progbits
; Kernel info:
; codeLenInByte = 21268
; TotalNumSgprs: 22
; NumVgprs: 94
; ScratchSize: 192
; MemoryBound: 0
; FloatMode: 240
; IeeeMode: 1
; LDSByteSize: 376 bytes/workgroup (compile time only)
; SGPRBlocks: 0
; VGPRBlocks: 11
; NumSGPRsForWavesPerEU: 22
; NumVGPRsForWavesPerEU: 94
; Occupancy: 10
; WaveLimiterHint : 1
; COMPUTE_PGM_RSRC2:SCRATCH_EN: 1
; COMPUTE_PGM_RSRC2:USER_SGPR: 6
; COMPUTE_PGM_RSRC2:TRAP_HANDLER: 0
; COMPUTE_PGM_RSRC2:TGID_X_EN: 1
; COMPUTE_PGM_RSRC2:TGID_Y_EN: 0
; COMPUTE_PGM_RSRC2:TGID_Z_EN: 0
; COMPUTE_PGM_RSRC2:TIDIG_COMP_CNT: 0
	.section	.text._ZN9rocsolver6v33100L18getri_kernel_smallILi24EdPKPdEEvT1_iilPiilS6_bb,"axG",@progbits,_ZN9rocsolver6v33100L18getri_kernel_smallILi24EdPKPdEEvT1_iilPiilS6_bb,comdat
	.globl	_ZN9rocsolver6v33100L18getri_kernel_smallILi24EdPKPdEEvT1_iilPiilS6_bb ; -- Begin function _ZN9rocsolver6v33100L18getri_kernel_smallILi24EdPKPdEEvT1_iilPiilS6_bb
	.p2align	8
	.type	_ZN9rocsolver6v33100L18getri_kernel_smallILi24EdPKPdEEvT1_iilPiilS6_bb,@function
_ZN9rocsolver6v33100L18getri_kernel_smallILi24EdPKPdEEvT1_iilPiilS6_bb: ; @_ZN9rocsolver6v33100L18getri_kernel_smallILi24EdPKPdEEvT1_iilPiilS6_bb
; %bb.0:
	s_add_u32 s0, s0, s7
	s_addc_u32 s1, s1, 0
	s_mov_b32 s7, exec_lo
	v_cmpx_gt_u32_e32 24, v0
	s_cbranch_execz .LBB87_106
; %bb.1:
	s_clause 0x2
	s_load_dword s17, s[4:5], 0x38
	s_load_dwordx2 s[12:13], s[4:5], 0x0
	s_load_dwordx4 s[8:11], s[4:5], 0x28
	s_waitcnt lgkmcnt(0)
	s_bitcmp1_b32 s17, 8
	s_cselect_b32 s16, -1, 0
	s_ashr_i32 s7, s6, 31
	s_lshl_b64 s[14:15], s[6:7], 3
	s_add_u32 s12, s12, s14
	s_addc_u32 s13, s13, s15
	s_load_dwordx2 s[14:15], s[12:13], 0x0
	s_bfe_u32 s12, s17, 0x10008
	s_cmp_eq_u32 s12, 0
                                        ; implicit-def: $sgpr12_sgpr13
	s_cbranch_scc1 .LBB87_3
; %bb.2:
	s_clause 0x1
	s_load_dword s12, s[4:5], 0x20
	s_load_dwordx2 s[18:19], s[4:5], 0x18
	s_mul_i32 s13, s8, s7
	s_mul_hi_u32 s17, s8, s6
	s_mul_i32 s9, s9, s6
	s_add_i32 s13, s17, s13
	s_mul_i32 s8, s8, s6
	s_add_i32 s9, s13, s9
	s_lshl_b64 s[8:9], s[8:9], 2
	s_waitcnt lgkmcnt(0)
	s_ashr_i32 s13, s12, 31
	s_add_u32 s17, s18, s8
	s_addc_u32 s18, s19, s9
	s_lshl_b64 s[8:9], s[12:13], 2
	s_add_u32 s12, s17, s8
	s_addc_u32 s13, s18, s9
.LBB87_3:
	s_clause 0x1
	s_load_dwordx2 s[8:9], s[4:5], 0x8
	s_load_dword s4, s[4:5], 0x38
	v_lshlrev_b32_e32 v51, 3, v0
	s_waitcnt lgkmcnt(0)
	s_ashr_i32 s19, s8, 31
	s_mov_b32 s18, s8
	v_add3_u32 v9, s9, s9, v0
	s_lshl_b64 s[18:19], s[18:19], 3
	s_add_u32 s5, s14, s18
	s_addc_u32 s8, s15, s19
	v_add_co_u32 v1, s14, s5, v51
	v_add_co_ci_u32_e64 v2, null, s8, 0, s14
	s_mov_b32 s14, s9
	s_ashr_i32 s15, s9, 31
	v_ashrrev_i32_e32 v10, 31, v9
	flat_load_dwordx2 v[5:6], v[1:2]
	s_lshl_b64 s[14:15], s[14:15], 3
	v_add_nc_u32_e32 v12, s9, v9
	v_add_co_u32 v3, vcc_lo, v1, s14
	v_add_co_ci_u32_e64 v4, null, s15, v2, vcc_lo
	v_ashrrev_i32_e32 v13, 31, v12
	s_bitcmp0_b32 s4, 0
	s_waitcnt vmcnt(0) lgkmcnt(0)
	buffer_store_dword v6, off, s[0:3], 0 offset:4
	buffer_store_dword v5, off, s[0:3], 0
	flat_load_dwordx2 v[7:8], v[3:4]
	v_lshlrev_b64 v[5:6], 3, v[9:10]
	s_waitcnt vmcnt(0) lgkmcnt(0)
	buffer_store_dword v8, off, s[0:3], 0 offset:12
	buffer_store_dword v7, off, s[0:3], 0 offset:8
	v_add_co_u32 v5, vcc_lo, s5, v5
	v_add_co_ci_u32_e64 v6, null, s8, v6, vcc_lo
	v_lshlrev_b64 v[7:8], 3, v[12:13]
	flat_load_dwordx2 v[10:11], v[5:6]
	s_waitcnt vmcnt(0) lgkmcnt(0)
	buffer_store_dword v11, off, s[0:3], 0 offset:20
	buffer_store_dword v10, off, s[0:3], 0 offset:16
	v_add_co_u32 v7, vcc_lo, s5, v7
	v_add_co_ci_u32_e64 v8, null, s8, v8, vcc_lo
	v_add_nc_u32_e32 v11, s9, v12
	flat_load_dwordx2 v[13:14], v[7:8]
	s_waitcnt vmcnt(0) lgkmcnt(0)
	buffer_store_dword v14, off, s[0:3], 0 offset:28
	buffer_store_dword v13, off, s[0:3], 0 offset:24
	v_ashrrev_i32_e32 v12, 31, v11
	v_add_nc_u32_e32 v15, s9, v11
	v_lshlrev_b64 v[9:10], 3, v[11:12]
	v_ashrrev_i32_e32 v16, 31, v15
	v_add_nc_u32_e32 v18, s9, v15
	v_add_co_u32 v9, vcc_lo, s5, v9
	v_add_co_ci_u32_e64 v10, null, s8, v10, vcc_lo
	v_lshlrev_b64 v[11:12], 3, v[15:16]
	v_ashrrev_i32_e32 v19, 31, v18
	flat_load_dwordx2 v[13:14], v[9:10]
	s_waitcnt vmcnt(0) lgkmcnt(0)
	buffer_store_dword v14, off, s[0:3], 0 offset:36
	buffer_store_dword v13, off, s[0:3], 0 offset:32
	v_add_co_u32 v11, vcc_lo, s5, v11
	v_add_co_ci_u32_e64 v12, null, s8, v12, vcc_lo
	v_lshlrev_b64 v[13:14], 3, v[18:19]
	flat_load_dwordx2 v[16:17], v[11:12]
	s_waitcnt vmcnt(0) lgkmcnt(0)
	buffer_store_dword v17, off, s[0:3], 0 offset:44
	buffer_store_dword v16, off, s[0:3], 0 offset:40
	v_add_co_u32 v13, vcc_lo, s5, v13
	v_add_co_ci_u32_e64 v14, null, s8, v14, vcc_lo
	v_add_nc_u32_e32 v17, s9, v18
	flat_load_dwordx2 v[19:20], v[13:14]
	s_waitcnt vmcnt(0) lgkmcnt(0)
	buffer_store_dword v20, off, s[0:3], 0 offset:52
	buffer_store_dword v19, off, s[0:3], 0 offset:48
	v_ashrrev_i32_e32 v18, 31, v17
	v_add_nc_u32_e32 v21, s9, v17
	v_lshlrev_b64 v[15:16], 3, v[17:18]
	v_ashrrev_i32_e32 v22, 31, v21
	v_add_nc_u32_e32 v24, s9, v21
	v_add_co_u32 v15, vcc_lo, s5, v15
	v_add_co_ci_u32_e64 v16, null, s8, v16, vcc_lo
	v_lshlrev_b64 v[17:18], 3, v[21:22]
	v_ashrrev_i32_e32 v25, 31, v24
	flat_load_dwordx2 v[19:20], v[15:16]
	s_waitcnt vmcnt(0) lgkmcnt(0)
	buffer_store_dword v20, off, s[0:3], 0 offset:60
	buffer_store_dword v19, off, s[0:3], 0 offset:56
	v_add_co_u32 v17, vcc_lo, s5, v17
	v_add_co_ci_u32_e64 v18, null, s8, v18, vcc_lo
	v_lshlrev_b64 v[19:20], 3, v[24:25]
	flat_load_dwordx2 v[22:23], v[17:18]
	s_waitcnt vmcnt(0) lgkmcnt(0)
	buffer_store_dword v23, off, s[0:3], 0 offset:68
	buffer_store_dword v22, off, s[0:3], 0 offset:64
	v_add_co_u32 v19, vcc_lo, s5, v19
	v_add_co_ci_u32_e64 v20, null, s8, v20, vcc_lo
	v_add_nc_u32_e32 v23, s9, v24
	flat_load_dwordx2 v[25:26], v[19:20]
	s_waitcnt vmcnt(0) lgkmcnt(0)
	buffer_store_dword v26, off, s[0:3], 0 offset:76
	buffer_store_dword v25, off, s[0:3], 0 offset:72
	v_ashrrev_i32_e32 v24, 31, v23
	v_add_nc_u32_e32 v27, s9, v23
	v_lshlrev_b64 v[21:22], 3, v[23:24]
	v_ashrrev_i32_e32 v28, 31, v27
	v_add_nc_u32_e32 v30, s9, v27
	v_add_co_u32 v21, vcc_lo, s5, v21
	v_add_co_ci_u32_e64 v22, null, s8, v22, vcc_lo
	v_lshlrev_b64 v[23:24], 3, v[27:28]
	v_ashrrev_i32_e32 v31, 31, v30
	flat_load_dwordx2 v[25:26], v[21:22]
	s_waitcnt vmcnt(0) lgkmcnt(0)
	buffer_store_dword v26, off, s[0:3], 0 offset:84
	buffer_store_dword v25, off, s[0:3], 0 offset:80
	v_add_co_u32 v23, vcc_lo, s5, v23
	v_add_co_ci_u32_e64 v24, null, s8, v24, vcc_lo
	v_lshlrev_b64 v[25:26], 3, v[30:31]
	flat_load_dwordx2 v[28:29], v[23:24]
	s_waitcnt vmcnt(0) lgkmcnt(0)
	buffer_store_dword v29, off, s[0:3], 0 offset:92
	buffer_store_dword v28, off, s[0:3], 0 offset:88
	v_add_co_u32 v25, vcc_lo, s5, v25
	v_add_co_ci_u32_e64 v26, null, s8, v26, vcc_lo
	v_add_nc_u32_e32 v29, s9, v30
	flat_load_dwordx2 v[31:32], v[25:26]
	s_waitcnt vmcnt(0) lgkmcnt(0)
	buffer_store_dword v32, off, s[0:3], 0 offset:100
	buffer_store_dword v31, off, s[0:3], 0 offset:96
	v_ashrrev_i32_e32 v30, 31, v29
	v_add_nc_u32_e32 v33, s9, v29
	v_lshlrev_b64 v[27:28], 3, v[29:30]
	v_ashrrev_i32_e32 v34, 31, v33
	v_add_nc_u32_e32 v36, s9, v33
	v_add_co_u32 v27, vcc_lo, s5, v27
	v_add_co_ci_u32_e64 v28, null, s8, v28, vcc_lo
	v_lshlrev_b64 v[29:30], 3, v[33:34]
	v_ashrrev_i32_e32 v37, 31, v36
	flat_load_dwordx2 v[31:32], v[27:28]
	s_waitcnt vmcnt(0) lgkmcnt(0)
	buffer_store_dword v32, off, s[0:3], 0 offset:108
	buffer_store_dword v31, off, s[0:3], 0 offset:104
	v_add_co_u32 v29, vcc_lo, s5, v29
	v_add_co_ci_u32_e64 v30, null, s8, v30, vcc_lo
	v_lshlrev_b64 v[31:32], 3, v[36:37]
	flat_load_dwordx2 v[34:35], v[29:30]
	s_waitcnt vmcnt(0) lgkmcnt(0)
	buffer_store_dword v35, off, s[0:3], 0 offset:116
	buffer_store_dword v34, off, s[0:3], 0 offset:112
	v_add_co_u32 v31, vcc_lo, s5, v31
	v_add_co_ci_u32_e64 v32, null, s8, v32, vcc_lo
	v_add_nc_u32_e32 v35, s9, v36
	flat_load_dwordx2 v[37:38], v[31:32]
	s_waitcnt vmcnt(0) lgkmcnt(0)
	buffer_store_dword v38, off, s[0:3], 0 offset:124
	buffer_store_dword v37, off, s[0:3], 0 offset:120
	v_ashrrev_i32_e32 v36, 31, v35
	v_add_nc_u32_e32 v39, s9, v35
	v_lshlrev_b64 v[33:34], 3, v[35:36]
	v_ashrrev_i32_e32 v40, 31, v39
	v_add_nc_u32_e32 v42, s9, v39
	v_add_co_u32 v33, vcc_lo, s5, v33
	v_add_co_ci_u32_e64 v34, null, s8, v34, vcc_lo
	v_lshlrev_b64 v[35:36], 3, v[39:40]
	v_ashrrev_i32_e32 v43, 31, v42
	flat_load_dwordx2 v[37:38], v[33:34]
	s_waitcnt vmcnt(0) lgkmcnt(0)
	buffer_store_dword v38, off, s[0:3], 0 offset:132
	buffer_store_dword v37, off, s[0:3], 0 offset:128
	v_add_co_u32 v35, vcc_lo, s5, v35
	v_add_co_ci_u32_e64 v36, null, s8, v36, vcc_lo
	v_lshlrev_b64 v[37:38], 3, v[42:43]
	flat_load_dwordx2 v[40:41], v[35:36]
	s_waitcnt vmcnt(0) lgkmcnt(0)
	buffer_store_dword v41, off, s[0:3], 0 offset:140
	buffer_store_dword v40, off, s[0:3], 0 offset:136
	v_add_co_u32 v37, vcc_lo, s5, v37
	v_add_co_ci_u32_e64 v38, null, s8, v38, vcc_lo
	v_add_nc_u32_e32 v41, s9, v42
	flat_load_dwordx2 v[43:44], v[37:38]
	s_waitcnt vmcnt(0) lgkmcnt(0)
	buffer_store_dword v44, off, s[0:3], 0 offset:148
	buffer_store_dword v43, off, s[0:3], 0 offset:144
	v_ashrrev_i32_e32 v42, 31, v41
	v_add_nc_u32_e32 v45, s9, v41
	v_lshlrev_b64 v[39:40], 3, v[41:42]
	v_ashrrev_i32_e32 v46, 31, v45
	v_add_nc_u32_e32 v48, s9, v45
	v_add_co_u32 v39, vcc_lo, s5, v39
	v_add_co_ci_u32_e64 v40, null, s8, v40, vcc_lo
	v_lshlrev_b64 v[41:42], 3, v[45:46]
	v_ashrrev_i32_e32 v49, 31, v48
	flat_load_dwordx2 v[43:44], v[39:40]
	s_waitcnt vmcnt(0) lgkmcnt(0)
	buffer_store_dword v44, off, s[0:3], 0 offset:156
	buffer_store_dword v43, off, s[0:3], 0 offset:152
	v_add_co_u32 v41, vcc_lo, s5, v41
	v_add_co_ci_u32_e64 v42, null, s8, v42, vcc_lo
	v_lshlrev_b64 v[43:44], 3, v[48:49]
	flat_load_dwordx2 v[46:47], v[41:42]
	s_waitcnt vmcnt(0) lgkmcnt(0)
	buffer_store_dword v47, off, s[0:3], 0 offset:164
	buffer_store_dword v46, off, s[0:3], 0 offset:160
	v_add_co_u32 v43, vcc_lo, s5, v43
	v_add_co_ci_u32_e64 v44, null, s8, v44, vcc_lo
	v_add_nc_u32_e32 v47, s9, v48
	flat_load_dwordx2 v[49:50], v[43:44]
	s_waitcnt vmcnt(0) lgkmcnt(0)
	buffer_store_dword v50, off, s[0:3], 0 offset:172
	buffer_store_dword v49, off, s[0:3], 0 offset:168
	v_ashrrev_i32_e32 v48, 31, v47
	v_lshlrev_b64 v[45:46], 3, v[47:48]
	v_add_nc_u32_e32 v47, s9, v47
	v_add_co_u32 v45, vcc_lo, s5, v45
	v_add_co_ci_u32_e64 v46, null, s8, v46, vcc_lo
	v_ashrrev_i32_e32 v48, 31, v47
	flat_load_dwordx2 v[49:50], v[45:46]
	s_waitcnt vmcnt(0) lgkmcnt(0)
	buffer_store_dword v50, off, s[0:3], 0 offset:180
	buffer_store_dword v49, off, s[0:3], 0 offset:176
	v_lshlrev_b64 v[47:48], 3, v[47:48]
	v_add_co_u32 v47, vcc_lo, s5, v47
	v_add_co_ci_u32_e64 v48, null, s8, v48, vcc_lo
	s_mov_b32 s5, -1
	flat_load_dwordx2 v[49:50], v[47:48]
	s_waitcnt vmcnt(0) lgkmcnt(0)
	buffer_store_dword v50, off, s[0:3], 0 offset:188
	buffer_store_dword v49, off, s[0:3], 0 offset:184
	s_cbranch_scc1 .LBB87_104
; %bb.4:
	v_cmp_eq_u32_e64 s4, 0, v0
	s_and_saveexec_b32 s5, s4
; %bb.5:
	v_mov_b32_e32 v49, 0
	ds_write_b32 v49, v49 offset:384
; %bb.6:
	s_or_b32 exec_lo, exec_lo, s5
	v_lshl_add_u32 v49, v0, 3, 0
	s_waitcnt lgkmcnt(0)
	s_waitcnt_vscnt null, 0x0
	s_barrier
	buffer_gl0_inv
	s_mov_b32 s8, exec_lo
	s_clause 0x1
	buffer_load_dword v52, v49, s[0:3], 0 offen
	buffer_load_dword v53, v49, s[0:3], 0 offen offset:4
	s_waitcnt vmcnt(0)
	v_cmpx_eq_f64_e32 0, v[52:53]
	s_cbranch_execz .LBB87_10
; %bb.7:
	v_mov_b32_e32 v50, 0
	s_mov_b32 s9, 0
	ds_read_b32 v52, v50 offset:384
	s_waitcnt lgkmcnt(0)
	v_readfirstlane_b32 s5, v52
	v_add_nc_u32_e32 v52, 1, v0
	s_cmp_eq_u32 s5, 0
	v_cmp_gt_i32_e32 vcc_lo, s5, v52
	s_cselect_b32 s14, -1, 0
	s_or_b32 s14, s14, vcc_lo
	s_and_b32 exec_lo, exec_lo, s14
	s_cbranch_execz .LBB87_10
; %bb.8:
	v_mov_b32_e32 v53, s5
.LBB87_9:                               ; =>This Inner Loop Header: Depth=1
	ds_cmpst_rtn_b32 v53, v50, v53, v52 offset:384
	s_waitcnt lgkmcnt(0)
	v_cmp_ne_u32_e32 vcc_lo, 0, v53
	v_cmp_le_i32_e64 s5, v53, v52
	s_and_b32 s5, vcc_lo, s5
	s_and_b32 s5, exec_lo, s5
	s_or_b32 s9, s5, s9
	s_andn2_b32 exec_lo, exec_lo, s9
	s_cbranch_execnz .LBB87_9
.LBB87_10:
	s_or_b32 exec_lo, exec_lo, s8
	v_mov_b32_e32 v50, 0
	s_barrier
	buffer_gl0_inv
	ds_read_b32 v52, v50 offset:384
	s_and_saveexec_b32 s5, s4
	s_cbranch_execz .LBB87_12
; %bb.11:
	s_lshl_b64 s[8:9], s[6:7], 2
	s_add_u32 s8, s10, s8
	s_addc_u32 s9, s11, s9
	s_waitcnt lgkmcnt(0)
	global_store_dword v50, v52, s[8:9]
.LBB87_12:
	s_or_b32 exec_lo, exec_lo, s5
	s_waitcnt lgkmcnt(0)
	v_cmp_ne_u32_e32 vcc_lo, 0, v52
	s_mov_b32 s5, 0
	s_cbranch_vccnz .LBB87_104
; %bb.13:
	s_clause 0x1
	buffer_load_dword v52, v49, s[0:3], 0 offen
	buffer_load_dword v53, v49, s[0:3], 0 offen offset:4
	s_waitcnt vmcnt(0)
	v_div_scale_f64 v[54:55], null, v[52:53], v[52:53], 1.0
	v_div_scale_f64 v[60:61], vcc_lo, 1.0, v[52:53], 1.0
	v_rcp_f64_e32 v[56:57], v[54:55]
	v_fma_f64 v[58:59], -v[54:55], v[56:57], 1.0
	v_fma_f64 v[56:57], v[56:57], v[58:59], v[56:57]
	v_fma_f64 v[58:59], -v[54:55], v[56:57], 1.0
	v_fma_f64 v[56:57], v[56:57], v[58:59], v[56:57]
	v_mul_f64 v[58:59], v[60:61], v[56:57]
	v_fma_f64 v[54:55], -v[54:55], v[58:59], v[60:61]
	v_div_fmas_f64 v[54:55], v[54:55], v[56:57], v[58:59]
	v_div_fixup_f64 v[53:54], v[54:55], v[52:53], 1.0
	v_add_nc_u32_e32 v52, 0xc0, v51
	buffer_store_dword v54, v49, s[0:3], 0 offen offset:4
	buffer_store_dword v53, v49, s[0:3], 0 offen
	s_clause 0x1
	buffer_load_dword v56, off, s[0:3], 0 offset:12
	buffer_load_dword v55, off, s[0:3], 0 offset:8
	v_xor_b32_e32 v54, 0x80000000, v54
	s_waitcnt vmcnt(0)
	ds_write2_b64 v51, v[53:54], v[55:56] offset1:24
	s_waitcnt lgkmcnt(0)
	s_waitcnt_vscnt null, 0x0
	s_barrier
	buffer_gl0_inv
	s_and_saveexec_b32 s5, s4
	s_cbranch_execz .LBB87_15
; %bb.14:
	s_clause 0x1
	buffer_load_dword v53, v49, s[0:3], 0 offen
	buffer_load_dword v54, v49, s[0:3], 0 offen offset:4
	ds_read_b64 v[55:56], v52
	v_mov_b32_e32 v50, 0
	ds_read_b64 v[57:58], v50 offset:8
	s_waitcnt vmcnt(0) lgkmcnt(1)
	v_fma_f64 v[53:54], v[53:54], v[55:56], 0
	s_waitcnt lgkmcnt(0)
	v_mul_f64 v[53:54], v[53:54], v[57:58]
	buffer_store_dword v53, off, s[0:3], 0 offset:8
	buffer_store_dword v54, off, s[0:3], 0 offset:12
.LBB87_15:
	s_or_b32 exec_lo, exec_lo, s5
	s_waitcnt_vscnt null, 0x0
	s_barrier
	buffer_gl0_inv
	s_clause 0x1
	buffer_load_dword v53, off, s[0:3], 0 offset:16
	buffer_load_dword v54, off, s[0:3], 0 offset:20
	s_mov_b32 s5, exec_lo
	s_waitcnt vmcnt(0)
	ds_write_b64 v52, v[53:54]
	s_waitcnt lgkmcnt(0)
	s_barrier
	buffer_gl0_inv
	v_cmpx_gt_u32_e32 2, v0
	s_cbranch_execz .LBB87_19
; %bb.16:
	s_clause 0x1
	buffer_load_dword v53, v49, s[0:3], 0 offen
	buffer_load_dword v54, v49, s[0:3], 0 offen offset:4
	ds_read_b64 v[49:50], v52
	s_waitcnt vmcnt(0) lgkmcnt(0)
	v_fma_f64 v[49:50], v[53:54], v[49:50], 0
	s_and_saveexec_b32 s8, s4
	s_cbranch_execz .LBB87_18
; %bb.17:
	s_clause 0x1
	buffer_load_dword v53, off, s[0:3], 0 offset:8
	buffer_load_dword v54, off, s[0:3], 0 offset:12
	v_mov_b32_e32 v55, 0
	ds_read_b64 v[55:56], v55 offset:200
	s_waitcnt vmcnt(0) lgkmcnt(0)
	v_fma_f64 v[49:50], v[53:54], v[55:56], v[49:50]
.LBB87_18:
	s_or_b32 exec_lo, exec_lo, s8
	v_mov_b32_e32 v53, 0
	ds_read_b64 v[53:54], v53 offset:16
	s_waitcnt lgkmcnt(0)
	v_mul_f64 v[49:50], v[49:50], v[53:54]
	buffer_store_dword v50, off, s[0:3], 0 offset:20
	buffer_store_dword v49, off, s[0:3], 0 offset:16
.LBB87_19:
	s_or_b32 exec_lo, exec_lo, s5
	s_waitcnt_vscnt null, 0x0
	s_barrier
	buffer_gl0_inv
	s_clause 0x1
	buffer_load_dword v49, off, s[0:3], 0 offset:24
	buffer_load_dword v50, off, s[0:3], 0 offset:28
	v_add_nc_u32_e32 v53, -1, v0
	s_mov_b32 s4, exec_lo
	s_waitcnt vmcnt(0)
	ds_write_b64 v52, v[49:50]
	s_waitcnt lgkmcnt(0)
	s_barrier
	buffer_gl0_inv
	v_cmpx_gt_u32_e32 3, v0
	s_cbranch_execz .LBB87_23
; %bb.20:
	v_mov_b32_e32 v49, 0
	v_add_nc_u32_e32 v54, -1, v0
	v_add_nc_u32_e32 v55, 0xc0, v51
	v_mov_b32_e32 v50, 0
	v_mov_b32_e32 v56, v51
	s_mov_b32 s5, 0
.LBB87_21:                              ; =>This Inner Loop Header: Depth=1
	s_clause 0x1
	buffer_load_dword v57, v56, s[0:3], 0 offen
	buffer_load_dword v58, v56, s[0:3], 0 offen offset:4
	ds_read_b64 v[59:60], v55
	v_add_nc_u32_e32 v54, 1, v54
	v_add_nc_u32_e32 v55, 8, v55
	v_add_nc_u32_e32 v56, 8, v56
	v_cmp_lt_u32_e32 vcc_lo, 1, v54
	s_or_b32 s5, vcc_lo, s5
	s_waitcnt vmcnt(0) lgkmcnt(0)
	v_fma_f64 v[49:50], v[57:58], v[59:60], v[49:50]
	s_andn2_b32 exec_lo, exec_lo, s5
	s_cbranch_execnz .LBB87_21
; %bb.22:
	s_or_b32 exec_lo, exec_lo, s5
	v_mov_b32_e32 v54, 0
	ds_read_b64 v[54:55], v54 offset:24
	s_waitcnt lgkmcnt(0)
	v_mul_f64 v[49:50], v[49:50], v[54:55]
	buffer_store_dword v50, off, s[0:3], 0 offset:28
	buffer_store_dword v49, off, s[0:3], 0 offset:24
.LBB87_23:
	s_or_b32 exec_lo, exec_lo, s4
	s_waitcnt_vscnt null, 0x0
	s_barrier
	buffer_gl0_inv
	s_clause 0x1
	buffer_load_dword v49, off, s[0:3], 0 offset:32
	buffer_load_dword v50, off, s[0:3], 0 offset:36
	s_mov_b32 s4, exec_lo
	s_waitcnt vmcnt(0)
	ds_write_b64 v52, v[49:50]
	s_waitcnt lgkmcnt(0)
	s_barrier
	buffer_gl0_inv
	v_cmpx_gt_u32_e32 4, v0
	s_cbranch_execz .LBB87_27
; %bb.24:
	v_mov_b32_e32 v49, 0
	v_add_nc_u32_e32 v54, -1, v0
	v_add_nc_u32_e32 v55, 0xc0, v51
	v_mov_b32_e32 v50, 0
	v_mov_b32_e32 v56, v51
	s_mov_b32 s5, 0
.LBB87_25:                              ; =>This Inner Loop Header: Depth=1
	s_clause 0x1
	buffer_load_dword v57, v56, s[0:3], 0 offen
	buffer_load_dword v58, v56, s[0:3], 0 offen offset:4
	ds_read_b64 v[59:60], v55
	v_add_nc_u32_e32 v54, 1, v54
	v_add_nc_u32_e32 v55, 8, v55
	v_add_nc_u32_e32 v56, 8, v56
	v_cmp_lt_u32_e32 vcc_lo, 2, v54
	s_or_b32 s5, vcc_lo, s5
	s_waitcnt vmcnt(0) lgkmcnt(0)
	v_fma_f64 v[49:50], v[57:58], v[59:60], v[49:50]
	s_andn2_b32 exec_lo, exec_lo, s5
	s_cbranch_execnz .LBB87_25
; %bb.26:
	s_or_b32 exec_lo, exec_lo, s5
	v_mov_b32_e32 v54, 0
	ds_read_b64 v[54:55], v54 offset:32
	s_waitcnt lgkmcnt(0)
	v_mul_f64 v[49:50], v[49:50], v[54:55]
	buffer_store_dword v50, off, s[0:3], 0 offset:36
	buffer_store_dword v49, off, s[0:3], 0 offset:32
.LBB87_27:
	s_or_b32 exec_lo, exec_lo, s4
	s_waitcnt_vscnt null, 0x0
	s_barrier
	buffer_gl0_inv
	s_clause 0x1
	buffer_load_dword v49, off, s[0:3], 0 offset:40
	buffer_load_dword v50, off, s[0:3], 0 offset:44
	;; [unrolled: 45-line block ×20, first 2 shown]
	s_mov_b32 s4, exec_lo
	s_waitcnt vmcnt(0)
	ds_write_b64 v52, v[49:50]
	s_waitcnt lgkmcnt(0)
	s_barrier
	buffer_gl0_inv
	v_cmpx_ne_u32_e32 23, v0
	s_cbranch_execz .LBB87_103
; %bb.100:
	v_mov_b32_e32 v49, 0
	v_mov_b32_e32 v50, 0
	s_mov_b32 s5, 0
.LBB87_101:                             ; =>This Inner Loop Header: Depth=1
	s_clause 0x1
	buffer_load_dword v54, v51, s[0:3], 0 offen
	buffer_load_dword v55, v51, s[0:3], 0 offen offset:4
	ds_read_b64 v[56:57], v52
	v_add_nc_u32_e32 v53, 1, v53
	v_add_nc_u32_e32 v52, 8, v52
	;; [unrolled: 1-line block ×3, first 2 shown]
	v_cmp_lt_u32_e32 vcc_lo, 21, v53
	s_or_b32 s5, vcc_lo, s5
	s_waitcnt vmcnt(0) lgkmcnt(0)
	v_fma_f64 v[49:50], v[54:55], v[56:57], v[49:50]
	s_andn2_b32 exec_lo, exec_lo, s5
	s_cbranch_execnz .LBB87_101
; %bb.102:
	s_or_b32 exec_lo, exec_lo, s5
	v_mov_b32_e32 v51, 0
	ds_read_b64 v[51:52], v51 offset:184
	s_waitcnt lgkmcnt(0)
	v_mul_f64 v[49:50], v[49:50], v[51:52]
	buffer_store_dword v50, off, s[0:3], 0 offset:188
	buffer_store_dword v49, off, s[0:3], 0 offset:184
.LBB87_103:
	s_or_b32 exec_lo, exec_lo, s4
	s_mov_b32 s5, -1
	s_waitcnt_vscnt null, 0x0
	s_barrier
	buffer_gl0_inv
.LBB87_104:
	s_and_b32 vcc_lo, exec_lo, s5
	s_cbranch_vccz .LBB87_106
; %bb.105:
	s_lshl_b64 s[4:5], s[6:7], 2
	v_mov_b32_e32 v49, 0
	s_add_u32 s4, s10, s4
	s_addc_u32 s5, s11, s5
	global_load_dword v49, v49, s[4:5]
	s_waitcnt vmcnt(0)
	v_cmp_ne_u32_e32 vcc_lo, 0, v49
	s_cbranch_vccz .LBB87_107
.LBB87_106:
	s_endpgm
.LBB87_107:
	v_lshl_add_u32 v49, v0, 3, 0xc0
	s_mov_b32 s4, exec_lo
	v_cmpx_eq_u32_e32 23, v0
	s_cbranch_execz .LBB87_109
; %bb.108:
	s_clause 0x1
	buffer_load_dword v50, off, s[0:3], 0 offset:176
	buffer_load_dword v51, off, s[0:3], 0 offset:180
	v_mov_b32_e32 v52, 0
	buffer_store_dword v52, off, s[0:3], 0 offset:176
	buffer_store_dword v52, off, s[0:3], 0 offset:180
	s_waitcnt vmcnt(0)
	ds_write_b64 v49, v[50:51]
.LBB87_109:
	s_or_b32 exec_lo, exec_lo, s4
	s_waitcnt lgkmcnt(0)
	s_waitcnt_vscnt null, 0x0
	s_barrier
	buffer_gl0_inv
	s_clause 0x3
	buffer_load_dword v51, off, s[0:3], 0 offset:184
	buffer_load_dword v52, off, s[0:3], 0 offset:188
	buffer_load_dword v53, off, s[0:3], 0 offset:176
	buffer_load_dword v54, off, s[0:3], 0 offset:180
	v_mov_b32_e32 v50, 0
	s_mov_b32 s4, exec_lo
	ds_read_b64 v[55:56], v50 offset:376
	s_waitcnt vmcnt(2) lgkmcnt(0)
	v_fma_f64 v[51:52], v[51:52], v[55:56], 0
	s_waitcnt vmcnt(0)
	v_add_f64 v[51:52], v[53:54], -v[51:52]
	buffer_store_dword v51, off, s[0:3], 0 offset:176
	buffer_store_dword v52, off, s[0:3], 0 offset:180
	v_cmpx_lt_u32_e32 21, v0
	s_cbranch_execz .LBB87_111
; %bb.110:
	s_clause 0x1
	buffer_load_dword v51, off, s[0:3], 0 offset:168
	buffer_load_dword v52, off, s[0:3], 0 offset:172
	buffer_store_dword v50, off, s[0:3], 0 offset:168
	buffer_store_dword v50, off, s[0:3], 0 offset:172
	s_waitcnt vmcnt(0)
	ds_write_b64 v49, v[51:52]
.LBB87_111:
	s_or_b32 exec_lo, exec_lo, s4
	s_waitcnt lgkmcnt(0)
	s_waitcnt_vscnt null, 0x0
	s_barrier
	buffer_gl0_inv
	s_clause 0x5
	buffer_load_dword v54, off, s[0:3], 0 offset:176
	buffer_load_dword v55, off, s[0:3], 0 offset:180
	buffer_load_dword v56, off, s[0:3], 0 offset:184
	buffer_load_dword v57, off, s[0:3], 0 offset:188
	buffer_load_dword v58, off, s[0:3], 0 offset:168
	buffer_load_dword v59, off, s[0:3], 0 offset:172
	ds_read_b128 v[50:53], v50 offset:368
	s_mov_b32 s4, exec_lo
	s_waitcnt vmcnt(4) lgkmcnt(0)
	v_fma_f64 v[50:51], v[54:55], v[50:51], 0
	s_waitcnt vmcnt(2)
	v_fma_f64 v[50:51], v[56:57], v[52:53], v[50:51]
	s_waitcnt vmcnt(0)
	v_add_f64 v[50:51], v[58:59], -v[50:51]
	buffer_store_dword v50, off, s[0:3], 0 offset:168
	buffer_store_dword v51, off, s[0:3], 0 offset:172
	v_cmpx_lt_u32_e32 20, v0
	s_cbranch_execz .LBB87_113
; %bb.112:
	s_clause 0x1
	buffer_load_dword v50, off, s[0:3], 0 offset:160
	buffer_load_dword v51, off, s[0:3], 0 offset:164
	v_mov_b32_e32 v52, 0
	buffer_store_dword v52, off, s[0:3], 0 offset:160
	buffer_store_dword v52, off, s[0:3], 0 offset:164
	s_waitcnt vmcnt(0)
	ds_write_b64 v49, v[50:51]
.LBB87_113:
	s_or_b32 exec_lo, exec_lo, s4
	s_waitcnt lgkmcnt(0)
	s_waitcnt_vscnt null, 0x0
	s_barrier
	buffer_gl0_inv
	s_clause 0x7
	buffer_load_dword v55, off, s[0:3], 0 offset:168
	buffer_load_dword v56, off, s[0:3], 0 offset:172
	;; [unrolled: 1-line block ×8, first 2 shown]
	v_mov_b32_e32 v50, 0
	ds_read2_b64 v[51:54], v50 offset0:45 offset1:46
	ds_read_b64 v[63:64], v50 offset:376
	s_mov_b32 s4, exec_lo
	s_waitcnt vmcnt(6) lgkmcnt(1)
	v_fma_f64 v[51:52], v[55:56], v[51:52], 0
	s_waitcnt vmcnt(4)
	v_fma_f64 v[51:52], v[57:58], v[53:54], v[51:52]
	s_waitcnt vmcnt(2) lgkmcnt(0)
	v_fma_f64 v[51:52], v[59:60], v[63:64], v[51:52]
	s_waitcnt vmcnt(0)
	v_add_f64 v[51:52], v[61:62], -v[51:52]
	buffer_store_dword v51, off, s[0:3], 0 offset:160
	buffer_store_dword v52, off, s[0:3], 0 offset:164
	v_cmpx_lt_u32_e32 19, v0
	s_cbranch_execz .LBB87_115
; %bb.114:
	s_clause 0x1
	buffer_load_dword v51, off, s[0:3], 0 offset:152
	buffer_load_dword v52, off, s[0:3], 0 offset:156
	buffer_store_dword v50, off, s[0:3], 0 offset:152
	buffer_store_dword v50, off, s[0:3], 0 offset:156
	s_waitcnt vmcnt(0)
	ds_write_b64 v49, v[51:52]
.LBB87_115:
	s_or_b32 exec_lo, exec_lo, s4
	s_waitcnt lgkmcnt(0)
	s_waitcnt_vscnt null, 0x0
	s_barrier
	buffer_gl0_inv
	s_clause 0x9
	buffer_load_dword v59, off, s[0:3], 0 offset:160
	buffer_load_dword v60, off, s[0:3], 0 offset:164
	;; [unrolled: 1-line block ×10, first 2 shown]
	ds_read_b128 v[51:54], v50 offset:352
	ds_read_b128 v[55:58], v50 offset:368
	s_mov_b32 s4, exec_lo
	s_waitcnt vmcnt(8) lgkmcnt(1)
	v_fma_f64 v[50:51], v[59:60], v[51:52], 0
	s_waitcnt vmcnt(6)
	v_fma_f64 v[50:51], v[61:62], v[53:54], v[50:51]
	s_waitcnt vmcnt(4) lgkmcnt(0)
	v_fma_f64 v[50:51], v[63:64], v[55:56], v[50:51]
	s_waitcnt vmcnt(2)
	v_fma_f64 v[50:51], v[65:66], v[57:58], v[50:51]
	s_waitcnt vmcnt(0)
	v_add_f64 v[50:51], v[67:68], -v[50:51]
	buffer_store_dword v50, off, s[0:3], 0 offset:152
	buffer_store_dword v51, off, s[0:3], 0 offset:156
	v_cmpx_lt_u32_e32 18, v0
	s_cbranch_execz .LBB87_117
; %bb.116:
	s_clause 0x1
	buffer_load_dword v50, off, s[0:3], 0 offset:144
	buffer_load_dword v51, off, s[0:3], 0 offset:148
	v_mov_b32_e32 v52, 0
	buffer_store_dword v52, off, s[0:3], 0 offset:144
	buffer_store_dword v52, off, s[0:3], 0 offset:148
	s_waitcnt vmcnt(0)
	ds_write_b64 v49, v[50:51]
.LBB87_117:
	s_or_b32 exec_lo, exec_lo, s4
	s_waitcnt lgkmcnt(0)
	s_waitcnt_vscnt null, 0x0
	s_barrier
	buffer_gl0_inv
	s_clause 0xb
	buffer_load_dword v59, off, s[0:3], 0 offset:152
	buffer_load_dword v60, off, s[0:3], 0 offset:156
	;; [unrolled: 1-line block ×12, first 2 shown]
	v_mov_b32_e32 v50, 0
	ds_read2_b64 v[51:54], v50 offset0:43 offset1:44
	ds_read2_b64 v[55:58], v50 offset0:45 offset1:46
	s_mov_b32 s4, exec_lo
	s_waitcnt vmcnt(10) lgkmcnt(1)
	v_fma_f64 v[51:52], v[59:60], v[51:52], 0
	s_waitcnt vmcnt(8)
	v_fma_f64 v[51:52], v[61:62], v[53:54], v[51:52]
	ds_read_b64 v[53:54], v50 offset:376
	s_waitcnt vmcnt(6) lgkmcnt(1)
	v_fma_f64 v[51:52], v[63:64], v[55:56], v[51:52]
	s_waitcnt vmcnt(4)
	v_fma_f64 v[51:52], v[65:66], v[57:58], v[51:52]
	s_waitcnt vmcnt(2) lgkmcnt(0)
	v_fma_f64 v[51:52], v[67:68], v[53:54], v[51:52]
	s_waitcnt vmcnt(0)
	v_add_f64 v[51:52], v[69:70], -v[51:52]
	buffer_store_dword v51, off, s[0:3], 0 offset:144
	buffer_store_dword v52, off, s[0:3], 0 offset:148
	v_cmpx_lt_u32_e32 17, v0
	s_cbranch_execz .LBB87_119
; %bb.118:
	s_clause 0x1
	buffer_load_dword v51, off, s[0:3], 0 offset:136
	buffer_load_dword v52, off, s[0:3], 0 offset:140
	buffer_store_dword v50, off, s[0:3], 0 offset:136
	buffer_store_dword v50, off, s[0:3], 0 offset:140
	s_waitcnt vmcnt(0)
	ds_write_b64 v49, v[51:52]
.LBB87_119:
	s_or_b32 exec_lo, exec_lo, s4
	s_waitcnt lgkmcnt(0)
	s_waitcnt_vscnt null, 0x0
	s_barrier
	buffer_gl0_inv
	s_clause 0xd
	buffer_load_dword v59, off, s[0:3], 0 offset:144
	buffer_load_dword v60, off, s[0:3], 0 offset:148
	;; [unrolled: 1-line block ×14, first 2 shown]
	ds_read_b128 v[51:54], v50 offset:336
	ds_read_b128 v[55:58], v50 offset:352
	s_mov_b32 s4, exec_lo
	s_waitcnt vmcnt(12) lgkmcnt(1)
	v_fma_f64 v[51:52], v[59:60], v[51:52], 0
	s_waitcnt vmcnt(10)
	v_fma_f64 v[51:52], v[61:62], v[53:54], v[51:52]
	s_waitcnt vmcnt(8) lgkmcnt(0)
	v_fma_f64 v[51:52], v[63:64], v[55:56], v[51:52]
	s_waitcnt vmcnt(6)
	v_fma_f64 v[54:55], v[65:66], v[57:58], v[51:52]
	ds_read_b128 v[50:53], v50 offset:368
	s_waitcnt vmcnt(4) lgkmcnt(0)
	v_fma_f64 v[50:51], v[67:68], v[50:51], v[54:55]
	s_waitcnt vmcnt(2)
	v_fma_f64 v[50:51], v[69:70], v[52:53], v[50:51]
	s_waitcnt vmcnt(0)
	v_add_f64 v[50:51], v[71:72], -v[50:51]
	buffer_store_dword v50, off, s[0:3], 0 offset:136
	buffer_store_dword v51, off, s[0:3], 0 offset:140
	v_cmpx_lt_u32_e32 16, v0
	s_cbranch_execz .LBB87_121
; %bb.120:
	s_clause 0x1
	buffer_load_dword v50, off, s[0:3], 0 offset:128
	buffer_load_dword v51, off, s[0:3], 0 offset:132
	v_mov_b32_e32 v52, 0
	buffer_store_dword v52, off, s[0:3], 0 offset:128
	buffer_store_dword v52, off, s[0:3], 0 offset:132
	s_waitcnt vmcnt(0)
	ds_write_b64 v49, v[50:51]
.LBB87_121:
	s_or_b32 exec_lo, exec_lo, s4
	s_waitcnt lgkmcnt(0)
	s_waitcnt_vscnt null, 0x0
	s_barrier
	buffer_gl0_inv
	s_clause 0xf
	buffer_load_dword v59, off, s[0:3], 0 offset:136
	buffer_load_dword v60, off, s[0:3], 0 offset:140
	;; [unrolled: 1-line block ×16, first 2 shown]
	v_mov_b32_e32 v50, 0
	ds_read2_b64 v[51:54], v50 offset0:41 offset1:42
	ds_read2_b64 v[55:58], v50 offset0:43 offset1:44
	s_mov_b32 s4, exec_lo
	s_waitcnt vmcnt(14) lgkmcnt(1)
	v_fma_f64 v[51:52], v[59:60], v[51:52], 0
	s_waitcnt vmcnt(12)
	v_fma_f64 v[51:52], v[61:62], v[53:54], v[51:52]
	s_waitcnt vmcnt(10) lgkmcnt(0)
	v_fma_f64 v[51:52], v[63:64], v[55:56], v[51:52]
	s_waitcnt vmcnt(8)
	v_fma_f64 v[55:56], v[65:66], v[57:58], v[51:52]
	ds_read2_b64 v[51:54], v50 offset0:45 offset1:46
	ds_read_b64 v[57:58], v50 offset:376
	s_waitcnt vmcnt(6) lgkmcnt(1)
	v_fma_f64 v[51:52], v[67:68], v[51:52], v[55:56]
	s_waitcnt vmcnt(4)
	v_fma_f64 v[51:52], v[69:70], v[53:54], v[51:52]
	s_waitcnt vmcnt(2) lgkmcnt(0)
	v_fma_f64 v[51:52], v[71:72], v[57:58], v[51:52]
	s_waitcnt vmcnt(0)
	v_add_f64 v[51:52], v[73:74], -v[51:52]
	buffer_store_dword v51, off, s[0:3], 0 offset:128
	buffer_store_dword v52, off, s[0:3], 0 offset:132
	v_cmpx_lt_u32_e32 15, v0
	s_cbranch_execz .LBB87_123
; %bb.122:
	s_clause 0x1
	buffer_load_dword v51, off, s[0:3], 0 offset:120
	buffer_load_dword v52, off, s[0:3], 0 offset:124
	buffer_store_dword v50, off, s[0:3], 0 offset:120
	buffer_store_dword v50, off, s[0:3], 0 offset:124
	s_waitcnt vmcnt(0)
	ds_write_b64 v49, v[51:52]
.LBB87_123:
	s_or_b32 exec_lo, exec_lo, s4
	s_waitcnt lgkmcnt(0)
	s_waitcnt_vscnt null, 0x0
	s_barrier
	buffer_gl0_inv
	s_clause 0x11
	buffer_load_dword v59, off, s[0:3], 0 offset:128
	buffer_load_dword v60, off, s[0:3], 0 offset:132
	;; [unrolled: 1-line block ×18, first 2 shown]
	ds_read_b128 v[51:54], v50 offset:320
	ds_read_b128 v[55:58], v50 offset:336
	s_mov_b32 s4, exec_lo
	s_waitcnt vmcnt(16) lgkmcnt(1)
	v_fma_f64 v[51:52], v[59:60], v[51:52], 0
	s_waitcnt vmcnt(14)
	v_fma_f64 v[51:52], v[61:62], v[53:54], v[51:52]
	s_waitcnt vmcnt(12) lgkmcnt(0)
	v_fma_f64 v[51:52], v[63:64], v[55:56], v[51:52]
	s_waitcnt vmcnt(10)
	v_fma_f64 v[59:60], v[65:66], v[57:58], v[51:52]
	ds_read_b128 v[51:54], v50 offset:352
	ds_read_b128 v[55:58], v50 offset:368
	s_waitcnt vmcnt(8) lgkmcnt(1)
	v_fma_f64 v[50:51], v[67:68], v[51:52], v[59:60]
	s_waitcnt vmcnt(6)
	v_fma_f64 v[50:51], v[69:70], v[53:54], v[50:51]
	s_waitcnt vmcnt(4) lgkmcnt(0)
	v_fma_f64 v[50:51], v[71:72], v[55:56], v[50:51]
	s_waitcnt vmcnt(2)
	v_fma_f64 v[50:51], v[73:74], v[57:58], v[50:51]
	s_waitcnt vmcnt(0)
	v_add_f64 v[50:51], v[75:76], -v[50:51]
	buffer_store_dword v50, off, s[0:3], 0 offset:120
	buffer_store_dword v51, off, s[0:3], 0 offset:124
	v_cmpx_lt_u32_e32 14, v0
	s_cbranch_execz .LBB87_125
; %bb.124:
	s_clause 0x1
	buffer_load_dword v50, off, s[0:3], 0 offset:112
	buffer_load_dword v51, off, s[0:3], 0 offset:116
	v_mov_b32_e32 v52, 0
	buffer_store_dword v52, off, s[0:3], 0 offset:112
	buffer_store_dword v52, off, s[0:3], 0 offset:116
	s_waitcnt vmcnt(0)
	ds_write_b64 v49, v[50:51]
.LBB87_125:
	s_or_b32 exec_lo, exec_lo, s4
	s_waitcnt lgkmcnt(0)
	s_waitcnt_vscnt null, 0x0
	s_barrier
	buffer_gl0_inv
	s_clause 0x13
	buffer_load_dword v59, off, s[0:3], 0 offset:120
	buffer_load_dword v60, off, s[0:3], 0 offset:124
	buffer_load_dword v61, off, s[0:3], 0 offset:128
	buffer_load_dword v62, off, s[0:3], 0 offset:132
	buffer_load_dword v63, off, s[0:3], 0 offset:136
	buffer_load_dword v64, off, s[0:3], 0 offset:140
	buffer_load_dword v65, off, s[0:3], 0 offset:144
	buffer_load_dword v66, off, s[0:3], 0 offset:148
	buffer_load_dword v67, off, s[0:3], 0 offset:152
	buffer_load_dword v68, off, s[0:3], 0 offset:156
	buffer_load_dword v69, off, s[0:3], 0 offset:160
	buffer_load_dword v70, off, s[0:3], 0 offset:164
	buffer_load_dword v71, off, s[0:3], 0 offset:168
	buffer_load_dword v72, off, s[0:3], 0 offset:172
	buffer_load_dword v74, off, s[0:3], 0 offset:180
	buffer_load_dword v75, off, s[0:3], 0 offset:184
	buffer_load_dword v73, off, s[0:3], 0 offset:176
	buffer_load_dword v76, off, s[0:3], 0 offset:188
	buffer_load_dword v77, off, s[0:3], 0 offset:112
	buffer_load_dword v78, off, s[0:3], 0 offset:116
	v_mov_b32_e32 v50, 0
	ds_read2_b64 v[51:54], v50 offset0:39 offset1:40
	ds_read2_b64 v[55:58], v50 offset0:41 offset1:42
	s_mov_b32 s4, exec_lo
	s_waitcnt vmcnt(18) lgkmcnt(1)
	v_fma_f64 v[51:52], v[59:60], v[51:52], 0
	s_waitcnt vmcnt(16)
	v_fma_f64 v[51:52], v[61:62], v[53:54], v[51:52]
	s_waitcnt vmcnt(14) lgkmcnt(0)
	v_fma_f64 v[51:52], v[63:64], v[55:56], v[51:52]
	s_waitcnt vmcnt(12)
	v_fma_f64 v[59:60], v[65:66], v[57:58], v[51:52]
	ds_read2_b64 v[51:54], v50 offset0:43 offset1:44
	ds_read2_b64 v[55:58], v50 offset0:45 offset1:46
	s_waitcnt vmcnt(10) lgkmcnt(1)
	v_fma_f64 v[51:52], v[67:68], v[51:52], v[59:60]
	s_waitcnt vmcnt(8)
	v_fma_f64 v[51:52], v[69:70], v[53:54], v[51:52]
	ds_read_b64 v[53:54], v50 offset:376
	s_waitcnt vmcnt(6) lgkmcnt(1)
	v_fma_f64 v[51:52], v[71:72], v[55:56], v[51:52]
	s_waitcnt vmcnt(3)
	v_fma_f64 v[51:52], v[73:74], v[57:58], v[51:52]
	s_waitcnt vmcnt(2) lgkmcnt(0)
	v_fma_f64 v[51:52], v[75:76], v[53:54], v[51:52]
	s_waitcnt vmcnt(0)
	v_add_f64 v[51:52], v[77:78], -v[51:52]
	buffer_store_dword v51, off, s[0:3], 0 offset:112
	buffer_store_dword v52, off, s[0:3], 0 offset:116
	v_cmpx_lt_u32_e32 13, v0
	s_cbranch_execz .LBB87_127
; %bb.126:
	s_clause 0x1
	buffer_load_dword v51, off, s[0:3], 0 offset:104
	buffer_load_dword v52, off, s[0:3], 0 offset:108
	buffer_store_dword v50, off, s[0:3], 0 offset:104
	buffer_store_dword v50, off, s[0:3], 0 offset:108
	s_waitcnt vmcnt(0)
	ds_write_b64 v49, v[51:52]
.LBB87_127:
	s_or_b32 exec_lo, exec_lo, s4
	s_waitcnt lgkmcnt(0)
	s_waitcnt_vscnt null, 0x0
	s_barrier
	buffer_gl0_inv
	s_clause 0x15
	buffer_load_dword v59, off, s[0:3], 0 offset:112
	buffer_load_dword v60, off, s[0:3], 0 offset:116
	;; [unrolled: 1-line block ×22, first 2 shown]
	ds_read_b128 v[51:54], v50 offset:304
	ds_read_b128 v[55:58], v50 offset:320
	s_mov_b32 s4, exec_lo
	s_waitcnt vmcnt(20) lgkmcnt(1)
	v_fma_f64 v[51:52], v[59:60], v[51:52], 0
	s_waitcnt vmcnt(18)
	v_fma_f64 v[51:52], v[61:62], v[53:54], v[51:52]
	s_waitcnt vmcnt(16) lgkmcnt(0)
	v_fma_f64 v[51:52], v[63:64], v[55:56], v[51:52]
	s_waitcnt vmcnt(14)
	v_fma_f64 v[59:60], v[65:66], v[57:58], v[51:52]
	ds_read_b128 v[51:54], v50 offset:336
	ds_read_b128 v[55:58], v50 offset:352
	s_waitcnt vmcnt(12) lgkmcnt(1)
	v_fma_f64 v[51:52], v[67:68], v[51:52], v[59:60]
	s_waitcnt vmcnt(10)
	v_fma_f64 v[51:52], v[69:70], v[53:54], v[51:52]
	s_waitcnt vmcnt(8) lgkmcnt(0)
	v_fma_f64 v[51:52], v[71:72], v[55:56], v[51:52]
	s_waitcnt vmcnt(4)
	v_fma_f64 v[54:55], v[73:74], v[57:58], v[51:52]
	ds_read_b128 v[50:53], v50 offset:368
	s_waitcnt vmcnt(3) lgkmcnt(0)
	v_fma_f64 v[50:51], v[77:78], v[50:51], v[54:55]
	s_waitcnt vmcnt(2)
	v_fma_f64 v[50:51], v[75:76], v[52:53], v[50:51]
	s_waitcnt vmcnt(0)
	v_add_f64 v[50:51], v[79:80], -v[50:51]
	buffer_store_dword v50, off, s[0:3], 0 offset:104
	buffer_store_dword v51, off, s[0:3], 0 offset:108
	v_cmpx_lt_u32_e32 12, v0
	s_cbranch_execz .LBB87_129
; %bb.128:
	s_clause 0x1
	buffer_load_dword v50, off, s[0:3], 0 offset:96
	buffer_load_dword v51, off, s[0:3], 0 offset:100
	v_mov_b32_e32 v52, 0
	buffer_store_dword v52, off, s[0:3], 0 offset:96
	buffer_store_dword v52, off, s[0:3], 0 offset:100
	s_waitcnt vmcnt(0)
	ds_write_b64 v49, v[50:51]
.LBB87_129:
	s_or_b32 exec_lo, exec_lo, s4
	s_waitcnt lgkmcnt(0)
	s_waitcnt_vscnt null, 0x0
	s_barrier
	buffer_gl0_inv
	s_clause 0x17
	buffer_load_dword v59, off, s[0:3], 0 offset:104
	buffer_load_dword v60, off, s[0:3], 0 offset:108
	;; [unrolled: 1-line block ×24, first 2 shown]
	v_mov_b32_e32 v50, 0
	ds_read2_b64 v[51:54], v50 offset0:37 offset1:38
	ds_read2_b64 v[55:58], v50 offset0:39 offset1:40
	s_mov_b32 s4, exec_lo
	s_waitcnt vmcnt(22) lgkmcnt(1)
	v_fma_f64 v[51:52], v[59:60], v[51:52], 0
	s_waitcnt vmcnt(20)
	v_fma_f64 v[51:52], v[61:62], v[53:54], v[51:52]
	s_waitcnt vmcnt(18) lgkmcnt(0)
	v_fma_f64 v[51:52], v[63:64], v[55:56], v[51:52]
	s_waitcnt vmcnt(16)
	v_fma_f64 v[59:60], v[65:66], v[57:58], v[51:52]
	ds_read2_b64 v[51:54], v50 offset0:41 offset1:42
	ds_read2_b64 v[55:58], v50 offset0:43 offset1:44
	s_waitcnt vmcnt(14) lgkmcnt(1)
	v_fma_f64 v[51:52], v[67:68], v[51:52], v[59:60]
	s_waitcnt vmcnt(12)
	v_fma_f64 v[51:52], v[69:70], v[53:54], v[51:52]
	s_waitcnt vmcnt(10) lgkmcnt(0)
	v_fma_f64 v[51:52], v[71:72], v[55:56], v[51:52]
	s_waitcnt vmcnt(5)
	v_fma_f64 v[55:56], v[73:74], v[57:58], v[51:52]
	ds_read2_b64 v[51:54], v50 offset0:45 offset1:46
	ds_read_b64 v[57:58], v50 offset:376
	s_waitcnt vmcnt(4) lgkmcnt(1)
	v_fma_f64 v[51:52], v[79:80], v[51:52], v[55:56]
	s_waitcnt vmcnt(3)
	v_fma_f64 v[51:52], v[77:78], v[53:54], v[51:52]
	s_waitcnt vmcnt(2) lgkmcnt(0)
	v_fma_f64 v[51:52], v[75:76], v[57:58], v[51:52]
	s_waitcnt vmcnt(0)
	v_add_f64 v[51:52], v[81:82], -v[51:52]
	buffer_store_dword v52, off, s[0:3], 0 offset:100
	buffer_store_dword v51, off, s[0:3], 0 offset:96
	v_cmpx_lt_u32_e32 11, v0
	s_cbranch_execz .LBB87_131
; %bb.130:
	s_clause 0x1
	buffer_load_dword v51, off, s[0:3], 0 offset:88
	buffer_load_dword v52, off, s[0:3], 0 offset:92
	buffer_store_dword v50, off, s[0:3], 0 offset:88
	buffer_store_dword v50, off, s[0:3], 0 offset:92
	s_waitcnt vmcnt(0)
	ds_write_b64 v49, v[51:52]
.LBB87_131:
	s_or_b32 exec_lo, exec_lo, s4
	s_waitcnt lgkmcnt(0)
	s_waitcnt_vscnt null, 0x0
	s_barrier
	buffer_gl0_inv
	s_clause 0x19
	buffer_load_dword v59, off, s[0:3], 0 offset:96
	buffer_load_dword v60, off, s[0:3], 0 offset:100
	buffer_load_dword v61, off, s[0:3], 0 offset:104
	buffer_load_dword v62, off, s[0:3], 0 offset:108
	buffer_load_dword v63, off, s[0:3], 0 offset:112
	buffer_load_dword v64, off, s[0:3], 0 offset:116
	buffer_load_dword v65, off, s[0:3], 0 offset:120
	buffer_load_dword v66, off, s[0:3], 0 offset:124
	buffer_load_dword v67, off, s[0:3], 0 offset:128
	buffer_load_dword v68, off, s[0:3], 0 offset:132
	buffer_load_dword v69, off, s[0:3], 0 offset:136
	buffer_load_dword v70, off, s[0:3], 0 offset:140
	buffer_load_dword v71, off, s[0:3], 0 offset:144
	buffer_load_dword v72, off, s[0:3], 0 offset:148
	buffer_load_dword v74, off, s[0:3], 0 offset:156
	buffer_load_dword v75, off, s[0:3], 0 offset:176
	buffer_load_dword v77, off, s[0:3], 0 offset:168
	buffer_load_dword v79, off, s[0:3], 0 offset:160
	buffer_load_dword v73, off, s[0:3], 0 offset:152
	buffer_load_dword v80, off, s[0:3], 0 offset:164
	buffer_load_dword v78, off, s[0:3], 0 offset:172
	buffer_load_dword v76, off, s[0:3], 0 offset:180
	buffer_load_dword v82, off, s[0:3], 0 offset:188
	buffer_load_dword v81, off, s[0:3], 0 offset:184
	buffer_load_dword v83, off, s[0:3], 0 offset:88
	buffer_load_dword v84, off, s[0:3], 0 offset:92
	ds_read_b128 v[51:54], v50 offset:288
	ds_read_b128 v[55:58], v50 offset:304
	s_mov_b32 s4, exec_lo
	s_waitcnt vmcnt(24) lgkmcnt(1)
	v_fma_f64 v[51:52], v[59:60], v[51:52], 0
	s_waitcnt vmcnt(22)
	v_fma_f64 v[51:52], v[61:62], v[53:54], v[51:52]
	s_waitcnt vmcnt(20) lgkmcnt(0)
	v_fma_f64 v[51:52], v[63:64], v[55:56], v[51:52]
	s_waitcnt vmcnt(18)
	v_fma_f64 v[59:60], v[65:66], v[57:58], v[51:52]
	ds_read_b128 v[51:54], v50 offset:320
	ds_read_b128 v[55:58], v50 offset:336
	s_waitcnt vmcnt(16) lgkmcnt(1)
	v_fma_f64 v[51:52], v[67:68], v[51:52], v[59:60]
	s_waitcnt vmcnt(14)
	v_fma_f64 v[51:52], v[69:70], v[53:54], v[51:52]
	s_waitcnt vmcnt(12) lgkmcnt(0)
	v_fma_f64 v[51:52], v[71:72], v[55:56], v[51:52]
	s_waitcnt vmcnt(7)
	v_fma_f64 v[59:60], v[73:74], v[57:58], v[51:52]
	ds_read_b128 v[51:54], v50 offset:352
	ds_read_b128 v[55:58], v50 offset:368
	s_waitcnt vmcnt(6) lgkmcnt(1)
	v_fma_f64 v[50:51], v[79:80], v[51:52], v[59:60]
	s_waitcnt vmcnt(5)
	v_fma_f64 v[50:51], v[77:78], v[53:54], v[50:51]
	s_waitcnt vmcnt(4) lgkmcnt(0)
	v_fma_f64 v[50:51], v[75:76], v[55:56], v[50:51]
	s_waitcnt vmcnt(2)
	v_fma_f64 v[50:51], v[81:82], v[57:58], v[50:51]
	s_waitcnt vmcnt(0)
	v_add_f64 v[50:51], v[83:84], -v[50:51]
	buffer_store_dword v51, off, s[0:3], 0 offset:92
	buffer_store_dword v50, off, s[0:3], 0 offset:88
	v_cmpx_lt_u32_e32 10, v0
	s_cbranch_execz .LBB87_133
; %bb.132:
	s_clause 0x1
	buffer_load_dword v50, off, s[0:3], 0 offset:80
	buffer_load_dword v51, off, s[0:3], 0 offset:84
	v_mov_b32_e32 v52, 0
	buffer_store_dword v52, off, s[0:3], 0 offset:80
	buffer_store_dword v52, off, s[0:3], 0 offset:84
	s_waitcnt vmcnt(0)
	ds_write_b64 v49, v[50:51]
.LBB87_133:
	s_or_b32 exec_lo, exec_lo, s4
	s_waitcnt lgkmcnt(0)
	s_waitcnt_vscnt null, 0x0
	s_barrier
	buffer_gl0_inv
	s_clause 0x1b
	buffer_load_dword v59, off, s[0:3], 0 offset:88
	buffer_load_dword v60, off, s[0:3], 0 offset:92
	;; [unrolled: 1-line block ×28, first 2 shown]
	v_mov_b32_e32 v50, 0
	ds_read2_b64 v[51:54], v50 offset0:35 offset1:36
	ds_read2_b64 v[55:58], v50 offset0:37 offset1:38
	s_mov_b32 s4, exec_lo
	s_waitcnt vmcnt(26) lgkmcnt(1)
	v_fma_f64 v[51:52], v[59:60], v[51:52], 0
	s_waitcnt vmcnt(24)
	v_fma_f64 v[51:52], v[61:62], v[53:54], v[51:52]
	s_waitcnt vmcnt(22) lgkmcnt(0)
	v_fma_f64 v[51:52], v[63:64], v[55:56], v[51:52]
	s_waitcnt vmcnt(20)
	v_fma_f64 v[59:60], v[65:66], v[57:58], v[51:52]
	ds_read2_b64 v[51:54], v50 offset0:39 offset1:40
	ds_read2_b64 v[55:58], v50 offset0:41 offset1:42
	s_waitcnt vmcnt(18) lgkmcnt(1)
	v_fma_f64 v[51:52], v[67:68], v[51:52], v[59:60]
	s_waitcnt vmcnt(16)
	v_fma_f64 v[51:52], v[69:70], v[53:54], v[51:52]
	s_waitcnt vmcnt(14) lgkmcnt(0)
	v_fma_f64 v[51:52], v[71:72], v[55:56], v[51:52]
	s_waitcnt vmcnt(9)
	v_fma_f64 v[59:60], v[73:74], v[57:58], v[51:52]
	ds_read2_b64 v[51:54], v50 offset0:43 offset1:44
	ds_read2_b64 v[55:58], v50 offset0:45 offset1:46
	s_waitcnt vmcnt(8) lgkmcnt(1)
	v_fma_f64 v[51:52], v[79:80], v[51:52], v[59:60]
	s_waitcnt vmcnt(7)
	v_fma_f64 v[51:52], v[77:78], v[53:54], v[51:52]
	ds_read_b64 v[53:54], v50 offset:376
	s_waitcnt vmcnt(6) lgkmcnt(1)
	v_fma_f64 v[51:52], v[75:76], v[55:56], v[51:52]
	s_waitcnt vmcnt(3)
	v_fma_f64 v[51:52], v[81:82], v[57:58], v[51:52]
	s_waitcnt vmcnt(2) lgkmcnt(0)
	v_fma_f64 v[51:52], v[83:84], v[53:54], v[51:52]
	s_waitcnt vmcnt(0)
	v_add_f64 v[51:52], v[85:86], -v[51:52]
	buffer_store_dword v52, off, s[0:3], 0 offset:84
	buffer_store_dword v51, off, s[0:3], 0 offset:80
	v_cmpx_lt_u32_e32 9, v0
	s_cbranch_execz .LBB87_135
; %bb.134:
	s_clause 0x1
	buffer_load_dword v51, off, s[0:3], 0 offset:72
	buffer_load_dword v52, off, s[0:3], 0 offset:76
	buffer_store_dword v50, off, s[0:3], 0 offset:72
	buffer_store_dword v50, off, s[0:3], 0 offset:76
	s_waitcnt vmcnt(0)
	ds_write_b64 v49, v[51:52]
.LBB87_135:
	s_or_b32 exec_lo, exec_lo, s4
	s_waitcnt lgkmcnt(0)
	s_waitcnt_vscnt null, 0x0
	s_barrier
	buffer_gl0_inv
	s_clause 0x1b
	buffer_load_dword v59, off, s[0:3], 0 offset:80
	buffer_load_dword v60, off, s[0:3], 0 offset:84
	;; [unrolled: 1-line block ×28, first 2 shown]
	ds_read_b128 v[51:54], v50 offset:272
	s_clause 0x1
	buffer_load_dword v87, off, s[0:3], 0 offset:72
	buffer_load_dword v88, off, s[0:3], 0 offset:76
	ds_read_b128 v[55:58], v50 offset:288
	s_mov_b32 s4, exec_lo
	s_waitcnt vmcnt(28) lgkmcnt(1)
	v_fma_f64 v[51:52], v[59:60], v[51:52], 0
	s_waitcnt vmcnt(26)
	v_fma_f64 v[51:52], v[61:62], v[53:54], v[51:52]
	s_waitcnt vmcnt(24) lgkmcnt(0)
	v_fma_f64 v[51:52], v[63:64], v[55:56], v[51:52]
	s_waitcnt vmcnt(22)
	v_fma_f64 v[59:60], v[65:66], v[57:58], v[51:52]
	ds_read_b128 v[51:54], v50 offset:304
	ds_read_b128 v[55:58], v50 offset:320
	s_waitcnt vmcnt(20) lgkmcnt(1)
	v_fma_f64 v[51:52], v[67:68], v[51:52], v[59:60]
	s_waitcnt vmcnt(18)
	v_fma_f64 v[51:52], v[69:70], v[53:54], v[51:52]
	s_waitcnt vmcnt(16) lgkmcnt(0)
	v_fma_f64 v[51:52], v[71:72], v[55:56], v[51:52]
	s_waitcnt vmcnt(11)
	v_fma_f64 v[59:60], v[73:74], v[57:58], v[51:52]
	ds_read_b128 v[51:54], v50 offset:336
	ds_read_b128 v[55:58], v50 offset:352
	s_waitcnt vmcnt(10) lgkmcnt(1)
	v_fma_f64 v[51:52], v[79:80], v[51:52], v[59:60]
	s_waitcnt vmcnt(9)
	v_fma_f64 v[51:52], v[77:78], v[53:54], v[51:52]
	s_waitcnt vmcnt(8) lgkmcnt(0)
	v_fma_f64 v[51:52], v[75:76], v[55:56], v[51:52]
	s_waitcnt vmcnt(4)
	v_fma_f64 v[54:55], v[81:82], v[57:58], v[51:52]
	ds_read_b128 v[50:53], v50 offset:368
	s_waitcnt vmcnt(3) lgkmcnt(0)
	v_fma_f64 v[50:51], v[85:86], v[50:51], v[54:55]
	s_waitcnt vmcnt(2)
	v_fma_f64 v[50:51], v[83:84], v[52:53], v[50:51]
	s_waitcnt vmcnt(0)
	v_add_f64 v[50:51], v[87:88], -v[50:51]
	buffer_store_dword v51, off, s[0:3], 0 offset:76
	buffer_store_dword v50, off, s[0:3], 0 offset:72
	v_cmpx_lt_u32_e32 8, v0
	s_cbranch_execz .LBB87_137
; %bb.136:
	s_clause 0x1
	buffer_load_dword v50, off, s[0:3], 0 offset:64
	buffer_load_dword v51, off, s[0:3], 0 offset:68
	v_mov_b32_e32 v52, 0
	buffer_store_dword v52, off, s[0:3], 0 offset:64
	buffer_store_dword v52, off, s[0:3], 0 offset:68
	s_waitcnt vmcnt(0)
	ds_write_b64 v49, v[50:51]
.LBB87_137:
	s_or_b32 exec_lo, exec_lo, s4
	s_waitcnt lgkmcnt(0)
	s_waitcnt_vscnt null, 0x0
	s_barrier
	buffer_gl0_inv
	s_clause 0x1c
	buffer_load_dword v59, off, s[0:3], 0 offset:72
	buffer_load_dword v60, off, s[0:3], 0 offset:76
	;; [unrolled: 1-line block ×29, first 2 shown]
	v_mov_b32_e32 v50, 0
	buffer_load_dword v84, off, s[0:3], 0 offset:188
	s_mov_b32 s4, exec_lo
	ds_read2_b64 v[51:54], v50 offset0:33 offset1:34
	ds_read2_b64 v[55:58], v50 offset0:35 offset1:36
	s_waitcnt vmcnt(28) lgkmcnt(1)
	v_fma_f64 v[51:52], v[59:60], v[51:52], 0
	s_clause 0x1
	buffer_load_dword v59, off, s[0:3], 0 offset:64
	buffer_load_dword v60, off, s[0:3], 0 offset:68
	s_waitcnt vmcnt(28)
	v_fma_f64 v[51:52], v[61:62], v[53:54], v[51:52]
	s_waitcnt vmcnt(26) lgkmcnt(0)
	v_fma_f64 v[51:52], v[63:64], v[55:56], v[51:52]
	s_waitcnt vmcnt(24)
	v_fma_f64 v[61:62], v[65:66], v[57:58], v[51:52]
	ds_read2_b64 v[51:54], v50 offset0:37 offset1:38
	ds_read2_b64 v[55:58], v50 offset0:39 offset1:40
	s_waitcnt vmcnt(22) lgkmcnt(1)
	v_fma_f64 v[51:52], v[67:68], v[51:52], v[61:62]
	s_waitcnt vmcnt(20)
	v_fma_f64 v[51:52], v[69:70], v[53:54], v[51:52]
	s_waitcnt vmcnt(18) lgkmcnt(0)
	v_fma_f64 v[51:52], v[71:72], v[55:56], v[51:52]
	s_waitcnt vmcnt(13)
	v_fma_f64 v[61:62], v[73:74], v[57:58], v[51:52]
	ds_read2_b64 v[51:54], v50 offset0:41 offset1:42
	ds_read2_b64 v[55:58], v50 offset0:43 offset1:44
	s_waitcnt vmcnt(12) lgkmcnt(1)
	v_fma_f64 v[51:52], v[79:80], v[51:52], v[61:62]
	s_waitcnt vmcnt(11)
	v_fma_f64 v[51:52], v[77:78], v[53:54], v[51:52]
	s_waitcnt vmcnt(10) lgkmcnt(0)
	v_fma_f64 v[51:52], v[75:76], v[55:56], v[51:52]
	s_waitcnt vmcnt(5)
	v_fma_f64 v[55:56], v[81:82], v[57:58], v[51:52]
	ds_read2_b64 v[51:54], v50 offset0:45 offset1:46
	ds_read_b64 v[57:58], v50 offset:376
	s_waitcnt vmcnt(4) lgkmcnt(1)
	v_fma_f64 v[51:52], v[87:88], v[51:52], v[55:56]
	s_waitcnt vmcnt(3)
	v_fma_f64 v[51:52], v[85:86], v[53:54], v[51:52]
	s_waitcnt vmcnt(2) lgkmcnt(0)
	v_fma_f64 v[51:52], v[83:84], v[57:58], v[51:52]
	s_waitcnt vmcnt(0)
	v_add_f64 v[51:52], v[59:60], -v[51:52]
	buffer_store_dword v52, off, s[0:3], 0 offset:68
	buffer_store_dword v51, off, s[0:3], 0 offset:64
	v_cmpx_lt_u32_e32 7, v0
	s_cbranch_execz .LBB87_139
; %bb.138:
	s_clause 0x1
	buffer_load_dword v51, off, s[0:3], 0 offset:56
	buffer_load_dword v52, off, s[0:3], 0 offset:60
	buffer_store_dword v50, off, s[0:3], 0 offset:56
	buffer_store_dword v50, off, s[0:3], 0 offset:60
	s_waitcnt vmcnt(0)
	ds_write_b64 v49, v[51:52]
.LBB87_139:
	s_or_b32 exec_lo, exec_lo, s4
	s_waitcnt lgkmcnt(0)
	s_waitcnt_vscnt null, 0x0
	s_barrier
	buffer_gl0_inv
	s_clause 0x1c
	buffer_load_dword v59, off, s[0:3], 0 offset:64
	buffer_load_dword v60, off, s[0:3], 0 offset:68
	;; [unrolled: 1-line block ×29, first 2 shown]
	ds_read_b128 v[51:54], v50 offset:256
	ds_read_b128 v[55:58], v50 offset:272
	buffer_load_dword v84, off, s[0:3], 0 offset:180
	s_mov_b32 s4, exec_lo
	s_waitcnt vmcnt(28) lgkmcnt(1)
	v_fma_f64 v[51:52], v[59:60], v[51:52], 0
	s_clause 0x1
	buffer_load_dword v60, off, s[0:3], 0 offset:188
	buffer_load_dword v59, off, s[0:3], 0 offset:184
	s_waitcnt vmcnt(28)
	v_fma_f64 v[51:52], v[61:62], v[53:54], v[51:52]
	s_clause 0x1
	buffer_load_dword v61, off, s[0:3], 0 offset:56
	buffer_load_dword v62, off, s[0:3], 0 offset:60
	s_waitcnt vmcnt(28) lgkmcnt(0)
	v_fma_f64 v[51:52], v[63:64], v[55:56], v[51:52]
	s_waitcnt vmcnt(26)
	v_fma_f64 v[63:64], v[65:66], v[57:58], v[51:52]
	ds_read_b128 v[51:54], v50 offset:288
	ds_read_b128 v[55:58], v50 offset:304
	s_waitcnt vmcnt(24) lgkmcnt(1)
	v_fma_f64 v[51:52], v[67:68], v[51:52], v[63:64]
	s_waitcnt vmcnt(22)
	v_fma_f64 v[51:52], v[69:70], v[53:54], v[51:52]
	s_waitcnt vmcnt(20) lgkmcnt(0)
	v_fma_f64 v[51:52], v[71:72], v[55:56], v[51:52]
	s_waitcnt vmcnt(15)
	v_fma_f64 v[63:64], v[73:74], v[57:58], v[51:52]
	ds_read_b128 v[51:54], v50 offset:320
	ds_read_b128 v[55:58], v50 offset:336
	s_waitcnt vmcnt(14) lgkmcnt(1)
	v_fma_f64 v[51:52], v[79:80], v[51:52], v[63:64]
	s_waitcnt vmcnt(13)
	v_fma_f64 v[51:52], v[77:78], v[53:54], v[51:52]
	;; [unrolled: 10-line block ×3, first 2 shown]
	s_waitcnt vmcnt(4) lgkmcnt(0)
	v_fma_f64 v[50:51], v[83:84], v[55:56], v[50:51]
	s_waitcnt vmcnt(2)
	v_fma_f64 v[50:51], v[59:60], v[57:58], v[50:51]
	s_waitcnt vmcnt(0)
	v_add_f64 v[50:51], v[61:62], -v[50:51]
	buffer_store_dword v51, off, s[0:3], 0 offset:60
	buffer_store_dword v50, off, s[0:3], 0 offset:56
	v_cmpx_lt_u32_e32 6, v0
	s_cbranch_execz .LBB87_141
; %bb.140:
	s_clause 0x1
	buffer_load_dword v50, off, s[0:3], 0 offset:48
	buffer_load_dword v51, off, s[0:3], 0 offset:52
	v_mov_b32_e32 v52, 0
	buffer_store_dword v52, off, s[0:3], 0 offset:48
	buffer_store_dword v52, off, s[0:3], 0 offset:52
	s_waitcnt vmcnt(0)
	ds_write_b64 v49, v[50:51]
.LBB87_141:
	s_or_b32 exec_lo, exec_lo, s4
	s_waitcnt lgkmcnt(0)
	s_waitcnt_vscnt null, 0x0
	s_barrier
	buffer_gl0_inv
	s_clause 0x1c
	buffer_load_dword v59, off, s[0:3], 0 offset:56
	buffer_load_dword v60, off, s[0:3], 0 offset:60
	;; [unrolled: 1-line block ×29, first 2 shown]
	v_mov_b32_e32 v50, 0
	buffer_load_dword v84, off, s[0:3], 0 offset:172
	s_mov_b32 s4, exec_lo
	ds_read2_b64 v[51:54], v50 offset0:31 offset1:32
	ds_read2_b64 v[55:58], v50 offset0:33 offset1:34
	s_waitcnt vmcnt(28) lgkmcnt(1)
	v_fma_f64 v[51:52], v[59:60], v[51:52], 0
	s_clause 0x3
	buffer_load_dword v60, off, s[0:3], 0 offset:180
	buffer_load_dword v89, off, s[0:3], 0 offset:184
	;; [unrolled: 1-line block ×4, first 2 shown]
	s_waitcnt vmcnt(30)
	v_fma_f64 v[51:52], v[61:62], v[53:54], v[51:52]
	s_clause 0x1
	buffer_load_dword v61, off, s[0:3], 0 offset:48
	buffer_load_dword v62, off, s[0:3], 0 offset:52
	s_waitcnt vmcnt(30) lgkmcnt(0)
	v_fma_f64 v[51:52], v[63:64], v[55:56], v[51:52]
	s_waitcnt vmcnt(28)
	v_fma_f64 v[63:64], v[65:66], v[57:58], v[51:52]
	ds_read2_b64 v[51:54], v50 offset0:35 offset1:36
	ds_read2_b64 v[55:58], v50 offset0:37 offset1:38
	s_waitcnt vmcnt(26) lgkmcnt(1)
	v_fma_f64 v[51:52], v[67:68], v[51:52], v[63:64]
	s_waitcnt vmcnt(24)
	v_fma_f64 v[51:52], v[69:70], v[53:54], v[51:52]
	s_waitcnt vmcnt(22) lgkmcnt(0)
	v_fma_f64 v[51:52], v[71:72], v[55:56], v[51:52]
	s_waitcnt vmcnt(17)
	v_fma_f64 v[63:64], v[73:74], v[57:58], v[51:52]
	ds_read2_b64 v[51:54], v50 offset0:39 offset1:40
	ds_read2_b64 v[55:58], v50 offset0:41 offset1:42
	s_waitcnt vmcnt(16) lgkmcnt(1)
	v_fma_f64 v[51:52], v[79:80], v[51:52], v[63:64]
	s_waitcnt vmcnt(15)
	v_fma_f64 v[51:52], v[77:78], v[53:54], v[51:52]
	;; [unrolled: 10-line block ×3, first 2 shown]
	ds_read_b64 v[53:54], v50 offset:376
	s_waitcnt vmcnt(6) lgkmcnt(1)
	v_fma_f64 v[51:52], v[83:84], v[55:56], v[51:52]
	s_waitcnt vmcnt(3)
	v_fma_f64 v[51:52], v[59:60], v[57:58], v[51:52]
	s_waitcnt vmcnt(2) lgkmcnt(0)
	v_fma_f64 v[51:52], v[89:90], v[53:54], v[51:52]
	s_waitcnt vmcnt(0)
	v_add_f64 v[51:52], v[61:62], -v[51:52]
	buffer_store_dword v52, off, s[0:3], 0 offset:52
	buffer_store_dword v51, off, s[0:3], 0 offset:48
	v_cmpx_lt_u32_e32 5, v0
	s_cbranch_execz .LBB87_143
; %bb.142:
	s_clause 0x1
	buffer_load_dword v51, off, s[0:3], 0 offset:40
	buffer_load_dword v52, off, s[0:3], 0 offset:44
	buffer_store_dword v50, off, s[0:3], 0 offset:40
	buffer_store_dword v50, off, s[0:3], 0 offset:44
	s_waitcnt vmcnt(0)
	ds_write_b64 v49, v[51:52]
.LBB87_143:
	s_or_b32 exec_lo, exec_lo, s4
	s_waitcnt lgkmcnt(0)
	s_waitcnt_vscnt null, 0x0
	s_barrier
	buffer_gl0_inv
	s_clause 0x1c
	buffer_load_dword v59, off, s[0:3], 0 offset:48
	buffer_load_dword v60, off, s[0:3], 0 offset:52
	;; [unrolled: 1-line block ×29, first 2 shown]
	ds_read_b128 v[51:54], v50 offset:240
	ds_read_b128 v[55:58], v50 offset:256
	buffer_load_dword v84, off, s[0:3], 0 offset:164
	s_mov_b32 s4, exec_lo
	s_waitcnt vmcnt(28) lgkmcnt(1)
	v_fma_f64 v[51:52], v[59:60], v[51:52], 0
	s_clause 0x5
	buffer_load_dword v60, off, s[0:3], 0 offset:172
	buffer_load_dword v89, off, s[0:3], 0 offset:184
	;; [unrolled: 1-line block ×6, first 2 shown]
	s_waitcnt vmcnt(32)
	v_fma_f64 v[51:52], v[61:62], v[53:54], v[51:52]
	s_waitcnt vmcnt(30) lgkmcnt(0)
	v_fma_f64 v[51:52], v[63:64], v[55:56], v[51:52]
	s_waitcnt vmcnt(28)
	v_fma_f64 v[61:62], v[65:66], v[57:58], v[51:52]
	ds_read_b128 v[51:54], v50 offset:272
	s_clause 0x1
	buffer_load_dword v63, off, s[0:3], 0 offset:40
	buffer_load_dword v64, off, s[0:3], 0 offset:44
	ds_read_b128 v[55:58], v50 offset:288
	s_waitcnt vmcnt(28) lgkmcnt(1)
	v_fma_f64 v[51:52], v[67:68], v[51:52], v[61:62]
	s_waitcnt vmcnt(26)
	v_fma_f64 v[51:52], v[69:70], v[53:54], v[51:52]
	s_waitcnt vmcnt(24) lgkmcnt(0)
	v_fma_f64 v[51:52], v[71:72], v[55:56], v[51:52]
	s_waitcnt vmcnt(19)
	v_fma_f64 v[61:62], v[73:74], v[57:58], v[51:52]
	ds_read_b128 v[51:54], v50 offset:304
	ds_read_b128 v[55:58], v50 offset:320
	s_waitcnt vmcnt(18) lgkmcnt(1)
	v_fma_f64 v[51:52], v[79:80], v[51:52], v[61:62]
	s_waitcnt vmcnt(17)
	v_fma_f64 v[51:52], v[77:78], v[53:54], v[51:52]
	s_waitcnt vmcnt(16) lgkmcnt(0)
	v_fma_f64 v[51:52], v[75:76], v[55:56], v[51:52]
	s_waitcnt vmcnt(11)
	v_fma_f64 v[61:62], v[81:82], v[57:58], v[51:52]
	ds_read_b128 v[51:54], v50 offset:336
	;; [unrolled: 10-line block ×3, first 2 shown]
	s_waitcnt vmcnt(3) lgkmcnt(0)
	v_fma_f64 v[50:51], v[91:92], v[50:51], v[54:55]
	s_waitcnt vmcnt(2)
	v_fma_f64 v[50:51], v[89:90], v[52:53], v[50:51]
	s_waitcnt vmcnt(0)
	v_add_f64 v[50:51], v[63:64], -v[50:51]
	buffer_store_dword v51, off, s[0:3], 0 offset:44
	buffer_store_dword v50, off, s[0:3], 0 offset:40
	v_cmpx_lt_u32_e32 4, v0
	s_cbranch_execz .LBB87_145
; %bb.144:
	s_clause 0x1
	buffer_load_dword v50, off, s[0:3], 0 offset:32
	buffer_load_dword v51, off, s[0:3], 0 offset:36
	v_mov_b32_e32 v52, 0
	buffer_store_dword v52, off, s[0:3], 0 offset:32
	buffer_store_dword v52, off, s[0:3], 0 offset:36
	s_waitcnt vmcnt(0)
	ds_write_b64 v49, v[50:51]
.LBB87_145:
	s_or_b32 exec_lo, exec_lo, s4
	s_waitcnt lgkmcnt(0)
	s_waitcnt_vscnt null, 0x0
	s_barrier
	buffer_gl0_inv
	s_clause 0x1c
	buffer_load_dword v59, off, s[0:3], 0 offset:40
	buffer_load_dword v60, off, s[0:3], 0 offset:44
	;; [unrolled: 1-line block ×29, first 2 shown]
	v_mov_b32_e32 v50, 0
	buffer_load_dword v84, off, s[0:3], 0 offset:156
	s_mov_b32 s4, exec_lo
	ds_read2_b64 v[51:54], v50 offset0:29 offset1:30
	ds_read2_b64 v[55:58], v50 offset0:31 offset1:32
	s_waitcnt vmcnt(28) lgkmcnt(1)
	v_fma_f64 v[51:52], v[59:60], v[51:52], 0
	s_clause 0x7
	buffer_load_dword v60, off, s[0:3], 0 offset:164
	buffer_load_dword v89, off, s[0:3], 0 offset:184
	;; [unrolled: 1-line block ×8, first 2 shown]
	s_waitcnt vmcnt(34)
	v_fma_f64 v[51:52], v[61:62], v[53:54], v[51:52]
	s_waitcnt vmcnt(32) lgkmcnt(0)
	v_fma_f64 v[51:52], v[63:64], v[55:56], v[51:52]
	s_waitcnt vmcnt(30)
	v_fma_f64 v[61:62], v[65:66], v[57:58], v[51:52]
	ds_read2_b64 v[51:54], v50 offset0:33 offset1:34
	ds_read2_b64 v[55:58], v50 offset0:35 offset1:36
	s_waitcnt vmcnt(28) lgkmcnt(1)
	v_fma_f64 v[51:52], v[67:68], v[51:52], v[61:62]
	s_clause 0x1
	buffer_load_dword v61, off, s[0:3], 0 offset:32
	buffer_load_dword v62, off, s[0:3], 0 offset:36
	s_waitcnt vmcnt(28)
	v_fma_f64 v[51:52], v[69:70], v[53:54], v[51:52]
	s_waitcnt vmcnt(26) lgkmcnt(0)
	v_fma_f64 v[51:52], v[71:72], v[55:56], v[51:52]
	s_waitcnt vmcnt(21)
	v_fma_f64 v[63:64], v[73:74], v[57:58], v[51:52]
	ds_read2_b64 v[51:54], v50 offset0:37 offset1:38
	ds_read2_b64 v[55:58], v50 offset0:39 offset1:40
	s_waitcnt vmcnt(20) lgkmcnt(1)
	v_fma_f64 v[51:52], v[79:80], v[51:52], v[63:64]
	s_waitcnt vmcnt(19)
	v_fma_f64 v[51:52], v[77:78], v[53:54], v[51:52]
	s_waitcnt vmcnt(18) lgkmcnt(0)
	v_fma_f64 v[51:52], v[75:76], v[55:56], v[51:52]
	s_waitcnt vmcnt(13)
	v_fma_f64 v[63:64], v[81:82], v[57:58], v[51:52]
	ds_read2_b64 v[51:54], v50 offset0:41 offset1:42
	ds_read2_b64 v[55:58], v50 offset0:43 offset1:44
	s_waitcnt vmcnt(12) lgkmcnt(1)
	v_fma_f64 v[51:52], v[87:88], v[51:52], v[63:64]
	s_waitcnt vmcnt(11)
	v_fma_f64 v[51:52], v[85:86], v[53:54], v[51:52]
	s_waitcnt vmcnt(10) lgkmcnt(0)
	v_fma_f64 v[51:52], v[83:84], v[55:56], v[51:52]
	s_waitcnt vmcnt(5)
	v_fma_f64 v[55:56], v[59:60], v[57:58], v[51:52]
	ds_read2_b64 v[51:54], v50 offset0:45 offset1:46
	ds_read_b64 v[57:58], v50 offset:376
	s_waitcnt vmcnt(4) lgkmcnt(1)
	v_fma_f64 v[51:52], v[93:94], v[51:52], v[55:56]
	s_waitcnt vmcnt(3)
	v_fma_f64 v[51:52], v[91:92], v[53:54], v[51:52]
	s_waitcnt vmcnt(2) lgkmcnt(0)
	v_fma_f64 v[51:52], v[89:90], v[57:58], v[51:52]
	s_waitcnt vmcnt(0)
	v_add_f64 v[51:52], v[61:62], -v[51:52]
	buffer_store_dword v52, off, s[0:3], 0 offset:36
	buffer_store_dword v51, off, s[0:3], 0 offset:32
	v_cmpx_lt_u32_e32 3, v0
	s_cbranch_execz .LBB87_147
; %bb.146:
	s_clause 0x1
	buffer_load_dword v51, off, s[0:3], 0 offset:24
	buffer_load_dword v52, off, s[0:3], 0 offset:28
	buffer_store_dword v50, off, s[0:3], 0 offset:24
	buffer_store_dword v50, off, s[0:3], 0 offset:28
	s_waitcnt vmcnt(0)
	ds_write_b64 v49, v[51:52]
.LBB87_147:
	s_or_b32 exec_lo, exec_lo, s4
	s_waitcnt lgkmcnt(0)
	s_waitcnt_vscnt null, 0x0
	s_barrier
	buffer_gl0_inv
	s_clause 0x1c
	buffer_load_dword v59, off, s[0:3], 0 offset:32
	buffer_load_dword v60, off, s[0:3], 0 offset:36
	;; [unrolled: 1-line block ×29, first 2 shown]
	ds_read_b128 v[51:54], v50 offset:224
	ds_read_b128 v[55:58], v50 offset:240
	buffer_load_dword v84, off, s[0:3], 0 offset:148
	s_mov_b32 s4, exec_lo
	s_waitcnt vmcnt(28) lgkmcnt(1)
	v_fma_f64 v[51:52], v[59:60], v[51:52], 0
	s_clause 0x7
	buffer_load_dword v60, off, s[0:3], 0 offset:156
	buffer_load_dword v89, off, s[0:3], 0 offset:176
	;; [unrolled: 1-line block ×8, first 2 shown]
	s_waitcnt vmcnt(34)
	v_fma_f64 v[51:52], v[61:62], v[53:54], v[51:52]
	s_waitcnt vmcnt(32) lgkmcnt(0)
	v_fma_f64 v[51:52], v[63:64], v[55:56], v[51:52]
	s_waitcnt vmcnt(30)
	v_fma_f64 v[61:62], v[65:66], v[57:58], v[51:52]
	ds_read_b128 v[51:54], v50 offset:256
	ds_read_b128 v[55:58], v50 offset:272
	s_waitcnt vmcnt(28) lgkmcnt(1)
	v_fma_f64 v[51:52], v[67:68], v[51:52], v[61:62]
	s_clause 0x3
	buffer_load_dword v62, off, s[0:3], 0 offset:188
	buffer_load_dword v61, off, s[0:3], 0 offset:184
	;; [unrolled: 1-line block ×4, first 2 shown]
	s_waitcnt vmcnt(30)
	v_fma_f64 v[51:52], v[69:70], v[53:54], v[51:52]
	s_waitcnt vmcnt(28) lgkmcnt(0)
	v_fma_f64 v[51:52], v[71:72], v[55:56], v[51:52]
	s_waitcnt vmcnt(23)
	v_fma_f64 v[65:66], v[73:74], v[57:58], v[51:52]
	ds_read_b128 v[51:54], v50 offset:288
	ds_read_b128 v[55:58], v50 offset:304
	s_waitcnt vmcnt(22) lgkmcnt(1)
	v_fma_f64 v[51:52], v[79:80], v[51:52], v[65:66]
	s_waitcnt vmcnt(21)
	v_fma_f64 v[51:52], v[77:78], v[53:54], v[51:52]
	s_waitcnt vmcnt(20) lgkmcnt(0)
	v_fma_f64 v[51:52], v[75:76], v[55:56], v[51:52]
	s_waitcnt vmcnt(15)
	v_fma_f64 v[65:66], v[81:82], v[57:58], v[51:52]
	ds_read_b128 v[51:54], v50 offset:320
	ds_read_b128 v[55:58], v50 offset:336
	s_waitcnt vmcnt(14) lgkmcnt(1)
	v_fma_f64 v[51:52], v[87:88], v[51:52], v[65:66]
	;; [unrolled: 10-line block ×3, first 2 shown]
	s_waitcnt vmcnt(5)
	v_fma_f64 v[50:51], v[91:92], v[53:54], v[50:51]
	s_waitcnt vmcnt(4) lgkmcnt(0)
	v_fma_f64 v[50:51], v[89:90], v[55:56], v[50:51]
	s_waitcnt vmcnt(2)
	v_fma_f64 v[50:51], v[61:62], v[57:58], v[50:51]
	s_waitcnt vmcnt(0)
	v_add_f64 v[50:51], v[63:64], -v[50:51]
	buffer_store_dword v51, off, s[0:3], 0 offset:28
	buffer_store_dword v50, off, s[0:3], 0 offset:24
	v_cmpx_lt_u32_e32 2, v0
	s_cbranch_execz .LBB87_149
; %bb.148:
	s_clause 0x1
	buffer_load_dword v50, off, s[0:3], 0 offset:16
	buffer_load_dword v51, off, s[0:3], 0 offset:20
	v_mov_b32_e32 v52, 0
	buffer_store_dword v52, off, s[0:3], 0 offset:16
	buffer_store_dword v52, off, s[0:3], 0 offset:20
	s_waitcnt vmcnt(0)
	ds_write_b64 v49, v[50:51]
.LBB87_149:
	s_or_b32 exec_lo, exec_lo, s4
	s_waitcnt lgkmcnt(0)
	s_waitcnt_vscnt null, 0x0
	s_barrier
	buffer_gl0_inv
	s_clause 0x1c
	buffer_load_dword v59, off, s[0:3], 0 offset:24
	buffer_load_dword v60, off, s[0:3], 0 offset:28
	;; [unrolled: 1-line block ×29, first 2 shown]
	v_mov_b32_e32 v50, 0
	buffer_load_dword v84, off, s[0:3], 0 offset:140
	s_mov_b32 s4, exec_lo
	ds_read2_b64 v[51:54], v50 offset0:27 offset1:28
	ds_read2_b64 v[55:58], v50 offset0:29 offset1:30
	s_waitcnt vmcnt(28) lgkmcnt(1)
	v_fma_f64 v[51:52], v[59:60], v[51:52], 0
	s_clause 0x7
	buffer_load_dword v60, off, s[0:3], 0 offset:148
	buffer_load_dword v89, off, s[0:3], 0 offset:168
	buffer_load_dword v91, off, s[0:3], 0 offset:160
	buffer_load_dword v93, off, s[0:3], 0 offset:152
	buffer_load_dword v59, off, s[0:3], 0 offset:144
	buffer_load_dword v94, off, s[0:3], 0 offset:156
	buffer_load_dword v92, off, s[0:3], 0 offset:164
	buffer_load_dword v90, off, s[0:3], 0 offset:172
	s_waitcnt vmcnt(34)
	v_fma_f64 v[51:52], v[61:62], v[53:54], v[51:52]
	s_waitcnt vmcnt(32) lgkmcnt(0)
	v_fma_f64 v[51:52], v[63:64], v[55:56], v[51:52]
	s_waitcnt vmcnt(30)
	v_fma_f64 v[61:62], v[65:66], v[57:58], v[51:52]
	ds_read2_b64 v[51:54], v50 offset0:31 offset1:32
	ds_read2_b64 v[55:58], v50 offset0:33 offset1:34
	s_waitcnt vmcnt(28) lgkmcnt(1)
	v_fma_f64 v[51:52], v[67:68], v[51:52], v[61:62]
	s_clause 0x5
	buffer_load_dword v62, off, s[0:3], 0 offset:180
	buffer_load_dword v63, off, s[0:3], 0 offset:184
	;; [unrolled: 1-line block ×6, first 2 shown]
	s_waitcnt vmcnt(32)
	v_fma_f64 v[51:52], v[69:70], v[53:54], v[51:52]
	s_waitcnt vmcnt(30) lgkmcnt(0)
	v_fma_f64 v[51:52], v[71:72], v[55:56], v[51:52]
	s_waitcnt vmcnt(25)
	v_fma_f64 v[67:68], v[73:74], v[57:58], v[51:52]
	ds_read2_b64 v[51:54], v50 offset0:35 offset1:36
	ds_read2_b64 v[55:58], v50 offset0:37 offset1:38
	s_waitcnt vmcnt(24) lgkmcnt(1)
	v_fma_f64 v[51:52], v[79:80], v[51:52], v[67:68]
	s_waitcnt vmcnt(23)
	v_fma_f64 v[51:52], v[77:78], v[53:54], v[51:52]
	s_waitcnt vmcnt(22) lgkmcnt(0)
	v_fma_f64 v[51:52], v[75:76], v[55:56], v[51:52]
	s_waitcnt vmcnt(17)
	v_fma_f64 v[67:68], v[81:82], v[57:58], v[51:52]
	ds_read2_b64 v[51:54], v50 offset0:39 offset1:40
	ds_read2_b64 v[55:58], v50 offset0:41 offset1:42
	s_waitcnt vmcnt(16) lgkmcnt(1)
	v_fma_f64 v[51:52], v[87:88], v[51:52], v[67:68]
	;; [unrolled: 10-line block ×3, first 2 shown]
	s_waitcnt vmcnt(7)
	v_fma_f64 v[51:52], v[91:92], v[53:54], v[51:52]
	ds_read_b64 v[53:54], v50 offset:376
	s_waitcnt vmcnt(6) lgkmcnt(1)
	v_fma_f64 v[51:52], v[89:90], v[55:56], v[51:52]
	s_waitcnt vmcnt(3)
	v_fma_f64 v[51:52], v[61:62], v[57:58], v[51:52]
	s_waitcnt vmcnt(2) lgkmcnt(0)
	v_fma_f64 v[51:52], v[63:64], v[53:54], v[51:52]
	s_waitcnt vmcnt(0)
	v_add_f64 v[51:52], v[65:66], -v[51:52]
	buffer_store_dword v52, off, s[0:3], 0 offset:20
	buffer_store_dword v51, off, s[0:3], 0 offset:16
	v_cmpx_lt_u32_e32 1, v0
	s_cbranch_execz .LBB87_151
; %bb.150:
	s_clause 0x1
	buffer_load_dword v51, off, s[0:3], 0 offset:8
	buffer_load_dword v52, off, s[0:3], 0 offset:12
	buffer_store_dword v50, off, s[0:3], 0 offset:8
	buffer_store_dword v50, off, s[0:3], 0 offset:12
	s_waitcnt vmcnt(0)
	ds_write_b64 v49, v[51:52]
.LBB87_151:
	s_or_b32 exec_lo, exec_lo, s4
	s_waitcnt lgkmcnt(0)
	s_waitcnt_vscnt null, 0x0
	s_barrier
	buffer_gl0_inv
	s_clause 0x1c
	buffer_load_dword v59, off, s[0:3], 0 offset:16
	buffer_load_dword v60, off, s[0:3], 0 offset:20
	;; [unrolled: 1-line block ×29, first 2 shown]
	ds_read_b128 v[51:54], v50 offset:208
	ds_read_b128 v[55:58], v50 offset:224
	buffer_load_dword v84, off, s[0:3], 0 offset:132
	s_mov_b32 s4, exec_lo
	s_waitcnt vmcnt(28) lgkmcnt(1)
	v_fma_f64 v[51:52], v[59:60], v[51:52], 0
	s_clause 0x7
	buffer_load_dword v60, off, s[0:3], 0 offset:140
	buffer_load_dword v89, off, s[0:3], 0 offset:160
	;; [unrolled: 1-line block ×8, first 2 shown]
	s_waitcnt vmcnt(34)
	v_fma_f64 v[51:52], v[61:62], v[53:54], v[51:52]
	s_waitcnt vmcnt(32) lgkmcnt(0)
	v_fma_f64 v[51:52], v[63:64], v[55:56], v[51:52]
	s_waitcnt vmcnt(30)
	v_fma_f64 v[61:62], v[65:66], v[57:58], v[51:52]
	ds_read_b128 v[51:54], v50 offset:240
	ds_read_b128 v[55:58], v50 offset:256
	s_waitcnt vmcnt(28) lgkmcnt(1)
	v_fma_f64 v[51:52], v[67:68], v[51:52], v[61:62]
	s_clause 0x5
	buffer_load_dword v62, off, s[0:3], 0 offset:172
	buffer_load_dword v63, off, s[0:3], 0 offset:184
	;; [unrolled: 1-line block ×6, first 2 shown]
	s_waitcnt vmcnt(32)
	v_fma_f64 v[51:52], v[69:70], v[53:54], v[51:52]
	s_waitcnt vmcnt(30) lgkmcnt(0)
	v_fma_f64 v[51:52], v[71:72], v[55:56], v[51:52]
	s_waitcnt vmcnt(25)
	v_fma_f64 v[67:68], v[73:74], v[57:58], v[51:52]
	ds_read_b128 v[51:54], v50 offset:272
	s_clause 0x1
	buffer_load_dword v69, off, s[0:3], 0 offset:8
	buffer_load_dword v70, off, s[0:3], 0 offset:12
	ds_read_b128 v[55:58], v50 offset:288
	s_waitcnt vmcnt(26) lgkmcnt(1)
	v_fma_f64 v[51:52], v[79:80], v[51:52], v[67:68]
	s_waitcnt vmcnt(25)
	v_fma_f64 v[51:52], v[77:78], v[53:54], v[51:52]
	s_waitcnt vmcnt(24) lgkmcnt(0)
	v_fma_f64 v[51:52], v[75:76], v[55:56], v[51:52]
	s_waitcnt vmcnt(19)
	v_fma_f64 v[67:68], v[81:82], v[57:58], v[51:52]
	ds_read_b128 v[51:54], v50 offset:304
	ds_read_b128 v[55:58], v50 offset:320
	s_waitcnt vmcnt(18) lgkmcnt(1)
	v_fma_f64 v[51:52], v[87:88], v[51:52], v[67:68]
	s_waitcnt vmcnt(17)
	v_fma_f64 v[51:52], v[85:86], v[53:54], v[51:52]
	s_waitcnt vmcnt(16) lgkmcnt(0)
	v_fma_f64 v[51:52], v[83:84], v[55:56], v[51:52]
	s_waitcnt vmcnt(11)
	v_fma_f64 v[59:60], v[59:60], v[57:58], v[51:52]
	ds_read_b128 v[51:54], v50 offset:336
	;; [unrolled: 10-line block ×3, first 2 shown]
	s_waitcnt vmcnt(3) lgkmcnt(0)
	v_fma_f64 v[50:51], v[65:66], v[50:51], v[54:55]
	s_waitcnt vmcnt(2)
	v_fma_f64 v[50:51], v[63:64], v[52:53], v[50:51]
	s_waitcnt vmcnt(0)
	v_add_f64 v[50:51], v[69:70], -v[50:51]
	buffer_store_dword v51, off, s[0:3], 0 offset:12
	buffer_store_dword v50, off, s[0:3], 0 offset:8
	v_cmpx_ne_u32_e32 0, v0
	s_cbranch_execz .LBB87_153
; %bb.152:
	s_clause 0x1
	buffer_load_dword v50, off, s[0:3], 0
	buffer_load_dword v51, off, s[0:3], 0 offset:4
	v_mov_b32_e32 v0, 0
	buffer_store_dword v0, off, s[0:3], 0
	buffer_store_dword v0, off, s[0:3], 0 offset:4
	s_waitcnt vmcnt(0)
	ds_write_b64 v49, v[50:51]
.LBB87_153:
	s_or_b32 exec_lo, exec_lo, s4
	s_waitcnt lgkmcnt(0)
	s_waitcnt_vscnt null, 0x0
	s_barrier
	buffer_gl0_inv
	s_clause 0x1c
	buffer_load_dword v57, off, s[0:3], 0 offset:8
	buffer_load_dword v58, off, s[0:3], 0 offset:12
	;; [unrolled: 1-line block ×29, first 2 shown]
	v_mov_b32_e32 v0, 0
	buffer_load_dword v82, off, s[0:3], 0 offset:124
	s_and_b32 vcc_lo, exec_lo, s16
	ds_read2_b64 v[49:52], v0 offset0:25 offset1:26
	ds_read2_b64 v[53:56], v0 offset0:27 offset1:28
	s_clause 0x7
	buffer_load_dword v88, off, s[0:3], 0 offset:132
	buffer_load_dword v89, off, s[0:3], 0 offset:152
	;; [unrolled: 1-line block ×8, first 2 shown]
	s_waitcnt vmcnt(36) lgkmcnt(1)
	v_fma_f64 v[49:50], v[57:58], v[49:50], 0
	s_waitcnt vmcnt(34)
	v_fma_f64 v[49:50], v[59:60], v[51:52], v[49:50]
	s_waitcnt vmcnt(32) lgkmcnt(0)
	v_fma_f64 v[49:50], v[61:62], v[53:54], v[49:50]
	s_waitcnt vmcnt(30)
	v_fma_f64 v[57:58], v[63:64], v[55:56], v[49:50]
	ds_read2_b64 v[49:52], v0 offset0:29 offset1:30
	ds_read2_b64 v[53:56], v0 offset0:31 offset1:32
	s_waitcnt vmcnt(28) lgkmcnt(1)
	v_fma_f64 v[57:58], v[65:66], v[49:50], v[57:58]
	s_clause 0x6
	buffer_load_dword v60, off, s[0:3], 0 offset:164
	buffer_load_dword v61, off, s[0:3], 0 offset:184
	;; [unrolled: 1-line block ×7, first 2 shown]
	s_waitcnt vmcnt(33)
	v_fma_f64 v[50:51], v[67:68], v[51:52], v[57:58]
	s_waitcnt vmcnt(31) lgkmcnt(0)
	v_fma_f64 v[51:52], v[69:70], v[53:54], v[50:51]
	buffer_load_dword v50, off, s[0:3], 0 offset:180
	s_waitcnt vmcnt(27)
	v_fma_f64 v[65:66], v[71:72], v[55:56], v[51:52]
	ds_read2_b64 v[51:54], v0 offset0:33 offset1:34
	ds_read2_b64 v[55:58], v0 offset0:35 offset1:36
	s_waitcnt vmcnt(26) lgkmcnt(1)
	v_fma_f64 v[51:52], v[77:78], v[51:52], v[65:66]
	s_clause 0x1
	buffer_load_dword v65, off, s[0:3], 0
	buffer_load_dword v66, off, s[0:3], 0 offset:4
	s_waitcnt vmcnt(27)
	v_fma_f64 v[51:52], v[75:76], v[53:54], v[51:52]
	s_waitcnt vmcnt(26) lgkmcnt(0)
	v_fma_f64 v[51:52], v[73:74], v[55:56], v[51:52]
	s_waitcnt vmcnt(21)
	v_fma_f64 v[67:68], v[79:80], v[57:58], v[51:52]
	ds_read2_b64 v[51:54], v0 offset0:37 offset1:38
	ds_read2_b64 v[55:58], v0 offset0:39 offset1:40
	s_waitcnt vmcnt(20) lgkmcnt(1)
	v_fma_f64 v[51:52], v[85:86], v[51:52], v[67:68]
	s_waitcnt vmcnt(19)
	v_fma_f64 v[51:52], v[83:84], v[53:54], v[51:52]
	s_waitcnt vmcnt(18) lgkmcnt(0)
	v_fma_f64 v[51:52], v[81:82], v[55:56], v[51:52]
	s_waitcnt vmcnt(13)
	v_fma_f64 v[67:68], v[87:88], v[57:58], v[51:52]
	ds_read2_b64 v[51:54], v0 offset0:41 offset1:42
	ds_read2_b64 v[55:58], v0 offset0:43 offset1:44
	s_waitcnt vmcnt(12) lgkmcnt(1)
	v_fma_f64 v[51:52], v[93:94], v[51:52], v[67:68]
	s_waitcnt vmcnt(11)
	v_fma_f64 v[51:52], v[91:92], v[53:54], v[51:52]
	s_waitcnt vmcnt(10) lgkmcnt(0)
	v_fma_f64 v[51:52], v[89:90], v[55:56], v[51:52]
	s_waitcnt vmcnt(5)
	v_fma_f64 v[55:56], v[59:60], v[57:58], v[51:52]
	ds_read2_b64 v[51:54], v0 offset0:45 offset1:46
	ds_read_b64 v[57:58], v0 offset:376
	s_waitcnt vmcnt(4) lgkmcnt(1)
	v_fma_f64 v[51:52], v[63:64], v[51:52], v[55:56]
	s_waitcnt vmcnt(2)
	v_fma_f64 v[51:52], v[49:50], v[53:54], v[51:52]
	s_waitcnt lgkmcnt(0)
	v_fma_f64 v[51:52], v[61:62], v[57:58], v[51:52]
	s_waitcnt vmcnt(0)
	v_add_f64 v[51:52], v[65:66], -v[51:52]
	buffer_store_dword v52, off, s[0:3], 0 offset:4
	buffer_store_dword v51, off, s[0:3], 0
	s_cbranch_vccz .LBB87_200
; %bb.154:
	global_load_dword v0, v0, s[12:13] offset:88
	s_waitcnt vmcnt(0)
	v_add_nc_u32_e32 v0, -1, v0
	v_cmp_ne_u32_e32 vcc_lo, 22, v0
	s_cbranch_vccz .LBB87_156
; %bb.155:
	v_lshlrev_b32_e32 v0, 3, v0
	s_clause 0x1
	buffer_load_dword v51, v0, s[0:3], 0 offen offset:4
	buffer_load_dword v52, v0, s[0:3], 0 offen
	s_waitcnt vmcnt(1)
	buffer_store_dword v51, off, s[0:3], 0 offset:180
	s_waitcnt vmcnt(0)
	buffer_store_dword v52, off, s[0:3], 0 offset:176
	buffer_store_dword v50, v0, s[0:3], 0 offen offset:4
	buffer_store_dword v49, v0, s[0:3], 0 offen
.LBB87_156:
	v_mov_b32_e32 v0, 0
	global_load_dword v49, v0, s[12:13] offset:84
	s_waitcnt vmcnt(0)
	v_add_nc_u32_e32 v49, -1, v49
	v_cmp_eq_u32_e32 vcc_lo, 21, v49
	s_cbranch_vccnz .LBB87_158
; %bb.157:
	v_lshlrev_b32_e32 v49, 3, v49
	s_clause 0x3
	buffer_load_dword v50, v49, s[0:3], 0 offen
	buffer_load_dword v51, v49, s[0:3], 0 offen offset:4
	buffer_load_dword v52, off, s[0:3], 0 offset:168
	buffer_load_dword v53, off, s[0:3], 0 offset:172
	s_waitcnt vmcnt(3)
	buffer_store_dword v50, off, s[0:3], 0 offset:168
	s_waitcnt vmcnt(2)
	buffer_store_dword v51, off, s[0:3], 0 offset:172
	s_waitcnt vmcnt(1)
	buffer_store_dword v52, v49, s[0:3], 0 offen
	s_waitcnt vmcnt(0)
	buffer_store_dword v53, v49, s[0:3], 0 offen offset:4
.LBB87_158:
	global_load_dword v0, v0, s[12:13] offset:80
	s_waitcnt vmcnt(0)
	v_add_nc_u32_e32 v0, -1, v0
	v_cmp_eq_u32_e32 vcc_lo, 20, v0
	s_cbranch_vccnz .LBB87_160
; %bb.159:
	v_lshlrev_b32_e32 v0, 3, v0
	s_clause 0x3
	buffer_load_dword v49, v0, s[0:3], 0 offen
	buffer_load_dword v50, v0, s[0:3], 0 offen offset:4
	buffer_load_dword v51, off, s[0:3], 0 offset:164
	buffer_load_dword v52, off, s[0:3], 0 offset:160
	s_waitcnt vmcnt(3)
	buffer_store_dword v49, off, s[0:3], 0 offset:160
	s_waitcnt vmcnt(2)
	buffer_store_dword v50, off, s[0:3], 0 offset:164
	s_waitcnt vmcnt(1)
	buffer_store_dword v51, v0, s[0:3], 0 offen offset:4
	s_waitcnt vmcnt(0)
	buffer_store_dword v52, v0, s[0:3], 0 offen
.LBB87_160:
	v_mov_b32_e32 v0, 0
	global_load_dword v49, v0, s[12:13] offset:76
	s_waitcnt vmcnt(0)
	v_add_nc_u32_e32 v49, -1, v49
	v_cmp_eq_u32_e32 vcc_lo, 19, v49
	s_cbranch_vccnz .LBB87_162
; %bb.161:
	v_lshlrev_b32_e32 v49, 3, v49
	s_clause 0x3
	buffer_load_dword v50, v49, s[0:3], 0 offen
	buffer_load_dword v51, v49, s[0:3], 0 offen offset:4
	buffer_load_dword v52, off, s[0:3], 0 offset:152
	buffer_load_dword v53, off, s[0:3], 0 offset:156
	s_waitcnt vmcnt(3)
	buffer_store_dword v50, off, s[0:3], 0 offset:152
	s_waitcnt vmcnt(2)
	buffer_store_dword v51, off, s[0:3], 0 offset:156
	s_waitcnt vmcnt(1)
	buffer_store_dword v52, v49, s[0:3], 0 offen
	s_waitcnt vmcnt(0)
	buffer_store_dword v53, v49, s[0:3], 0 offen offset:4
.LBB87_162:
	global_load_dword v0, v0, s[12:13] offset:72
	s_waitcnt vmcnt(0)
	v_add_nc_u32_e32 v0, -1, v0
	v_cmp_eq_u32_e32 vcc_lo, 18, v0
	s_cbranch_vccnz .LBB87_164
; %bb.163:
	v_lshlrev_b32_e32 v0, 3, v0
	s_clause 0x3
	buffer_load_dword v49, v0, s[0:3], 0 offen
	buffer_load_dword v50, v0, s[0:3], 0 offen offset:4
	buffer_load_dword v51, off, s[0:3], 0 offset:148
	buffer_load_dword v52, off, s[0:3], 0 offset:144
	s_waitcnt vmcnt(3)
	buffer_store_dword v49, off, s[0:3], 0 offset:144
	s_waitcnt vmcnt(2)
	buffer_store_dword v50, off, s[0:3], 0 offset:148
	s_waitcnt vmcnt(1)
	buffer_store_dword v51, v0, s[0:3], 0 offen offset:4
	s_waitcnt vmcnt(0)
	buffer_store_dword v52, v0, s[0:3], 0 offen
.LBB87_164:
	v_mov_b32_e32 v0, 0
	global_load_dword v49, v0, s[12:13] offset:68
	s_waitcnt vmcnt(0)
	v_add_nc_u32_e32 v49, -1, v49
	v_cmp_eq_u32_e32 vcc_lo, 17, v49
	s_cbranch_vccnz .LBB87_166
; %bb.165:
	v_lshlrev_b32_e32 v49, 3, v49
	s_clause 0x3
	buffer_load_dword v50, v49, s[0:3], 0 offen
	buffer_load_dword v51, v49, s[0:3], 0 offen offset:4
	buffer_load_dword v52, off, s[0:3], 0 offset:136
	buffer_load_dword v53, off, s[0:3], 0 offset:140
	s_waitcnt vmcnt(3)
	buffer_store_dword v50, off, s[0:3], 0 offset:136
	s_waitcnt vmcnt(2)
	buffer_store_dword v51, off, s[0:3], 0 offset:140
	s_waitcnt vmcnt(1)
	buffer_store_dword v52, v49, s[0:3], 0 offen
	s_waitcnt vmcnt(0)
	buffer_store_dword v53, v49, s[0:3], 0 offen offset:4
.LBB87_166:
	global_load_dword v0, v0, s[12:13] offset:64
	s_waitcnt vmcnt(0)
	v_add_nc_u32_e32 v0, -1, v0
	v_cmp_eq_u32_e32 vcc_lo, 16, v0
	s_cbranch_vccnz .LBB87_168
; %bb.167:
	v_lshlrev_b32_e32 v0, 3, v0
	s_clause 0x3
	buffer_load_dword v49, v0, s[0:3], 0 offen
	buffer_load_dword v50, v0, s[0:3], 0 offen offset:4
	buffer_load_dword v51, off, s[0:3], 0 offset:132
	buffer_load_dword v52, off, s[0:3], 0 offset:128
	s_waitcnt vmcnt(3)
	buffer_store_dword v49, off, s[0:3], 0 offset:128
	s_waitcnt vmcnt(2)
	buffer_store_dword v50, off, s[0:3], 0 offset:132
	s_waitcnt vmcnt(1)
	buffer_store_dword v51, v0, s[0:3], 0 offen offset:4
	s_waitcnt vmcnt(0)
	buffer_store_dword v52, v0, s[0:3], 0 offen
.LBB87_168:
	v_mov_b32_e32 v0, 0
	global_load_dword v49, v0, s[12:13] offset:60
	s_waitcnt vmcnt(0)
	v_add_nc_u32_e32 v49, -1, v49
	v_cmp_eq_u32_e32 vcc_lo, 15, v49
	s_cbranch_vccnz .LBB87_170
; %bb.169:
	v_lshlrev_b32_e32 v49, 3, v49
	s_clause 0x3
	buffer_load_dword v50, v49, s[0:3], 0 offen
	buffer_load_dword v51, v49, s[0:3], 0 offen offset:4
	buffer_load_dword v52, off, s[0:3], 0 offset:120
	buffer_load_dword v53, off, s[0:3], 0 offset:124
	s_waitcnt vmcnt(3)
	buffer_store_dword v50, off, s[0:3], 0 offset:120
	s_waitcnt vmcnt(2)
	buffer_store_dword v51, off, s[0:3], 0 offset:124
	s_waitcnt vmcnt(1)
	buffer_store_dword v52, v49, s[0:3], 0 offen
	s_waitcnt vmcnt(0)
	buffer_store_dword v53, v49, s[0:3], 0 offen offset:4
.LBB87_170:
	global_load_dword v0, v0, s[12:13] offset:56
	s_waitcnt vmcnt(0)
	v_add_nc_u32_e32 v0, -1, v0
	v_cmp_eq_u32_e32 vcc_lo, 14, v0
	s_cbranch_vccnz .LBB87_172
; %bb.171:
	v_lshlrev_b32_e32 v0, 3, v0
	s_clause 0x3
	buffer_load_dword v49, v0, s[0:3], 0 offen
	buffer_load_dword v50, v0, s[0:3], 0 offen offset:4
	buffer_load_dword v51, off, s[0:3], 0 offset:116
	buffer_load_dword v52, off, s[0:3], 0 offset:112
	s_waitcnt vmcnt(3)
	buffer_store_dword v49, off, s[0:3], 0 offset:112
	s_waitcnt vmcnt(2)
	buffer_store_dword v50, off, s[0:3], 0 offset:116
	s_waitcnt vmcnt(1)
	buffer_store_dword v51, v0, s[0:3], 0 offen offset:4
	s_waitcnt vmcnt(0)
	buffer_store_dword v52, v0, s[0:3], 0 offen
.LBB87_172:
	v_mov_b32_e32 v0, 0
	global_load_dword v49, v0, s[12:13] offset:52
	s_waitcnt vmcnt(0)
	v_add_nc_u32_e32 v49, -1, v49
	v_cmp_eq_u32_e32 vcc_lo, 13, v49
	s_cbranch_vccnz .LBB87_174
; %bb.173:
	v_lshlrev_b32_e32 v49, 3, v49
	s_clause 0x3
	buffer_load_dword v50, v49, s[0:3], 0 offen
	buffer_load_dword v51, v49, s[0:3], 0 offen offset:4
	buffer_load_dword v52, off, s[0:3], 0 offset:104
	buffer_load_dword v53, off, s[0:3], 0 offset:108
	s_waitcnt vmcnt(3)
	buffer_store_dword v50, off, s[0:3], 0 offset:104
	s_waitcnt vmcnt(2)
	buffer_store_dword v51, off, s[0:3], 0 offset:108
	s_waitcnt vmcnt(1)
	buffer_store_dword v52, v49, s[0:3], 0 offen
	s_waitcnt vmcnt(0)
	buffer_store_dword v53, v49, s[0:3], 0 offen offset:4
.LBB87_174:
	global_load_dword v0, v0, s[12:13] offset:48
	s_waitcnt vmcnt(0)
	v_add_nc_u32_e32 v0, -1, v0
	v_cmp_eq_u32_e32 vcc_lo, 12, v0
	s_cbranch_vccnz .LBB87_176
; %bb.175:
	v_lshlrev_b32_e32 v0, 3, v0
	s_clause 0x3
	buffer_load_dword v49, v0, s[0:3], 0 offen
	buffer_load_dword v50, v0, s[0:3], 0 offen offset:4
	buffer_load_dword v51, off, s[0:3], 0 offset:100
	buffer_load_dword v52, off, s[0:3], 0 offset:96
	s_waitcnt vmcnt(3)
	buffer_store_dword v49, off, s[0:3], 0 offset:96
	s_waitcnt vmcnt(2)
	buffer_store_dword v50, off, s[0:3], 0 offset:100
	s_waitcnt vmcnt(1)
	buffer_store_dword v51, v0, s[0:3], 0 offen offset:4
	s_waitcnt vmcnt(0)
	buffer_store_dword v52, v0, s[0:3], 0 offen
.LBB87_176:
	v_mov_b32_e32 v0, 0
	global_load_dword v49, v0, s[12:13] offset:44
	s_waitcnt vmcnt(0)
	v_add_nc_u32_e32 v49, -1, v49
	v_cmp_eq_u32_e32 vcc_lo, 11, v49
	s_cbranch_vccnz .LBB87_178
; %bb.177:
	v_lshlrev_b32_e32 v49, 3, v49
	s_clause 0x3
	buffer_load_dword v50, v49, s[0:3], 0 offen
	buffer_load_dword v51, v49, s[0:3], 0 offen offset:4
	buffer_load_dword v52, off, s[0:3], 0 offset:88
	buffer_load_dword v53, off, s[0:3], 0 offset:92
	s_waitcnt vmcnt(3)
	buffer_store_dword v50, off, s[0:3], 0 offset:88
	s_waitcnt vmcnt(2)
	buffer_store_dword v51, off, s[0:3], 0 offset:92
	s_waitcnt vmcnt(1)
	buffer_store_dword v52, v49, s[0:3], 0 offen
	s_waitcnt vmcnt(0)
	buffer_store_dword v53, v49, s[0:3], 0 offen offset:4
.LBB87_178:
	global_load_dword v0, v0, s[12:13] offset:40
	s_waitcnt vmcnt(0)
	v_add_nc_u32_e32 v0, -1, v0
	v_cmp_eq_u32_e32 vcc_lo, 10, v0
	s_cbranch_vccnz .LBB87_180
; %bb.179:
	v_lshlrev_b32_e32 v0, 3, v0
	s_clause 0x3
	buffer_load_dword v49, v0, s[0:3], 0 offen
	buffer_load_dword v50, v0, s[0:3], 0 offen offset:4
	buffer_load_dword v51, off, s[0:3], 0 offset:84
	buffer_load_dword v52, off, s[0:3], 0 offset:80
	s_waitcnt vmcnt(3)
	buffer_store_dword v49, off, s[0:3], 0 offset:80
	s_waitcnt vmcnt(2)
	buffer_store_dword v50, off, s[0:3], 0 offset:84
	s_waitcnt vmcnt(1)
	buffer_store_dword v51, v0, s[0:3], 0 offen offset:4
	s_waitcnt vmcnt(0)
	buffer_store_dword v52, v0, s[0:3], 0 offen
.LBB87_180:
	v_mov_b32_e32 v0, 0
	global_load_dword v49, v0, s[12:13] offset:36
	s_waitcnt vmcnt(0)
	v_add_nc_u32_e32 v49, -1, v49
	v_cmp_eq_u32_e32 vcc_lo, 9, v49
	s_cbranch_vccnz .LBB87_182
; %bb.181:
	v_lshlrev_b32_e32 v49, 3, v49
	s_clause 0x3
	buffer_load_dword v50, v49, s[0:3], 0 offen
	buffer_load_dword v51, v49, s[0:3], 0 offen offset:4
	buffer_load_dword v52, off, s[0:3], 0 offset:72
	buffer_load_dword v53, off, s[0:3], 0 offset:76
	s_waitcnt vmcnt(3)
	buffer_store_dword v50, off, s[0:3], 0 offset:72
	s_waitcnt vmcnt(2)
	buffer_store_dword v51, off, s[0:3], 0 offset:76
	s_waitcnt vmcnt(1)
	buffer_store_dword v52, v49, s[0:3], 0 offen
	s_waitcnt vmcnt(0)
	buffer_store_dword v53, v49, s[0:3], 0 offen offset:4
.LBB87_182:
	global_load_dword v0, v0, s[12:13] offset:32
	s_waitcnt vmcnt(0)
	v_add_nc_u32_e32 v0, -1, v0
	v_cmp_eq_u32_e32 vcc_lo, 8, v0
	s_cbranch_vccnz .LBB87_184
; %bb.183:
	v_lshlrev_b32_e32 v0, 3, v0
	s_clause 0x3
	buffer_load_dword v49, v0, s[0:3], 0 offen
	buffer_load_dword v50, v0, s[0:3], 0 offen offset:4
	buffer_load_dword v51, off, s[0:3], 0 offset:68
	buffer_load_dword v52, off, s[0:3], 0 offset:64
	s_waitcnt vmcnt(3)
	buffer_store_dword v49, off, s[0:3], 0 offset:64
	s_waitcnt vmcnt(2)
	buffer_store_dword v50, off, s[0:3], 0 offset:68
	s_waitcnt vmcnt(1)
	buffer_store_dword v51, v0, s[0:3], 0 offen offset:4
	s_waitcnt vmcnt(0)
	buffer_store_dword v52, v0, s[0:3], 0 offen
.LBB87_184:
	v_mov_b32_e32 v0, 0
	global_load_dword v49, v0, s[12:13] offset:28
	s_waitcnt vmcnt(0)
	v_add_nc_u32_e32 v49, -1, v49
	v_cmp_eq_u32_e32 vcc_lo, 7, v49
	s_cbranch_vccnz .LBB87_186
; %bb.185:
	v_lshlrev_b32_e32 v49, 3, v49
	s_clause 0x3
	buffer_load_dword v50, v49, s[0:3], 0 offen
	buffer_load_dword v51, v49, s[0:3], 0 offen offset:4
	buffer_load_dword v52, off, s[0:3], 0 offset:56
	buffer_load_dword v53, off, s[0:3], 0 offset:60
	s_waitcnt vmcnt(3)
	buffer_store_dword v50, off, s[0:3], 0 offset:56
	s_waitcnt vmcnt(2)
	buffer_store_dword v51, off, s[0:3], 0 offset:60
	s_waitcnt vmcnt(1)
	buffer_store_dword v52, v49, s[0:3], 0 offen
	s_waitcnt vmcnt(0)
	buffer_store_dword v53, v49, s[0:3], 0 offen offset:4
.LBB87_186:
	global_load_dword v0, v0, s[12:13] offset:24
	s_waitcnt vmcnt(0)
	v_add_nc_u32_e32 v0, -1, v0
	v_cmp_eq_u32_e32 vcc_lo, 6, v0
	s_cbranch_vccnz .LBB87_188
; %bb.187:
	v_lshlrev_b32_e32 v0, 3, v0
	s_clause 0x3
	buffer_load_dword v49, v0, s[0:3], 0 offen
	buffer_load_dword v50, v0, s[0:3], 0 offen offset:4
	buffer_load_dword v51, off, s[0:3], 0 offset:52
	buffer_load_dword v52, off, s[0:3], 0 offset:48
	s_waitcnt vmcnt(3)
	buffer_store_dword v49, off, s[0:3], 0 offset:48
	s_waitcnt vmcnt(2)
	buffer_store_dword v50, off, s[0:3], 0 offset:52
	s_waitcnt vmcnt(1)
	buffer_store_dword v51, v0, s[0:3], 0 offen offset:4
	s_waitcnt vmcnt(0)
	buffer_store_dword v52, v0, s[0:3], 0 offen
.LBB87_188:
	v_mov_b32_e32 v0, 0
	global_load_dword v49, v0, s[12:13] offset:20
	s_waitcnt vmcnt(0)
	v_add_nc_u32_e32 v49, -1, v49
	v_cmp_eq_u32_e32 vcc_lo, 5, v49
	s_cbranch_vccnz .LBB87_190
; %bb.189:
	v_lshlrev_b32_e32 v49, 3, v49
	s_clause 0x3
	buffer_load_dword v50, v49, s[0:3], 0 offen
	buffer_load_dword v51, v49, s[0:3], 0 offen offset:4
	buffer_load_dword v52, off, s[0:3], 0 offset:40
	buffer_load_dword v53, off, s[0:3], 0 offset:44
	s_waitcnt vmcnt(3)
	buffer_store_dword v50, off, s[0:3], 0 offset:40
	s_waitcnt vmcnt(2)
	buffer_store_dword v51, off, s[0:3], 0 offset:44
	s_waitcnt vmcnt(1)
	buffer_store_dword v52, v49, s[0:3], 0 offen
	s_waitcnt vmcnt(0)
	buffer_store_dword v53, v49, s[0:3], 0 offen offset:4
.LBB87_190:
	global_load_dword v0, v0, s[12:13] offset:16
	s_waitcnt vmcnt(0)
	v_add_nc_u32_e32 v0, -1, v0
	v_cmp_eq_u32_e32 vcc_lo, 4, v0
	s_cbranch_vccnz .LBB87_192
; %bb.191:
	v_lshlrev_b32_e32 v0, 3, v0
	s_clause 0x3
	buffer_load_dword v49, v0, s[0:3], 0 offen
	buffer_load_dword v50, v0, s[0:3], 0 offen offset:4
	buffer_load_dword v51, off, s[0:3], 0 offset:36
	buffer_load_dword v52, off, s[0:3], 0 offset:32
	s_waitcnt vmcnt(3)
	buffer_store_dword v49, off, s[0:3], 0 offset:32
	s_waitcnt vmcnt(2)
	buffer_store_dword v50, off, s[0:3], 0 offset:36
	s_waitcnt vmcnt(1)
	buffer_store_dword v51, v0, s[0:3], 0 offen offset:4
	s_waitcnt vmcnt(0)
	buffer_store_dword v52, v0, s[0:3], 0 offen
.LBB87_192:
	v_mov_b32_e32 v0, 0
	global_load_dword v49, v0, s[12:13] offset:12
	s_waitcnt vmcnt(0)
	v_add_nc_u32_e32 v49, -1, v49
	v_cmp_eq_u32_e32 vcc_lo, 3, v49
	s_cbranch_vccnz .LBB87_194
; %bb.193:
	v_lshlrev_b32_e32 v49, 3, v49
	s_clause 0x3
	buffer_load_dword v50, v49, s[0:3], 0 offen
	buffer_load_dword v51, v49, s[0:3], 0 offen offset:4
	buffer_load_dword v52, off, s[0:3], 0 offset:24
	buffer_load_dword v53, off, s[0:3], 0 offset:28
	s_waitcnt vmcnt(3)
	buffer_store_dword v50, off, s[0:3], 0 offset:24
	s_waitcnt vmcnt(2)
	buffer_store_dword v51, off, s[0:3], 0 offset:28
	s_waitcnt vmcnt(1)
	buffer_store_dword v52, v49, s[0:3], 0 offen
	s_waitcnt vmcnt(0)
	buffer_store_dword v53, v49, s[0:3], 0 offen offset:4
.LBB87_194:
	global_load_dword v0, v0, s[12:13] offset:8
	s_waitcnt vmcnt(0)
	v_add_nc_u32_e32 v0, -1, v0
	v_cmp_eq_u32_e32 vcc_lo, 2, v0
	s_cbranch_vccnz .LBB87_196
; %bb.195:
	v_lshlrev_b32_e32 v0, 3, v0
	s_clause 0x3
	buffer_load_dword v49, v0, s[0:3], 0 offen
	buffer_load_dword v50, v0, s[0:3], 0 offen offset:4
	buffer_load_dword v51, off, s[0:3], 0 offset:20
	buffer_load_dword v52, off, s[0:3], 0 offset:16
	s_waitcnt vmcnt(3)
	buffer_store_dword v49, off, s[0:3], 0 offset:16
	s_waitcnt vmcnt(2)
	buffer_store_dword v50, off, s[0:3], 0 offset:20
	s_waitcnt vmcnt(1)
	buffer_store_dword v51, v0, s[0:3], 0 offen offset:4
	s_waitcnt vmcnt(0)
	buffer_store_dword v52, v0, s[0:3], 0 offen
.LBB87_196:
	v_mov_b32_e32 v0, 0
	global_load_dword v49, v0, s[12:13] offset:4
	s_waitcnt vmcnt(0)
	v_add_nc_u32_e32 v49, -1, v49
	v_cmp_eq_u32_e32 vcc_lo, 1, v49
	s_cbranch_vccnz .LBB87_198
; %bb.197:
	v_lshlrev_b32_e32 v49, 3, v49
	s_clause 0x3
	buffer_load_dword v50, v49, s[0:3], 0 offen
	buffer_load_dword v51, v49, s[0:3], 0 offen offset:4
	buffer_load_dword v52, off, s[0:3], 0 offset:8
	buffer_load_dword v53, off, s[0:3], 0 offset:12
	s_waitcnt vmcnt(3)
	buffer_store_dword v50, off, s[0:3], 0 offset:8
	s_waitcnt vmcnt(2)
	buffer_store_dword v51, off, s[0:3], 0 offset:12
	s_waitcnt vmcnt(1)
	buffer_store_dword v52, v49, s[0:3], 0 offen
	s_waitcnt vmcnt(0)
	buffer_store_dword v53, v49, s[0:3], 0 offen offset:4
.LBB87_198:
	global_load_dword v0, v0, s[12:13]
	s_clause 0x1
	buffer_load_dword v51, off, s[0:3], 0
	buffer_load_dword v52, off, s[0:3], 0 offset:4
	s_waitcnt vmcnt(2)
	v_add_nc_u32_e32 v0, -1, v0
	v_cmp_eq_u32_e32 vcc_lo, 0, v0
	s_cbranch_vccnz .LBB87_200
; %bb.199:
	v_lshlrev_b32_e32 v0, 3, v0
	s_clause 0x1
	buffer_load_dword v49, v0, s[0:3], 0 offen offset:4
	buffer_load_dword v50, v0, s[0:3], 0 offen
	s_waitcnt vmcnt(1)
	buffer_store_dword v49, off, s[0:3], 0 offset:4
	s_waitcnt vmcnt(0)
	buffer_store_dword v50, off, s[0:3], 0
	buffer_store_dword v52, v0, s[0:3], 0 offen offset:4
	buffer_store_dword v51, v0, s[0:3], 0 offen
	s_clause 0x1
	buffer_load_dword v51, off, s[0:3], 0
	buffer_load_dword v52, off, s[0:3], 0 offset:4
.LBB87_200:
	s_waitcnt vmcnt(0)
	flat_store_dwordx2 v[1:2], v[51:52]
	s_clause 0x1
	buffer_load_dword v0, off, s[0:3], 0 offset:8
	buffer_load_dword v1, off, s[0:3], 0 offset:12
	s_waitcnt vmcnt(0)
	flat_store_dwordx2 v[3:4], v[0:1]
	s_clause 0x1
	buffer_load_dword v0, off, s[0:3], 0 offset:16
	buffer_load_dword v1, off, s[0:3], 0 offset:20
	;; [unrolled: 5-line block ×23, first 2 shown]
	s_waitcnt vmcnt(0)
	flat_store_dwordx2 v[47:48], v[0:1]
	s_endpgm
	.section	.rodata,"a",@progbits
	.p2align	6, 0x0
	.amdhsa_kernel _ZN9rocsolver6v33100L18getri_kernel_smallILi24EdPKPdEEvT1_iilPiilS6_bb
		.amdhsa_group_segment_fixed_size 392
		.amdhsa_private_segment_fixed_size 208
		.amdhsa_kernarg_size 60
		.amdhsa_user_sgpr_count 6
		.amdhsa_user_sgpr_private_segment_buffer 1
		.amdhsa_user_sgpr_dispatch_ptr 0
		.amdhsa_user_sgpr_queue_ptr 0
		.amdhsa_user_sgpr_kernarg_segment_ptr 1
		.amdhsa_user_sgpr_dispatch_id 0
		.amdhsa_user_sgpr_flat_scratch_init 0
		.amdhsa_user_sgpr_private_segment_size 0
		.amdhsa_wavefront_size32 1
		.amdhsa_uses_dynamic_stack 0
		.amdhsa_system_sgpr_private_segment_wavefront_offset 1
		.amdhsa_system_sgpr_workgroup_id_x 1
		.amdhsa_system_sgpr_workgroup_id_y 0
		.amdhsa_system_sgpr_workgroup_id_z 0
		.amdhsa_system_sgpr_workgroup_info 0
		.amdhsa_system_vgpr_workitem_id 0
		.amdhsa_next_free_vgpr 95
		.amdhsa_next_free_sgpr 20
		.amdhsa_reserve_vcc 1
		.amdhsa_reserve_flat_scratch 0
		.amdhsa_float_round_mode_32 0
		.amdhsa_float_round_mode_16_64 0
		.amdhsa_float_denorm_mode_32 3
		.amdhsa_float_denorm_mode_16_64 3
		.amdhsa_dx10_clamp 1
		.amdhsa_ieee_mode 1
		.amdhsa_fp16_overflow 0
		.amdhsa_workgroup_processor_mode 1
		.amdhsa_memory_ordered 1
		.amdhsa_forward_progress 1
		.amdhsa_shared_vgpr_count 0
		.amdhsa_exception_fp_ieee_invalid_op 0
		.amdhsa_exception_fp_denorm_src 0
		.amdhsa_exception_fp_ieee_div_zero 0
		.amdhsa_exception_fp_ieee_overflow 0
		.amdhsa_exception_fp_ieee_underflow 0
		.amdhsa_exception_fp_ieee_inexact 0
		.amdhsa_exception_int_div_zero 0
	.end_amdhsa_kernel
	.section	.text._ZN9rocsolver6v33100L18getri_kernel_smallILi24EdPKPdEEvT1_iilPiilS6_bb,"axG",@progbits,_ZN9rocsolver6v33100L18getri_kernel_smallILi24EdPKPdEEvT1_iilPiilS6_bb,comdat
.Lfunc_end87:
	.size	_ZN9rocsolver6v33100L18getri_kernel_smallILi24EdPKPdEEvT1_iilPiilS6_bb, .Lfunc_end87-_ZN9rocsolver6v33100L18getri_kernel_smallILi24EdPKPdEEvT1_iilPiilS6_bb
                                        ; -- End function
	.set _ZN9rocsolver6v33100L18getri_kernel_smallILi24EdPKPdEEvT1_iilPiilS6_bb.num_vgpr, 95
	.set _ZN9rocsolver6v33100L18getri_kernel_smallILi24EdPKPdEEvT1_iilPiilS6_bb.num_agpr, 0
	.set _ZN9rocsolver6v33100L18getri_kernel_smallILi24EdPKPdEEvT1_iilPiilS6_bb.numbered_sgpr, 20
	.set _ZN9rocsolver6v33100L18getri_kernel_smallILi24EdPKPdEEvT1_iilPiilS6_bb.num_named_barrier, 0
	.set _ZN9rocsolver6v33100L18getri_kernel_smallILi24EdPKPdEEvT1_iilPiilS6_bb.private_seg_size, 208
	.set _ZN9rocsolver6v33100L18getri_kernel_smallILi24EdPKPdEEvT1_iilPiilS6_bb.uses_vcc, 1
	.set _ZN9rocsolver6v33100L18getri_kernel_smallILi24EdPKPdEEvT1_iilPiilS6_bb.uses_flat_scratch, 0
	.set _ZN9rocsolver6v33100L18getri_kernel_smallILi24EdPKPdEEvT1_iilPiilS6_bb.has_dyn_sized_stack, 0
	.set _ZN9rocsolver6v33100L18getri_kernel_smallILi24EdPKPdEEvT1_iilPiilS6_bb.has_recursion, 0
	.set _ZN9rocsolver6v33100L18getri_kernel_smallILi24EdPKPdEEvT1_iilPiilS6_bb.has_indirect_call, 0
	.section	.AMDGPU.csdata,"",@progbits
; Kernel info:
; codeLenInByte = 22584
; TotalNumSgprs: 22
; NumVgprs: 95
; ScratchSize: 208
; MemoryBound: 0
; FloatMode: 240
; IeeeMode: 1
; LDSByteSize: 392 bytes/workgroup (compile time only)
; SGPRBlocks: 0
; VGPRBlocks: 11
; NumSGPRsForWavesPerEU: 22
; NumVGPRsForWavesPerEU: 95
; Occupancy: 10
; WaveLimiterHint : 1
; COMPUTE_PGM_RSRC2:SCRATCH_EN: 1
; COMPUTE_PGM_RSRC2:USER_SGPR: 6
; COMPUTE_PGM_RSRC2:TRAP_HANDLER: 0
; COMPUTE_PGM_RSRC2:TGID_X_EN: 1
; COMPUTE_PGM_RSRC2:TGID_Y_EN: 0
; COMPUTE_PGM_RSRC2:TGID_Z_EN: 0
; COMPUTE_PGM_RSRC2:TIDIG_COMP_CNT: 0
	.section	.text._ZN9rocsolver6v33100L18getri_kernel_smallILi25EdPKPdEEvT1_iilPiilS6_bb,"axG",@progbits,_ZN9rocsolver6v33100L18getri_kernel_smallILi25EdPKPdEEvT1_iilPiilS6_bb,comdat
	.globl	_ZN9rocsolver6v33100L18getri_kernel_smallILi25EdPKPdEEvT1_iilPiilS6_bb ; -- Begin function _ZN9rocsolver6v33100L18getri_kernel_smallILi25EdPKPdEEvT1_iilPiilS6_bb
	.p2align	8
	.type	_ZN9rocsolver6v33100L18getri_kernel_smallILi25EdPKPdEEvT1_iilPiilS6_bb,@function
_ZN9rocsolver6v33100L18getri_kernel_smallILi25EdPKPdEEvT1_iilPiilS6_bb: ; @_ZN9rocsolver6v33100L18getri_kernel_smallILi25EdPKPdEEvT1_iilPiilS6_bb
; %bb.0:
	s_add_u32 s0, s0, s7
	s_addc_u32 s1, s1, 0
	s_mov_b32 s7, exec_lo
	v_cmpx_gt_u32_e32 25, v0
	s_cbranch_execz .LBB88_110
; %bb.1:
	s_clause 0x2
	s_load_dword s17, s[4:5], 0x38
	s_load_dwordx2 s[12:13], s[4:5], 0x0
	s_load_dwordx4 s[8:11], s[4:5], 0x28
	s_waitcnt lgkmcnt(0)
	s_bitcmp1_b32 s17, 8
	s_cselect_b32 s16, -1, 0
	s_ashr_i32 s7, s6, 31
	s_lshl_b64 s[14:15], s[6:7], 3
	s_add_u32 s12, s12, s14
	s_addc_u32 s13, s13, s15
	s_load_dwordx2 s[14:15], s[12:13], 0x0
	s_bfe_u32 s12, s17, 0x10008
	s_cmp_eq_u32 s12, 0
                                        ; implicit-def: $sgpr12_sgpr13
	s_cbranch_scc1 .LBB88_3
; %bb.2:
	s_clause 0x1
	s_load_dword s12, s[4:5], 0x20
	s_load_dwordx2 s[18:19], s[4:5], 0x18
	s_mul_i32 s13, s8, s7
	s_mul_hi_u32 s17, s8, s6
	s_mul_i32 s9, s9, s6
	s_add_i32 s13, s17, s13
	s_mul_i32 s8, s8, s6
	s_add_i32 s9, s13, s9
	s_lshl_b64 s[8:9], s[8:9], 2
	s_waitcnt lgkmcnt(0)
	s_ashr_i32 s13, s12, 31
	s_add_u32 s17, s18, s8
	s_addc_u32 s18, s19, s9
	s_lshl_b64 s[8:9], s[12:13], 2
	s_add_u32 s12, s17, s8
	s_addc_u32 s13, s18, s9
.LBB88_3:
	s_clause 0x1
	s_load_dwordx2 s[8:9], s[4:5], 0x8
	s_load_dword s4, s[4:5], 0x38
	v_lshlrev_b32_e32 v53, 3, v0
	s_waitcnt lgkmcnt(0)
	s_ashr_i32 s19, s8, 31
	s_mov_b32 s18, s8
	v_add3_u32 v9, s9, s9, v0
	s_lshl_b64 s[18:19], s[18:19], 3
	s_add_u32 s5, s14, s18
	s_addc_u32 s8, s15, s19
	v_add_co_u32 v1, s14, s5, v53
	v_add_co_ci_u32_e64 v2, null, s8, 0, s14
	s_mov_b32 s14, s9
	s_ashr_i32 s15, s9, 31
	v_ashrrev_i32_e32 v10, 31, v9
	flat_load_dwordx2 v[5:6], v[1:2]
	s_lshl_b64 s[14:15], s[14:15], 3
	v_add_nc_u32_e32 v12, s9, v9
	v_add_co_u32 v3, vcc_lo, v1, s14
	v_add_co_ci_u32_e64 v4, null, s15, v2, vcc_lo
	v_ashrrev_i32_e32 v13, 31, v12
	s_bitcmp0_b32 s4, 0
	s_waitcnt vmcnt(0) lgkmcnt(0)
	buffer_store_dword v6, off, s[0:3], 0 offset:4
	buffer_store_dword v5, off, s[0:3], 0
	flat_load_dwordx2 v[7:8], v[3:4]
	v_lshlrev_b64 v[5:6], 3, v[9:10]
	s_waitcnt vmcnt(0) lgkmcnt(0)
	buffer_store_dword v8, off, s[0:3], 0 offset:12
	buffer_store_dword v7, off, s[0:3], 0 offset:8
	v_add_co_u32 v5, vcc_lo, s5, v5
	v_add_co_ci_u32_e64 v6, null, s8, v6, vcc_lo
	v_lshlrev_b64 v[7:8], 3, v[12:13]
	flat_load_dwordx2 v[10:11], v[5:6]
	s_waitcnt vmcnt(0) lgkmcnt(0)
	buffer_store_dword v11, off, s[0:3], 0 offset:20
	buffer_store_dword v10, off, s[0:3], 0 offset:16
	v_add_co_u32 v7, vcc_lo, s5, v7
	v_add_co_ci_u32_e64 v8, null, s8, v8, vcc_lo
	v_add_nc_u32_e32 v11, s9, v12
	flat_load_dwordx2 v[13:14], v[7:8]
	s_waitcnt vmcnt(0) lgkmcnt(0)
	buffer_store_dword v14, off, s[0:3], 0 offset:28
	buffer_store_dword v13, off, s[0:3], 0 offset:24
	v_ashrrev_i32_e32 v12, 31, v11
	v_add_nc_u32_e32 v15, s9, v11
	v_lshlrev_b64 v[9:10], 3, v[11:12]
	v_ashrrev_i32_e32 v16, 31, v15
	v_add_nc_u32_e32 v18, s9, v15
	v_add_co_u32 v9, vcc_lo, s5, v9
	v_add_co_ci_u32_e64 v10, null, s8, v10, vcc_lo
	v_lshlrev_b64 v[11:12], 3, v[15:16]
	v_ashrrev_i32_e32 v19, 31, v18
	flat_load_dwordx2 v[13:14], v[9:10]
	s_waitcnt vmcnt(0) lgkmcnt(0)
	buffer_store_dword v14, off, s[0:3], 0 offset:36
	buffer_store_dword v13, off, s[0:3], 0 offset:32
	v_add_co_u32 v11, vcc_lo, s5, v11
	v_add_co_ci_u32_e64 v12, null, s8, v12, vcc_lo
	v_lshlrev_b64 v[13:14], 3, v[18:19]
	flat_load_dwordx2 v[16:17], v[11:12]
	s_waitcnt vmcnt(0) lgkmcnt(0)
	buffer_store_dword v17, off, s[0:3], 0 offset:44
	buffer_store_dword v16, off, s[0:3], 0 offset:40
	v_add_co_u32 v13, vcc_lo, s5, v13
	v_add_co_ci_u32_e64 v14, null, s8, v14, vcc_lo
	v_add_nc_u32_e32 v17, s9, v18
	flat_load_dwordx2 v[19:20], v[13:14]
	s_waitcnt vmcnt(0) lgkmcnt(0)
	buffer_store_dword v20, off, s[0:3], 0 offset:52
	buffer_store_dword v19, off, s[0:3], 0 offset:48
	v_ashrrev_i32_e32 v18, 31, v17
	v_add_nc_u32_e32 v21, s9, v17
	v_lshlrev_b64 v[15:16], 3, v[17:18]
	v_ashrrev_i32_e32 v22, 31, v21
	v_add_nc_u32_e32 v24, s9, v21
	v_add_co_u32 v15, vcc_lo, s5, v15
	v_add_co_ci_u32_e64 v16, null, s8, v16, vcc_lo
	v_lshlrev_b64 v[17:18], 3, v[21:22]
	v_ashrrev_i32_e32 v25, 31, v24
	flat_load_dwordx2 v[19:20], v[15:16]
	s_waitcnt vmcnt(0) lgkmcnt(0)
	buffer_store_dword v20, off, s[0:3], 0 offset:60
	buffer_store_dword v19, off, s[0:3], 0 offset:56
	v_add_co_u32 v17, vcc_lo, s5, v17
	v_add_co_ci_u32_e64 v18, null, s8, v18, vcc_lo
	v_lshlrev_b64 v[19:20], 3, v[24:25]
	flat_load_dwordx2 v[22:23], v[17:18]
	s_waitcnt vmcnt(0) lgkmcnt(0)
	buffer_store_dword v23, off, s[0:3], 0 offset:68
	buffer_store_dword v22, off, s[0:3], 0 offset:64
	v_add_co_u32 v19, vcc_lo, s5, v19
	v_add_co_ci_u32_e64 v20, null, s8, v20, vcc_lo
	v_add_nc_u32_e32 v23, s9, v24
	flat_load_dwordx2 v[25:26], v[19:20]
	s_waitcnt vmcnt(0) lgkmcnt(0)
	buffer_store_dword v26, off, s[0:3], 0 offset:76
	buffer_store_dword v25, off, s[0:3], 0 offset:72
	v_ashrrev_i32_e32 v24, 31, v23
	v_add_nc_u32_e32 v27, s9, v23
	v_lshlrev_b64 v[21:22], 3, v[23:24]
	v_ashrrev_i32_e32 v28, 31, v27
	v_add_nc_u32_e32 v30, s9, v27
	v_add_co_u32 v21, vcc_lo, s5, v21
	v_add_co_ci_u32_e64 v22, null, s8, v22, vcc_lo
	v_lshlrev_b64 v[23:24], 3, v[27:28]
	v_ashrrev_i32_e32 v31, 31, v30
	flat_load_dwordx2 v[25:26], v[21:22]
	s_waitcnt vmcnt(0) lgkmcnt(0)
	buffer_store_dword v26, off, s[0:3], 0 offset:84
	buffer_store_dword v25, off, s[0:3], 0 offset:80
	v_add_co_u32 v23, vcc_lo, s5, v23
	v_add_co_ci_u32_e64 v24, null, s8, v24, vcc_lo
	v_lshlrev_b64 v[25:26], 3, v[30:31]
	flat_load_dwordx2 v[28:29], v[23:24]
	s_waitcnt vmcnt(0) lgkmcnt(0)
	buffer_store_dword v29, off, s[0:3], 0 offset:92
	buffer_store_dword v28, off, s[0:3], 0 offset:88
	v_add_co_u32 v25, vcc_lo, s5, v25
	v_add_co_ci_u32_e64 v26, null, s8, v26, vcc_lo
	v_add_nc_u32_e32 v29, s9, v30
	flat_load_dwordx2 v[31:32], v[25:26]
	s_waitcnt vmcnt(0) lgkmcnt(0)
	buffer_store_dword v32, off, s[0:3], 0 offset:100
	buffer_store_dword v31, off, s[0:3], 0 offset:96
	v_ashrrev_i32_e32 v30, 31, v29
	v_add_nc_u32_e32 v33, s9, v29
	v_lshlrev_b64 v[27:28], 3, v[29:30]
	v_ashrrev_i32_e32 v34, 31, v33
	v_add_nc_u32_e32 v36, s9, v33
	v_add_co_u32 v27, vcc_lo, s5, v27
	v_add_co_ci_u32_e64 v28, null, s8, v28, vcc_lo
	v_lshlrev_b64 v[29:30], 3, v[33:34]
	v_ashrrev_i32_e32 v37, 31, v36
	flat_load_dwordx2 v[31:32], v[27:28]
	s_waitcnt vmcnt(0) lgkmcnt(0)
	buffer_store_dword v32, off, s[0:3], 0 offset:108
	buffer_store_dword v31, off, s[0:3], 0 offset:104
	v_add_co_u32 v29, vcc_lo, s5, v29
	v_add_co_ci_u32_e64 v30, null, s8, v30, vcc_lo
	v_lshlrev_b64 v[31:32], 3, v[36:37]
	flat_load_dwordx2 v[34:35], v[29:30]
	s_waitcnt vmcnt(0) lgkmcnt(0)
	buffer_store_dword v35, off, s[0:3], 0 offset:116
	buffer_store_dword v34, off, s[0:3], 0 offset:112
	v_add_co_u32 v31, vcc_lo, s5, v31
	v_add_co_ci_u32_e64 v32, null, s8, v32, vcc_lo
	v_add_nc_u32_e32 v35, s9, v36
	flat_load_dwordx2 v[37:38], v[31:32]
	s_waitcnt vmcnt(0) lgkmcnt(0)
	buffer_store_dword v38, off, s[0:3], 0 offset:124
	buffer_store_dword v37, off, s[0:3], 0 offset:120
	v_ashrrev_i32_e32 v36, 31, v35
	v_add_nc_u32_e32 v39, s9, v35
	v_lshlrev_b64 v[33:34], 3, v[35:36]
	v_ashrrev_i32_e32 v40, 31, v39
	v_add_nc_u32_e32 v42, s9, v39
	v_add_co_u32 v33, vcc_lo, s5, v33
	v_add_co_ci_u32_e64 v34, null, s8, v34, vcc_lo
	v_lshlrev_b64 v[35:36], 3, v[39:40]
	v_ashrrev_i32_e32 v43, 31, v42
	flat_load_dwordx2 v[37:38], v[33:34]
	s_waitcnt vmcnt(0) lgkmcnt(0)
	buffer_store_dword v38, off, s[0:3], 0 offset:132
	buffer_store_dword v37, off, s[0:3], 0 offset:128
	v_add_co_u32 v35, vcc_lo, s5, v35
	v_add_co_ci_u32_e64 v36, null, s8, v36, vcc_lo
	v_lshlrev_b64 v[37:38], 3, v[42:43]
	flat_load_dwordx2 v[40:41], v[35:36]
	s_waitcnt vmcnt(0) lgkmcnt(0)
	buffer_store_dword v41, off, s[0:3], 0 offset:140
	buffer_store_dword v40, off, s[0:3], 0 offset:136
	v_add_co_u32 v37, vcc_lo, s5, v37
	v_add_co_ci_u32_e64 v38, null, s8, v38, vcc_lo
	v_add_nc_u32_e32 v41, s9, v42
	flat_load_dwordx2 v[43:44], v[37:38]
	s_waitcnt vmcnt(0) lgkmcnt(0)
	buffer_store_dword v44, off, s[0:3], 0 offset:148
	buffer_store_dword v43, off, s[0:3], 0 offset:144
	v_ashrrev_i32_e32 v42, 31, v41
	v_add_nc_u32_e32 v45, s9, v41
	v_lshlrev_b64 v[39:40], 3, v[41:42]
	v_ashrrev_i32_e32 v46, 31, v45
	v_add_nc_u32_e32 v48, s9, v45
	v_add_co_u32 v39, vcc_lo, s5, v39
	v_add_co_ci_u32_e64 v40, null, s8, v40, vcc_lo
	v_lshlrev_b64 v[41:42], 3, v[45:46]
	v_ashrrev_i32_e32 v49, 31, v48
	flat_load_dwordx2 v[43:44], v[39:40]
	s_waitcnt vmcnt(0) lgkmcnt(0)
	buffer_store_dword v44, off, s[0:3], 0 offset:156
	buffer_store_dword v43, off, s[0:3], 0 offset:152
	v_add_co_u32 v41, vcc_lo, s5, v41
	v_add_co_ci_u32_e64 v42, null, s8, v42, vcc_lo
	v_lshlrev_b64 v[43:44], 3, v[48:49]
	flat_load_dwordx2 v[46:47], v[41:42]
	s_waitcnt vmcnt(0) lgkmcnt(0)
	buffer_store_dword v47, off, s[0:3], 0 offset:164
	buffer_store_dword v46, off, s[0:3], 0 offset:160
	v_add_co_u32 v43, vcc_lo, s5, v43
	v_add_co_ci_u32_e64 v44, null, s8, v44, vcc_lo
	v_add_nc_u32_e32 v47, s9, v48
	flat_load_dwordx2 v[49:50], v[43:44]
	s_waitcnt vmcnt(0) lgkmcnt(0)
	buffer_store_dword v50, off, s[0:3], 0 offset:172
	buffer_store_dword v49, off, s[0:3], 0 offset:168
	v_ashrrev_i32_e32 v48, 31, v47
	v_add_nc_u32_e32 v51, s9, v47
	v_lshlrev_b64 v[45:46], 3, v[47:48]
	v_ashrrev_i32_e32 v52, 31, v51
	v_add_co_u32 v45, vcc_lo, s5, v45
	v_add_co_ci_u32_e64 v46, null, s8, v46, vcc_lo
	v_lshlrev_b64 v[47:48], 3, v[51:52]
	flat_load_dwordx2 v[49:50], v[45:46]
	s_waitcnt vmcnt(0) lgkmcnt(0)
	buffer_store_dword v50, off, s[0:3], 0 offset:180
	buffer_store_dword v49, off, s[0:3], 0 offset:176
	v_add_co_u32 v47, vcc_lo, s5, v47
	v_add_co_ci_u32_e64 v48, null, s8, v48, vcc_lo
	v_add_nc_u32_e32 v49, s9, v51
	flat_load_dwordx2 v[54:55], v[47:48]
	s_waitcnt vmcnt(0) lgkmcnt(0)
	buffer_store_dword v55, off, s[0:3], 0 offset:188
	buffer_store_dword v54, off, s[0:3], 0 offset:184
	v_ashrrev_i32_e32 v50, 31, v49
	v_lshlrev_b64 v[49:50], 3, v[49:50]
	v_add_co_u32 v49, vcc_lo, s5, v49
	v_add_co_ci_u32_e64 v50, null, s8, v50, vcc_lo
	s_mov_b32 s5, -1
	flat_load_dwordx2 v[51:52], v[49:50]
	s_waitcnt vmcnt(0) lgkmcnt(0)
	buffer_store_dword v52, off, s[0:3], 0 offset:196
	buffer_store_dword v51, off, s[0:3], 0 offset:192
	s_cbranch_scc1 .LBB88_108
; %bb.4:
	v_cmp_eq_u32_e64 s4, 0, v0
	s_and_saveexec_b32 s5, s4
; %bb.5:
	v_mov_b32_e32 v51, 0
	ds_write_b32 v51, v51 offset:200
; %bb.6:
	s_or_b32 exec_lo, exec_lo, s5
	v_lshl_add_u32 v51, v0, 3, 0
	s_waitcnt lgkmcnt(0)
	s_waitcnt_vscnt null, 0x0
	s_barrier
	buffer_gl0_inv
	s_mov_b32 s8, exec_lo
	s_clause 0x1
	buffer_load_dword v54, v51, s[0:3], 0 offen
	buffer_load_dword v55, v51, s[0:3], 0 offen offset:4
	s_waitcnt vmcnt(0)
	v_cmpx_eq_f64_e32 0, v[54:55]
	s_cbranch_execz .LBB88_10
; %bb.7:
	v_mov_b32_e32 v52, 0
	s_mov_b32 s9, 0
	ds_read_b32 v54, v52 offset:200
	s_waitcnt lgkmcnt(0)
	v_readfirstlane_b32 s5, v54
	v_add_nc_u32_e32 v54, 1, v0
	s_cmp_eq_u32 s5, 0
	v_cmp_gt_i32_e32 vcc_lo, s5, v54
	s_cselect_b32 s14, -1, 0
	s_or_b32 s14, s14, vcc_lo
	s_and_b32 exec_lo, exec_lo, s14
	s_cbranch_execz .LBB88_10
; %bb.8:
	v_mov_b32_e32 v55, s5
.LBB88_9:                               ; =>This Inner Loop Header: Depth=1
	ds_cmpst_rtn_b32 v55, v52, v55, v54 offset:200
	s_waitcnt lgkmcnt(0)
	v_cmp_ne_u32_e32 vcc_lo, 0, v55
	v_cmp_le_i32_e64 s5, v55, v54
	s_and_b32 s5, vcc_lo, s5
	s_and_b32 s5, exec_lo, s5
	s_or_b32 s9, s5, s9
	s_andn2_b32 exec_lo, exec_lo, s9
	s_cbranch_execnz .LBB88_9
.LBB88_10:
	s_or_b32 exec_lo, exec_lo, s8
	v_mov_b32_e32 v52, 0
	s_barrier
	buffer_gl0_inv
	ds_read_b32 v54, v52 offset:200
	s_and_saveexec_b32 s5, s4
	s_cbranch_execz .LBB88_12
; %bb.11:
	s_lshl_b64 s[8:9], s[6:7], 2
	s_add_u32 s8, s10, s8
	s_addc_u32 s9, s11, s9
	s_waitcnt lgkmcnt(0)
	global_store_dword v52, v54, s[8:9]
.LBB88_12:
	s_or_b32 exec_lo, exec_lo, s5
	s_waitcnt lgkmcnt(0)
	v_cmp_ne_u32_e32 vcc_lo, 0, v54
	s_mov_b32 s5, 0
	s_cbranch_vccnz .LBB88_108
; %bb.13:
	s_clause 0x1
	buffer_load_dword v54, v51, s[0:3], 0 offen
	buffer_load_dword v55, v51, s[0:3], 0 offen offset:4
	s_waitcnt vmcnt(0)
	v_div_scale_f64 v[56:57], null, v[54:55], v[54:55], 1.0
	v_div_scale_f64 v[62:63], vcc_lo, 1.0, v[54:55], 1.0
	v_rcp_f64_e32 v[58:59], v[56:57]
	v_fma_f64 v[60:61], -v[56:57], v[58:59], 1.0
	v_fma_f64 v[58:59], v[58:59], v[60:61], v[58:59]
	v_fma_f64 v[60:61], -v[56:57], v[58:59], 1.0
	v_fma_f64 v[58:59], v[58:59], v[60:61], v[58:59]
	v_mul_f64 v[60:61], v[62:63], v[58:59]
	v_fma_f64 v[56:57], -v[56:57], v[60:61], v[62:63]
	v_div_fmas_f64 v[56:57], v[56:57], v[58:59], v[60:61]
	v_div_fixup_f64 v[55:56], v[56:57], v[54:55], 1.0
	v_add_nc_u32_e32 v54, 0xd0, v53
	buffer_store_dword v56, v51, s[0:3], 0 offen offset:4
	buffer_store_dword v55, v51, s[0:3], 0 offen
	s_clause 0x1
	buffer_load_dword v58, off, s[0:3], 0 offset:12
	buffer_load_dword v57, off, s[0:3], 0 offset:8
	v_xor_b32_e32 v56, 0x80000000, v56
	s_waitcnt vmcnt(0)
	ds_write2_b64 v53, v[55:56], v[57:58] offset1:26
	s_waitcnt lgkmcnt(0)
	s_waitcnt_vscnt null, 0x0
	s_barrier
	buffer_gl0_inv
	s_and_saveexec_b32 s5, s4
	s_cbranch_execz .LBB88_15
; %bb.14:
	s_clause 0x1
	buffer_load_dword v55, v51, s[0:3], 0 offen
	buffer_load_dword v56, v51, s[0:3], 0 offen offset:4
	ds_read_b64 v[57:58], v54
	v_mov_b32_e32 v52, 0
	ds_read_b64 v[59:60], v52 offset:8
	s_waitcnt vmcnt(0) lgkmcnt(1)
	v_fma_f64 v[55:56], v[55:56], v[57:58], 0
	s_waitcnt lgkmcnt(0)
	v_mul_f64 v[55:56], v[55:56], v[59:60]
	buffer_store_dword v55, off, s[0:3], 0 offset:8
	buffer_store_dword v56, off, s[0:3], 0 offset:12
.LBB88_15:
	s_or_b32 exec_lo, exec_lo, s5
	s_waitcnt_vscnt null, 0x0
	s_barrier
	buffer_gl0_inv
	s_clause 0x1
	buffer_load_dword v55, off, s[0:3], 0 offset:16
	buffer_load_dword v56, off, s[0:3], 0 offset:20
	s_mov_b32 s5, exec_lo
	s_waitcnt vmcnt(0)
	ds_write_b64 v54, v[55:56]
	s_waitcnt lgkmcnt(0)
	s_barrier
	buffer_gl0_inv
	v_cmpx_gt_u32_e32 2, v0
	s_cbranch_execz .LBB88_19
; %bb.16:
	s_clause 0x1
	buffer_load_dword v55, v51, s[0:3], 0 offen
	buffer_load_dword v56, v51, s[0:3], 0 offen offset:4
	ds_read_b64 v[51:52], v54
	s_waitcnt vmcnt(0) lgkmcnt(0)
	v_fma_f64 v[51:52], v[55:56], v[51:52], 0
	s_and_saveexec_b32 s8, s4
	s_cbranch_execz .LBB88_18
; %bb.17:
	s_clause 0x1
	buffer_load_dword v55, off, s[0:3], 0 offset:8
	buffer_load_dword v56, off, s[0:3], 0 offset:12
	v_mov_b32_e32 v57, 0
	ds_read_b64 v[57:58], v57 offset:216
	s_waitcnt vmcnt(0) lgkmcnt(0)
	v_fma_f64 v[51:52], v[55:56], v[57:58], v[51:52]
.LBB88_18:
	s_or_b32 exec_lo, exec_lo, s8
	v_mov_b32_e32 v55, 0
	ds_read_b64 v[55:56], v55 offset:16
	s_waitcnt lgkmcnt(0)
	v_mul_f64 v[51:52], v[51:52], v[55:56]
	buffer_store_dword v52, off, s[0:3], 0 offset:20
	buffer_store_dword v51, off, s[0:3], 0 offset:16
.LBB88_19:
	s_or_b32 exec_lo, exec_lo, s5
	s_waitcnt_vscnt null, 0x0
	s_barrier
	buffer_gl0_inv
	s_clause 0x1
	buffer_load_dword v51, off, s[0:3], 0 offset:24
	buffer_load_dword v52, off, s[0:3], 0 offset:28
	v_add_nc_u32_e32 v55, -1, v0
	s_mov_b32 s4, exec_lo
	s_waitcnt vmcnt(0)
	ds_write_b64 v54, v[51:52]
	s_waitcnt lgkmcnt(0)
	s_barrier
	buffer_gl0_inv
	v_cmpx_gt_u32_e32 3, v0
	s_cbranch_execz .LBB88_23
; %bb.20:
	v_mov_b32_e32 v51, 0
	v_add_nc_u32_e32 v56, -1, v0
	v_add_nc_u32_e32 v57, 0xd0, v53
	v_mov_b32_e32 v52, 0
	v_mov_b32_e32 v58, v53
	s_mov_b32 s5, 0
.LBB88_21:                              ; =>This Inner Loop Header: Depth=1
	s_clause 0x1
	buffer_load_dword v59, v58, s[0:3], 0 offen
	buffer_load_dword v60, v58, s[0:3], 0 offen offset:4
	ds_read_b64 v[61:62], v57
	v_add_nc_u32_e32 v56, 1, v56
	v_add_nc_u32_e32 v57, 8, v57
	v_add_nc_u32_e32 v58, 8, v58
	v_cmp_lt_u32_e32 vcc_lo, 1, v56
	s_or_b32 s5, vcc_lo, s5
	s_waitcnt vmcnt(0) lgkmcnt(0)
	v_fma_f64 v[51:52], v[59:60], v[61:62], v[51:52]
	s_andn2_b32 exec_lo, exec_lo, s5
	s_cbranch_execnz .LBB88_21
; %bb.22:
	s_or_b32 exec_lo, exec_lo, s5
	v_mov_b32_e32 v56, 0
	ds_read_b64 v[56:57], v56 offset:24
	s_waitcnt lgkmcnt(0)
	v_mul_f64 v[51:52], v[51:52], v[56:57]
	buffer_store_dword v52, off, s[0:3], 0 offset:28
	buffer_store_dword v51, off, s[0:3], 0 offset:24
.LBB88_23:
	s_or_b32 exec_lo, exec_lo, s4
	s_waitcnt_vscnt null, 0x0
	s_barrier
	buffer_gl0_inv
	s_clause 0x1
	buffer_load_dword v51, off, s[0:3], 0 offset:32
	buffer_load_dword v52, off, s[0:3], 0 offset:36
	s_mov_b32 s4, exec_lo
	s_waitcnt vmcnt(0)
	ds_write_b64 v54, v[51:52]
	s_waitcnt lgkmcnt(0)
	s_barrier
	buffer_gl0_inv
	v_cmpx_gt_u32_e32 4, v0
	s_cbranch_execz .LBB88_27
; %bb.24:
	v_mov_b32_e32 v51, 0
	v_add_nc_u32_e32 v56, -1, v0
	v_add_nc_u32_e32 v57, 0xd0, v53
	v_mov_b32_e32 v52, 0
	v_mov_b32_e32 v58, v53
	s_mov_b32 s5, 0
.LBB88_25:                              ; =>This Inner Loop Header: Depth=1
	s_clause 0x1
	buffer_load_dword v59, v58, s[0:3], 0 offen
	buffer_load_dword v60, v58, s[0:3], 0 offen offset:4
	ds_read_b64 v[61:62], v57
	v_add_nc_u32_e32 v56, 1, v56
	v_add_nc_u32_e32 v57, 8, v57
	v_add_nc_u32_e32 v58, 8, v58
	v_cmp_lt_u32_e32 vcc_lo, 2, v56
	s_or_b32 s5, vcc_lo, s5
	s_waitcnt vmcnt(0) lgkmcnt(0)
	v_fma_f64 v[51:52], v[59:60], v[61:62], v[51:52]
	s_andn2_b32 exec_lo, exec_lo, s5
	s_cbranch_execnz .LBB88_25
; %bb.26:
	s_or_b32 exec_lo, exec_lo, s5
	v_mov_b32_e32 v56, 0
	ds_read_b64 v[56:57], v56 offset:32
	s_waitcnt lgkmcnt(0)
	v_mul_f64 v[51:52], v[51:52], v[56:57]
	buffer_store_dword v52, off, s[0:3], 0 offset:36
	buffer_store_dword v51, off, s[0:3], 0 offset:32
.LBB88_27:
	s_or_b32 exec_lo, exec_lo, s4
	s_waitcnt_vscnt null, 0x0
	s_barrier
	buffer_gl0_inv
	s_clause 0x1
	buffer_load_dword v51, off, s[0:3], 0 offset:40
	buffer_load_dword v52, off, s[0:3], 0 offset:44
	s_mov_b32 s4, exec_lo
	s_waitcnt vmcnt(0)
	ds_write_b64 v54, v[51:52]
	s_waitcnt lgkmcnt(0)
	s_barrier
	buffer_gl0_inv
	v_cmpx_gt_u32_e32 5, v0
	s_cbranch_execz .LBB88_31
; %bb.28:
	v_mov_b32_e32 v51, 0
	v_add_nc_u32_e32 v56, -1, v0
	v_add_nc_u32_e32 v57, 0xd0, v53
	v_mov_b32_e32 v52, 0
	v_mov_b32_e32 v58, v53
	s_mov_b32 s5, 0
.LBB88_29:                              ; =>This Inner Loop Header: Depth=1
	s_clause 0x1
	buffer_load_dword v59, v58, s[0:3], 0 offen
	buffer_load_dword v60, v58, s[0:3], 0 offen offset:4
	ds_read_b64 v[61:62], v57
	v_add_nc_u32_e32 v56, 1, v56
	v_add_nc_u32_e32 v57, 8, v57
	v_add_nc_u32_e32 v58, 8, v58
	v_cmp_lt_u32_e32 vcc_lo, 3, v56
	s_or_b32 s5, vcc_lo, s5
	s_waitcnt vmcnt(0) lgkmcnt(0)
	v_fma_f64 v[51:52], v[59:60], v[61:62], v[51:52]
	s_andn2_b32 exec_lo, exec_lo, s5
	s_cbranch_execnz .LBB88_29
; %bb.30:
	s_or_b32 exec_lo, exec_lo, s5
	v_mov_b32_e32 v56, 0
	ds_read_b64 v[56:57], v56 offset:40
	s_waitcnt lgkmcnt(0)
	v_mul_f64 v[51:52], v[51:52], v[56:57]
	buffer_store_dword v52, off, s[0:3], 0 offset:44
	buffer_store_dword v51, off, s[0:3], 0 offset:40
.LBB88_31:
	s_or_b32 exec_lo, exec_lo, s4
	s_waitcnt_vscnt null, 0x0
	s_barrier
	buffer_gl0_inv
	s_clause 0x1
	buffer_load_dword v51, off, s[0:3], 0 offset:48
	buffer_load_dword v52, off, s[0:3], 0 offset:52
	s_mov_b32 s4, exec_lo
	s_waitcnt vmcnt(0)
	ds_write_b64 v54, v[51:52]
	s_waitcnt lgkmcnt(0)
	s_barrier
	buffer_gl0_inv
	v_cmpx_gt_u32_e32 6, v0
	s_cbranch_execz .LBB88_35
; %bb.32:
	v_mov_b32_e32 v51, 0
	v_add_nc_u32_e32 v56, -1, v0
	v_add_nc_u32_e32 v57, 0xd0, v53
	v_mov_b32_e32 v52, 0
	v_mov_b32_e32 v58, v53
	s_mov_b32 s5, 0
.LBB88_33:                              ; =>This Inner Loop Header: Depth=1
	s_clause 0x1
	buffer_load_dword v59, v58, s[0:3], 0 offen
	buffer_load_dword v60, v58, s[0:3], 0 offen offset:4
	ds_read_b64 v[61:62], v57
	v_add_nc_u32_e32 v56, 1, v56
	v_add_nc_u32_e32 v57, 8, v57
	v_add_nc_u32_e32 v58, 8, v58
	v_cmp_lt_u32_e32 vcc_lo, 4, v56
	s_or_b32 s5, vcc_lo, s5
	s_waitcnt vmcnt(0) lgkmcnt(0)
	v_fma_f64 v[51:52], v[59:60], v[61:62], v[51:52]
	s_andn2_b32 exec_lo, exec_lo, s5
	s_cbranch_execnz .LBB88_33
; %bb.34:
	s_or_b32 exec_lo, exec_lo, s5
	v_mov_b32_e32 v56, 0
	ds_read_b64 v[56:57], v56 offset:48
	s_waitcnt lgkmcnt(0)
	v_mul_f64 v[51:52], v[51:52], v[56:57]
	buffer_store_dword v52, off, s[0:3], 0 offset:52
	buffer_store_dword v51, off, s[0:3], 0 offset:48
.LBB88_35:
	s_or_b32 exec_lo, exec_lo, s4
	s_waitcnt_vscnt null, 0x0
	s_barrier
	buffer_gl0_inv
	s_clause 0x1
	buffer_load_dword v51, off, s[0:3], 0 offset:56
	buffer_load_dword v52, off, s[0:3], 0 offset:60
	s_mov_b32 s4, exec_lo
	s_waitcnt vmcnt(0)
	ds_write_b64 v54, v[51:52]
	s_waitcnt lgkmcnt(0)
	s_barrier
	buffer_gl0_inv
	v_cmpx_gt_u32_e32 7, v0
	s_cbranch_execz .LBB88_39
; %bb.36:
	v_mov_b32_e32 v51, 0
	v_add_nc_u32_e32 v56, -1, v0
	v_add_nc_u32_e32 v57, 0xd0, v53
	v_mov_b32_e32 v52, 0
	v_mov_b32_e32 v58, v53
	s_mov_b32 s5, 0
.LBB88_37:                              ; =>This Inner Loop Header: Depth=1
	s_clause 0x1
	buffer_load_dword v59, v58, s[0:3], 0 offen
	buffer_load_dword v60, v58, s[0:3], 0 offen offset:4
	ds_read_b64 v[61:62], v57
	v_add_nc_u32_e32 v56, 1, v56
	v_add_nc_u32_e32 v57, 8, v57
	v_add_nc_u32_e32 v58, 8, v58
	v_cmp_lt_u32_e32 vcc_lo, 5, v56
	s_or_b32 s5, vcc_lo, s5
	s_waitcnt vmcnt(0) lgkmcnt(0)
	v_fma_f64 v[51:52], v[59:60], v[61:62], v[51:52]
	s_andn2_b32 exec_lo, exec_lo, s5
	s_cbranch_execnz .LBB88_37
; %bb.38:
	s_or_b32 exec_lo, exec_lo, s5
	v_mov_b32_e32 v56, 0
	ds_read_b64 v[56:57], v56 offset:56
	s_waitcnt lgkmcnt(0)
	v_mul_f64 v[51:52], v[51:52], v[56:57]
	buffer_store_dword v52, off, s[0:3], 0 offset:60
	buffer_store_dword v51, off, s[0:3], 0 offset:56
.LBB88_39:
	s_or_b32 exec_lo, exec_lo, s4
	s_waitcnt_vscnt null, 0x0
	s_barrier
	buffer_gl0_inv
	s_clause 0x1
	buffer_load_dword v51, off, s[0:3], 0 offset:64
	buffer_load_dword v52, off, s[0:3], 0 offset:68
	s_mov_b32 s4, exec_lo
	s_waitcnt vmcnt(0)
	ds_write_b64 v54, v[51:52]
	s_waitcnt lgkmcnt(0)
	s_barrier
	buffer_gl0_inv
	v_cmpx_gt_u32_e32 8, v0
	s_cbranch_execz .LBB88_43
; %bb.40:
	v_mov_b32_e32 v51, 0
	v_add_nc_u32_e32 v56, -1, v0
	v_add_nc_u32_e32 v57, 0xd0, v53
	v_mov_b32_e32 v52, 0
	v_mov_b32_e32 v58, v53
	s_mov_b32 s5, 0
.LBB88_41:                              ; =>This Inner Loop Header: Depth=1
	s_clause 0x1
	buffer_load_dword v59, v58, s[0:3], 0 offen
	buffer_load_dword v60, v58, s[0:3], 0 offen offset:4
	ds_read_b64 v[61:62], v57
	v_add_nc_u32_e32 v56, 1, v56
	v_add_nc_u32_e32 v57, 8, v57
	v_add_nc_u32_e32 v58, 8, v58
	v_cmp_lt_u32_e32 vcc_lo, 6, v56
	s_or_b32 s5, vcc_lo, s5
	s_waitcnt vmcnt(0) lgkmcnt(0)
	v_fma_f64 v[51:52], v[59:60], v[61:62], v[51:52]
	s_andn2_b32 exec_lo, exec_lo, s5
	s_cbranch_execnz .LBB88_41
; %bb.42:
	s_or_b32 exec_lo, exec_lo, s5
	v_mov_b32_e32 v56, 0
	ds_read_b64 v[56:57], v56 offset:64
	s_waitcnt lgkmcnt(0)
	v_mul_f64 v[51:52], v[51:52], v[56:57]
	buffer_store_dword v52, off, s[0:3], 0 offset:68
	buffer_store_dword v51, off, s[0:3], 0 offset:64
.LBB88_43:
	s_or_b32 exec_lo, exec_lo, s4
	s_waitcnt_vscnt null, 0x0
	s_barrier
	buffer_gl0_inv
	s_clause 0x1
	buffer_load_dword v51, off, s[0:3], 0 offset:72
	buffer_load_dword v52, off, s[0:3], 0 offset:76
	s_mov_b32 s4, exec_lo
	s_waitcnt vmcnt(0)
	ds_write_b64 v54, v[51:52]
	s_waitcnt lgkmcnt(0)
	s_barrier
	buffer_gl0_inv
	v_cmpx_gt_u32_e32 9, v0
	s_cbranch_execz .LBB88_47
; %bb.44:
	v_mov_b32_e32 v51, 0
	v_add_nc_u32_e32 v56, -1, v0
	v_add_nc_u32_e32 v57, 0xd0, v53
	v_mov_b32_e32 v52, 0
	v_mov_b32_e32 v58, v53
	s_mov_b32 s5, 0
.LBB88_45:                              ; =>This Inner Loop Header: Depth=1
	s_clause 0x1
	buffer_load_dword v59, v58, s[0:3], 0 offen
	buffer_load_dword v60, v58, s[0:3], 0 offen offset:4
	ds_read_b64 v[61:62], v57
	v_add_nc_u32_e32 v56, 1, v56
	v_add_nc_u32_e32 v57, 8, v57
	v_add_nc_u32_e32 v58, 8, v58
	v_cmp_lt_u32_e32 vcc_lo, 7, v56
	s_or_b32 s5, vcc_lo, s5
	s_waitcnt vmcnt(0) lgkmcnt(0)
	v_fma_f64 v[51:52], v[59:60], v[61:62], v[51:52]
	s_andn2_b32 exec_lo, exec_lo, s5
	s_cbranch_execnz .LBB88_45
; %bb.46:
	s_or_b32 exec_lo, exec_lo, s5
	v_mov_b32_e32 v56, 0
	ds_read_b64 v[56:57], v56 offset:72
	s_waitcnt lgkmcnt(0)
	v_mul_f64 v[51:52], v[51:52], v[56:57]
	buffer_store_dword v52, off, s[0:3], 0 offset:76
	buffer_store_dword v51, off, s[0:3], 0 offset:72
.LBB88_47:
	s_or_b32 exec_lo, exec_lo, s4
	s_waitcnt_vscnt null, 0x0
	s_barrier
	buffer_gl0_inv
	s_clause 0x1
	buffer_load_dword v51, off, s[0:3], 0 offset:80
	buffer_load_dword v52, off, s[0:3], 0 offset:84
	s_mov_b32 s4, exec_lo
	s_waitcnt vmcnt(0)
	ds_write_b64 v54, v[51:52]
	s_waitcnt lgkmcnt(0)
	s_barrier
	buffer_gl0_inv
	v_cmpx_gt_u32_e32 10, v0
	s_cbranch_execz .LBB88_51
; %bb.48:
	v_mov_b32_e32 v51, 0
	v_add_nc_u32_e32 v56, -1, v0
	v_add_nc_u32_e32 v57, 0xd0, v53
	v_mov_b32_e32 v52, 0
	v_mov_b32_e32 v58, v53
	s_mov_b32 s5, 0
.LBB88_49:                              ; =>This Inner Loop Header: Depth=1
	s_clause 0x1
	buffer_load_dword v59, v58, s[0:3], 0 offen
	buffer_load_dword v60, v58, s[0:3], 0 offen offset:4
	ds_read_b64 v[61:62], v57
	v_add_nc_u32_e32 v56, 1, v56
	v_add_nc_u32_e32 v57, 8, v57
	v_add_nc_u32_e32 v58, 8, v58
	v_cmp_lt_u32_e32 vcc_lo, 8, v56
	s_or_b32 s5, vcc_lo, s5
	s_waitcnt vmcnt(0) lgkmcnt(0)
	v_fma_f64 v[51:52], v[59:60], v[61:62], v[51:52]
	s_andn2_b32 exec_lo, exec_lo, s5
	s_cbranch_execnz .LBB88_49
; %bb.50:
	s_or_b32 exec_lo, exec_lo, s5
	v_mov_b32_e32 v56, 0
	ds_read_b64 v[56:57], v56 offset:80
	s_waitcnt lgkmcnt(0)
	v_mul_f64 v[51:52], v[51:52], v[56:57]
	buffer_store_dword v52, off, s[0:3], 0 offset:84
	buffer_store_dword v51, off, s[0:3], 0 offset:80
.LBB88_51:
	s_or_b32 exec_lo, exec_lo, s4
	s_waitcnt_vscnt null, 0x0
	s_barrier
	buffer_gl0_inv
	s_clause 0x1
	buffer_load_dword v51, off, s[0:3], 0 offset:88
	buffer_load_dword v52, off, s[0:3], 0 offset:92
	s_mov_b32 s4, exec_lo
	s_waitcnt vmcnt(0)
	ds_write_b64 v54, v[51:52]
	s_waitcnt lgkmcnt(0)
	s_barrier
	buffer_gl0_inv
	v_cmpx_gt_u32_e32 11, v0
	s_cbranch_execz .LBB88_55
; %bb.52:
	v_mov_b32_e32 v51, 0
	v_add_nc_u32_e32 v56, -1, v0
	v_add_nc_u32_e32 v57, 0xd0, v53
	v_mov_b32_e32 v52, 0
	v_mov_b32_e32 v58, v53
	s_mov_b32 s5, 0
.LBB88_53:                              ; =>This Inner Loop Header: Depth=1
	s_clause 0x1
	buffer_load_dword v59, v58, s[0:3], 0 offen
	buffer_load_dword v60, v58, s[0:3], 0 offen offset:4
	ds_read_b64 v[61:62], v57
	v_add_nc_u32_e32 v56, 1, v56
	v_add_nc_u32_e32 v57, 8, v57
	v_add_nc_u32_e32 v58, 8, v58
	v_cmp_lt_u32_e32 vcc_lo, 9, v56
	s_or_b32 s5, vcc_lo, s5
	s_waitcnt vmcnt(0) lgkmcnt(0)
	v_fma_f64 v[51:52], v[59:60], v[61:62], v[51:52]
	s_andn2_b32 exec_lo, exec_lo, s5
	s_cbranch_execnz .LBB88_53
; %bb.54:
	s_or_b32 exec_lo, exec_lo, s5
	v_mov_b32_e32 v56, 0
	ds_read_b64 v[56:57], v56 offset:88
	s_waitcnt lgkmcnt(0)
	v_mul_f64 v[51:52], v[51:52], v[56:57]
	buffer_store_dword v52, off, s[0:3], 0 offset:92
	buffer_store_dword v51, off, s[0:3], 0 offset:88
.LBB88_55:
	s_or_b32 exec_lo, exec_lo, s4
	s_waitcnt_vscnt null, 0x0
	s_barrier
	buffer_gl0_inv
	s_clause 0x1
	buffer_load_dword v51, off, s[0:3], 0 offset:96
	buffer_load_dword v52, off, s[0:3], 0 offset:100
	s_mov_b32 s4, exec_lo
	s_waitcnt vmcnt(0)
	ds_write_b64 v54, v[51:52]
	s_waitcnt lgkmcnt(0)
	s_barrier
	buffer_gl0_inv
	v_cmpx_gt_u32_e32 12, v0
	s_cbranch_execz .LBB88_59
; %bb.56:
	v_mov_b32_e32 v51, 0
	v_add_nc_u32_e32 v56, -1, v0
	v_add_nc_u32_e32 v57, 0xd0, v53
	v_mov_b32_e32 v52, 0
	v_mov_b32_e32 v58, v53
	s_mov_b32 s5, 0
.LBB88_57:                              ; =>This Inner Loop Header: Depth=1
	s_clause 0x1
	buffer_load_dword v59, v58, s[0:3], 0 offen
	buffer_load_dword v60, v58, s[0:3], 0 offen offset:4
	ds_read_b64 v[61:62], v57
	v_add_nc_u32_e32 v56, 1, v56
	v_add_nc_u32_e32 v57, 8, v57
	v_add_nc_u32_e32 v58, 8, v58
	v_cmp_lt_u32_e32 vcc_lo, 10, v56
	s_or_b32 s5, vcc_lo, s5
	s_waitcnt vmcnt(0) lgkmcnt(0)
	v_fma_f64 v[51:52], v[59:60], v[61:62], v[51:52]
	s_andn2_b32 exec_lo, exec_lo, s5
	s_cbranch_execnz .LBB88_57
; %bb.58:
	s_or_b32 exec_lo, exec_lo, s5
	v_mov_b32_e32 v56, 0
	ds_read_b64 v[56:57], v56 offset:96
	s_waitcnt lgkmcnt(0)
	v_mul_f64 v[51:52], v[51:52], v[56:57]
	buffer_store_dword v52, off, s[0:3], 0 offset:100
	buffer_store_dword v51, off, s[0:3], 0 offset:96
.LBB88_59:
	s_or_b32 exec_lo, exec_lo, s4
	s_waitcnt_vscnt null, 0x0
	s_barrier
	buffer_gl0_inv
	s_clause 0x1
	buffer_load_dword v51, off, s[0:3], 0 offset:104
	buffer_load_dword v52, off, s[0:3], 0 offset:108
	s_mov_b32 s4, exec_lo
	s_waitcnt vmcnt(0)
	ds_write_b64 v54, v[51:52]
	s_waitcnt lgkmcnt(0)
	s_barrier
	buffer_gl0_inv
	v_cmpx_gt_u32_e32 13, v0
	s_cbranch_execz .LBB88_63
; %bb.60:
	v_mov_b32_e32 v51, 0
	v_add_nc_u32_e32 v56, -1, v0
	v_add_nc_u32_e32 v57, 0xd0, v53
	v_mov_b32_e32 v52, 0
	v_mov_b32_e32 v58, v53
	s_mov_b32 s5, 0
.LBB88_61:                              ; =>This Inner Loop Header: Depth=1
	s_clause 0x1
	buffer_load_dword v59, v58, s[0:3], 0 offen
	buffer_load_dword v60, v58, s[0:3], 0 offen offset:4
	ds_read_b64 v[61:62], v57
	v_add_nc_u32_e32 v56, 1, v56
	v_add_nc_u32_e32 v57, 8, v57
	v_add_nc_u32_e32 v58, 8, v58
	v_cmp_lt_u32_e32 vcc_lo, 11, v56
	s_or_b32 s5, vcc_lo, s5
	s_waitcnt vmcnt(0) lgkmcnt(0)
	v_fma_f64 v[51:52], v[59:60], v[61:62], v[51:52]
	s_andn2_b32 exec_lo, exec_lo, s5
	s_cbranch_execnz .LBB88_61
; %bb.62:
	s_or_b32 exec_lo, exec_lo, s5
	v_mov_b32_e32 v56, 0
	ds_read_b64 v[56:57], v56 offset:104
	s_waitcnt lgkmcnt(0)
	v_mul_f64 v[51:52], v[51:52], v[56:57]
	buffer_store_dword v52, off, s[0:3], 0 offset:108
	buffer_store_dword v51, off, s[0:3], 0 offset:104
.LBB88_63:
	s_or_b32 exec_lo, exec_lo, s4
	s_waitcnt_vscnt null, 0x0
	s_barrier
	buffer_gl0_inv
	s_clause 0x1
	buffer_load_dword v51, off, s[0:3], 0 offset:112
	buffer_load_dword v52, off, s[0:3], 0 offset:116
	s_mov_b32 s4, exec_lo
	s_waitcnt vmcnt(0)
	ds_write_b64 v54, v[51:52]
	s_waitcnt lgkmcnt(0)
	s_barrier
	buffer_gl0_inv
	v_cmpx_gt_u32_e32 14, v0
	s_cbranch_execz .LBB88_67
; %bb.64:
	v_mov_b32_e32 v51, 0
	v_add_nc_u32_e32 v56, -1, v0
	v_add_nc_u32_e32 v57, 0xd0, v53
	v_mov_b32_e32 v52, 0
	v_mov_b32_e32 v58, v53
	s_mov_b32 s5, 0
.LBB88_65:                              ; =>This Inner Loop Header: Depth=1
	s_clause 0x1
	buffer_load_dword v59, v58, s[0:3], 0 offen
	buffer_load_dword v60, v58, s[0:3], 0 offen offset:4
	ds_read_b64 v[61:62], v57
	v_add_nc_u32_e32 v56, 1, v56
	v_add_nc_u32_e32 v57, 8, v57
	v_add_nc_u32_e32 v58, 8, v58
	v_cmp_lt_u32_e32 vcc_lo, 12, v56
	s_or_b32 s5, vcc_lo, s5
	s_waitcnt vmcnt(0) lgkmcnt(0)
	v_fma_f64 v[51:52], v[59:60], v[61:62], v[51:52]
	s_andn2_b32 exec_lo, exec_lo, s5
	s_cbranch_execnz .LBB88_65
; %bb.66:
	s_or_b32 exec_lo, exec_lo, s5
	v_mov_b32_e32 v56, 0
	ds_read_b64 v[56:57], v56 offset:112
	s_waitcnt lgkmcnt(0)
	v_mul_f64 v[51:52], v[51:52], v[56:57]
	buffer_store_dword v52, off, s[0:3], 0 offset:116
	buffer_store_dword v51, off, s[0:3], 0 offset:112
.LBB88_67:
	s_or_b32 exec_lo, exec_lo, s4
	s_waitcnt_vscnt null, 0x0
	s_barrier
	buffer_gl0_inv
	s_clause 0x1
	buffer_load_dword v51, off, s[0:3], 0 offset:120
	buffer_load_dword v52, off, s[0:3], 0 offset:124
	s_mov_b32 s4, exec_lo
	s_waitcnt vmcnt(0)
	ds_write_b64 v54, v[51:52]
	s_waitcnt lgkmcnt(0)
	s_barrier
	buffer_gl0_inv
	v_cmpx_gt_u32_e32 15, v0
	s_cbranch_execz .LBB88_71
; %bb.68:
	v_mov_b32_e32 v51, 0
	v_add_nc_u32_e32 v56, -1, v0
	v_add_nc_u32_e32 v57, 0xd0, v53
	v_mov_b32_e32 v52, 0
	v_mov_b32_e32 v58, v53
	s_mov_b32 s5, 0
.LBB88_69:                              ; =>This Inner Loop Header: Depth=1
	s_clause 0x1
	buffer_load_dword v59, v58, s[0:3], 0 offen
	buffer_load_dword v60, v58, s[0:3], 0 offen offset:4
	ds_read_b64 v[61:62], v57
	v_add_nc_u32_e32 v56, 1, v56
	v_add_nc_u32_e32 v57, 8, v57
	v_add_nc_u32_e32 v58, 8, v58
	v_cmp_lt_u32_e32 vcc_lo, 13, v56
	s_or_b32 s5, vcc_lo, s5
	s_waitcnt vmcnt(0) lgkmcnt(0)
	v_fma_f64 v[51:52], v[59:60], v[61:62], v[51:52]
	s_andn2_b32 exec_lo, exec_lo, s5
	s_cbranch_execnz .LBB88_69
; %bb.70:
	s_or_b32 exec_lo, exec_lo, s5
	v_mov_b32_e32 v56, 0
	ds_read_b64 v[56:57], v56 offset:120
	s_waitcnt lgkmcnt(0)
	v_mul_f64 v[51:52], v[51:52], v[56:57]
	buffer_store_dword v52, off, s[0:3], 0 offset:124
	buffer_store_dword v51, off, s[0:3], 0 offset:120
.LBB88_71:
	s_or_b32 exec_lo, exec_lo, s4
	s_waitcnt_vscnt null, 0x0
	s_barrier
	buffer_gl0_inv
	s_clause 0x1
	buffer_load_dword v51, off, s[0:3], 0 offset:128
	buffer_load_dword v52, off, s[0:3], 0 offset:132
	s_mov_b32 s4, exec_lo
	s_waitcnt vmcnt(0)
	ds_write_b64 v54, v[51:52]
	s_waitcnt lgkmcnt(0)
	s_barrier
	buffer_gl0_inv
	v_cmpx_gt_u32_e32 16, v0
	s_cbranch_execz .LBB88_75
; %bb.72:
	v_mov_b32_e32 v51, 0
	v_add_nc_u32_e32 v56, -1, v0
	v_add_nc_u32_e32 v57, 0xd0, v53
	v_mov_b32_e32 v52, 0
	v_mov_b32_e32 v58, v53
	s_mov_b32 s5, 0
.LBB88_73:                              ; =>This Inner Loop Header: Depth=1
	s_clause 0x1
	buffer_load_dword v59, v58, s[0:3], 0 offen
	buffer_load_dword v60, v58, s[0:3], 0 offen offset:4
	ds_read_b64 v[61:62], v57
	v_add_nc_u32_e32 v56, 1, v56
	v_add_nc_u32_e32 v57, 8, v57
	v_add_nc_u32_e32 v58, 8, v58
	v_cmp_lt_u32_e32 vcc_lo, 14, v56
	s_or_b32 s5, vcc_lo, s5
	s_waitcnt vmcnt(0) lgkmcnt(0)
	v_fma_f64 v[51:52], v[59:60], v[61:62], v[51:52]
	s_andn2_b32 exec_lo, exec_lo, s5
	s_cbranch_execnz .LBB88_73
; %bb.74:
	s_or_b32 exec_lo, exec_lo, s5
	v_mov_b32_e32 v56, 0
	ds_read_b64 v[56:57], v56 offset:128
	s_waitcnt lgkmcnt(0)
	v_mul_f64 v[51:52], v[51:52], v[56:57]
	buffer_store_dword v52, off, s[0:3], 0 offset:132
	buffer_store_dword v51, off, s[0:3], 0 offset:128
.LBB88_75:
	s_or_b32 exec_lo, exec_lo, s4
	s_waitcnt_vscnt null, 0x0
	s_barrier
	buffer_gl0_inv
	s_clause 0x1
	buffer_load_dword v51, off, s[0:3], 0 offset:136
	buffer_load_dword v52, off, s[0:3], 0 offset:140
	s_mov_b32 s4, exec_lo
	s_waitcnt vmcnt(0)
	ds_write_b64 v54, v[51:52]
	s_waitcnt lgkmcnt(0)
	s_barrier
	buffer_gl0_inv
	v_cmpx_gt_u32_e32 17, v0
	s_cbranch_execz .LBB88_79
; %bb.76:
	v_mov_b32_e32 v51, 0
	v_add_nc_u32_e32 v56, -1, v0
	v_add_nc_u32_e32 v57, 0xd0, v53
	v_mov_b32_e32 v52, 0
	v_mov_b32_e32 v58, v53
	s_mov_b32 s5, 0
.LBB88_77:                              ; =>This Inner Loop Header: Depth=1
	s_clause 0x1
	buffer_load_dword v59, v58, s[0:3], 0 offen
	buffer_load_dword v60, v58, s[0:3], 0 offen offset:4
	ds_read_b64 v[61:62], v57
	v_add_nc_u32_e32 v56, 1, v56
	v_add_nc_u32_e32 v57, 8, v57
	v_add_nc_u32_e32 v58, 8, v58
	v_cmp_lt_u32_e32 vcc_lo, 15, v56
	s_or_b32 s5, vcc_lo, s5
	s_waitcnt vmcnt(0) lgkmcnt(0)
	v_fma_f64 v[51:52], v[59:60], v[61:62], v[51:52]
	s_andn2_b32 exec_lo, exec_lo, s5
	s_cbranch_execnz .LBB88_77
; %bb.78:
	s_or_b32 exec_lo, exec_lo, s5
	v_mov_b32_e32 v56, 0
	ds_read_b64 v[56:57], v56 offset:136
	s_waitcnt lgkmcnt(0)
	v_mul_f64 v[51:52], v[51:52], v[56:57]
	buffer_store_dword v52, off, s[0:3], 0 offset:140
	buffer_store_dword v51, off, s[0:3], 0 offset:136
.LBB88_79:
	s_or_b32 exec_lo, exec_lo, s4
	s_waitcnt_vscnt null, 0x0
	s_barrier
	buffer_gl0_inv
	s_clause 0x1
	buffer_load_dword v51, off, s[0:3], 0 offset:144
	buffer_load_dword v52, off, s[0:3], 0 offset:148
	s_mov_b32 s4, exec_lo
	s_waitcnt vmcnt(0)
	ds_write_b64 v54, v[51:52]
	s_waitcnt lgkmcnt(0)
	s_barrier
	buffer_gl0_inv
	v_cmpx_gt_u32_e32 18, v0
	s_cbranch_execz .LBB88_83
; %bb.80:
	v_mov_b32_e32 v51, 0
	v_add_nc_u32_e32 v56, -1, v0
	v_add_nc_u32_e32 v57, 0xd0, v53
	v_mov_b32_e32 v52, 0
	v_mov_b32_e32 v58, v53
	s_mov_b32 s5, 0
.LBB88_81:                              ; =>This Inner Loop Header: Depth=1
	s_clause 0x1
	buffer_load_dword v59, v58, s[0:3], 0 offen
	buffer_load_dword v60, v58, s[0:3], 0 offen offset:4
	ds_read_b64 v[61:62], v57
	v_add_nc_u32_e32 v56, 1, v56
	v_add_nc_u32_e32 v57, 8, v57
	v_add_nc_u32_e32 v58, 8, v58
	v_cmp_lt_u32_e32 vcc_lo, 16, v56
	s_or_b32 s5, vcc_lo, s5
	s_waitcnt vmcnt(0) lgkmcnt(0)
	v_fma_f64 v[51:52], v[59:60], v[61:62], v[51:52]
	s_andn2_b32 exec_lo, exec_lo, s5
	s_cbranch_execnz .LBB88_81
; %bb.82:
	s_or_b32 exec_lo, exec_lo, s5
	v_mov_b32_e32 v56, 0
	ds_read_b64 v[56:57], v56 offset:144
	s_waitcnt lgkmcnt(0)
	v_mul_f64 v[51:52], v[51:52], v[56:57]
	buffer_store_dword v52, off, s[0:3], 0 offset:148
	buffer_store_dword v51, off, s[0:3], 0 offset:144
.LBB88_83:
	s_or_b32 exec_lo, exec_lo, s4
	s_waitcnt_vscnt null, 0x0
	s_barrier
	buffer_gl0_inv
	s_clause 0x1
	buffer_load_dword v51, off, s[0:3], 0 offset:152
	buffer_load_dword v52, off, s[0:3], 0 offset:156
	s_mov_b32 s4, exec_lo
	s_waitcnt vmcnt(0)
	ds_write_b64 v54, v[51:52]
	s_waitcnt lgkmcnt(0)
	s_barrier
	buffer_gl0_inv
	v_cmpx_gt_u32_e32 19, v0
	s_cbranch_execz .LBB88_87
; %bb.84:
	v_mov_b32_e32 v51, 0
	v_add_nc_u32_e32 v56, -1, v0
	v_add_nc_u32_e32 v57, 0xd0, v53
	v_mov_b32_e32 v52, 0
	v_mov_b32_e32 v58, v53
	s_mov_b32 s5, 0
.LBB88_85:                              ; =>This Inner Loop Header: Depth=1
	s_clause 0x1
	buffer_load_dword v59, v58, s[0:3], 0 offen
	buffer_load_dword v60, v58, s[0:3], 0 offen offset:4
	ds_read_b64 v[61:62], v57
	v_add_nc_u32_e32 v56, 1, v56
	v_add_nc_u32_e32 v57, 8, v57
	v_add_nc_u32_e32 v58, 8, v58
	v_cmp_lt_u32_e32 vcc_lo, 17, v56
	s_or_b32 s5, vcc_lo, s5
	s_waitcnt vmcnt(0) lgkmcnt(0)
	v_fma_f64 v[51:52], v[59:60], v[61:62], v[51:52]
	s_andn2_b32 exec_lo, exec_lo, s5
	s_cbranch_execnz .LBB88_85
; %bb.86:
	s_or_b32 exec_lo, exec_lo, s5
	v_mov_b32_e32 v56, 0
	ds_read_b64 v[56:57], v56 offset:152
	s_waitcnt lgkmcnt(0)
	v_mul_f64 v[51:52], v[51:52], v[56:57]
	buffer_store_dword v52, off, s[0:3], 0 offset:156
	buffer_store_dword v51, off, s[0:3], 0 offset:152
.LBB88_87:
	s_or_b32 exec_lo, exec_lo, s4
	s_waitcnt_vscnt null, 0x0
	s_barrier
	buffer_gl0_inv
	s_clause 0x1
	buffer_load_dword v51, off, s[0:3], 0 offset:160
	buffer_load_dword v52, off, s[0:3], 0 offset:164
	s_mov_b32 s4, exec_lo
	s_waitcnt vmcnt(0)
	ds_write_b64 v54, v[51:52]
	s_waitcnt lgkmcnt(0)
	s_barrier
	buffer_gl0_inv
	v_cmpx_gt_u32_e32 20, v0
	s_cbranch_execz .LBB88_91
; %bb.88:
	v_mov_b32_e32 v51, 0
	v_add_nc_u32_e32 v56, -1, v0
	v_add_nc_u32_e32 v57, 0xd0, v53
	v_mov_b32_e32 v52, 0
	v_mov_b32_e32 v58, v53
	s_mov_b32 s5, 0
.LBB88_89:                              ; =>This Inner Loop Header: Depth=1
	s_clause 0x1
	buffer_load_dword v59, v58, s[0:3], 0 offen
	buffer_load_dword v60, v58, s[0:3], 0 offen offset:4
	ds_read_b64 v[61:62], v57
	v_add_nc_u32_e32 v56, 1, v56
	v_add_nc_u32_e32 v57, 8, v57
	v_add_nc_u32_e32 v58, 8, v58
	v_cmp_lt_u32_e32 vcc_lo, 18, v56
	s_or_b32 s5, vcc_lo, s5
	s_waitcnt vmcnt(0) lgkmcnt(0)
	v_fma_f64 v[51:52], v[59:60], v[61:62], v[51:52]
	s_andn2_b32 exec_lo, exec_lo, s5
	s_cbranch_execnz .LBB88_89
; %bb.90:
	s_or_b32 exec_lo, exec_lo, s5
	v_mov_b32_e32 v56, 0
	ds_read_b64 v[56:57], v56 offset:160
	s_waitcnt lgkmcnt(0)
	v_mul_f64 v[51:52], v[51:52], v[56:57]
	buffer_store_dword v52, off, s[0:3], 0 offset:164
	buffer_store_dword v51, off, s[0:3], 0 offset:160
.LBB88_91:
	s_or_b32 exec_lo, exec_lo, s4
	s_waitcnt_vscnt null, 0x0
	s_barrier
	buffer_gl0_inv
	s_clause 0x1
	buffer_load_dword v51, off, s[0:3], 0 offset:168
	buffer_load_dword v52, off, s[0:3], 0 offset:172
	s_mov_b32 s4, exec_lo
	s_waitcnt vmcnt(0)
	ds_write_b64 v54, v[51:52]
	s_waitcnt lgkmcnt(0)
	s_barrier
	buffer_gl0_inv
	v_cmpx_gt_u32_e32 21, v0
	s_cbranch_execz .LBB88_95
; %bb.92:
	v_mov_b32_e32 v51, 0
	v_add_nc_u32_e32 v56, -1, v0
	v_add_nc_u32_e32 v57, 0xd0, v53
	v_mov_b32_e32 v52, 0
	v_mov_b32_e32 v58, v53
	s_mov_b32 s5, 0
.LBB88_93:                              ; =>This Inner Loop Header: Depth=1
	s_clause 0x1
	buffer_load_dword v59, v58, s[0:3], 0 offen
	buffer_load_dword v60, v58, s[0:3], 0 offen offset:4
	ds_read_b64 v[61:62], v57
	v_add_nc_u32_e32 v56, 1, v56
	v_add_nc_u32_e32 v57, 8, v57
	v_add_nc_u32_e32 v58, 8, v58
	v_cmp_lt_u32_e32 vcc_lo, 19, v56
	s_or_b32 s5, vcc_lo, s5
	s_waitcnt vmcnt(0) lgkmcnt(0)
	v_fma_f64 v[51:52], v[59:60], v[61:62], v[51:52]
	s_andn2_b32 exec_lo, exec_lo, s5
	s_cbranch_execnz .LBB88_93
; %bb.94:
	s_or_b32 exec_lo, exec_lo, s5
	v_mov_b32_e32 v56, 0
	ds_read_b64 v[56:57], v56 offset:168
	s_waitcnt lgkmcnt(0)
	v_mul_f64 v[51:52], v[51:52], v[56:57]
	buffer_store_dword v52, off, s[0:3], 0 offset:172
	buffer_store_dword v51, off, s[0:3], 0 offset:168
.LBB88_95:
	s_or_b32 exec_lo, exec_lo, s4
	s_waitcnt_vscnt null, 0x0
	s_barrier
	buffer_gl0_inv
	s_clause 0x1
	buffer_load_dword v51, off, s[0:3], 0 offset:176
	buffer_load_dword v52, off, s[0:3], 0 offset:180
	s_mov_b32 s4, exec_lo
	s_waitcnt vmcnt(0)
	ds_write_b64 v54, v[51:52]
	s_waitcnt lgkmcnt(0)
	s_barrier
	buffer_gl0_inv
	v_cmpx_gt_u32_e32 22, v0
	s_cbranch_execz .LBB88_99
; %bb.96:
	v_mov_b32_e32 v51, 0
	v_add_nc_u32_e32 v56, -1, v0
	v_add_nc_u32_e32 v57, 0xd0, v53
	v_mov_b32_e32 v52, 0
	v_mov_b32_e32 v58, v53
	s_mov_b32 s5, 0
.LBB88_97:                              ; =>This Inner Loop Header: Depth=1
	s_clause 0x1
	buffer_load_dword v59, v58, s[0:3], 0 offen
	buffer_load_dword v60, v58, s[0:3], 0 offen offset:4
	ds_read_b64 v[61:62], v57
	v_add_nc_u32_e32 v56, 1, v56
	v_add_nc_u32_e32 v57, 8, v57
	v_add_nc_u32_e32 v58, 8, v58
	v_cmp_lt_u32_e32 vcc_lo, 20, v56
	s_or_b32 s5, vcc_lo, s5
	s_waitcnt vmcnt(0) lgkmcnt(0)
	v_fma_f64 v[51:52], v[59:60], v[61:62], v[51:52]
	s_andn2_b32 exec_lo, exec_lo, s5
	s_cbranch_execnz .LBB88_97
; %bb.98:
	s_or_b32 exec_lo, exec_lo, s5
	v_mov_b32_e32 v56, 0
	ds_read_b64 v[56:57], v56 offset:176
	s_waitcnt lgkmcnt(0)
	v_mul_f64 v[51:52], v[51:52], v[56:57]
	buffer_store_dword v52, off, s[0:3], 0 offset:180
	buffer_store_dword v51, off, s[0:3], 0 offset:176
.LBB88_99:
	s_or_b32 exec_lo, exec_lo, s4
	s_waitcnt_vscnt null, 0x0
	s_barrier
	buffer_gl0_inv
	s_clause 0x1
	buffer_load_dword v51, off, s[0:3], 0 offset:184
	buffer_load_dword v52, off, s[0:3], 0 offset:188
	s_mov_b32 s4, exec_lo
	s_waitcnt vmcnt(0)
	ds_write_b64 v54, v[51:52]
	s_waitcnt lgkmcnt(0)
	s_barrier
	buffer_gl0_inv
	v_cmpx_gt_u32_e32 23, v0
	s_cbranch_execz .LBB88_103
; %bb.100:
	v_mov_b32_e32 v51, 0
	v_add_nc_u32_e32 v56, -1, v0
	v_add_nc_u32_e32 v57, 0xd0, v53
	v_mov_b32_e32 v52, 0
	v_mov_b32_e32 v58, v53
	s_mov_b32 s5, 0
.LBB88_101:                             ; =>This Inner Loop Header: Depth=1
	s_clause 0x1
	buffer_load_dword v59, v58, s[0:3], 0 offen
	buffer_load_dword v60, v58, s[0:3], 0 offen offset:4
	ds_read_b64 v[61:62], v57
	v_add_nc_u32_e32 v56, 1, v56
	v_add_nc_u32_e32 v57, 8, v57
	;; [unrolled: 1-line block ×3, first 2 shown]
	v_cmp_lt_u32_e32 vcc_lo, 21, v56
	s_or_b32 s5, vcc_lo, s5
	s_waitcnt vmcnt(0) lgkmcnt(0)
	v_fma_f64 v[51:52], v[59:60], v[61:62], v[51:52]
	s_andn2_b32 exec_lo, exec_lo, s5
	s_cbranch_execnz .LBB88_101
; %bb.102:
	s_or_b32 exec_lo, exec_lo, s5
	v_mov_b32_e32 v56, 0
	ds_read_b64 v[56:57], v56 offset:184
	s_waitcnt lgkmcnt(0)
	v_mul_f64 v[51:52], v[51:52], v[56:57]
	buffer_store_dword v52, off, s[0:3], 0 offset:188
	buffer_store_dword v51, off, s[0:3], 0 offset:184
.LBB88_103:
	s_or_b32 exec_lo, exec_lo, s4
	s_waitcnt_vscnt null, 0x0
	s_barrier
	buffer_gl0_inv
	s_clause 0x1
	buffer_load_dword v51, off, s[0:3], 0 offset:192
	buffer_load_dword v52, off, s[0:3], 0 offset:196
	s_mov_b32 s4, exec_lo
	s_waitcnt vmcnt(0)
	ds_write_b64 v54, v[51:52]
	s_waitcnt lgkmcnt(0)
	s_barrier
	buffer_gl0_inv
	v_cmpx_ne_u32_e32 24, v0
	s_cbranch_execz .LBB88_107
; %bb.104:
	v_mov_b32_e32 v51, 0
	v_mov_b32_e32 v52, 0
	s_mov_b32 s5, 0
.LBB88_105:                             ; =>This Inner Loop Header: Depth=1
	s_clause 0x1
	buffer_load_dword v56, v53, s[0:3], 0 offen
	buffer_load_dword v57, v53, s[0:3], 0 offen offset:4
	ds_read_b64 v[58:59], v54
	v_add_nc_u32_e32 v55, 1, v55
	v_add_nc_u32_e32 v54, 8, v54
	;; [unrolled: 1-line block ×3, first 2 shown]
	v_cmp_lt_u32_e32 vcc_lo, 22, v55
	s_or_b32 s5, vcc_lo, s5
	s_waitcnt vmcnt(0) lgkmcnt(0)
	v_fma_f64 v[51:52], v[56:57], v[58:59], v[51:52]
	s_andn2_b32 exec_lo, exec_lo, s5
	s_cbranch_execnz .LBB88_105
; %bb.106:
	s_or_b32 exec_lo, exec_lo, s5
	v_mov_b32_e32 v53, 0
	ds_read_b64 v[53:54], v53 offset:192
	s_waitcnt lgkmcnt(0)
	v_mul_f64 v[51:52], v[51:52], v[53:54]
	buffer_store_dword v52, off, s[0:3], 0 offset:196
	buffer_store_dword v51, off, s[0:3], 0 offset:192
.LBB88_107:
	s_or_b32 exec_lo, exec_lo, s4
	s_mov_b32 s5, -1
	s_waitcnt_vscnt null, 0x0
	s_barrier
	buffer_gl0_inv
.LBB88_108:
	s_and_b32 vcc_lo, exec_lo, s5
	s_cbranch_vccz .LBB88_110
; %bb.109:
	s_lshl_b64 s[4:5], s[6:7], 2
	v_mov_b32_e32 v51, 0
	s_add_u32 s4, s10, s4
	s_addc_u32 s5, s11, s5
	global_load_dword v51, v51, s[4:5]
	s_waitcnt vmcnt(0)
	v_cmp_ne_u32_e32 vcc_lo, 0, v51
	s_cbranch_vccz .LBB88_111
.LBB88_110:
	s_endpgm
.LBB88_111:
	v_lshl_add_u32 v51, v0, 3, 0xd0
	s_mov_b32 s4, exec_lo
	v_cmpx_eq_u32_e32 24, v0
	s_cbranch_execz .LBB88_113
; %bb.112:
	s_clause 0x1
	buffer_load_dword v52, off, s[0:3], 0 offset:184
	buffer_load_dword v53, off, s[0:3], 0 offset:188
	v_mov_b32_e32 v54, 0
	buffer_store_dword v54, off, s[0:3], 0 offset:184
	buffer_store_dword v54, off, s[0:3], 0 offset:188
	s_waitcnt vmcnt(0)
	ds_write_b64 v51, v[52:53]
.LBB88_113:
	s_or_b32 exec_lo, exec_lo, s4
	s_waitcnt lgkmcnt(0)
	s_waitcnt_vscnt null, 0x0
	s_barrier
	buffer_gl0_inv
	s_clause 0x3
	buffer_load_dword v53, off, s[0:3], 0 offset:192
	buffer_load_dword v54, off, s[0:3], 0 offset:196
	;; [unrolled: 1-line block ×4, first 2 shown]
	v_mov_b32_e32 v52, 0
	s_mov_b32 s4, exec_lo
	ds_read_b64 v[57:58], v52 offset:400
	s_waitcnt vmcnt(2) lgkmcnt(0)
	v_fma_f64 v[53:54], v[53:54], v[57:58], 0
	s_waitcnt vmcnt(0)
	v_add_f64 v[53:54], v[55:56], -v[53:54]
	buffer_store_dword v53, off, s[0:3], 0 offset:184
	buffer_store_dword v54, off, s[0:3], 0 offset:188
	v_cmpx_lt_u32_e32 22, v0
	s_cbranch_execz .LBB88_115
; %bb.114:
	s_clause 0x1
	buffer_load_dword v53, off, s[0:3], 0 offset:176
	buffer_load_dword v54, off, s[0:3], 0 offset:180
	buffer_store_dword v52, off, s[0:3], 0 offset:176
	buffer_store_dword v52, off, s[0:3], 0 offset:180
	s_waitcnt vmcnt(0)
	ds_write_b64 v51, v[53:54]
.LBB88_115:
	s_or_b32 exec_lo, exec_lo, s4
	s_waitcnt lgkmcnt(0)
	s_waitcnt_vscnt null, 0x0
	s_barrier
	buffer_gl0_inv
	s_clause 0x5
	buffer_load_dword v56, off, s[0:3], 0 offset:184
	buffer_load_dword v57, off, s[0:3], 0 offset:188
	buffer_load_dword v58, off, s[0:3], 0 offset:192
	buffer_load_dword v59, off, s[0:3], 0 offset:196
	buffer_load_dword v60, off, s[0:3], 0 offset:176
	buffer_load_dword v61, off, s[0:3], 0 offset:180
	ds_read2_b64 v[52:55], v52 offset0:49 offset1:50
	s_mov_b32 s4, exec_lo
	s_waitcnt vmcnt(4) lgkmcnt(0)
	v_fma_f64 v[52:53], v[56:57], v[52:53], 0
	s_waitcnt vmcnt(2)
	v_fma_f64 v[52:53], v[58:59], v[54:55], v[52:53]
	s_waitcnt vmcnt(0)
	v_add_f64 v[52:53], v[60:61], -v[52:53]
	buffer_store_dword v52, off, s[0:3], 0 offset:176
	buffer_store_dword v53, off, s[0:3], 0 offset:180
	v_cmpx_lt_u32_e32 21, v0
	s_cbranch_execz .LBB88_117
; %bb.116:
	s_clause 0x1
	buffer_load_dword v52, off, s[0:3], 0 offset:168
	buffer_load_dword v53, off, s[0:3], 0 offset:172
	v_mov_b32_e32 v54, 0
	buffer_store_dword v54, off, s[0:3], 0 offset:168
	buffer_store_dword v54, off, s[0:3], 0 offset:172
	s_waitcnt vmcnt(0)
	ds_write_b64 v51, v[52:53]
.LBB88_117:
	s_or_b32 exec_lo, exec_lo, s4
	s_waitcnt lgkmcnt(0)
	s_waitcnt_vscnt null, 0x0
	s_barrier
	buffer_gl0_inv
	s_clause 0x7
	buffer_load_dword v57, off, s[0:3], 0 offset:176
	buffer_load_dword v58, off, s[0:3], 0 offset:180
	;; [unrolled: 1-line block ×8, first 2 shown]
	v_mov_b32_e32 v52, 0
	ds_read_b128 v[53:56], v52 offset:384
	ds_read_b64 v[65:66], v52 offset:400
	s_mov_b32 s4, exec_lo
	s_waitcnt vmcnt(6) lgkmcnt(1)
	v_fma_f64 v[53:54], v[57:58], v[53:54], 0
	s_waitcnt vmcnt(4)
	v_fma_f64 v[53:54], v[59:60], v[55:56], v[53:54]
	s_waitcnt vmcnt(2) lgkmcnt(0)
	v_fma_f64 v[53:54], v[61:62], v[65:66], v[53:54]
	s_waitcnt vmcnt(0)
	v_add_f64 v[53:54], v[63:64], -v[53:54]
	buffer_store_dword v53, off, s[0:3], 0 offset:168
	buffer_store_dword v54, off, s[0:3], 0 offset:172
	v_cmpx_lt_u32_e32 20, v0
	s_cbranch_execz .LBB88_119
; %bb.118:
	s_clause 0x1
	buffer_load_dword v53, off, s[0:3], 0 offset:160
	buffer_load_dword v54, off, s[0:3], 0 offset:164
	buffer_store_dword v52, off, s[0:3], 0 offset:160
	buffer_store_dword v52, off, s[0:3], 0 offset:164
	s_waitcnt vmcnt(0)
	ds_write_b64 v51, v[53:54]
.LBB88_119:
	s_or_b32 exec_lo, exec_lo, s4
	s_waitcnt lgkmcnt(0)
	s_waitcnt_vscnt null, 0x0
	s_barrier
	buffer_gl0_inv
	s_clause 0x9
	buffer_load_dword v61, off, s[0:3], 0 offset:168
	buffer_load_dword v62, off, s[0:3], 0 offset:172
	;; [unrolled: 1-line block ×10, first 2 shown]
	ds_read2_b64 v[53:56], v52 offset0:47 offset1:48
	ds_read2_b64 v[57:60], v52 offset0:49 offset1:50
	s_mov_b32 s4, exec_lo
	s_waitcnt vmcnt(8) lgkmcnt(1)
	v_fma_f64 v[52:53], v[61:62], v[53:54], 0
	s_waitcnt vmcnt(6)
	v_fma_f64 v[52:53], v[63:64], v[55:56], v[52:53]
	s_waitcnt vmcnt(4) lgkmcnt(0)
	v_fma_f64 v[52:53], v[65:66], v[57:58], v[52:53]
	s_waitcnt vmcnt(2)
	v_fma_f64 v[52:53], v[67:68], v[59:60], v[52:53]
	s_waitcnt vmcnt(0)
	v_add_f64 v[52:53], v[69:70], -v[52:53]
	buffer_store_dword v52, off, s[0:3], 0 offset:160
	buffer_store_dword v53, off, s[0:3], 0 offset:164
	v_cmpx_lt_u32_e32 19, v0
	s_cbranch_execz .LBB88_121
; %bb.120:
	s_clause 0x1
	buffer_load_dword v52, off, s[0:3], 0 offset:152
	buffer_load_dword v53, off, s[0:3], 0 offset:156
	v_mov_b32_e32 v54, 0
	buffer_store_dword v54, off, s[0:3], 0 offset:152
	buffer_store_dword v54, off, s[0:3], 0 offset:156
	s_waitcnt vmcnt(0)
	ds_write_b64 v51, v[52:53]
.LBB88_121:
	s_or_b32 exec_lo, exec_lo, s4
	s_waitcnt lgkmcnt(0)
	s_waitcnt_vscnt null, 0x0
	s_barrier
	buffer_gl0_inv
	s_clause 0xb
	buffer_load_dword v61, off, s[0:3], 0 offset:160
	buffer_load_dword v62, off, s[0:3], 0 offset:164
	;; [unrolled: 1-line block ×12, first 2 shown]
	v_mov_b32_e32 v52, 0
	ds_read_b128 v[53:56], v52 offset:368
	ds_read_b128 v[57:60], v52 offset:384
	s_mov_b32 s4, exec_lo
	s_waitcnt vmcnt(10) lgkmcnt(1)
	v_fma_f64 v[53:54], v[61:62], v[53:54], 0
	s_waitcnt vmcnt(8)
	v_fma_f64 v[53:54], v[63:64], v[55:56], v[53:54]
	ds_read_b64 v[55:56], v52 offset:400
	s_waitcnt vmcnt(6) lgkmcnt(1)
	v_fma_f64 v[53:54], v[65:66], v[57:58], v[53:54]
	s_waitcnt vmcnt(4)
	v_fma_f64 v[53:54], v[67:68], v[59:60], v[53:54]
	s_waitcnt vmcnt(2) lgkmcnt(0)
	v_fma_f64 v[53:54], v[69:70], v[55:56], v[53:54]
	s_waitcnt vmcnt(0)
	v_add_f64 v[53:54], v[71:72], -v[53:54]
	buffer_store_dword v53, off, s[0:3], 0 offset:152
	buffer_store_dword v54, off, s[0:3], 0 offset:156
	v_cmpx_lt_u32_e32 18, v0
	s_cbranch_execz .LBB88_123
; %bb.122:
	s_clause 0x1
	buffer_load_dword v53, off, s[0:3], 0 offset:144
	buffer_load_dword v54, off, s[0:3], 0 offset:148
	buffer_store_dword v52, off, s[0:3], 0 offset:144
	buffer_store_dword v52, off, s[0:3], 0 offset:148
	s_waitcnt vmcnt(0)
	ds_write_b64 v51, v[53:54]
.LBB88_123:
	s_or_b32 exec_lo, exec_lo, s4
	s_waitcnt lgkmcnt(0)
	s_waitcnt_vscnt null, 0x0
	s_barrier
	buffer_gl0_inv
	s_clause 0xd
	buffer_load_dword v61, off, s[0:3], 0 offset:152
	buffer_load_dword v62, off, s[0:3], 0 offset:156
	buffer_load_dword v63, off, s[0:3], 0 offset:160
	buffer_load_dword v64, off, s[0:3], 0 offset:164
	buffer_load_dword v65, off, s[0:3], 0 offset:168
	buffer_load_dword v66, off, s[0:3], 0 offset:172
	buffer_load_dword v67, off, s[0:3], 0 offset:176
	buffer_load_dword v68, off, s[0:3], 0 offset:180
	buffer_load_dword v69, off, s[0:3], 0 offset:184
	buffer_load_dword v70, off, s[0:3], 0 offset:188
	buffer_load_dword v71, off, s[0:3], 0 offset:192
	buffer_load_dword v72, off, s[0:3], 0 offset:196
	buffer_load_dword v73, off, s[0:3], 0 offset:144
	buffer_load_dword v74, off, s[0:3], 0 offset:148
	ds_read2_b64 v[53:56], v52 offset0:45 offset1:46
	ds_read2_b64 v[57:60], v52 offset0:47 offset1:48
	s_mov_b32 s4, exec_lo
	s_waitcnt vmcnt(12) lgkmcnt(1)
	v_fma_f64 v[53:54], v[61:62], v[53:54], 0
	s_waitcnt vmcnt(10)
	v_fma_f64 v[53:54], v[63:64], v[55:56], v[53:54]
	s_waitcnt vmcnt(8) lgkmcnt(0)
	v_fma_f64 v[53:54], v[65:66], v[57:58], v[53:54]
	s_waitcnt vmcnt(6)
	v_fma_f64 v[56:57], v[67:68], v[59:60], v[53:54]
	ds_read2_b64 v[52:55], v52 offset0:49 offset1:50
	s_waitcnt vmcnt(4) lgkmcnt(0)
	v_fma_f64 v[52:53], v[69:70], v[52:53], v[56:57]
	s_waitcnt vmcnt(2)
	v_fma_f64 v[52:53], v[71:72], v[54:55], v[52:53]
	s_waitcnt vmcnt(0)
	v_add_f64 v[52:53], v[73:74], -v[52:53]
	buffer_store_dword v52, off, s[0:3], 0 offset:144
	buffer_store_dword v53, off, s[0:3], 0 offset:148
	v_cmpx_lt_u32_e32 17, v0
	s_cbranch_execz .LBB88_125
; %bb.124:
	s_clause 0x1
	buffer_load_dword v52, off, s[0:3], 0 offset:136
	buffer_load_dword v53, off, s[0:3], 0 offset:140
	v_mov_b32_e32 v54, 0
	buffer_store_dword v54, off, s[0:3], 0 offset:136
	buffer_store_dword v54, off, s[0:3], 0 offset:140
	s_waitcnt vmcnt(0)
	ds_write_b64 v51, v[52:53]
.LBB88_125:
	s_or_b32 exec_lo, exec_lo, s4
	s_waitcnt lgkmcnt(0)
	s_waitcnt_vscnt null, 0x0
	s_barrier
	buffer_gl0_inv
	s_clause 0xf
	buffer_load_dword v61, off, s[0:3], 0 offset:144
	buffer_load_dword v62, off, s[0:3], 0 offset:148
	;; [unrolled: 1-line block ×16, first 2 shown]
	v_mov_b32_e32 v52, 0
	ds_read_b128 v[53:56], v52 offset:352
	ds_read_b128 v[57:60], v52 offset:368
	s_mov_b32 s4, exec_lo
	s_waitcnt vmcnt(14) lgkmcnt(1)
	v_fma_f64 v[53:54], v[61:62], v[53:54], 0
	s_waitcnt vmcnt(12)
	v_fma_f64 v[53:54], v[63:64], v[55:56], v[53:54]
	s_waitcnt vmcnt(10) lgkmcnt(0)
	v_fma_f64 v[53:54], v[65:66], v[57:58], v[53:54]
	s_waitcnt vmcnt(8)
	v_fma_f64 v[57:58], v[67:68], v[59:60], v[53:54]
	ds_read_b128 v[53:56], v52 offset:384
	ds_read_b64 v[59:60], v52 offset:400
	s_waitcnt vmcnt(6) lgkmcnt(1)
	v_fma_f64 v[53:54], v[69:70], v[53:54], v[57:58]
	s_waitcnt vmcnt(4)
	v_fma_f64 v[53:54], v[71:72], v[55:56], v[53:54]
	s_waitcnt vmcnt(2) lgkmcnt(0)
	v_fma_f64 v[53:54], v[73:74], v[59:60], v[53:54]
	s_waitcnt vmcnt(0)
	v_add_f64 v[53:54], v[75:76], -v[53:54]
	buffer_store_dword v53, off, s[0:3], 0 offset:136
	buffer_store_dword v54, off, s[0:3], 0 offset:140
	v_cmpx_lt_u32_e32 16, v0
	s_cbranch_execz .LBB88_127
; %bb.126:
	s_clause 0x1
	buffer_load_dword v53, off, s[0:3], 0 offset:128
	buffer_load_dword v54, off, s[0:3], 0 offset:132
	buffer_store_dword v52, off, s[0:3], 0 offset:128
	buffer_store_dword v52, off, s[0:3], 0 offset:132
	s_waitcnt vmcnt(0)
	ds_write_b64 v51, v[53:54]
.LBB88_127:
	s_or_b32 exec_lo, exec_lo, s4
	s_waitcnt lgkmcnt(0)
	s_waitcnt_vscnt null, 0x0
	s_barrier
	buffer_gl0_inv
	s_clause 0x11
	buffer_load_dword v61, off, s[0:3], 0 offset:136
	buffer_load_dword v62, off, s[0:3], 0 offset:140
	;; [unrolled: 1-line block ×18, first 2 shown]
	ds_read2_b64 v[53:56], v52 offset0:43 offset1:44
	ds_read2_b64 v[57:60], v52 offset0:45 offset1:46
	s_mov_b32 s4, exec_lo
	s_waitcnt vmcnt(16) lgkmcnt(1)
	v_fma_f64 v[53:54], v[61:62], v[53:54], 0
	s_waitcnt vmcnt(14)
	v_fma_f64 v[53:54], v[63:64], v[55:56], v[53:54]
	s_waitcnt vmcnt(12) lgkmcnt(0)
	v_fma_f64 v[53:54], v[65:66], v[57:58], v[53:54]
	s_waitcnt vmcnt(10)
	v_fma_f64 v[61:62], v[67:68], v[59:60], v[53:54]
	ds_read2_b64 v[53:56], v52 offset0:47 offset1:48
	ds_read2_b64 v[57:60], v52 offset0:49 offset1:50
	s_waitcnt vmcnt(8) lgkmcnt(1)
	v_fma_f64 v[52:53], v[69:70], v[53:54], v[61:62]
	s_waitcnt vmcnt(6)
	v_fma_f64 v[52:53], v[71:72], v[55:56], v[52:53]
	s_waitcnt vmcnt(4) lgkmcnt(0)
	v_fma_f64 v[52:53], v[73:74], v[57:58], v[52:53]
	s_waitcnt vmcnt(2)
	v_fma_f64 v[52:53], v[75:76], v[59:60], v[52:53]
	s_waitcnt vmcnt(0)
	v_add_f64 v[52:53], v[77:78], -v[52:53]
	buffer_store_dword v52, off, s[0:3], 0 offset:128
	buffer_store_dword v53, off, s[0:3], 0 offset:132
	v_cmpx_lt_u32_e32 15, v0
	s_cbranch_execz .LBB88_129
; %bb.128:
	s_clause 0x1
	buffer_load_dword v52, off, s[0:3], 0 offset:120
	buffer_load_dword v53, off, s[0:3], 0 offset:124
	v_mov_b32_e32 v54, 0
	buffer_store_dword v54, off, s[0:3], 0 offset:120
	buffer_store_dword v54, off, s[0:3], 0 offset:124
	s_waitcnt vmcnt(0)
	ds_write_b64 v51, v[52:53]
.LBB88_129:
	s_or_b32 exec_lo, exec_lo, s4
	s_waitcnt lgkmcnt(0)
	s_waitcnt_vscnt null, 0x0
	s_barrier
	buffer_gl0_inv
	s_clause 0x13
	buffer_load_dword v61, off, s[0:3], 0 offset:128
	buffer_load_dword v62, off, s[0:3], 0 offset:132
	;; [unrolled: 1-line block ×20, first 2 shown]
	v_mov_b32_e32 v52, 0
	ds_read_b128 v[53:56], v52 offset:336
	ds_read_b128 v[57:60], v52 offset:352
	s_mov_b32 s4, exec_lo
	s_waitcnt vmcnt(18) lgkmcnt(1)
	v_fma_f64 v[53:54], v[61:62], v[53:54], 0
	s_waitcnt vmcnt(16)
	v_fma_f64 v[53:54], v[63:64], v[55:56], v[53:54]
	s_waitcnt vmcnt(14) lgkmcnt(0)
	v_fma_f64 v[53:54], v[65:66], v[57:58], v[53:54]
	s_waitcnt vmcnt(12)
	v_fma_f64 v[61:62], v[67:68], v[59:60], v[53:54]
	ds_read_b128 v[53:56], v52 offset:368
	ds_read_b128 v[57:60], v52 offset:384
	s_waitcnt vmcnt(10) lgkmcnt(1)
	v_fma_f64 v[53:54], v[69:70], v[53:54], v[61:62]
	s_waitcnt vmcnt(8)
	v_fma_f64 v[53:54], v[71:72], v[55:56], v[53:54]
	ds_read_b64 v[55:56], v52 offset:400
	s_waitcnt vmcnt(6) lgkmcnt(1)
	v_fma_f64 v[53:54], v[73:74], v[57:58], v[53:54]
	s_waitcnt vmcnt(3)
	v_fma_f64 v[53:54], v[75:76], v[59:60], v[53:54]
	s_waitcnt vmcnt(2) lgkmcnt(0)
	v_fma_f64 v[53:54], v[77:78], v[55:56], v[53:54]
	s_waitcnt vmcnt(0)
	v_add_f64 v[53:54], v[79:80], -v[53:54]
	buffer_store_dword v53, off, s[0:3], 0 offset:120
	buffer_store_dword v54, off, s[0:3], 0 offset:124
	v_cmpx_lt_u32_e32 14, v0
	s_cbranch_execz .LBB88_131
; %bb.130:
	s_clause 0x1
	buffer_load_dword v53, off, s[0:3], 0 offset:112
	buffer_load_dword v54, off, s[0:3], 0 offset:116
	buffer_store_dword v52, off, s[0:3], 0 offset:112
	buffer_store_dword v52, off, s[0:3], 0 offset:116
	s_waitcnt vmcnt(0)
	ds_write_b64 v51, v[53:54]
.LBB88_131:
	s_or_b32 exec_lo, exec_lo, s4
	s_waitcnt lgkmcnt(0)
	s_waitcnt_vscnt null, 0x0
	s_barrier
	buffer_gl0_inv
	s_clause 0x15
	buffer_load_dword v61, off, s[0:3], 0 offset:120
	buffer_load_dword v62, off, s[0:3], 0 offset:124
	;; [unrolled: 1-line block ×22, first 2 shown]
	ds_read2_b64 v[53:56], v52 offset0:41 offset1:42
	ds_read2_b64 v[57:60], v52 offset0:43 offset1:44
	s_mov_b32 s4, exec_lo
	s_waitcnt vmcnt(20) lgkmcnt(1)
	v_fma_f64 v[53:54], v[61:62], v[53:54], 0
	s_waitcnt vmcnt(18)
	v_fma_f64 v[53:54], v[63:64], v[55:56], v[53:54]
	s_waitcnt vmcnt(16) lgkmcnt(0)
	v_fma_f64 v[53:54], v[65:66], v[57:58], v[53:54]
	s_waitcnt vmcnt(14)
	v_fma_f64 v[61:62], v[67:68], v[59:60], v[53:54]
	ds_read2_b64 v[53:56], v52 offset0:45 offset1:46
	ds_read2_b64 v[57:60], v52 offset0:47 offset1:48
	s_waitcnt vmcnt(12) lgkmcnt(1)
	v_fma_f64 v[53:54], v[69:70], v[53:54], v[61:62]
	s_waitcnt vmcnt(10)
	v_fma_f64 v[53:54], v[71:72], v[55:56], v[53:54]
	s_waitcnt vmcnt(8) lgkmcnt(0)
	v_fma_f64 v[53:54], v[73:74], v[57:58], v[53:54]
	s_waitcnt vmcnt(4)
	v_fma_f64 v[56:57], v[75:76], v[59:60], v[53:54]
	ds_read2_b64 v[52:55], v52 offset0:49 offset1:50
	s_waitcnt vmcnt(3) lgkmcnt(0)
	v_fma_f64 v[52:53], v[79:80], v[52:53], v[56:57]
	s_waitcnt vmcnt(2)
	v_fma_f64 v[52:53], v[77:78], v[54:55], v[52:53]
	s_waitcnt vmcnt(0)
	v_add_f64 v[52:53], v[81:82], -v[52:53]
	buffer_store_dword v52, off, s[0:3], 0 offset:112
	buffer_store_dword v53, off, s[0:3], 0 offset:116
	v_cmpx_lt_u32_e32 13, v0
	s_cbranch_execz .LBB88_133
; %bb.132:
	s_clause 0x1
	buffer_load_dword v52, off, s[0:3], 0 offset:104
	buffer_load_dword v53, off, s[0:3], 0 offset:108
	v_mov_b32_e32 v54, 0
	buffer_store_dword v54, off, s[0:3], 0 offset:104
	buffer_store_dword v54, off, s[0:3], 0 offset:108
	s_waitcnt vmcnt(0)
	ds_write_b64 v51, v[52:53]
.LBB88_133:
	s_or_b32 exec_lo, exec_lo, s4
	s_waitcnt lgkmcnt(0)
	s_waitcnt_vscnt null, 0x0
	s_barrier
	buffer_gl0_inv
	s_clause 0x17
	buffer_load_dword v61, off, s[0:3], 0 offset:112
	buffer_load_dword v62, off, s[0:3], 0 offset:116
	;; [unrolled: 1-line block ×24, first 2 shown]
	v_mov_b32_e32 v52, 0
	ds_read_b128 v[53:56], v52 offset:320
	ds_read_b128 v[57:60], v52 offset:336
	s_mov_b32 s4, exec_lo
	s_waitcnt vmcnt(22) lgkmcnt(1)
	v_fma_f64 v[53:54], v[61:62], v[53:54], 0
	s_waitcnt vmcnt(20)
	v_fma_f64 v[53:54], v[63:64], v[55:56], v[53:54]
	s_waitcnt vmcnt(18) lgkmcnt(0)
	v_fma_f64 v[53:54], v[65:66], v[57:58], v[53:54]
	s_waitcnt vmcnt(16)
	v_fma_f64 v[61:62], v[67:68], v[59:60], v[53:54]
	ds_read_b128 v[53:56], v52 offset:352
	ds_read_b128 v[57:60], v52 offset:368
	s_waitcnt vmcnt(14) lgkmcnt(1)
	v_fma_f64 v[53:54], v[69:70], v[53:54], v[61:62]
	s_waitcnt vmcnt(12)
	v_fma_f64 v[53:54], v[71:72], v[55:56], v[53:54]
	s_waitcnt vmcnt(10) lgkmcnt(0)
	v_fma_f64 v[53:54], v[73:74], v[57:58], v[53:54]
	s_waitcnt vmcnt(5)
	v_fma_f64 v[57:58], v[75:76], v[59:60], v[53:54]
	ds_read_b128 v[53:56], v52 offset:384
	ds_read_b64 v[59:60], v52 offset:400
	s_waitcnt vmcnt(4) lgkmcnt(1)
	v_fma_f64 v[53:54], v[81:82], v[53:54], v[57:58]
	s_waitcnt vmcnt(3)
	v_fma_f64 v[53:54], v[79:80], v[55:56], v[53:54]
	s_waitcnt vmcnt(2) lgkmcnt(0)
	v_fma_f64 v[53:54], v[77:78], v[59:60], v[53:54]
	s_waitcnt vmcnt(0)
	v_add_f64 v[53:54], v[83:84], -v[53:54]
	buffer_store_dword v54, off, s[0:3], 0 offset:108
	buffer_store_dword v53, off, s[0:3], 0 offset:104
	v_cmpx_lt_u32_e32 12, v0
	s_cbranch_execz .LBB88_135
; %bb.134:
	s_clause 0x1
	buffer_load_dword v53, off, s[0:3], 0 offset:96
	buffer_load_dword v54, off, s[0:3], 0 offset:100
	buffer_store_dword v52, off, s[0:3], 0 offset:96
	buffer_store_dword v52, off, s[0:3], 0 offset:100
	s_waitcnt vmcnt(0)
	ds_write_b64 v51, v[53:54]
.LBB88_135:
	s_or_b32 exec_lo, exec_lo, s4
	s_waitcnt lgkmcnt(0)
	s_waitcnt_vscnt null, 0x0
	s_barrier
	buffer_gl0_inv
	s_clause 0x19
	buffer_load_dword v61, off, s[0:3], 0 offset:104
	buffer_load_dword v62, off, s[0:3], 0 offset:108
	;; [unrolled: 1-line block ×26, first 2 shown]
	ds_read2_b64 v[53:56], v52 offset0:39 offset1:40
	ds_read2_b64 v[57:60], v52 offset0:41 offset1:42
	s_mov_b32 s4, exec_lo
	s_waitcnt vmcnt(24) lgkmcnt(1)
	v_fma_f64 v[53:54], v[61:62], v[53:54], 0
	s_waitcnt vmcnt(22)
	v_fma_f64 v[53:54], v[63:64], v[55:56], v[53:54]
	s_waitcnt vmcnt(20) lgkmcnt(0)
	v_fma_f64 v[53:54], v[65:66], v[57:58], v[53:54]
	s_waitcnt vmcnt(18)
	v_fma_f64 v[61:62], v[67:68], v[59:60], v[53:54]
	ds_read2_b64 v[53:56], v52 offset0:43 offset1:44
	ds_read2_b64 v[57:60], v52 offset0:45 offset1:46
	s_waitcnt vmcnt(16) lgkmcnt(1)
	v_fma_f64 v[53:54], v[69:70], v[53:54], v[61:62]
	s_waitcnt vmcnt(14)
	v_fma_f64 v[53:54], v[71:72], v[55:56], v[53:54]
	s_waitcnt vmcnt(12) lgkmcnt(0)
	v_fma_f64 v[53:54], v[73:74], v[57:58], v[53:54]
	s_waitcnt vmcnt(7)
	v_fma_f64 v[61:62], v[75:76], v[59:60], v[53:54]
	ds_read2_b64 v[53:56], v52 offset0:47 offset1:48
	ds_read2_b64 v[57:60], v52 offset0:49 offset1:50
	s_waitcnt vmcnt(6) lgkmcnt(1)
	v_fma_f64 v[52:53], v[81:82], v[53:54], v[61:62]
	s_waitcnt vmcnt(5)
	v_fma_f64 v[52:53], v[79:80], v[55:56], v[52:53]
	s_waitcnt vmcnt(4) lgkmcnt(0)
	v_fma_f64 v[52:53], v[77:78], v[57:58], v[52:53]
	s_waitcnt vmcnt(2)
	v_fma_f64 v[52:53], v[83:84], v[59:60], v[52:53]
	s_waitcnt vmcnt(0)
	v_add_f64 v[52:53], v[85:86], -v[52:53]
	buffer_store_dword v53, off, s[0:3], 0 offset:100
	buffer_store_dword v52, off, s[0:3], 0 offset:96
	v_cmpx_lt_u32_e32 11, v0
	s_cbranch_execz .LBB88_137
; %bb.136:
	s_clause 0x1
	buffer_load_dword v52, off, s[0:3], 0 offset:88
	buffer_load_dword v53, off, s[0:3], 0 offset:92
	v_mov_b32_e32 v54, 0
	buffer_store_dword v54, off, s[0:3], 0 offset:88
	buffer_store_dword v54, off, s[0:3], 0 offset:92
	s_waitcnt vmcnt(0)
	ds_write_b64 v51, v[52:53]
.LBB88_137:
	s_or_b32 exec_lo, exec_lo, s4
	s_waitcnt lgkmcnt(0)
	s_waitcnt_vscnt null, 0x0
	s_barrier
	buffer_gl0_inv
	s_clause 0x1b
	buffer_load_dword v61, off, s[0:3], 0 offset:96
	buffer_load_dword v62, off, s[0:3], 0 offset:100
	;; [unrolled: 1-line block ×28, first 2 shown]
	v_mov_b32_e32 v52, 0
	ds_read_b128 v[53:56], v52 offset:304
	ds_read_b128 v[57:60], v52 offset:320
	s_mov_b32 s4, exec_lo
	s_waitcnt vmcnt(26) lgkmcnt(1)
	v_fma_f64 v[53:54], v[61:62], v[53:54], 0
	s_waitcnt vmcnt(24)
	v_fma_f64 v[53:54], v[63:64], v[55:56], v[53:54]
	s_waitcnt vmcnt(22) lgkmcnt(0)
	v_fma_f64 v[53:54], v[65:66], v[57:58], v[53:54]
	s_waitcnt vmcnt(20)
	v_fma_f64 v[61:62], v[67:68], v[59:60], v[53:54]
	ds_read_b128 v[53:56], v52 offset:336
	ds_read_b128 v[57:60], v52 offset:352
	s_waitcnt vmcnt(18) lgkmcnt(1)
	v_fma_f64 v[53:54], v[69:70], v[53:54], v[61:62]
	s_waitcnt vmcnt(16)
	v_fma_f64 v[53:54], v[71:72], v[55:56], v[53:54]
	s_waitcnt vmcnt(14) lgkmcnt(0)
	v_fma_f64 v[53:54], v[73:74], v[57:58], v[53:54]
	s_waitcnt vmcnt(9)
	v_fma_f64 v[61:62], v[75:76], v[59:60], v[53:54]
	ds_read_b128 v[53:56], v52 offset:368
	ds_read_b128 v[57:60], v52 offset:384
	s_waitcnt vmcnt(8) lgkmcnt(1)
	v_fma_f64 v[53:54], v[81:82], v[53:54], v[61:62]
	s_waitcnt vmcnt(7)
	v_fma_f64 v[53:54], v[79:80], v[55:56], v[53:54]
	ds_read_b64 v[55:56], v52 offset:400
	s_waitcnt vmcnt(6) lgkmcnt(1)
	v_fma_f64 v[53:54], v[77:78], v[57:58], v[53:54]
	s_waitcnt vmcnt(3)
	v_fma_f64 v[53:54], v[83:84], v[59:60], v[53:54]
	s_waitcnt vmcnt(2) lgkmcnt(0)
	v_fma_f64 v[53:54], v[85:86], v[55:56], v[53:54]
	s_waitcnt vmcnt(0)
	v_add_f64 v[53:54], v[87:88], -v[53:54]
	buffer_store_dword v54, off, s[0:3], 0 offset:92
	buffer_store_dword v53, off, s[0:3], 0 offset:88
	v_cmpx_lt_u32_e32 10, v0
	s_cbranch_execz .LBB88_139
; %bb.138:
	s_clause 0x1
	buffer_load_dword v53, off, s[0:3], 0 offset:80
	buffer_load_dword v54, off, s[0:3], 0 offset:84
	buffer_store_dword v52, off, s[0:3], 0 offset:80
	buffer_store_dword v52, off, s[0:3], 0 offset:84
	s_waitcnt vmcnt(0)
	ds_write_b64 v51, v[53:54]
.LBB88_139:
	s_or_b32 exec_lo, exec_lo, s4
	s_waitcnt lgkmcnt(0)
	s_waitcnt_vscnt null, 0x0
	s_barrier
	buffer_gl0_inv
	s_clause 0x1b
	buffer_load_dword v61, off, s[0:3], 0 offset:88
	buffer_load_dword v62, off, s[0:3], 0 offset:92
	;; [unrolled: 1-line block ×28, first 2 shown]
	ds_read2_b64 v[53:56], v52 offset0:37 offset1:38
	s_clause 0x1
	buffer_load_dword v89, off, s[0:3], 0 offset:80
	buffer_load_dword v90, off, s[0:3], 0 offset:84
	ds_read2_b64 v[57:60], v52 offset0:39 offset1:40
	s_mov_b32 s4, exec_lo
	s_waitcnt vmcnt(28) lgkmcnt(1)
	v_fma_f64 v[53:54], v[61:62], v[53:54], 0
	s_waitcnt vmcnt(26)
	v_fma_f64 v[53:54], v[63:64], v[55:56], v[53:54]
	s_waitcnt vmcnt(24) lgkmcnt(0)
	v_fma_f64 v[53:54], v[65:66], v[57:58], v[53:54]
	s_waitcnt vmcnt(22)
	v_fma_f64 v[61:62], v[67:68], v[59:60], v[53:54]
	ds_read2_b64 v[53:56], v52 offset0:41 offset1:42
	ds_read2_b64 v[57:60], v52 offset0:43 offset1:44
	s_waitcnt vmcnt(20) lgkmcnt(1)
	v_fma_f64 v[53:54], v[69:70], v[53:54], v[61:62]
	s_waitcnt vmcnt(18)
	v_fma_f64 v[53:54], v[71:72], v[55:56], v[53:54]
	s_waitcnt vmcnt(16) lgkmcnt(0)
	v_fma_f64 v[53:54], v[73:74], v[57:58], v[53:54]
	s_waitcnt vmcnt(11)
	v_fma_f64 v[61:62], v[75:76], v[59:60], v[53:54]
	ds_read2_b64 v[53:56], v52 offset0:45 offset1:46
	ds_read2_b64 v[57:60], v52 offset0:47 offset1:48
	s_waitcnt vmcnt(10) lgkmcnt(1)
	v_fma_f64 v[53:54], v[81:82], v[53:54], v[61:62]
	s_waitcnt vmcnt(9)
	v_fma_f64 v[53:54], v[79:80], v[55:56], v[53:54]
	s_waitcnt vmcnt(8) lgkmcnt(0)
	v_fma_f64 v[53:54], v[77:78], v[57:58], v[53:54]
	s_waitcnt vmcnt(4)
	v_fma_f64 v[56:57], v[83:84], v[59:60], v[53:54]
	ds_read2_b64 v[52:55], v52 offset0:49 offset1:50
	s_waitcnt vmcnt(3) lgkmcnt(0)
	v_fma_f64 v[52:53], v[87:88], v[52:53], v[56:57]
	s_waitcnt vmcnt(2)
	v_fma_f64 v[52:53], v[85:86], v[54:55], v[52:53]
	s_waitcnt vmcnt(0)
	v_add_f64 v[52:53], v[89:90], -v[52:53]
	buffer_store_dword v53, off, s[0:3], 0 offset:84
	buffer_store_dword v52, off, s[0:3], 0 offset:80
	v_cmpx_lt_u32_e32 9, v0
	s_cbranch_execz .LBB88_141
; %bb.140:
	s_clause 0x1
	buffer_load_dword v52, off, s[0:3], 0 offset:72
	buffer_load_dword v53, off, s[0:3], 0 offset:76
	v_mov_b32_e32 v54, 0
	buffer_store_dword v54, off, s[0:3], 0 offset:72
	buffer_store_dword v54, off, s[0:3], 0 offset:76
	s_waitcnt vmcnt(0)
	ds_write_b64 v51, v[52:53]
.LBB88_141:
	s_or_b32 exec_lo, exec_lo, s4
	s_waitcnt lgkmcnt(0)
	s_waitcnt_vscnt null, 0x0
	s_barrier
	buffer_gl0_inv
	s_clause 0x1c
	buffer_load_dword v61, off, s[0:3], 0 offset:80
	buffer_load_dword v62, off, s[0:3], 0 offset:84
	;; [unrolled: 1-line block ×29, first 2 shown]
	v_mov_b32_e32 v52, 0
	buffer_load_dword v86, off, s[0:3], 0 offset:196
	s_mov_b32 s4, exec_lo
	ds_read_b128 v[53:56], v52 offset:288
	ds_read_b128 v[57:60], v52 offset:304
	s_waitcnt vmcnt(28) lgkmcnt(1)
	v_fma_f64 v[53:54], v[61:62], v[53:54], 0
	s_clause 0x1
	buffer_load_dword v61, off, s[0:3], 0 offset:72
	buffer_load_dword v62, off, s[0:3], 0 offset:76
	s_waitcnt vmcnt(28)
	v_fma_f64 v[53:54], v[63:64], v[55:56], v[53:54]
	s_waitcnt vmcnt(26) lgkmcnt(0)
	v_fma_f64 v[53:54], v[65:66], v[57:58], v[53:54]
	s_waitcnt vmcnt(24)
	v_fma_f64 v[63:64], v[67:68], v[59:60], v[53:54]
	ds_read_b128 v[53:56], v52 offset:320
	ds_read_b128 v[57:60], v52 offset:336
	s_waitcnt vmcnt(22) lgkmcnt(1)
	v_fma_f64 v[53:54], v[69:70], v[53:54], v[63:64]
	s_waitcnt vmcnt(20)
	v_fma_f64 v[53:54], v[71:72], v[55:56], v[53:54]
	s_waitcnt vmcnt(18) lgkmcnt(0)
	v_fma_f64 v[53:54], v[73:74], v[57:58], v[53:54]
	s_waitcnt vmcnt(13)
	v_fma_f64 v[63:64], v[75:76], v[59:60], v[53:54]
	ds_read_b128 v[53:56], v52 offset:352
	ds_read_b128 v[57:60], v52 offset:368
	s_waitcnt vmcnt(12) lgkmcnt(1)
	v_fma_f64 v[53:54], v[81:82], v[53:54], v[63:64]
	s_waitcnt vmcnt(11)
	v_fma_f64 v[53:54], v[79:80], v[55:56], v[53:54]
	s_waitcnt vmcnt(10) lgkmcnt(0)
	v_fma_f64 v[53:54], v[77:78], v[57:58], v[53:54]
	s_waitcnt vmcnt(5)
	v_fma_f64 v[57:58], v[83:84], v[59:60], v[53:54]
	ds_read_b128 v[53:56], v52 offset:384
	ds_read_b64 v[59:60], v52 offset:400
	s_waitcnt vmcnt(4) lgkmcnt(1)
	v_fma_f64 v[53:54], v[89:90], v[53:54], v[57:58]
	s_waitcnt vmcnt(3)
	v_fma_f64 v[53:54], v[87:88], v[55:56], v[53:54]
	s_waitcnt vmcnt(2) lgkmcnt(0)
	v_fma_f64 v[53:54], v[85:86], v[59:60], v[53:54]
	s_waitcnt vmcnt(0)
	v_add_f64 v[53:54], v[61:62], -v[53:54]
	buffer_store_dword v54, off, s[0:3], 0 offset:76
	buffer_store_dword v53, off, s[0:3], 0 offset:72
	v_cmpx_lt_u32_e32 8, v0
	s_cbranch_execz .LBB88_143
; %bb.142:
	s_clause 0x1
	buffer_load_dword v53, off, s[0:3], 0 offset:64
	buffer_load_dword v54, off, s[0:3], 0 offset:68
	buffer_store_dword v52, off, s[0:3], 0 offset:64
	buffer_store_dword v52, off, s[0:3], 0 offset:68
	s_waitcnt vmcnt(0)
	ds_write_b64 v51, v[53:54]
.LBB88_143:
	s_or_b32 exec_lo, exec_lo, s4
	s_waitcnt lgkmcnt(0)
	s_waitcnt_vscnt null, 0x0
	s_barrier
	buffer_gl0_inv
	s_clause 0x1c
	buffer_load_dword v61, off, s[0:3], 0 offset:72
	buffer_load_dword v62, off, s[0:3], 0 offset:76
	buffer_load_dword v63, off, s[0:3], 0 offset:80
	buffer_load_dword v64, off, s[0:3], 0 offset:84
	buffer_load_dword v65, off, s[0:3], 0 offset:88
	buffer_load_dword v66, off, s[0:3], 0 offset:92
	buffer_load_dword v67, off, s[0:3], 0 offset:96
	buffer_load_dword v68, off, s[0:3], 0 offset:100
	buffer_load_dword v69, off, s[0:3], 0 offset:104
	buffer_load_dword v70, off, s[0:3], 0 offset:108
	buffer_load_dword v71, off, s[0:3], 0 offset:112
	buffer_load_dword v72, off, s[0:3], 0 offset:116
	buffer_load_dword v73, off, s[0:3], 0 offset:120
	buffer_load_dword v74, off, s[0:3], 0 offset:124
	buffer_load_dword v76, off, s[0:3], 0 offset:132
	buffer_load_dword v77, off, s[0:3], 0 offset:152
	buffer_load_dword v79, off, s[0:3], 0 offset:144
	buffer_load_dword v81, off, s[0:3], 0 offset:136
	buffer_load_dword v75, off, s[0:3], 0 offset:128
	buffer_load_dword v82, off, s[0:3], 0 offset:140
	buffer_load_dword v80, off, s[0:3], 0 offset:148
	buffer_load_dword v78, off, s[0:3], 0 offset:156
	buffer_load_dword v84, off, s[0:3], 0 offset:164
	buffer_load_dword v85, off, s[0:3], 0 offset:184
	buffer_load_dword v87, off, s[0:3], 0 offset:176
	buffer_load_dword v89, off, s[0:3], 0 offset:168
	buffer_load_dword v83, off, s[0:3], 0 offset:160
	buffer_load_dword v90, off, s[0:3], 0 offset:172
	buffer_load_dword v88, off, s[0:3], 0 offset:180
	ds_read2_b64 v[53:56], v52 offset0:35 offset1:36
	ds_read2_b64 v[57:60], v52 offset0:37 offset1:38
	buffer_load_dword v86, off, s[0:3], 0 offset:188
	s_mov_b32 s4, exec_lo
	s_waitcnt vmcnt(28) lgkmcnt(1)
	v_fma_f64 v[53:54], v[61:62], v[53:54], 0
	s_clause 0x1
	buffer_load_dword v62, off, s[0:3], 0 offset:196
	buffer_load_dword v61, off, s[0:3], 0 offset:192
	s_waitcnt vmcnt(28)
	v_fma_f64 v[53:54], v[63:64], v[55:56], v[53:54]
	s_clause 0x1
	buffer_load_dword v63, off, s[0:3], 0 offset:64
	buffer_load_dword v64, off, s[0:3], 0 offset:68
	s_waitcnt vmcnt(28) lgkmcnt(0)
	v_fma_f64 v[53:54], v[65:66], v[57:58], v[53:54]
	s_waitcnt vmcnt(26)
	v_fma_f64 v[65:66], v[67:68], v[59:60], v[53:54]
	ds_read2_b64 v[53:56], v52 offset0:39 offset1:40
	ds_read2_b64 v[57:60], v52 offset0:41 offset1:42
	s_waitcnt vmcnt(24) lgkmcnt(1)
	v_fma_f64 v[53:54], v[69:70], v[53:54], v[65:66]
	s_waitcnt vmcnt(22)
	v_fma_f64 v[53:54], v[71:72], v[55:56], v[53:54]
	s_waitcnt vmcnt(20) lgkmcnt(0)
	v_fma_f64 v[53:54], v[73:74], v[57:58], v[53:54]
	s_waitcnt vmcnt(15)
	v_fma_f64 v[65:66], v[75:76], v[59:60], v[53:54]
	ds_read2_b64 v[53:56], v52 offset0:43 offset1:44
	ds_read2_b64 v[57:60], v52 offset0:45 offset1:46
	s_waitcnt vmcnt(14) lgkmcnt(1)
	v_fma_f64 v[53:54], v[81:82], v[53:54], v[65:66]
	s_waitcnt vmcnt(13)
	v_fma_f64 v[53:54], v[79:80], v[55:56], v[53:54]
	;; [unrolled: 10-line block ×3, first 2 shown]
	s_waitcnt vmcnt(4) lgkmcnt(0)
	v_fma_f64 v[52:53], v[85:86], v[57:58], v[52:53]
	s_waitcnt vmcnt(2)
	v_fma_f64 v[52:53], v[61:62], v[59:60], v[52:53]
	s_waitcnt vmcnt(0)
	v_add_f64 v[52:53], v[63:64], -v[52:53]
	buffer_store_dword v53, off, s[0:3], 0 offset:68
	buffer_store_dword v52, off, s[0:3], 0 offset:64
	v_cmpx_lt_u32_e32 7, v0
	s_cbranch_execz .LBB88_145
; %bb.144:
	s_clause 0x1
	buffer_load_dword v52, off, s[0:3], 0 offset:56
	buffer_load_dword v53, off, s[0:3], 0 offset:60
	v_mov_b32_e32 v54, 0
	buffer_store_dword v54, off, s[0:3], 0 offset:56
	buffer_store_dword v54, off, s[0:3], 0 offset:60
	s_waitcnt vmcnt(0)
	ds_write_b64 v51, v[52:53]
.LBB88_145:
	s_or_b32 exec_lo, exec_lo, s4
	s_waitcnt lgkmcnt(0)
	s_waitcnt_vscnt null, 0x0
	s_barrier
	buffer_gl0_inv
	s_clause 0x1c
	buffer_load_dword v61, off, s[0:3], 0 offset:64
	buffer_load_dword v62, off, s[0:3], 0 offset:68
	;; [unrolled: 1-line block ×29, first 2 shown]
	v_mov_b32_e32 v52, 0
	buffer_load_dword v86, off, s[0:3], 0 offset:180
	s_mov_b32 s4, exec_lo
	ds_read_b128 v[53:56], v52 offset:272
	ds_read_b128 v[57:60], v52 offset:288
	s_waitcnt vmcnt(28) lgkmcnt(1)
	v_fma_f64 v[53:54], v[61:62], v[53:54], 0
	s_clause 0x3
	buffer_load_dword v62, off, s[0:3], 0 offset:188
	buffer_load_dword v91, off, s[0:3], 0 offset:192
	;; [unrolled: 1-line block ×4, first 2 shown]
	s_waitcnt vmcnt(30)
	v_fma_f64 v[53:54], v[63:64], v[55:56], v[53:54]
	s_clause 0x1
	buffer_load_dword v63, off, s[0:3], 0 offset:56
	buffer_load_dword v64, off, s[0:3], 0 offset:60
	s_waitcnt vmcnt(30) lgkmcnt(0)
	v_fma_f64 v[53:54], v[65:66], v[57:58], v[53:54]
	s_waitcnt vmcnt(28)
	v_fma_f64 v[65:66], v[67:68], v[59:60], v[53:54]
	ds_read_b128 v[53:56], v52 offset:304
	ds_read_b128 v[57:60], v52 offset:320
	s_waitcnt vmcnt(26) lgkmcnt(1)
	v_fma_f64 v[53:54], v[69:70], v[53:54], v[65:66]
	s_waitcnt vmcnt(24)
	v_fma_f64 v[53:54], v[71:72], v[55:56], v[53:54]
	s_waitcnt vmcnt(22) lgkmcnt(0)
	v_fma_f64 v[53:54], v[73:74], v[57:58], v[53:54]
	s_waitcnt vmcnt(17)
	v_fma_f64 v[65:66], v[75:76], v[59:60], v[53:54]
	ds_read_b128 v[53:56], v52 offset:336
	ds_read_b128 v[57:60], v52 offset:352
	s_waitcnt vmcnt(16) lgkmcnt(1)
	v_fma_f64 v[53:54], v[81:82], v[53:54], v[65:66]
	s_waitcnt vmcnt(15)
	v_fma_f64 v[53:54], v[79:80], v[55:56], v[53:54]
	;; [unrolled: 10-line block ×3, first 2 shown]
	ds_read_b64 v[55:56], v52 offset:400
	s_waitcnt vmcnt(6) lgkmcnt(1)
	v_fma_f64 v[53:54], v[85:86], v[57:58], v[53:54]
	s_waitcnt vmcnt(3)
	v_fma_f64 v[53:54], v[61:62], v[59:60], v[53:54]
	s_waitcnt vmcnt(2) lgkmcnt(0)
	v_fma_f64 v[53:54], v[91:92], v[55:56], v[53:54]
	s_waitcnt vmcnt(0)
	v_add_f64 v[53:54], v[63:64], -v[53:54]
	buffer_store_dword v54, off, s[0:3], 0 offset:60
	buffer_store_dword v53, off, s[0:3], 0 offset:56
	v_cmpx_lt_u32_e32 6, v0
	s_cbranch_execz .LBB88_147
; %bb.146:
	s_clause 0x1
	buffer_load_dword v53, off, s[0:3], 0 offset:48
	buffer_load_dword v54, off, s[0:3], 0 offset:52
	buffer_store_dword v52, off, s[0:3], 0 offset:48
	buffer_store_dword v52, off, s[0:3], 0 offset:52
	s_waitcnt vmcnt(0)
	ds_write_b64 v51, v[53:54]
.LBB88_147:
	s_or_b32 exec_lo, exec_lo, s4
	s_waitcnt lgkmcnt(0)
	s_waitcnt_vscnt null, 0x0
	s_barrier
	buffer_gl0_inv
	s_clause 0x1c
	buffer_load_dword v61, off, s[0:3], 0 offset:56
	buffer_load_dword v62, off, s[0:3], 0 offset:60
	;; [unrolled: 1-line block ×29, first 2 shown]
	ds_read2_b64 v[53:56], v52 offset0:33 offset1:34
	ds_read2_b64 v[57:60], v52 offset0:35 offset1:36
	buffer_load_dword v86, off, s[0:3], 0 offset:172
	s_mov_b32 s4, exec_lo
	s_waitcnt vmcnt(28) lgkmcnt(1)
	v_fma_f64 v[53:54], v[61:62], v[53:54], 0
	s_clause 0x5
	buffer_load_dword v62, off, s[0:3], 0 offset:180
	buffer_load_dword v91, off, s[0:3], 0 offset:192
	;; [unrolled: 1-line block ×6, first 2 shown]
	s_waitcnt vmcnt(32)
	v_fma_f64 v[53:54], v[63:64], v[55:56], v[53:54]
	s_waitcnt vmcnt(30) lgkmcnt(0)
	v_fma_f64 v[53:54], v[65:66], v[57:58], v[53:54]
	s_waitcnt vmcnt(28)
	v_fma_f64 v[63:64], v[67:68], v[59:60], v[53:54]
	ds_read2_b64 v[53:56], v52 offset0:37 offset1:38
	s_clause 0x1
	buffer_load_dword v65, off, s[0:3], 0 offset:48
	buffer_load_dword v66, off, s[0:3], 0 offset:52
	ds_read2_b64 v[57:60], v52 offset0:39 offset1:40
	s_waitcnt vmcnt(28) lgkmcnt(1)
	v_fma_f64 v[53:54], v[69:70], v[53:54], v[63:64]
	s_waitcnt vmcnt(26)
	v_fma_f64 v[53:54], v[71:72], v[55:56], v[53:54]
	s_waitcnt vmcnt(24) lgkmcnt(0)
	v_fma_f64 v[53:54], v[73:74], v[57:58], v[53:54]
	s_waitcnt vmcnt(19)
	v_fma_f64 v[63:64], v[75:76], v[59:60], v[53:54]
	ds_read2_b64 v[53:56], v52 offset0:41 offset1:42
	ds_read2_b64 v[57:60], v52 offset0:43 offset1:44
	s_waitcnt vmcnt(18) lgkmcnt(1)
	v_fma_f64 v[53:54], v[81:82], v[53:54], v[63:64]
	s_waitcnt vmcnt(17)
	v_fma_f64 v[53:54], v[79:80], v[55:56], v[53:54]
	s_waitcnt vmcnt(16) lgkmcnt(0)
	v_fma_f64 v[53:54], v[77:78], v[57:58], v[53:54]
	s_waitcnt vmcnt(11)
	v_fma_f64 v[63:64], v[83:84], v[59:60], v[53:54]
	ds_read2_b64 v[53:56], v52 offset0:45 offset1:46
	;; [unrolled: 10-line block ×3, first 2 shown]
	s_waitcnt vmcnt(3) lgkmcnt(0)
	v_fma_f64 v[52:53], v[93:94], v[52:53], v[56:57]
	s_waitcnt vmcnt(2)
	v_fma_f64 v[52:53], v[91:92], v[54:55], v[52:53]
	s_waitcnt vmcnt(0)
	v_add_f64 v[52:53], v[65:66], -v[52:53]
	buffer_store_dword v53, off, s[0:3], 0 offset:52
	buffer_store_dword v52, off, s[0:3], 0 offset:48
	v_cmpx_lt_u32_e32 5, v0
	s_cbranch_execz .LBB88_149
; %bb.148:
	s_clause 0x1
	buffer_load_dword v52, off, s[0:3], 0 offset:40
	buffer_load_dword v53, off, s[0:3], 0 offset:44
	v_mov_b32_e32 v54, 0
	buffer_store_dword v54, off, s[0:3], 0 offset:40
	buffer_store_dword v54, off, s[0:3], 0 offset:44
	s_waitcnt vmcnt(0)
	ds_write_b64 v51, v[52:53]
.LBB88_149:
	s_or_b32 exec_lo, exec_lo, s4
	s_waitcnt lgkmcnt(0)
	s_waitcnt_vscnt null, 0x0
	s_barrier
	buffer_gl0_inv
	s_clause 0x1c
	buffer_load_dword v61, off, s[0:3], 0 offset:48
	buffer_load_dword v62, off, s[0:3], 0 offset:52
	;; [unrolled: 1-line block ×29, first 2 shown]
	v_mov_b32_e32 v52, 0
	buffer_load_dword v86, off, s[0:3], 0 offset:164
	s_mov_b32 s4, exec_lo
	ds_read_b128 v[53:56], v52 offset:256
	ds_read_b128 v[57:60], v52 offset:272
	s_waitcnt vmcnt(28) lgkmcnt(1)
	v_fma_f64 v[53:54], v[61:62], v[53:54], 0
	s_clause 0x7
	buffer_load_dword v62, off, s[0:3], 0 offset:172
	buffer_load_dword v91, off, s[0:3], 0 offset:192
	;; [unrolled: 1-line block ×8, first 2 shown]
	s_waitcnt vmcnt(34)
	v_fma_f64 v[53:54], v[63:64], v[55:56], v[53:54]
	s_waitcnt vmcnt(32) lgkmcnt(0)
	v_fma_f64 v[53:54], v[65:66], v[57:58], v[53:54]
	s_waitcnt vmcnt(30)
	v_fma_f64 v[63:64], v[67:68], v[59:60], v[53:54]
	ds_read_b128 v[53:56], v52 offset:288
	ds_read_b128 v[57:60], v52 offset:304
	s_waitcnt vmcnt(28) lgkmcnt(1)
	v_fma_f64 v[53:54], v[69:70], v[53:54], v[63:64]
	s_clause 0x1
	buffer_load_dword v63, off, s[0:3], 0 offset:40
	buffer_load_dword v64, off, s[0:3], 0 offset:44
	s_waitcnt vmcnt(28)
	v_fma_f64 v[53:54], v[71:72], v[55:56], v[53:54]
	s_waitcnt vmcnt(26) lgkmcnt(0)
	v_fma_f64 v[53:54], v[73:74], v[57:58], v[53:54]
	s_waitcnt vmcnt(21)
	v_fma_f64 v[65:66], v[75:76], v[59:60], v[53:54]
	ds_read_b128 v[53:56], v52 offset:320
	ds_read_b128 v[57:60], v52 offset:336
	s_waitcnt vmcnt(20) lgkmcnt(1)
	v_fma_f64 v[53:54], v[81:82], v[53:54], v[65:66]
	s_waitcnt vmcnt(19)
	v_fma_f64 v[53:54], v[79:80], v[55:56], v[53:54]
	s_waitcnt vmcnt(18) lgkmcnt(0)
	v_fma_f64 v[53:54], v[77:78], v[57:58], v[53:54]
	s_waitcnt vmcnt(13)
	v_fma_f64 v[65:66], v[83:84], v[59:60], v[53:54]
	ds_read_b128 v[53:56], v52 offset:352
	ds_read_b128 v[57:60], v52 offset:368
	s_waitcnt vmcnt(12) lgkmcnt(1)
	v_fma_f64 v[53:54], v[89:90], v[53:54], v[65:66]
	s_waitcnt vmcnt(11)
	v_fma_f64 v[53:54], v[87:88], v[55:56], v[53:54]
	s_waitcnt vmcnt(10) lgkmcnt(0)
	v_fma_f64 v[53:54], v[85:86], v[57:58], v[53:54]
	s_waitcnt vmcnt(5)
	v_fma_f64 v[57:58], v[61:62], v[59:60], v[53:54]
	ds_read_b128 v[53:56], v52 offset:384
	ds_read_b64 v[59:60], v52 offset:400
	s_waitcnt vmcnt(4) lgkmcnt(1)
	v_fma_f64 v[53:54], v[95:96], v[53:54], v[57:58]
	s_waitcnt vmcnt(3)
	v_fma_f64 v[53:54], v[93:94], v[55:56], v[53:54]
	s_waitcnt vmcnt(2) lgkmcnt(0)
	v_fma_f64 v[53:54], v[91:92], v[59:60], v[53:54]
	s_waitcnt vmcnt(0)
	v_add_f64 v[53:54], v[63:64], -v[53:54]
	buffer_store_dword v54, off, s[0:3], 0 offset:44
	buffer_store_dword v53, off, s[0:3], 0 offset:40
	v_cmpx_lt_u32_e32 4, v0
	s_cbranch_execz .LBB88_151
; %bb.150:
	s_clause 0x1
	buffer_load_dword v53, off, s[0:3], 0 offset:32
	buffer_load_dword v54, off, s[0:3], 0 offset:36
	buffer_store_dword v52, off, s[0:3], 0 offset:32
	buffer_store_dword v52, off, s[0:3], 0 offset:36
	s_waitcnt vmcnt(0)
	ds_write_b64 v51, v[53:54]
.LBB88_151:
	s_or_b32 exec_lo, exec_lo, s4
	s_waitcnt lgkmcnt(0)
	s_waitcnt_vscnt null, 0x0
	s_barrier
	buffer_gl0_inv
	s_clause 0x1c
	buffer_load_dword v61, off, s[0:3], 0 offset:40
	buffer_load_dword v62, off, s[0:3], 0 offset:44
	buffer_load_dword v63, off, s[0:3], 0 offset:48
	buffer_load_dword v64, off, s[0:3], 0 offset:52
	buffer_load_dword v65, off, s[0:3], 0 offset:56
	buffer_load_dword v66, off, s[0:3], 0 offset:60
	buffer_load_dword v67, off, s[0:3], 0 offset:64
	buffer_load_dword v68, off, s[0:3], 0 offset:68
	buffer_load_dword v69, off, s[0:3], 0 offset:72
	buffer_load_dword v70, off, s[0:3], 0 offset:76
	buffer_load_dword v71, off, s[0:3], 0 offset:80
	buffer_load_dword v72, off, s[0:3], 0 offset:84
	buffer_load_dword v73, off, s[0:3], 0 offset:88
	buffer_load_dword v74, off, s[0:3], 0 offset:92
	buffer_load_dword v76, off, s[0:3], 0 offset:100
	buffer_load_dword v77, off, s[0:3], 0 offset:120
	buffer_load_dword v79, off, s[0:3], 0 offset:112
	buffer_load_dword v81, off, s[0:3], 0 offset:104
	buffer_load_dword v75, off, s[0:3], 0 offset:96
	buffer_load_dword v82, off, s[0:3], 0 offset:108
	buffer_load_dword v80, off, s[0:3], 0 offset:116
	buffer_load_dword v78, off, s[0:3], 0 offset:124
	buffer_load_dword v84, off, s[0:3], 0 offset:132
	buffer_load_dword v85, off, s[0:3], 0 offset:152
	buffer_load_dword v87, off, s[0:3], 0 offset:144
	buffer_load_dword v89, off, s[0:3], 0 offset:136
	buffer_load_dword v83, off, s[0:3], 0 offset:128
	buffer_load_dword v90, off, s[0:3], 0 offset:140
	buffer_load_dword v88, off, s[0:3], 0 offset:148
	ds_read2_b64 v[53:56], v52 offset0:31 offset1:32
	ds_read2_b64 v[57:60], v52 offset0:33 offset1:34
	buffer_load_dword v86, off, s[0:3], 0 offset:156
	s_mov_b32 s4, exec_lo
	s_waitcnt vmcnt(28) lgkmcnt(1)
	v_fma_f64 v[53:54], v[61:62], v[53:54], 0
	s_clause 0x7
	buffer_load_dword v62, off, s[0:3], 0 offset:164
	buffer_load_dword v91, off, s[0:3], 0 offset:184
	;; [unrolled: 1-line block ×8, first 2 shown]
	s_waitcnt vmcnt(34)
	v_fma_f64 v[53:54], v[63:64], v[55:56], v[53:54]
	s_waitcnt vmcnt(32) lgkmcnt(0)
	v_fma_f64 v[53:54], v[65:66], v[57:58], v[53:54]
	s_waitcnt vmcnt(30)
	v_fma_f64 v[63:64], v[67:68], v[59:60], v[53:54]
	ds_read2_b64 v[53:56], v52 offset0:35 offset1:36
	ds_read2_b64 v[57:60], v52 offset0:37 offset1:38
	s_waitcnt vmcnt(28) lgkmcnt(1)
	v_fma_f64 v[53:54], v[69:70], v[53:54], v[63:64]
	s_clause 0x3
	buffer_load_dword v64, off, s[0:3], 0 offset:196
	buffer_load_dword v63, off, s[0:3], 0 offset:192
	;; [unrolled: 1-line block ×4, first 2 shown]
	s_waitcnt vmcnt(30)
	v_fma_f64 v[53:54], v[71:72], v[55:56], v[53:54]
	s_waitcnt vmcnt(28) lgkmcnt(0)
	v_fma_f64 v[53:54], v[73:74], v[57:58], v[53:54]
	s_waitcnt vmcnt(23)
	v_fma_f64 v[67:68], v[75:76], v[59:60], v[53:54]
	ds_read2_b64 v[53:56], v52 offset0:39 offset1:40
	ds_read2_b64 v[57:60], v52 offset0:41 offset1:42
	s_waitcnt vmcnt(22) lgkmcnt(1)
	v_fma_f64 v[53:54], v[81:82], v[53:54], v[67:68]
	s_waitcnt vmcnt(21)
	v_fma_f64 v[53:54], v[79:80], v[55:56], v[53:54]
	s_waitcnt vmcnt(20) lgkmcnt(0)
	v_fma_f64 v[53:54], v[77:78], v[57:58], v[53:54]
	s_waitcnt vmcnt(15)
	v_fma_f64 v[67:68], v[83:84], v[59:60], v[53:54]
	ds_read2_b64 v[53:56], v52 offset0:43 offset1:44
	ds_read2_b64 v[57:60], v52 offset0:45 offset1:46
	s_waitcnt vmcnt(14) lgkmcnt(1)
	v_fma_f64 v[53:54], v[89:90], v[53:54], v[67:68]
	;; [unrolled: 10-line block ×3, first 2 shown]
	s_waitcnt vmcnt(5)
	v_fma_f64 v[52:53], v[93:94], v[55:56], v[52:53]
	s_waitcnt vmcnt(4) lgkmcnt(0)
	v_fma_f64 v[52:53], v[91:92], v[57:58], v[52:53]
	s_waitcnt vmcnt(2)
	v_fma_f64 v[52:53], v[63:64], v[59:60], v[52:53]
	s_waitcnt vmcnt(0)
	v_add_f64 v[52:53], v[65:66], -v[52:53]
	buffer_store_dword v53, off, s[0:3], 0 offset:36
	buffer_store_dword v52, off, s[0:3], 0 offset:32
	v_cmpx_lt_u32_e32 3, v0
	s_cbranch_execz .LBB88_153
; %bb.152:
	s_clause 0x1
	buffer_load_dword v52, off, s[0:3], 0 offset:24
	buffer_load_dword v53, off, s[0:3], 0 offset:28
	v_mov_b32_e32 v54, 0
	buffer_store_dword v54, off, s[0:3], 0 offset:24
	buffer_store_dword v54, off, s[0:3], 0 offset:28
	s_waitcnt vmcnt(0)
	ds_write_b64 v51, v[52:53]
.LBB88_153:
	s_or_b32 exec_lo, exec_lo, s4
	s_waitcnt lgkmcnt(0)
	s_waitcnt_vscnt null, 0x0
	s_barrier
	buffer_gl0_inv
	s_clause 0x1c
	buffer_load_dword v61, off, s[0:3], 0 offset:32
	buffer_load_dword v62, off, s[0:3], 0 offset:36
	buffer_load_dword v63, off, s[0:3], 0 offset:40
	buffer_load_dword v64, off, s[0:3], 0 offset:44
	buffer_load_dword v65, off, s[0:3], 0 offset:48
	buffer_load_dword v66, off, s[0:3], 0 offset:52
	buffer_load_dword v67, off, s[0:3], 0 offset:56
	buffer_load_dword v68, off, s[0:3], 0 offset:60
	buffer_load_dword v69, off, s[0:3], 0 offset:64
	buffer_load_dword v70, off, s[0:3], 0 offset:68
	buffer_load_dword v71, off, s[0:3], 0 offset:72
	buffer_load_dword v72, off, s[0:3], 0 offset:76
	buffer_load_dword v73, off, s[0:3], 0 offset:80
	buffer_load_dword v74, off, s[0:3], 0 offset:84
	buffer_load_dword v76, off, s[0:3], 0 offset:92
	buffer_load_dword v77, off, s[0:3], 0 offset:112
	buffer_load_dword v79, off, s[0:3], 0 offset:104
	buffer_load_dword v81, off, s[0:3], 0 offset:96
	buffer_load_dword v75, off, s[0:3], 0 offset:88
	buffer_load_dword v82, off, s[0:3], 0 offset:100
	buffer_load_dword v80, off, s[0:3], 0 offset:108
	buffer_load_dword v78, off, s[0:3], 0 offset:116
	buffer_load_dword v84, off, s[0:3], 0 offset:124
	buffer_load_dword v85, off, s[0:3], 0 offset:144
	buffer_load_dword v87, off, s[0:3], 0 offset:136
	buffer_load_dword v89, off, s[0:3], 0 offset:128
	buffer_load_dword v83, off, s[0:3], 0 offset:120
	buffer_load_dword v90, off, s[0:3], 0 offset:132
	buffer_load_dword v88, off, s[0:3], 0 offset:140
	v_mov_b32_e32 v52, 0
	buffer_load_dword v86, off, s[0:3], 0 offset:148
	s_mov_b32 s4, exec_lo
	ds_read_b128 v[53:56], v52 offset:240
	ds_read_b128 v[57:60], v52 offset:256
	s_waitcnt vmcnt(28) lgkmcnt(1)
	v_fma_f64 v[53:54], v[61:62], v[53:54], 0
	s_clause 0x7
	buffer_load_dword v62, off, s[0:3], 0 offset:156
	buffer_load_dword v91, off, s[0:3], 0 offset:176
	;; [unrolled: 1-line block ×8, first 2 shown]
	s_waitcnt vmcnt(34)
	v_fma_f64 v[53:54], v[63:64], v[55:56], v[53:54]
	s_waitcnt vmcnt(32) lgkmcnt(0)
	v_fma_f64 v[53:54], v[65:66], v[57:58], v[53:54]
	s_waitcnt vmcnt(30)
	v_fma_f64 v[63:64], v[67:68], v[59:60], v[53:54]
	ds_read_b128 v[53:56], v52 offset:272
	ds_read_b128 v[57:60], v52 offset:288
	s_waitcnt vmcnt(28) lgkmcnt(1)
	v_fma_f64 v[53:54], v[69:70], v[53:54], v[63:64]
	s_clause 0x5
	buffer_load_dword v64, off, s[0:3], 0 offset:188
	buffer_load_dword v65, off, s[0:3], 0 offset:192
	;; [unrolled: 1-line block ×6, first 2 shown]
	s_waitcnt vmcnt(32)
	v_fma_f64 v[53:54], v[71:72], v[55:56], v[53:54]
	s_waitcnt vmcnt(30) lgkmcnt(0)
	v_fma_f64 v[53:54], v[73:74], v[57:58], v[53:54]
	s_waitcnt vmcnt(25)
	v_fma_f64 v[69:70], v[75:76], v[59:60], v[53:54]
	ds_read_b128 v[53:56], v52 offset:304
	ds_read_b128 v[57:60], v52 offset:320
	s_waitcnt vmcnt(24) lgkmcnt(1)
	v_fma_f64 v[53:54], v[81:82], v[53:54], v[69:70]
	s_waitcnt vmcnt(23)
	v_fma_f64 v[53:54], v[79:80], v[55:56], v[53:54]
	s_waitcnt vmcnt(22) lgkmcnt(0)
	v_fma_f64 v[53:54], v[77:78], v[57:58], v[53:54]
	s_waitcnt vmcnt(17)
	v_fma_f64 v[69:70], v[83:84], v[59:60], v[53:54]
	ds_read_b128 v[53:56], v52 offset:336
	ds_read_b128 v[57:60], v52 offset:352
	s_waitcnt vmcnt(16) lgkmcnt(1)
	v_fma_f64 v[53:54], v[89:90], v[53:54], v[69:70]
	;; [unrolled: 10-line block ×3, first 2 shown]
	s_waitcnt vmcnt(7)
	v_fma_f64 v[53:54], v[93:94], v[55:56], v[53:54]
	ds_read_b64 v[55:56], v52 offset:400
	s_waitcnt vmcnt(6) lgkmcnt(1)
	v_fma_f64 v[53:54], v[91:92], v[57:58], v[53:54]
	s_waitcnt vmcnt(3)
	v_fma_f64 v[53:54], v[63:64], v[59:60], v[53:54]
	s_waitcnt vmcnt(2) lgkmcnt(0)
	v_fma_f64 v[53:54], v[65:66], v[55:56], v[53:54]
	s_waitcnt vmcnt(0)
	v_add_f64 v[53:54], v[67:68], -v[53:54]
	buffer_store_dword v54, off, s[0:3], 0 offset:28
	buffer_store_dword v53, off, s[0:3], 0 offset:24
	v_cmpx_lt_u32_e32 2, v0
	s_cbranch_execz .LBB88_155
; %bb.154:
	s_clause 0x1
	buffer_load_dword v53, off, s[0:3], 0 offset:16
	buffer_load_dword v54, off, s[0:3], 0 offset:20
	buffer_store_dword v52, off, s[0:3], 0 offset:16
	buffer_store_dword v52, off, s[0:3], 0 offset:20
	s_waitcnt vmcnt(0)
	ds_write_b64 v51, v[53:54]
.LBB88_155:
	s_or_b32 exec_lo, exec_lo, s4
	s_waitcnt lgkmcnt(0)
	s_waitcnt_vscnt null, 0x0
	s_barrier
	buffer_gl0_inv
	s_clause 0x1c
	buffer_load_dword v61, off, s[0:3], 0 offset:24
	buffer_load_dword v62, off, s[0:3], 0 offset:28
	;; [unrolled: 1-line block ×29, first 2 shown]
	ds_read2_b64 v[53:56], v52 offset0:29 offset1:30
	ds_read2_b64 v[57:60], v52 offset0:31 offset1:32
	buffer_load_dword v86, off, s[0:3], 0 offset:140
	s_mov_b32 s4, exec_lo
	s_waitcnt vmcnt(28) lgkmcnt(1)
	v_fma_f64 v[53:54], v[61:62], v[53:54], 0
	s_clause 0x7
	buffer_load_dword v62, off, s[0:3], 0 offset:148
	buffer_load_dword v91, off, s[0:3], 0 offset:168
	;; [unrolled: 1-line block ×8, first 2 shown]
	s_waitcnt vmcnt(34)
	v_fma_f64 v[53:54], v[63:64], v[55:56], v[53:54]
	s_waitcnt vmcnt(32) lgkmcnt(0)
	v_fma_f64 v[53:54], v[65:66], v[57:58], v[53:54]
	s_waitcnt vmcnt(30)
	v_fma_f64 v[63:64], v[67:68], v[59:60], v[53:54]
	ds_read2_b64 v[53:56], v52 offset0:33 offset1:34
	ds_read2_b64 v[57:60], v52 offset0:35 offset1:36
	s_waitcnt vmcnt(28) lgkmcnt(1)
	v_fma_f64 v[53:54], v[69:70], v[53:54], v[63:64]
	s_clause 0x5
	buffer_load_dword v64, off, s[0:3], 0 offset:180
	buffer_load_dword v65, off, s[0:3], 0 offset:192
	;; [unrolled: 1-line block ×6, first 2 shown]
	s_waitcnt vmcnt(32)
	v_fma_f64 v[53:54], v[71:72], v[55:56], v[53:54]
	s_waitcnt vmcnt(30) lgkmcnt(0)
	v_fma_f64 v[53:54], v[73:74], v[57:58], v[53:54]
	s_waitcnt vmcnt(25)
	v_fma_f64 v[69:70], v[75:76], v[59:60], v[53:54]
	ds_read2_b64 v[53:56], v52 offset0:37 offset1:38
	s_clause 0x1
	buffer_load_dword v71, off, s[0:3], 0 offset:16
	buffer_load_dword v72, off, s[0:3], 0 offset:20
	ds_read2_b64 v[57:60], v52 offset0:39 offset1:40
	s_waitcnt vmcnt(26) lgkmcnt(1)
	v_fma_f64 v[53:54], v[81:82], v[53:54], v[69:70]
	s_waitcnt vmcnt(25)
	v_fma_f64 v[53:54], v[79:80], v[55:56], v[53:54]
	s_waitcnt vmcnt(24) lgkmcnt(0)
	v_fma_f64 v[53:54], v[77:78], v[57:58], v[53:54]
	s_waitcnt vmcnt(19)
	v_fma_f64 v[69:70], v[83:84], v[59:60], v[53:54]
	ds_read2_b64 v[53:56], v52 offset0:41 offset1:42
	ds_read2_b64 v[57:60], v52 offset0:43 offset1:44
	s_waitcnt vmcnt(18) lgkmcnt(1)
	v_fma_f64 v[53:54], v[89:90], v[53:54], v[69:70]
	s_waitcnt vmcnt(17)
	v_fma_f64 v[53:54], v[87:88], v[55:56], v[53:54]
	s_waitcnt vmcnt(16) lgkmcnt(0)
	v_fma_f64 v[53:54], v[85:86], v[57:58], v[53:54]
	s_waitcnt vmcnt(11)
	v_fma_f64 v[61:62], v[61:62], v[59:60], v[53:54]
	ds_read2_b64 v[53:56], v52 offset0:45 offset1:46
	;; [unrolled: 10-line block ×3, first 2 shown]
	s_waitcnt vmcnt(3) lgkmcnt(0)
	v_fma_f64 v[52:53], v[67:68], v[52:53], v[56:57]
	s_waitcnt vmcnt(2)
	v_fma_f64 v[52:53], v[65:66], v[54:55], v[52:53]
	s_waitcnt vmcnt(0)
	v_add_f64 v[52:53], v[71:72], -v[52:53]
	buffer_store_dword v53, off, s[0:3], 0 offset:20
	buffer_store_dword v52, off, s[0:3], 0 offset:16
	v_cmpx_lt_u32_e32 1, v0
	s_cbranch_execz .LBB88_157
; %bb.156:
	s_clause 0x1
	buffer_load_dword v52, off, s[0:3], 0 offset:8
	buffer_load_dword v53, off, s[0:3], 0 offset:12
	v_mov_b32_e32 v54, 0
	buffer_store_dword v54, off, s[0:3], 0 offset:8
	buffer_store_dword v54, off, s[0:3], 0 offset:12
	s_waitcnt vmcnt(0)
	ds_write_b64 v51, v[52:53]
.LBB88_157:
	s_or_b32 exec_lo, exec_lo, s4
	s_waitcnt lgkmcnt(0)
	s_waitcnt_vscnt null, 0x0
	s_barrier
	buffer_gl0_inv
	s_clause 0x1c
	buffer_load_dword v62, off, s[0:3], 0 offset:16
	buffer_load_dword v63, off, s[0:3], 0 offset:20
	;; [unrolled: 1-line block ×29, first 2 shown]
	v_mov_b32_e32 v53, 0
	buffer_load_dword v87, off, s[0:3], 0 offset:132
	s_mov_b32 s4, exec_lo
	ds_read_b128 v[54:57], v53 offset:224
	ds_read_b128 v[58:61], v53 offset:240
	s_waitcnt vmcnt(28) lgkmcnt(1)
	v_fma_f64 v[54:55], v[62:63], v[54:55], 0
	s_clause 0x7
	buffer_load_dword v63, off, s[0:3], 0 offset:140
	buffer_load_dword v92, off, s[0:3], 0 offset:160
	;; [unrolled: 1-line block ×8, first 2 shown]
	s_waitcnt vmcnt(34)
	v_fma_f64 v[54:55], v[64:65], v[56:57], v[54:55]
	s_waitcnt vmcnt(32) lgkmcnt(0)
	v_fma_f64 v[54:55], v[66:67], v[58:59], v[54:55]
	s_waitcnt vmcnt(30)
	v_fma_f64 v[64:65], v[68:69], v[60:61], v[54:55]
	ds_read_b128 v[54:57], v53 offset:256
	ds_read_b128 v[58:61], v53 offset:272
	s_waitcnt vmcnt(28) lgkmcnt(1)
	v_fma_f64 v[54:55], v[70:71], v[54:55], v[64:65]
	s_clause 0x7
	buffer_load_dword v65, off, s[0:3], 0 offset:172
	buffer_load_dword v66, off, s[0:3], 0 offset:192
	;; [unrolled: 1-line block ×8, first 2 shown]
	s_waitcnt vmcnt(34)
	v_fma_f64 v[54:55], v[72:73], v[56:57], v[54:55]
	s_waitcnt vmcnt(32) lgkmcnt(0)
	v_fma_f64 v[54:55], v[74:75], v[58:59], v[54:55]
	s_waitcnt vmcnt(27)
	v_fma_f64 v[72:73], v[76:77], v[60:61], v[54:55]
	ds_read_b128 v[54:57], v53 offset:288
	ds_read_b128 v[58:61], v53 offset:304
	s_waitcnt vmcnt(26) lgkmcnt(1)
	v_fma_f64 v[54:55], v[82:83], v[54:55], v[72:73]
	s_clause 0x1
	buffer_load_dword v72, off, s[0:3], 0 offset:8
	buffer_load_dword v73, off, s[0:3], 0 offset:12
	s_waitcnt vmcnt(27)
	v_fma_f64 v[54:55], v[80:81], v[56:57], v[54:55]
	s_waitcnt vmcnt(26) lgkmcnt(0)
	v_fma_f64 v[54:55], v[78:79], v[58:59], v[54:55]
	s_waitcnt vmcnt(21)
	v_fma_f64 v[74:75], v[84:85], v[60:61], v[54:55]
	ds_read_b128 v[54:57], v53 offset:320
	ds_read_b128 v[58:61], v53 offset:336
	s_waitcnt vmcnt(20) lgkmcnt(1)
	v_fma_f64 v[54:55], v[90:91], v[54:55], v[74:75]
	s_waitcnt vmcnt(19)
	v_fma_f64 v[54:55], v[88:89], v[56:57], v[54:55]
	s_waitcnt vmcnt(18) lgkmcnt(0)
	v_fma_f64 v[54:55], v[86:87], v[58:59], v[54:55]
	s_waitcnt vmcnt(13)
	v_fma_f64 v[62:63], v[62:63], v[60:61], v[54:55]
	ds_read_b128 v[54:57], v53 offset:352
	ds_read_b128 v[58:61], v53 offset:368
	s_waitcnt vmcnt(12) lgkmcnt(1)
	v_fma_f64 v[54:55], v[96:97], v[54:55], v[62:63]
	s_waitcnt vmcnt(11)
	v_fma_f64 v[54:55], v[94:95], v[56:57], v[54:55]
	s_waitcnt vmcnt(10) lgkmcnt(0)
	v_fma_f64 v[54:55], v[92:93], v[58:59], v[54:55]
	s_waitcnt vmcnt(5)
	v_fma_f64 v[58:59], v[64:65], v[60:61], v[54:55]
	ds_read_b128 v[54:57], v53 offset:384
	ds_read_b64 v[60:61], v53 offset:400
	s_waitcnt vmcnt(4) lgkmcnt(1)
	v_fma_f64 v[54:55], v[70:71], v[54:55], v[58:59]
	s_waitcnt vmcnt(3)
	v_fma_f64 v[54:55], v[68:69], v[56:57], v[54:55]
	s_waitcnt vmcnt(2) lgkmcnt(0)
	v_fma_f64 v[54:55], v[66:67], v[60:61], v[54:55]
	s_waitcnt vmcnt(0)
	v_add_f64 v[54:55], v[72:73], -v[54:55]
	buffer_store_dword v55, off, s[0:3], 0 offset:12
	buffer_store_dword v54, off, s[0:3], 0 offset:8
	v_cmpx_ne_u32_e32 0, v0
	s_cbranch_execz .LBB88_159
; %bb.158:
	s_clause 0x1
	buffer_load_dword v54, off, s[0:3], 0
	buffer_load_dword v55, off, s[0:3], 0 offset:4
	buffer_store_dword v53, off, s[0:3], 0
	buffer_store_dword v53, off, s[0:3], 0 offset:4
	s_waitcnt vmcnt(0)
	ds_write_b64 v51, v[54:55]
.LBB88_159:
	s_or_b32 exec_lo, exec_lo, s4
	s_waitcnt lgkmcnt(0)
	s_waitcnt_vscnt null, 0x0
	s_barrier
	buffer_gl0_inv
	s_clause 0x1c
	buffer_load_dword v51, off, s[0:3], 0 offset:8
	buffer_load_dword v52, off, s[0:3], 0 offset:12
	;; [unrolled: 1-line block ×29, first 2 shown]
	ds_read2_b64 v[54:57], v53 offset0:27 offset1:28
	ds_read2_b64 v[58:61], v53 offset0:29 offset1:30
	s_clause 0x8
	buffer_load_dword v85, off, s[0:3], 0 offset:124
	buffer_load_dword v91, off, s[0:3], 0 offset:132
	buffer_load_dword v92, off, s[0:3], 0 offset:152
	buffer_load_dword v94, off, s[0:3], 0 offset:144
	buffer_load_dword v96, off, s[0:3], 0 offset:136
	buffer_load_dword v90, off, s[0:3], 0 offset:128
	buffer_load_dword v97, off, s[0:3], 0 offset:140
	buffer_load_dword v95, off, s[0:3], 0 offset:148
	buffer_load_dword v93, off, s[0:3], 0 offset:156
	s_and_b32 vcc_lo, exec_lo, s16
	s_waitcnt vmcnt(36) lgkmcnt(1)
	v_fma_f64 v[51:52], v[51:52], v[54:55], 0
	s_waitcnt vmcnt(34)
	v_fma_f64 v[51:52], v[62:63], v[56:57], v[51:52]
	ds_read2_b64 v[54:57], v53 offset0:31 offset1:32
	s_waitcnt vmcnt(32) lgkmcnt(1)
	v_fma_f64 v[51:52], v[64:65], v[58:59], v[51:52]
	s_waitcnt vmcnt(30)
	v_fma_f64 v[51:52], v[66:67], v[60:61], v[51:52]
	ds_read2_b64 v[58:61], v53 offset0:33 offset1:34
	s_waitcnt vmcnt(28) lgkmcnt(1)
	v_fma_f64 v[54:55], v[68:69], v[54:55], v[51:52]
	s_clause 0x7
	buffer_load_dword v63, off, s[0:3], 0 offset:164
	buffer_load_dword v51, off, s[0:3], 0 offset:184
	;; [unrolled: 1-line block ×8, first 2 shown]
	s_waitcnt vmcnt(34)
	v_fma_f64 v[54:55], v[70:71], v[56:57], v[54:55]
	s_waitcnt vmcnt(32) lgkmcnt(0)
	v_fma_f64 v[54:55], v[72:73], v[58:59], v[54:55]
	s_waitcnt vmcnt(27)
	v_fma_f64 v[68:69], v[74:75], v[60:61], v[54:55]
	ds_read2_b64 v[54:57], v53 offset0:35 offset1:36
	ds_read2_b64 v[58:61], v53 offset0:37 offset1:38
	s_waitcnt vmcnt(26) lgkmcnt(1)
	v_fma_f64 v[54:55], v[80:81], v[54:55], v[68:69]
	s_clause 0x3
	buffer_load_dword v69, off, s[0:3], 0 offset:196
	buffer_load_dword v68, off, s[0:3], 0 offset:192
	buffer_load_dword v70, off, s[0:3], 0
	buffer_load_dword v71, off, s[0:3], 0 offset:4
	s_waitcnt vmcnt(29)
	v_fma_f64 v[54:55], v[78:79], v[56:57], v[54:55]
	s_waitcnt vmcnt(28) lgkmcnt(0)
	v_fma_f64 v[54:55], v[76:77], v[58:59], v[54:55]
	s_waitcnt vmcnt(23)
	v_fma_f64 v[72:73], v[82:83], v[60:61], v[54:55]
	ds_read2_b64 v[54:57], v53 offset0:39 offset1:40
	ds_read2_b64 v[58:61], v53 offset0:41 offset1:42
	s_waitcnt vmcnt(22) lgkmcnt(1)
	v_fma_f64 v[54:55], v[88:89], v[54:55], v[72:73]
	s_waitcnt vmcnt(21)
	v_fma_f64 v[54:55], v[86:87], v[56:57], v[54:55]
	s_waitcnt vmcnt(20) lgkmcnt(0)
	v_fma_f64 v[54:55], v[84:85], v[58:59], v[54:55]
	s_waitcnt vmcnt(15)
	v_fma_f64 v[72:73], v[90:91], v[60:61], v[54:55]
	ds_read2_b64 v[54:57], v53 offset0:43 offset1:44
	ds_read2_b64 v[58:61], v53 offset0:45 offset1:46
	s_waitcnt vmcnt(14) lgkmcnt(1)
	v_fma_f64 v[54:55], v[96:97], v[54:55], v[72:73]
	;; [unrolled: 10-line block ×3, first 2 shown]
	s_waitcnt vmcnt(5)
	v_fma_f64 v[53:54], v[64:65], v[56:57], v[53:54]
	s_waitcnt vmcnt(4) lgkmcnt(0)
	v_fma_f64 v[53:54], v[51:52], v[58:59], v[53:54]
	s_waitcnt vmcnt(2)
	v_fma_f64 v[53:54], v[68:69], v[60:61], v[53:54]
	s_waitcnt vmcnt(0)
	v_add_f64 v[53:54], v[70:71], -v[53:54]
	buffer_store_dword v54, off, s[0:3], 0 offset:4
	buffer_store_dword v53, off, s[0:3], 0
	s_cbranch_vccz .LBB88_208
; %bb.160:
	v_mov_b32_e32 v0, 0
	global_load_dword v53, v0, s[12:13] offset:92
	s_waitcnt vmcnt(0)
	v_add_nc_u32_e32 v53, -1, v53
	v_cmp_ne_u32_e32 vcc_lo, 23, v53
	s_cbranch_vccz .LBB88_162
; %bb.161:
	v_lshlrev_b32_e32 v53, 3, v53
	s_clause 0x1
	buffer_load_dword v54, v53, s[0:3], 0 offen
	buffer_load_dword v55, v53, s[0:3], 0 offen offset:4
	s_waitcnt vmcnt(1)
	buffer_store_dword v54, off, s[0:3], 0 offset:184
	s_waitcnt vmcnt(0)
	buffer_store_dword v55, off, s[0:3], 0 offset:188
	buffer_store_dword v51, v53, s[0:3], 0 offen
	buffer_store_dword v52, v53, s[0:3], 0 offen offset:4
.LBB88_162:
	global_load_dword v0, v0, s[12:13] offset:88
	s_waitcnt vmcnt(0)
	v_add_nc_u32_e32 v0, -1, v0
	v_cmp_eq_u32_e32 vcc_lo, 22, v0
	s_cbranch_vccnz .LBB88_164
; %bb.163:
	v_lshlrev_b32_e32 v0, 3, v0
	s_clause 0x3
	buffer_load_dword v51, v0, s[0:3], 0 offen
	buffer_load_dword v52, v0, s[0:3], 0 offen offset:4
	buffer_load_dword v53, off, s[0:3], 0 offset:180
	buffer_load_dword v54, off, s[0:3], 0 offset:176
	s_waitcnt vmcnt(3)
	buffer_store_dword v51, off, s[0:3], 0 offset:176
	s_waitcnt vmcnt(2)
	buffer_store_dword v52, off, s[0:3], 0 offset:180
	s_waitcnt vmcnt(1)
	buffer_store_dword v53, v0, s[0:3], 0 offen offset:4
	s_waitcnt vmcnt(0)
	buffer_store_dword v54, v0, s[0:3], 0 offen
.LBB88_164:
	v_mov_b32_e32 v0, 0
	global_load_dword v51, v0, s[12:13] offset:84
	s_waitcnt vmcnt(0)
	v_add_nc_u32_e32 v51, -1, v51
	v_cmp_eq_u32_e32 vcc_lo, 21, v51
	s_cbranch_vccnz .LBB88_166
; %bb.165:
	v_lshlrev_b32_e32 v51, 3, v51
	s_clause 0x3
	buffer_load_dword v52, v51, s[0:3], 0 offen
	buffer_load_dword v53, v51, s[0:3], 0 offen offset:4
	buffer_load_dword v54, off, s[0:3], 0 offset:168
	buffer_load_dword v55, off, s[0:3], 0 offset:172
	s_waitcnt vmcnt(3)
	buffer_store_dword v52, off, s[0:3], 0 offset:168
	s_waitcnt vmcnt(2)
	buffer_store_dword v53, off, s[0:3], 0 offset:172
	s_waitcnt vmcnt(1)
	buffer_store_dword v54, v51, s[0:3], 0 offen
	s_waitcnt vmcnt(0)
	buffer_store_dword v55, v51, s[0:3], 0 offen offset:4
.LBB88_166:
	global_load_dword v0, v0, s[12:13] offset:80
	s_waitcnt vmcnt(0)
	v_add_nc_u32_e32 v0, -1, v0
	v_cmp_eq_u32_e32 vcc_lo, 20, v0
	s_cbranch_vccnz .LBB88_168
; %bb.167:
	v_lshlrev_b32_e32 v0, 3, v0
	s_clause 0x3
	buffer_load_dword v51, v0, s[0:3], 0 offen
	buffer_load_dword v52, v0, s[0:3], 0 offen offset:4
	buffer_load_dword v53, off, s[0:3], 0 offset:164
	buffer_load_dword v54, off, s[0:3], 0 offset:160
	s_waitcnt vmcnt(3)
	buffer_store_dword v51, off, s[0:3], 0 offset:160
	s_waitcnt vmcnt(2)
	buffer_store_dword v52, off, s[0:3], 0 offset:164
	s_waitcnt vmcnt(1)
	buffer_store_dword v53, v0, s[0:3], 0 offen offset:4
	s_waitcnt vmcnt(0)
	buffer_store_dword v54, v0, s[0:3], 0 offen
.LBB88_168:
	v_mov_b32_e32 v0, 0
	global_load_dword v51, v0, s[12:13] offset:76
	s_waitcnt vmcnt(0)
	v_add_nc_u32_e32 v51, -1, v51
	v_cmp_eq_u32_e32 vcc_lo, 19, v51
	s_cbranch_vccnz .LBB88_170
; %bb.169:
	v_lshlrev_b32_e32 v51, 3, v51
	s_clause 0x3
	buffer_load_dword v52, v51, s[0:3], 0 offen
	buffer_load_dword v53, v51, s[0:3], 0 offen offset:4
	buffer_load_dword v54, off, s[0:3], 0 offset:152
	buffer_load_dword v55, off, s[0:3], 0 offset:156
	s_waitcnt vmcnt(3)
	buffer_store_dword v52, off, s[0:3], 0 offset:152
	s_waitcnt vmcnt(2)
	buffer_store_dword v53, off, s[0:3], 0 offset:156
	s_waitcnt vmcnt(1)
	buffer_store_dword v54, v51, s[0:3], 0 offen
	s_waitcnt vmcnt(0)
	buffer_store_dword v55, v51, s[0:3], 0 offen offset:4
.LBB88_170:
	;; [unrolled: 43-line block ×11, first 2 shown]
	global_load_dword v0, v0, s[12:13]
	s_clause 0x1
	buffer_load_dword v53, off, s[0:3], 0
	buffer_load_dword v54, off, s[0:3], 0 offset:4
	s_waitcnt vmcnt(2)
	v_add_nc_u32_e32 v0, -1, v0
	v_cmp_eq_u32_e32 vcc_lo, 0, v0
	s_cbranch_vccnz .LBB88_208
; %bb.207:
	v_lshlrev_b32_e32 v0, 3, v0
	s_clause 0x1
	buffer_load_dword v51, v0, s[0:3], 0 offen offset:4
	buffer_load_dword v52, v0, s[0:3], 0 offen
	s_waitcnt vmcnt(1)
	buffer_store_dword v51, off, s[0:3], 0 offset:4
	s_waitcnt vmcnt(0)
	buffer_store_dword v52, off, s[0:3], 0
	buffer_store_dword v54, v0, s[0:3], 0 offen offset:4
	buffer_store_dword v53, v0, s[0:3], 0 offen
	s_clause 0x1
	buffer_load_dword v53, off, s[0:3], 0
	buffer_load_dword v54, off, s[0:3], 0 offset:4
.LBB88_208:
	s_waitcnt vmcnt(0)
	flat_store_dwordx2 v[1:2], v[53:54]
	s_clause 0x1
	buffer_load_dword v0, off, s[0:3], 0 offset:8
	buffer_load_dword v1, off, s[0:3], 0 offset:12
	s_waitcnt vmcnt(0)
	flat_store_dwordx2 v[3:4], v[0:1]
	s_clause 0x1
	buffer_load_dword v0, off, s[0:3], 0 offset:16
	buffer_load_dword v1, off, s[0:3], 0 offset:20
	s_waitcnt vmcnt(0)
	flat_store_dwordx2 v[5:6], v[0:1]
	s_clause 0x1
	buffer_load_dword v0, off, s[0:3], 0 offset:24
	buffer_load_dword v1, off, s[0:3], 0 offset:28
	s_waitcnt vmcnt(0)
	flat_store_dwordx2 v[7:8], v[0:1]
	s_clause 0x1
	buffer_load_dword v0, off, s[0:3], 0 offset:32
	buffer_load_dword v1, off, s[0:3], 0 offset:36
	s_waitcnt vmcnt(0)
	flat_store_dwordx2 v[9:10], v[0:1]
	s_clause 0x1
	buffer_load_dword v0, off, s[0:3], 0 offset:40
	buffer_load_dword v1, off, s[0:3], 0 offset:44
	s_waitcnt vmcnt(0)
	flat_store_dwordx2 v[11:12], v[0:1]
	s_clause 0x1
	buffer_load_dword v0, off, s[0:3], 0 offset:48
	buffer_load_dword v1, off, s[0:3], 0 offset:52
	s_waitcnt vmcnt(0)
	flat_store_dwordx2 v[13:14], v[0:1]
	s_clause 0x1
	buffer_load_dword v0, off, s[0:3], 0 offset:56
	buffer_load_dword v1, off, s[0:3], 0 offset:60
	s_waitcnt vmcnt(0)
	flat_store_dwordx2 v[15:16], v[0:1]
	s_clause 0x1
	buffer_load_dword v0, off, s[0:3], 0 offset:64
	buffer_load_dword v1, off, s[0:3], 0 offset:68
	s_waitcnt vmcnt(0)
	flat_store_dwordx2 v[17:18], v[0:1]
	s_clause 0x1
	buffer_load_dword v0, off, s[0:3], 0 offset:72
	buffer_load_dword v1, off, s[0:3], 0 offset:76
	s_waitcnt vmcnt(0)
	flat_store_dwordx2 v[19:20], v[0:1]
	s_clause 0x1
	buffer_load_dword v0, off, s[0:3], 0 offset:80
	buffer_load_dword v1, off, s[0:3], 0 offset:84
	s_waitcnt vmcnt(0)
	flat_store_dwordx2 v[21:22], v[0:1]
	s_clause 0x1
	buffer_load_dword v0, off, s[0:3], 0 offset:88
	buffer_load_dword v1, off, s[0:3], 0 offset:92
	s_waitcnt vmcnt(0)
	flat_store_dwordx2 v[23:24], v[0:1]
	s_clause 0x1
	buffer_load_dword v0, off, s[0:3], 0 offset:96
	buffer_load_dword v1, off, s[0:3], 0 offset:100
	s_waitcnt vmcnt(0)
	flat_store_dwordx2 v[25:26], v[0:1]
	s_clause 0x1
	buffer_load_dword v0, off, s[0:3], 0 offset:104
	buffer_load_dword v1, off, s[0:3], 0 offset:108
	s_waitcnt vmcnt(0)
	flat_store_dwordx2 v[27:28], v[0:1]
	s_clause 0x1
	buffer_load_dword v0, off, s[0:3], 0 offset:112
	buffer_load_dword v1, off, s[0:3], 0 offset:116
	s_waitcnt vmcnt(0)
	flat_store_dwordx2 v[29:30], v[0:1]
	s_clause 0x1
	buffer_load_dword v0, off, s[0:3], 0 offset:120
	buffer_load_dword v1, off, s[0:3], 0 offset:124
	s_waitcnt vmcnt(0)
	flat_store_dwordx2 v[31:32], v[0:1]
	s_clause 0x1
	buffer_load_dword v0, off, s[0:3], 0 offset:128
	buffer_load_dword v1, off, s[0:3], 0 offset:132
	s_waitcnt vmcnt(0)
	flat_store_dwordx2 v[33:34], v[0:1]
	s_clause 0x1
	buffer_load_dword v0, off, s[0:3], 0 offset:136
	buffer_load_dword v1, off, s[0:3], 0 offset:140
	s_waitcnt vmcnt(0)
	flat_store_dwordx2 v[35:36], v[0:1]
	s_clause 0x1
	buffer_load_dword v0, off, s[0:3], 0 offset:144
	buffer_load_dword v1, off, s[0:3], 0 offset:148
	s_waitcnt vmcnt(0)
	flat_store_dwordx2 v[37:38], v[0:1]
	s_clause 0x1
	buffer_load_dword v0, off, s[0:3], 0 offset:152
	buffer_load_dword v1, off, s[0:3], 0 offset:156
	s_waitcnt vmcnt(0)
	flat_store_dwordx2 v[39:40], v[0:1]
	s_clause 0x1
	buffer_load_dword v0, off, s[0:3], 0 offset:160
	buffer_load_dword v1, off, s[0:3], 0 offset:164
	s_waitcnt vmcnt(0)
	flat_store_dwordx2 v[41:42], v[0:1]
	s_clause 0x1
	buffer_load_dword v0, off, s[0:3], 0 offset:168
	buffer_load_dword v1, off, s[0:3], 0 offset:172
	s_waitcnt vmcnt(0)
	flat_store_dwordx2 v[43:44], v[0:1]
	s_clause 0x1
	buffer_load_dword v0, off, s[0:3], 0 offset:176
	buffer_load_dword v1, off, s[0:3], 0 offset:180
	s_waitcnt vmcnt(0)
	flat_store_dwordx2 v[45:46], v[0:1]
	s_clause 0x1
	buffer_load_dword v0, off, s[0:3], 0 offset:184
	buffer_load_dword v1, off, s[0:3], 0 offset:188
	s_waitcnt vmcnt(0)
	flat_store_dwordx2 v[47:48], v[0:1]
	s_clause 0x1
	buffer_load_dword v0, off, s[0:3], 0 offset:192
	buffer_load_dword v1, off, s[0:3], 0 offset:196
	s_waitcnt vmcnt(0)
	flat_store_dwordx2 v[49:50], v[0:1]
	s_endpgm
	.section	.rodata,"a",@progbits
	.p2align	6, 0x0
	.amdhsa_kernel _ZN9rocsolver6v33100L18getri_kernel_smallILi25EdPKPdEEvT1_iilPiilS6_bb
		.amdhsa_group_segment_fixed_size 408
		.amdhsa_private_segment_fixed_size 208
		.amdhsa_kernarg_size 60
		.amdhsa_user_sgpr_count 6
		.amdhsa_user_sgpr_private_segment_buffer 1
		.amdhsa_user_sgpr_dispatch_ptr 0
		.amdhsa_user_sgpr_queue_ptr 0
		.amdhsa_user_sgpr_kernarg_segment_ptr 1
		.amdhsa_user_sgpr_dispatch_id 0
		.amdhsa_user_sgpr_flat_scratch_init 0
		.amdhsa_user_sgpr_private_segment_size 0
		.amdhsa_wavefront_size32 1
		.amdhsa_uses_dynamic_stack 0
		.amdhsa_system_sgpr_private_segment_wavefront_offset 1
		.amdhsa_system_sgpr_workgroup_id_x 1
		.amdhsa_system_sgpr_workgroup_id_y 0
		.amdhsa_system_sgpr_workgroup_id_z 0
		.amdhsa_system_sgpr_workgroup_info 0
		.amdhsa_system_vgpr_workitem_id 0
		.amdhsa_next_free_vgpr 98
		.amdhsa_next_free_sgpr 20
		.amdhsa_reserve_vcc 1
		.amdhsa_reserve_flat_scratch 0
		.amdhsa_float_round_mode_32 0
		.amdhsa_float_round_mode_16_64 0
		.amdhsa_float_denorm_mode_32 3
		.amdhsa_float_denorm_mode_16_64 3
		.amdhsa_dx10_clamp 1
		.amdhsa_ieee_mode 1
		.amdhsa_fp16_overflow 0
		.amdhsa_workgroup_processor_mode 1
		.amdhsa_memory_ordered 1
		.amdhsa_forward_progress 1
		.amdhsa_shared_vgpr_count 0
		.amdhsa_exception_fp_ieee_invalid_op 0
		.amdhsa_exception_fp_denorm_src 0
		.amdhsa_exception_fp_ieee_div_zero 0
		.amdhsa_exception_fp_ieee_overflow 0
		.amdhsa_exception_fp_ieee_underflow 0
		.amdhsa_exception_fp_ieee_inexact 0
		.amdhsa_exception_int_div_zero 0
	.end_amdhsa_kernel
	.section	.text._ZN9rocsolver6v33100L18getri_kernel_smallILi25EdPKPdEEvT1_iilPiilS6_bb,"axG",@progbits,_ZN9rocsolver6v33100L18getri_kernel_smallILi25EdPKPdEEvT1_iilPiilS6_bb,comdat
.Lfunc_end88:
	.size	_ZN9rocsolver6v33100L18getri_kernel_smallILi25EdPKPdEEvT1_iilPiilS6_bb, .Lfunc_end88-_ZN9rocsolver6v33100L18getri_kernel_smallILi25EdPKPdEEvT1_iilPiilS6_bb
                                        ; -- End function
	.set _ZN9rocsolver6v33100L18getri_kernel_smallILi25EdPKPdEEvT1_iilPiilS6_bb.num_vgpr, 98
	.set _ZN9rocsolver6v33100L18getri_kernel_smallILi25EdPKPdEEvT1_iilPiilS6_bb.num_agpr, 0
	.set _ZN9rocsolver6v33100L18getri_kernel_smallILi25EdPKPdEEvT1_iilPiilS6_bb.numbered_sgpr, 20
	.set _ZN9rocsolver6v33100L18getri_kernel_smallILi25EdPKPdEEvT1_iilPiilS6_bb.num_named_barrier, 0
	.set _ZN9rocsolver6v33100L18getri_kernel_smallILi25EdPKPdEEvT1_iilPiilS6_bb.private_seg_size, 208
	.set _ZN9rocsolver6v33100L18getri_kernel_smallILi25EdPKPdEEvT1_iilPiilS6_bb.uses_vcc, 1
	.set _ZN9rocsolver6v33100L18getri_kernel_smallILi25EdPKPdEEvT1_iilPiilS6_bb.uses_flat_scratch, 0
	.set _ZN9rocsolver6v33100L18getri_kernel_smallILi25EdPKPdEEvT1_iilPiilS6_bb.has_dyn_sized_stack, 0
	.set _ZN9rocsolver6v33100L18getri_kernel_smallILi25EdPKPdEEvT1_iilPiilS6_bb.has_recursion, 0
	.set _ZN9rocsolver6v33100L18getri_kernel_smallILi25EdPKPdEEvT1_iilPiilS6_bb.has_indirect_call, 0
	.section	.AMDGPU.csdata,"",@progbits
; Kernel info:
; codeLenInByte = 23924
; TotalNumSgprs: 22
; NumVgprs: 98
; ScratchSize: 208
; MemoryBound: 0
; FloatMode: 240
; IeeeMode: 1
; LDSByteSize: 408 bytes/workgroup (compile time only)
; SGPRBlocks: 0
; VGPRBlocks: 12
; NumSGPRsForWavesPerEU: 22
; NumVGPRsForWavesPerEU: 98
; Occupancy: 9
; WaveLimiterHint : 1
; COMPUTE_PGM_RSRC2:SCRATCH_EN: 1
; COMPUTE_PGM_RSRC2:USER_SGPR: 6
; COMPUTE_PGM_RSRC2:TRAP_HANDLER: 0
; COMPUTE_PGM_RSRC2:TGID_X_EN: 1
; COMPUTE_PGM_RSRC2:TGID_Y_EN: 0
; COMPUTE_PGM_RSRC2:TGID_Z_EN: 0
; COMPUTE_PGM_RSRC2:TIDIG_COMP_CNT: 0
	.section	.text._ZN9rocsolver6v33100L18getri_kernel_smallILi26EdPKPdEEvT1_iilPiilS6_bb,"axG",@progbits,_ZN9rocsolver6v33100L18getri_kernel_smallILi26EdPKPdEEvT1_iilPiilS6_bb,comdat
	.globl	_ZN9rocsolver6v33100L18getri_kernel_smallILi26EdPKPdEEvT1_iilPiilS6_bb ; -- Begin function _ZN9rocsolver6v33100L18getri_kernel_smallILi26EdPKPdEEvT1_iilPiilS6_bb
	.p2align	8
	.type	_ZN9rocsolver6v33100L18getri_kernel_smallILi26EdPKPdEEvT1_iilPiilS6_bb,@function
_ZN9rocsolver6v33100L18getri_kernel_smallILi26EdPKPdEEvT1_iilPiilS6_bb: ; @_ZN9rocsolver6v33100L18getri_kernel_smallILi26EdPKPdEEvT1_iilPiilS6_bb
; %bb.0:
	s_add_u32 s0, s0, s7
	s_addc_u32 s1, s1, 0
	s_mov_b32 s7, exec_lo
	v_cmpx_gt_u32_e32 26, v0
	s_cbranch_execz .LBB89_114
; %bb.1:
	s_clause 0x2
	s_load_dword s17, s[4:5], 0x38
	s_load_dwordx2 s[12:13], s[4:5], 0x0
	s_load_dwordx4 s[8:11], s[4:5], 0x28
	s_waitcnt lgkmcnt(0)
	s_bitcmp1_b32 s17, 8
	s_cselect_b32 s16, -1, 0
	s_ashr_i32 s7, s6, 31
	s_lshl_b64 s[14:15], s[6:7], 3
	s_add_u32 s12, s12, s14
	s_addc_u32 s13, s13, s15
	s_load_dwordx2 s[14:15], s[12:13], 0x0
	s_bfe_u32 s12, s17, 0x10008
	s_cmp_eq_u32 s12, 0
                                        ; implicit-def: $sgpr12_sgpr13
	s_cbranch_scc1 .LBB89_3
; %bb.2:
	s_clause 0x1
	s_load_dword s12, s[4:5], 0x20
	s_load_dwordx2 s[18:19], s[4:5], 0x18
	s_mul_i32 s13, s8, s7
	s_mul_hi_u32 s17, s8, s6
	s_mul_i32 s9, s9, s6
	s_add_i32 s13, s17, s13
	s_mul_i32 s8, s8, s6
	s_add_i32 s9, s13, s9
	s_lshl_b64 s[8:9], s[8:9], 2
	s_waitcnt lgkmcnt(0)
	s_ashr_i32 s13, s12, 31
	s_add_u32 s17, s18, s8
	s_addc_u32 s18, s19, s9
	s_lshl_b64 s[8:9], s[12:13], 2
	s_add_u32 s12, s17, s8
	s_addc_u32 s13, s18, s9
.LBB89_3:
	s_clause 0x1
	s_load_dwordx2 s[8:9], s[4:5], 0x8
	s_load_dword s4, s[4:5], 0x38
	v_lshlrev_b32_e32 v55, 3, v0
	s_waitcnt lgkmcnt(0)
	s_ashr_i32 s19, s8, 31
	s_mov_b32 s18, s8
	v_add3_u32 v9, s9, s9, v0
	s_lshl_b64 s[18:19], s[18:19], 3
	s_add_u32 s5, s14, s18
	s_addc_u32 s8, s15, s19
	v_add_co_u32 v1, s14, s5, v55
	v_add_co_ci_u32_e64 v2, null, s8, 0, s14
	s_mov_b32 s14, s9
	s_ashr_i32 s15, s9, 31
	v_ashrrev_i32_e32 v10, 31, v9
	flat_load_dwordx2 v[5:6], v[1:2]
	s_lshl_b64 s[14:15], s[14:15], 3
	v_add_nc_u32_e32 v12, s9, v9
	v_add_co_u32 v3, vcc_lo, v1, s14
	v_add_co_ci_u32_e64 v4, null, s15, v2, vcc_lo
	v_ashrrev_i32_e32 v13, 31, v12
	s_bitcmp0_b32 s4, 0
	s_waitcnt vmcnt(0) lgkmcnt(0)
	buffer_store_dword v6, off, s[0:3], 0 offset:4
	buffer_store_dword v5, off, s[0:3], 0
	flat_load_dwordx2 v[7:8], v[3:4]
	v_lshlrev_b64 v[5:6], 3, v[9:10]
	s_waitcnt vmcnt(0) lgkmcnt(0)
	buffer_store_dword v8, off, s[0:3], 0 offset:12
	buffer_store_dword v7, off, s[0:3], 0 offset:8
	v_add_co_u32 v5, vcc_lo, s5, v5
	v_add_co_ci_u32_e64 v6, null, s8, v6, vcc_lo
	v_lshlrev_b64 v[7:8], 3, v[12:13]
	flat_load_dwordx2 v[10:11], v[5:6]
	s_waitcnt vmcnt(0) lgkmcnt(0)
	buffer_store_dword v11, off, s[0:3], 0 offset:20
	buffer_store_dword v10, off, s[0:3], 0 offset:16
	v_add_co_u32 v7, vcc_lo, s5, v7
	v_add_co_ci_u32_e64 v8, null, s8, v8, vcc_lo
	v_add_nc_u32_e32 v11, s9, v12
	flat_load_dwordx2 v[13:14], v[7:8]
	s_waitcnt vmcnt(0) lgkmcnt(0)
	buffer_store_dword v14, off, s[0:3], 0 offset:28
	buffer_store_dword v13, off, s[0:3], 0 offset:24
	v_ashrrev_i32_e32 v12, 31, v11
	v_add_nc_u32_e32 v15, s9, v11
	v_lshlrev_b64 v[9:10], 3, v[11:12]
	v_ashrrev_i32_e32 v16, 31, v15
	v_add_nc_u32_e32 v18, s9, v15
	v_add_co_u32 v9, vcc_lo, s5, v9
	v_add_co_ci_u32_e64 v10, null, s8, v10, vcc_lo
	v_lshlrev_b64 v[11:12], 3, v[15:16]
	v_ashrrev_i32_e32 v19, 31, v18
	flat_load_dwordx2 v[13:14], v[9:10]
	s_waitcnt vmcnt(0) lgkmcnt(0)
	buffer_store_dword v14, off, s[0:3], 0 offset:36
	buffer_store_dword v13, off, s[0:3], 0 offset:32
	v_add_co_u32 v11, vcc_lo, s5, v11
	v_add_co_ci_u32_e64 v12, null, s8, v12, vcc_lo
	v_lshlrev_b64 v[13:14], 3, v[18:19]
	flat_load_dwordx2 v[16:17], v[11:12]
	s_waitcnt vmcnt(0) lgkmcnt(0)
	buffer_store_dword v17, off, s[0:3], 0 offset:44
	buffer_store_dword v16, off, s[0:3], 0 offset:40
	v_add_co_u32 v13, vcc_lo, s5, v13
	v_add_co_ci_u32_e64 v14, null, s8, v14, vcc_lo
	v_add_nc_u32_e32 v17, s9, v18
	flat_load_dwordx2 v[19:20], v[13:14]
	s_waitcnt vmcnt(0) lgkmcnt(0)
	buffer_store_dword v20, off, s[0:3], 0 offset:52
	buffer_store_dword v19, off, s[0:3], 0 offset:48
	v_ashrrev_i32_e32 v18, 31, v17
	v_add_nc_u32_e32 v21, s9, v17
	v_lshlrev_b64 v[15:16], 3, v[17:18]
	v_ashrrev_i32_e32 v22, 31, v21
	v_add_nc_u32_e32 v24, s9, v21
	v_add_co_u32 v15, vcc_lo, s5, v15
	v_add_co_ci_u32_e64 v16, null, s8, v16, vcc_lo
	v_lshlrev_b64 v[17:18], 3, v[21:22]
	v_ashrrev_i32_e32 v25, 31, v24
	flat_load_dwordx2 v[19:20], v[15:16]
	;; [unrolled: 27-line block ×6, first 2 shown]
	s_waitcnt vmcnt(0) lgkmcnt(0)
	buffer_store_dword v44, off, s[0:3], 0 offset:156
	buffer_store_dword v43, off, s[0:3], 0 offset:152
	v_add_co_u32 v41, vcc_lo, s5, v41
	v_add_co_ci_u32_e64 v42, null, s8, v42, vcc_lo
	v_lshlrev_b64 v[43:44], 3, v[48:49]
	flat_load_dwordx2 v[46:47], v[41:42]
	s_waitcnt vmcnt(0) lgkmcnt(0)
	buffer_store_dword v47, off, s[0:3], 0 offset:164
	buffer_store_dword v46, off, s[0:3], 0 offset:160
	v_add_co_u32 v43, vcc_lo, s5, v43
	v_add_co_ci_u32_e64 v44, null, s8, v44, vcc_lo
	v_add_nc_u32_e32 v47, s9, v48
	flat_load_dwordx2 v[49:50], v[43:44]
	s_waitcnt vmcnt(0) lgkmcnt(0)
	buffer_store_dword v50, off, s[0:3], 0 offset:172
	buffer_store_dword v49, off, s[0:3], 0 offset:168
	v_ashrrev_i32_e32 v48, 31, v47
	v_add_nc_u32_e32 v51, s9, v47
	v_lshlrev_b64 v[45:46], 3, v[47:48]
	v_ashrrev_i32_e32 v52, 31, v51
	v_add_nc_u32_e32 v56, s9, v51
	v_add_co_u32 v45, vcc_lo, s5, v45
	v_add_co_ci_u32_e64 v46, null, s8, v46, vcc_lo
	v_lshlrev_b64 v[47:48], 3, v[51:52]
	v_ashrrev_i32_e32 v57, 31, v56
	v_add_nc_u32_e32 v51, s9, v56
	flat_load_dwordx2 v[49:50], v[45:46]
	s_waitcnt vmcnt(0) lgkmcnt(0)
	buffer_store_dword v50, off, s[0:3], 0 offset:180
	buffer_store_dword v49, off, s[0:3], 0 offset:176
	v_add_co_u32 v47, vcc_lo, s5, v47
	v_add_co_ci_u32_e64 v48, null, s8, v48, vcc_lo
	v_lshlrev_b64 v[49:50], 3, v[56:57]
	flat_load_dwordx2 v[52:53], v[47:48]
	s_waitcnt vmcnt(0) lgkmcnt(0)
	buffer_store_dword v53, off, s[0:3], 0 offset:188
	buffer_store_dword v52, off, s[0:3], 0 offset:184
	v_add_co_u32 v49, vcc_lo, s5, v49
	v_add_co_ci_u32_e64 v50, null, s8, v50, vcc_lo
	v_ashrrev_i32_e32 v52, 31, v51
	flat_load_dwordx2 v[53:54], v[49:50]
	s_waitcnt vmcnt(0) lgkmcnt(0)
	buffer_store_dword v54, off, s[0:3], 0 offset:196
	buffer_store_dword v53, off, s[0:3], 0 offset:192
	v_lshlrev_b64 v[51:52], 3, v[51:52]
	v_add_co_u32 v51, vcc_lo, s5, v51
	v_add_co_ci_u32_e64 v52, null, s8, v52, vcc_lo
	s_mov_b32 s5, -1
	flat_load_dwordx2 v[53:54], v[51:52]
	s_waitcnt vmcnt(0) lgkmcnt(0)
	buffer_store_dword v54, off, s[0:3], 0 offset:204
	buffer_store_dword v53, off, s[0:3], 0 offset:200
	s_cbranch_scc1 .LBB89_112
; %bb.4:
	v_cmp_eq_u32_e64 s4, 0, v0
	s_and_saveexec_b32 s5, s4
; %bb.5:
	v_mov_b32_e32 v53, 0
	ds_write_b32 v53, v53 offset:416
; %bb.6:
	s_or_b32 exec_lo, exec_lo, s5
	v_lshl_add_u32 v53, v0, 3, 0
	s_waitcnt lgkmcnt(0)
	s_waitcnt_vscnt null, 0x0
	s_barrier
	buffer_gl0_inv
	s_mov_b32 s8, exec_lo
	s_clause 0x1
	buffer_load_dword v56, v53, s[0:3], 0 offen
	buffer_load_dword v57, v53, s[0:3], 0 offen offset:4
	s_waitcnt vmcnt(0)
	v_cmpx_eq_f64_e32 0, v[56:57]
	s_cbranch_execz .LBB89_10
; %bb.7:
	v_mov_b32_e32 v54, 0
	s_mov_b32 s9, 0
	ds_read_b32 v56, v54 offset:416
	s_waitcnt lgkmcnt(0)
	v_readfirstlane_b32 s5, v56
	v_add_nc_u32_e32 v56, 1, v0
	s_cmp_eq_u32 s5, 0
	v_cmp_gt_i32_e32 vcc_lo, s5, v56
	s_cselect_b32 s14, -1, 0
	s_or_b32 s14, s14, vcc_lo
	s_and_b32 exec_lo, exec_lo, s14
	s_cbranch_execz .LBB89_10
; %bb.8:
	v_mov_b32_e32 v57, s5
.LBB89_9:                               ; =>This Inner Loop Header: Depth=1
	ds_cmpst_rtn_b32 v57, v54, v57, v56 offset:416
	s_waitcnt lgkmcnt(0)
	v_cmp_ne_u32_e32 vcc_lo, 0, v57
	v_cmp_le_i32_e64 s5, v57, v56
	s_and_b32 s5, vcc_lo, s5
	s_and_b32 s5, exec_lo, s5
	s_or_b32 s9, s5, s9
	s_andn2_b32 exec_lo, exec_lo, s9
	s_cbranch_execnz .LBB89_9
.LBB89_10:
	s_or_b32 exec_lo, exec_lo, s8
	v_mov_b32_e32 v54, 0
	s_barrier
	buffer_gl0_inv
	ds_read_b32 v56, v54 offset:416
	s_and_saveexec_b32 s5, s4
	s_cbranch_execz .LBB89_12
; %bb.11:
	s_lshl_b64 s[8:9], s[6:7], 2
	s_add_u32 s8, s10, s8
	s_addc_u32 s9, s11, s9
	s_waitcnt lgkmcnt(0)
	global_store_dword v54, v56, s[8:9]
.LBB89_12:
	s_or_b32 exec_lo, exec_lo, s5
	s_waitcnt lgkmcnt(0)
	v_cmp_ne_u32_e32 vcc_lo, 0, v56
	s_mov_b32 s5, 0
	s_cbranch_vccnz .LBB89_112
; %bb.13:
	s_clause 0x1
	buffer_load_dword v56, v53, s[0:3], 0 offen
	buffer_load_dword v57, v53, s[0:3], 0 offen offset:4
	s_waitcnt vmcnt(0)
	v_div_scale_f64 v[58:59], null, v[56:57], v[56:57], 1.0
	v_div_scale_f64 v[64:65], vcc_lo, 1.0, v[56:57], 1.0
	v_rcp_f64_e32 v[60:61], v[58:59]
	v_fma_f64 v[62:63], -v[58:59], v[60:61], 1.0
	v_fma_f64 v[60:61], v[60:61], v[62:63], v[60:61]
	v_fma_f64 v[62:63], -v[58:59], v[60:61], 1.0
	v_fma_f64 v[60:61], v[60:61], v[62:63], v[60:61]
	v_mul_f64 v[62:63], v[64:65], v[60:61]
	v_fma_f64 v[58:59], -v[58:59], v[62:63], v[64:65]
	v_div_fmas_f64 v[58:59], v[58:59], v[60:61], v[62:63]
	v_div_fixup_f64 v[57:58], v[58:59], v[56:57], 1.0
	v_add_nc_u32_e32 v56, 0xd0, v55
	buffer_store_dword v58, v53, s[0:3], 0 offen offset:4
	buffer_store_dword v57, v53, s[0:3], 0 offen
	s_clause 0x1
	buffer_load_dword v60, off, s[0:3], 0 offset:12
	buffer_load_dword v59, off, s[0:3], 0 offset:8
	v_xor_b32_e32 v58, 0x80000000, v58
	s_waitcnt vmcnt(0)
	ds_write2_b64 v55, v[57:58], v[59:60] offset1:26
	s_waitcnt lgkmcnt(0)
	s_waitcnt_vscnt null, 0x0
	s_barrier
	buffer_gl0_inv
	s_and_saveexec_b32 s5, s4
	s_cbranch_execz .LBB89_15
; %bb.14:
	s_clause 0x1
	buffer_load_dword v57, v53, s[0:3], 0 offen
	buffer_load_dword v58, v53, s[0:3], 0 offen offset:4
	ds_read_b64 v[59:60], v56
	v_mov_b32_e32 v54, 0
	ds_read_b64 v[61:62], v54 offset:8
	s_waitcnt vmcnt(0) lgkmcnt(1)
	v_fma_f64 v[57:58], v[57:58], v[59:60], 0
	s_waitcnt lgkmcnt(0)
	v_mul_f64 v[57:58], v[57:58], v[61:62]
	buffer_store_dword v57, off, s[0:3], 0 offset:8
	buffer_store_dword v58, off, s[0:3], 0 offset:12
.LBB89_15:
	s_or_b32 exec_lo, exec_lo, s5
	s_waitcnt_vscnt null, 0x0
	s_barrier
	buffer_gl0_inv
	s_clause 0x1
	buffer_load_dword v57, off, s[0:3], 0 offset:16
	buffer_load_dword v58, off, s[0:3], 0 offset:20
	s_mov_b32 s5, exec_lo
	s_waitcnt vmcnt(0)
	ds_write_b64 v56, v[57:58]
	s_waitcnt lgkmcnt(0)
	s_barrier
	buffer_gl0_inv
	v_cmpx_gt_u32_e32 2, v0
	s_cbranch_execz .LBB89_19
; %bb.16:
	s_clause 0x1
	buffer_load_dword v57, v53, s[0:3], 0 offen
	buffer_load_dword v58, v53, s[0:3], 0 offen offset:4
	ds_read_b64 v[53:54], v56
	s_waitcnt vmcnt(0) lgkmcnt(0)
	v_fma_f64 v[53:54], v[57:58], v[53:54], 0
	s_and_saveexec_b32 s8, s4
	s_cbranch_execz .LBB89_18
; %bb.17:
	s_clause 0x1
	buffer_load_dword v57, off, s[0:3], 0 offset:8
	buffer_load_dword v58, off, s[0:3], 0 offset:12
	v_mov_b32_e32 v59, 0
	ds_read_b64 v[59:60], v59 offset:216
	s_waitcnt vmcnt(0) lgkmcnt(0)
	v_fma_f64 v[53:54], v[57:58], v[59:60], v[53:54]
.LBB89_18:
	s_or_b32 exec_lo, exec_lo, s8
	v_mov_b32_e32 v57, 0
	ds_read_b64 v[57:58], v57 offset:16
	s_waitcnt lgkmcnt(0)
	v_mul_f64 v[53:54], v[53:54], v[57:58]
	buffer_store_dword v54, off, s[0:3], 0 offset:20
	buffer_store_dword v53, off, s[0:3], 0 offset:16
.LBB89_19:
	s_or_b32 exec_lo, exec_lo, s5
	s_waitcnt_vscnt null, 0x0
	s_barrier
	buffer_gl0_inv
	s_clause 0x1
	buffer_load_dword v53, off, s[0:3], 0 offset:24
	buffer_load_dword v54, off, s[0:3], 0 offset:28
	v_add_nc_u32_e32 v57, -1, v0
	s_mov_b32 s4, exec_lo
	s_waitcnt vmcnt(0)
	ds_write_b64 v56, v[53:54]
	s_waitcnt lgkmcnt(0)
	s_barrier
	buffer_gl0_inv
	v_cmpx_gt_u32_e32 3, v0
	s_cbranch_execz .LBB89_23
; %bb.20:
	v_mov_b32_e32 v53, 0
	v_add_nc_u32_e32 v58, -1, v0
	v_add_nc_u32_e32 v59, 0xd0, v55
	v_mov_b32_e32 v54, 0
	v_mov_b32_e32 v60, v55
	s_mov_b32 s5, 0
.LBB89_21:                              ; =>This Inner Loop Header: Depth=1
	s_clause 0x1
	buffer_load_dword v61, v60, s[0:3], 0 offen
	buffer_load_dword v62, v60, s[0:3], 0 offen offset:4
	ds_read_b64 v[63:64], v59
	v_add_nc_u32_e32 v58, 1, v58
	v_add_nc_u32_e32 v59, 8, v59
	v_add_nc_u32_e32 v60, 8, v60
	v_cmp_lt_u32_e32 vcc_lo, 1, v58
	s_or_b32 s5, vcc_lo, s5
	s_waitcnt vmcnt(0) lgkmcnt(0)
	v_fma_f64 v[53:54], v[61:62], v[63:64], v[53:54]
	s_andn2_b32 exec_lo, exec_lo, s5
	s_cbranch_execnz .LBB89_21
; %bb.22:
	s_or_b32 exec_lo, exec_lo, s5
	v_mov_b32_e32 v58, 0
	ds_read_b64 v[58:59], v58 offset:24
	s_waitcnt lgkmcnt(0)
	v_mul_f64 v[53:54], v[53:54], v[58:59]
	buffer_store_dword v54, off, s[0:3], 0 offset:28
	buffer_store_dword v53, off, s[0:3], 0 offset:24
.LBB89_23:
	s_or_b32 exec_lo, exec_lo, s4
	s_waitcnt_vscnt null, 0x0
	s_barrier
	buffer_gl0_inv
	s_clause 0x1
	buffer_load_dword v53, off, s[0:3], 0 offset:32
	buffer_load_dword v54, off, s[0:3], 0 offset:36
	s_mov_b32 s4, exec_lo
	s_waitcnt vmcnt(0)
	ds_write_b64 v56, v[53:54]
	s_waitcnt lgkmcnt(0)
	s_barrier
	buffer_gl0_inv
	v_cmpx_gt_u32_e32 4, v0
	s_cbranch_execz .LBB89_27
; %bb.24:
	v_mov_b32_e32 v53, 0
	v_add_nc_u32_e32 v58, -1, v0
	v_add_nc_u32_e32 v59, 0xd0, v55
	v_mov_b32_e32 v54, 0
	v_mov_b32_e32 v60, v55
	s_mov_b32 s5, 0
.LBB89_25:                              ; =>This Inner Loop Header: Depth=1
	s_clause 0x1
	buffer_load_dword v61, v60, s[0:3], 0 offen
	buffer_load_dword v62, v60, s[0:3], 0 offen offset:4
	ds_read_b64 v[63:64], v59
	v_add_nc_u32_e32 v58, 1, v58
	v_add_nc_u32_e32 v59, 8, v59
	v_add_nc_u32_e32 v60, 8, v60
	v_cmp_lt_u32_e32 vcc_lo, 2, v58
	s_or_b32 s5, vcc_lo, s5
	s_waitcnt vmcnt(0) lgkmcnt(0)
	v_fma_f64 v[53:54], v[61:62], v[63:64], v[53:54]
	s_andn2_b32 exec_lo, exec_lo, s5
	s_cbranch_execnz .LBB89_25
; %bb.26:
	s_or_b32 exec_lo, exec_lo, s5
	v_mov_b32_e32 v58, 0
	ds_read_b64 v[58:59], v58 offset:32
	s_waitcnt lgkmcnt(0)
	v_mul_f64 v[53:54], v[53:54], v[58:59]
	buffer_store_dword v54, off, s[0:3], 0 offset:36
	buffer_store_dword v53, off, s[0:3], 0 offset:32
.LBB89_27:
	s_or_b32 exec_lo, exec_lo, s4
	s_waitcnt_vscnt null, 0x0
	s_barrier
	buffer_gl0_inv
	s_clause 0x1
	buffer_load_dword v53, off, s[0:3], 0 offset:40
	buffer_load_dword v54, off, s[0:3], 0 offset:44
	;; [unrolled: 45-line block ×20, first 2 shown]
	s_mov_b32 s4, exec_lo
	s_waitcnt vmcnt(0)
	ds_write_b64 v56, v[53:54]
	s_waitcnt lgkmcnt(0)
	s_barrier
	buffer_gl0_inv
	v_cmpx_gt_u32_e32 23, v0
	s_cbranch_execz .LBB89_103
; %bb.100:
	v_mov_b32_e32 v53, 0
	v_add_nc_u32_e32 v58, -1, v0
	v_add_nc_u32_e32 v59, 0xd0, v55
	v_mov_b32_e32 v54, 0
	v_mov_b32_e32 v60, v55
	s_mov_b32 s5, 0
.LBB89_101:                             ; =>This Inner Loop Header: Depth=1
	s_clause 0x1
	buffer_load_dword v61, v60, s[0:3], 0 offen
	buffer_load_dword v62, v60, s[0:3], 0 offen offset:4
	ds_read_b64 v[63:64], v59
	v_add_nc_u32_e32 v58, 1, v58
	v_add_nc_u32_e32 v59, 8, v59
	;; [unrolled: 1-line block ×3, first 2 shown]
	v_cmp_lt_u32_e32 vcc_lo, 21, v58
	s_or_b32 s5, vcc_lo, s5
	s_waitcnt vmcnt(0) lgkmcnt(0)
	v_fma_f64 v[53:54], v[61:62], v[63:64], v[53:54]
	s_andn2_b32 exec_lo, exec_lo, s5
	s_cbranch_execnz .LBB89_101
; %bb.102:
	s_or_b32 exec_lo, exec_lo, s5
	v_mov_b32_e32 v58, 0
	ds_read_b64 v[58:59], v58 offset:184
	s_waitcnt lgkmcnt(0)
	v_mul_f64 v[53:54], v[53:54], v[58:59]
	buffer_store_dword v54, off, s[0:3], 0 offset:188
	buffer_store_dword v53, off, s[0:3], 0 offset:184
.LBB89_103:
	s_or_b32 exec_lo, exec_lo, s4
	s_waitcnt_vscnt null, 0x0
	s_barrier
	buffer_gl0_inv
	s_clause 0x1
	buffer_load_dword v53, off, s[0:3], 0 offset:192
	buffer_load_dword v54, off, s[0:3], 0 offset:196
	s_mov_b32 s4, exec_lo
	s_waitcnt vmcnt(0)
	ds_write_b64 v56, v[53:54]
	s_waitcnt lgkmcnt(0)
	s_barrier
	buffer_gl0_inv
	v_cmpx_gt_u32_e32 24, v0
	s_cbranch_execz .LBB89_107
; %bb.104:
	v_mov_b32_e32 v53, 0
	v_add_nc_u32_e32 v58, -1, v0
	v_add_nc_u32_e32 v59, 0xd0, v55
	v_mov_b32_e32 v54, 0
	v_mov_b32_e32 v60, v55
	s_mov_b32 s5, 0
.LBB89_105:                             ; =>This Inner Loop Header: Depth=1
	s_clause 0x1
	buffer_load_dword v61, v60, s[0:3], 0 offen
	buffer_load_dword v62, v60, s[0:3], 0 offen offset:4
	ds_read_b64 v[63:64], v59
	v_add_nc_u32_e32 v58, 1, v58
	v_add_nc_u32_e32 v59, 8, v59
	v_add_nc_u32_e32 v60, 8, v60
	v_cmp_lt_u32_e32 vcc_lo, 22, v58
	s_or_b32 s5, vcc_lo, s5
	s_waitcnt vmcnt(0) lgkmcnt(0)
	v_fma_f64 v[53:54], v[61:62], v[63:64], v[53:54]
	s_andn2_b32 exec_lo, exec_lo, s5
	s_cbranch_execnz .LBB89_105
; %bb.106:
	s_or_b32 exec_lo, exec_lo, s5
	v_mov_b32_e32 v58, 0
	ds_read_b64 v[58:59], v58 offset:192
	s_waitcnt lgkmcnt(0)
	v_mul_f64 v[53:54], v[53:54], v[58:59]
	buffer_store_dword v54, off, s[0:3], 0 offset:196
	buffer_store_dword v53, off, s[0:3], 0 offset:192
.LBB89_107:
	s_or_b32 exec_lo, exec_lo, s4
	s_waitcnt_vscnt null, 0x0
	s_barrier
	buffer_gl0_inv
	s_clause 0x1
	buffer_load_dword v53, off, s[0:3], 0 offset:200
	buffer_load_dword v54, off, s[0:3], 0 offset:204
	s_mov_b32 s4, exec_lo
	s_waitcnt vmcnt(0)
	ds_write_b64 v56, v[53:54]
	s_waitcnt lgkmcnt(0)
	s_barrier
	buffer_gl0_inv
	v_cmpx_ne_u32_e32 25, v0
	s_cbranch_execz .LBB89_111
; %bb.108:
	v_mov_b32_e32 v53, 0
	v_mov_b32_e32 v54, 0
	s_mov_b32 s5, 0
.LBB89_109:                             ; =>This Inner Loop Header: Depth=1
	s_clause 0x1
	buffer_load_dword v58, v55, s[0:3], 0 offen
	buffer_load_dword v59, v55, s[0:3], 0 offen offset:4
	ds_read_b64 v[60:61], v56
	v_add_nc_u32_e32 v57, 1, v57
	v_add_nc_u32_e32 v56, 8, v56
	;; [unrolled: 1-line block ×3, first 2 shown]
	v_cmp_lt_u32_e32 vcc_lo, 23, v57
	s_or_b32 s5, vcc_lo, s5
	s_waitcnt vmcnt(0) lgkmcnt(0)
	v_fma_f64 v[53:54], v[58:59], v[60:61], v[53:54]
	s_andn2_b32 exec_lo, exec_lo, s5
	s_cbranch_execnz .LBB89_109
; %bb.110:
	s_or_b32 exec_lo, exec_lo, s5
	v_mov_b32_e32 v55, 0
	ds_read_b64 v[55:56], v55 offset:200
	s_waitcnt lgkmcnt(0)
	v_mul_f64 v[53:54], v[53:54], v[55:56]
	buffer_store_dword v54, off, s[0:3], 0 offset:204
	buffer_store_dword v53, off, s[0:3], 0 offset:200
.LBB89_111:
	s_or_b32 exec_lo, exec_lo, s4
	s_mov_b32 s5, -1
	s_waitcnt_vscnt null, 0x0
	s_barrier
	buffer_gl0_inv
.LBB89_112:
	s_and_b32 vcc_lo, exec_lo, s5
	s_cbranch_vccz .LBB89_114
; %bb.113:
	s_lshl_b64 s[4:5], s[6:7], 2
	v_mov_b32_e32 v53, 0
	s_add_u32 s4, s10, s4
	s_addc_u32 s5, s11, s5
	global_load_dword v53, v53, s[4:5]
	s_waitcnt vmcnt(0)
	v_cmp_ne_u32_e32 vcc_lo, 0, v53
	s_cbranch_vccz .LBB89_115
.LBB89_114:
	s_endpgm
.LBB89_115:
	v_lshl_add_u32 v53, v0, 3, 0xd0
	s_mov_b32 s4, exec_lo
	v_cmpx_eq_u32_e32 25, v0
	s_cbranch_execz .LBB89_117
; %bb.116:
	s_clause 0x1
	buffer_load_dword v54, off, s[0:3], 0 offset:192
	buffer_load_dword v55, off, s[0:3], 0 offset:196
	v_mov_b32_e32 v56, 0
	buffer_store_dword v56, off, s[0:3], 0 offset:192
	buffer_store_dword v56, off, s[0:3], 0 offset:196
	s_waitcnt vmcnt(0)
	ds_write_b64 v53, v[54:55]
.LBB89_117:
	s_or_b32 exec_lo, exec_lo, s4
	s_waitcnt lgkmcnt(0)
	s_waitcnt_vscnt null, 0x0
	s_barrier
	buffer_gl0_inv
	s_clause 0x3
	buffer_load_dword v55, off, s[0:3], 0 offset:200
	buffer_load_dword v56, off, s[0:3], 0 offset:204
	;; [unrolled: 1-line block ×4, first 2 shown]
	v_mov_b32_e32 v54, 0
	s_mov_b32 s4, exec_lo
	ds_read_b64 v[59:60], v54 offset:408
	s_waitcnt vmcnt(2) lgkmcnt(0)
	v_fma_f64 v[55:56], v[55:56], v[59:60], 0
	s_waitcnt vmcnt(0)
	v_add_f64 v[55:56], v[57:58], -v[55:56]
	buffer_store_dword v55, off, s[0:3], 0 offset:192
	buffer_store_dword v56, off, s[0:3], 0 offset:196
	v_cmpx_lt_u32_e32 23, v0
	s_cbranch_execz .LBB89_119
; %bb.118:
	s_clause 0x1
	buffer_load_dword v55, off, s[0:3], 0 offset:184
	buffer_load_dword v56, off, s[0:3], 0 offset:188
	buffer_store_dword v54, off, s[0:3], 0 offset:184
	buffer_store_dword v54, off, s[0:3], 0 offset:188
	s_waitcnt vmcnt(0)
	ds_write_b64 v53, v[55:56]
.LBB89_119:
	s_or_b32 exec_lo, exec_lo, s4
	s_waitcnt lgkmcnt(0)
	s_waitcnt_vscnt null, 0x0
	s_barrier
	buffer_gl0_inv
	s_clause 0x5
	buffer_load_dword v58, off, s[0:3], 0 offset:192
	buffer_load_dword v59, off, s[0:3], 0 offset:196
	;; [unrolled: 1-line block ×6, first 2 shown]
	ds_read_b128 v[54:57], v54 offset:400
	s_mov_b32 s4, exec_lo
	s_waitcnt vmcnt(4) lgkmcnt(0)
	v_fma_f64 v[54:55], v[58:59], v[54:55], 0
	s_waitcnt vmcnt(2)
	v_fma_f64 v[54:55], v[60:61], v[56:57], v[54:55]
	s_waitcnt vmcnt(0)
	v_add_f64 v[54:55], v[62:63], -v[54:55]
	buffer_store_dword v54, off, s[0:3], 0 offset:184
	buffer_store_dword v55, off, s[0:3], 0 offset:188
	v_cmpx_lt_u32_e32 22, v0
	s_cbranch_execz .LBB89_121
; %bb.120:
	s_clause 0x1
	buffer_load_dword v54, off, s[0:3], 0 offset:176
	buffer_load_dword v55, off, s[0:3], 0 offset:180
	v_mov_b32_e32 v56, 0
	buffer_store_dword v56, off, s[0:3], 0 offset:176
	buffer_store_dword v56, off, s[0:3], 0 offset:180
	s_waitcnt vmcnt(0)
	ds_write_b64 v53, v[54:55]
.LBB89_121:
	s_or_b32 exec_lo, exec_lo, s4
	s_waitcnt lgkmcnt(0)
	s_waitcnt_vscnt null, 0x0
	s_barrier
	buffer_gl0_inv
	s_clause 0x7
	buffer_load_dword v59, off, s[0:3], 0 offset:184
	buffer_load_dword v60, off, s[0:3], 0 offset:188
	;; [unrolled: 1-line block ×8, first 2 shown]
	v_mov_b32_e32 v54, 0
	ds_read2_b64 v[55:58], v54 offset0:49 offset1:50
	ds_read_b64 v[67:68], v54 offset:408
	s_mov_b32 s4, exec_lo
	s_waitcnt vmcnt(6) lgkmcnt(1)
	v_fma_f64 v[55:56], v[59:60], v[55:56], 0
	s_waitcnt vmcnt(4)
	v_fma_f64 v[55:56], v[61:62], v[57:58], v[55:56]
	s_waitcnt vmcnt(2) lgkmcnt(0)
	v_fma_f64 v[55:56], v[63:64], v[67:68], v[55:56]
	s_waitcnt vmcnt(0)
	v_add_f64 v[55:56], v[65:66], -v[55:56]
	buffer_store_dword v55, off, s[0:3], 0 offset:176
	buffer_store_dword v56, off, s[0:3], 0 offset:180
	v_cmpx_lt_u32_e32 21, v0
	s_cbranch_execz .LBB89_123
; %bb.122:
	s_clause 0x1
	buffer_load_dword v55, off, s[0:3], 0 offset:168
	buffer_load_dword v56, off, s[0:3], 0 offset:172
	buffer_store_dword v54, off, s[0:3], 0 offset:168
	buffer_store_dword v54, off, s[0:3], 0 offset:172
	s_waitcnt vmcnt(0)
	ds_write_b64 v53, v[55:56]
.LBB89_123:
	s_or_b32 exec_lo, exec_lo, s4
	s_waitcnt lgkmcnt(0)
	s_waitcnt_vscnt null, 0x0
	s_barrier
	buffer_gl0_inv
	s_clause 0x9
	buffer_load_dword v63, off, s[0:3], 0 offset:176
	buffer_load_dword v64, off, s[0:3], 0 offset:180
	;; [unrolled: 1-line block ×10, first 2 shown]
	ds_read_b128 v[55:58], v54 offset:384
	ds_read_b128 v[59:62], v54 offset:400
	s_mov_b32 s4, exec_lo
	s_waitcnt vmcnt(8) lgkmcnt(1)
	v_fma_f64 v[54:55], v[63:64], v[55:56], 0
	s_waitcnt vmcnt(6)
	v_fma_f64 v[54:55], v[65:66], v[57:58], v[54:55]
	s_waitcnt vmcnt(4) lgkmcnt(0)
	v_fma_f64 v[54:55], v[67:68], v[59:60], v[54:55]
	s_waitcnt vmcnt(2)
	v_fma_f64 v[54:55], v[69:70], v[61:62], v[54:55]
	s_waitcnt vmcnt(0)
	v_add_f64 v[54:55], v[71:72], -v[54:55]
	buffer_store_dword v54, off, s[0:3], 0 offset:168
	buffer_store_dword v55, off, s[0:3], 0 offset:172
	v_cmpx_lt_u32_e32 20, v0
	s_cbranch_execz .LBB89_125
; %bb.124:
	s_clause 0x1
	buffer_load_dword v54, off, s[0:3], 0 offset:160
	buffer_load_dword v55, off, s[0:3], 0 offset:164
	v_mov_b32_e32 v56, 0
	buffer_store_dword v56, off, s[0:3], 0 offset:160
	buffer_store_dword v56, off, s[0:3], 0 offset:164
	s_waitcnt vmcnt(0)
	ds_write_b64 v53, v[54:55]
.LBB89_125:
	s_or_b32 exec_lo, exec_lo, s4
	s_waitcnt lgkmcnt(0)
	s_waitcnt_vscnt null, 0x0
	s_barrier
	buffer_gl0_inv
	s_clause 0xb
	buffer_load_dword v63, off, s[0:3], 0 offset:168
	buffer_load_dword v64, off, s[0:3], 0 offset:172
	;; [unrolled: 1-line block ×12, first 2 shown]
	v_mov_b32_e32 v54, 0
	ds_read2_b64 v[55:58], v54 offset0:47 offset1:48
	ds_read2_b64 v[59:62], v54 offset0:49 offset1:50
	s_mov_b32 s4, exec_lo
	s_waitcnt vmcnt(10) lgkmcnt(1)
	v_fma_f64 v[55:56], v[63:64], v[55:56], 0
	s_waitcnt vmcnt(8)
	v_fma_f64 v[55:56], v[65:66], v[57:58], v[55:56]
	ds_read_b64 v[57:58], v54 offset:408
	s_waitcnt vmcnt(6) lgkmcnt(1)
	v_fma_f64 v[55:56], v[67:68], v[59:60], v[55:56]
	s_waitcnt vmcnt(4)
	v_fma_f64 v[55:56], v[69:70], v[61:62], v[55:56]
	s_waitcnt vmcnt(2) lgkmcnt(0)
	v_fma_f64 v[55:56], v[71:72], v[57:58], v[55:56]
	s_waitcnt vmcnt(0)
	v_add_f64 v[55:56], v[73:74], -v[55:56]
	buffer_store_dword v55, off, s[0:3], 0 offset:160
	buffer_store_dword v56, off, s[0:3], 0 offset:164
	v_cmpx_lt_u32_e32 19, v0
	s_cbranch_execz .LBB89_127
; %bb.126:
	s_clause 0x1
	buffer_load_dword v55, off, s[0:3], 0 offset:152
	buffer_load_dword v56, off, s[0:3], 0 offset:156
	buffer_store_dword v54, off, s[0:3], 0 offset:152
	buffer_store_dword v54, off, s[0:3], 0 offset:156
	s_waitcnt vmcnt(0)
	ds_write_b64 v53, v[55:56]
.LBB89_127:
	s_or_b32 exec_lo, exec_lo, s4
	s_waitcnt lgkmcnt(0)
	s_waitcnt_vscnt null, 0x0
	s_barrier
	buffer_gl0_inv
	s_clause 0xd
	buffer_load_dword v63, off, s[0:3], 0 offset:160
	buffer_load_dword v64, off, s[0:3], 0 offset:164
	;; [unrolled: 1-line block ×14, first 2 shown]
	ds_read_b128 v[55:58], v54 offset:368
	ds_read_b128 v[59:62], v54 offset:384
	s_mov_b32 s4, exec_lo
	s_waitcnt vmcnt(12) lgkmcnt(1)
	v_fma_f64 v[55:56], v[63:64], v[55:56], 0
	s_waitcnt vmcnt(10)
	v_fma_f64 v[55:56], v[65:66], v[57:58], v[55:56]
	s_waitcnt vmcnt(8) lgkmcnt(0)
	v_fma_f64 v[55:56], v[67:68], v[59:60], v[55:56]
	s_waitcnt vmcnt(6)
	v_fma_f64 v[58:59], v[69:70], v[61:62], v[55:56]
	ds_read_b128 v[54:57], v54 offset:400
	s_waitcnt vmcnt(4) lgkmcnt(0)
	v_fma_f64 v[54:55], v[71:72], v[54:55], v[58:59]
	s_waitcnt vmcnt(2)
	v_fma_f64 v[54:55], v[73:74], v[56:57], v[54:55]
	s_waitcnt vmcnt(0)
	v_add_f64 v[54:55], v[75:76], -v[54:55]
	buffer_store_dword v54, off, s[0:3], 0 offset:152
	buffer_store_dword v55, off, s[0:3], 0 offset:156
	v_cmpx_lt_u32_e32 18, v0
	s_cbranch_execz .LBB89_129
; %bb.128:
	s_clause 0x1
	buffer_load_dword v54, off, s[0:3], 0 offset:144
	buffer_load_dword v55, off, s[0:3], 0 offset:148
	v_mov_b32_e32 v56, 0
	buffer_store_dword v56, off, s[0:3], 0 offset:144
	buffer_store_dword v56, off, s[0:3], 0 offset:148
	s_waitcnt vmcnt(0)
	ds_write_b64 v53, v[54:55]
.LBB89_129:
	s_or_b32 exec_lo, exec_lo, s4
	s_waitcnt lgkmcnt(0)
	s_waitcnt_vscnt null, 0x0
	s_barrier
	buffer_gl0_inv
	s_clause 0xf
	buffer_load_dword v63, off, s[0:3], 0 offset:152
	buffer_load_dword v64, off, s[0:3], 0 offset:156
	buffer_load_dword v65, off, s[0:3], 0 offset:160
	buffer_load_dword v66, off, s[0:3], 0 offset:164
	buffer_load_dword v67, off, s[0:3], 0 offset:168
	buffer_load_dword v68, off, s[0:3], 0 offset:172
	buffer_load_dword v69, off, s[0:3], 0 offset:176
	buffer_load_dword v70, off, s[0:3], 0 offset:180
	buffer_load_dword v71, off, s[0:3], 0 offset:184
	buffer_load_dword v72, off, s[0:3], 0 offset:188
	buffer_load_dword v73, off, s[0:3], 0 offset:192
	buffer_load_dword v74, off, s[0:3], 0 offset:196
	buffer_load_dword v75, off, s[0:3], 0 offset:200
	buffer_load_dword v76, off, s[0:3], 0 offset:204
	buffer_load_dword v77, off, s[0:3], 0 offset:144
	buffer_load_dword v78, off, s[0:3], 0 offset:148
	v_mov_b32_e32 v54, 0
	ds_read2_b64 v[55:58], v54 offset0:45 offset1:46
	ds_read2_b64 v[59:62], v54 offset0:47 offset1:48
	s_mov_b32 s4, exec_lo
	s_waitcnt vmcnt(14) lgkmcnt(1)
	v_fma_f64 v[55:56], v[63:64], v[55:56], 0
	s_waitcnt vmcnt(12)
	v_fma_f64 v[55:56], v[65:66], v[57:58], v[55:56]
	s_waitcnt vmcnt(10) lgkmcnt(0)
	v_fma_f64 v[55:56], v[67:68], v[59:60], v[55:56]
	s_waitcnt vmcnt(8)
	v_fma_f64 v[59:60], v[69:70], v[61:62], v[55:56]
	ds_read2_b64 v[55:58], v54 offset0:49 offset1:50
	ds_read_b64 v[61:62], v54 offset:408
	s_waitcnt vmcnt(6) lgkmcnt(1)
	v_fma_f64 v[55:56], v[71:72], v[55:56], v[59:60]
	s_waitcnt vmcnt(4)
	v_fma_f64 v[55:56], v[73:74], v[57:58], v[55:56]
	s_waitcnt vmcnt(2) lgkmcnt(0)
	v_fma_f64 v[55:56], v[75:76], v[61:62], v[55:56]
	s_waitcnt vmcnt(0)
	v_add_f64 v[55:56], v[77:78], -v[55:56]
	buffer_store_dword v55, off, s[0:3], 0 offset:144
	buffer_store_dword v56, off, s[0:3], 0 offset:148
	v_cmpx_lt_u32_e32 17, v0
	s_cbranch_execz .LBB89_131
; %bb.130:
	s_clause 0x1
	buffer_load_dword v55, off, s[0:3], 0 offset:136
	buffer_load_dword v56, off, s[0:3], 0 offset:140
	buffer_store_dword v54, off, s[0:3], 0 offset:136
	buffer_store_dword v54, off, s[0:3], 0 offset:140
	s_waitcnt vmcnt(0)
	ds_write_b64 v53, v[55:56]
.LBB89_131:
	s_or_b32 exec_lo, exec_lo, s4
	s_waitcnt lgkmcnt(0)
	s_waitcnt_vscnt null, 0x0
	s_barrier
	buffer_gl0_inv
	s_clause 0x11
	buffer_load_dword v63, off, s[0:3], 0 offset:144
	buffer_load_dword v64, off, s[0:3], 0 offset:148
	;; [unrolled: 1-line block ×18, first 2 shown]
	ds_read_b128 v[55:58], v54 offset:352
	ds_read_b128 v[59:62], v54 offset:368
	s_mov_b32 s4, exec_lo
	s_waitcnt vmcnt(16) lgkmcnt(1)
	v_fma_f64 v[55:56], v[63:64], v[55:56], 0
	s_waitcnt vmcnt(14)
	v_fma_f64 v[55:56], v[65:66], v[57:58], v[55:56]
	s_waitcnt vmcnt(12) lgkmcnt(0)
	v_fma_f64 v[55:56], v[67:68], v[59:60], v[55:56]
	s_waitcnt vmcnt(10)
	v_fma_f64 v[63:64], v[69:70], v[61:62], v[55:56]
	ds_read_b128 v[55:58], v54 offset:384
	ds_read_b128 v[59:62], v54 offset:400
	s_waitcnt vmcnt(8) lgkmcnt(1)
	v_fma_f64 v[54:55], v[71:72], v[55:56], v[63:64]
	s_waitcnt vmcnt(6)
	v_fma_f64 v[54:55], v[73:74], v[57:58], v[54:55]
	s_waitcnt vmcnt(4) lgkmcnt(0)
	v_fma_f64 v[54:55], v[75:76], v[59:60], v[54:55]
	s_waitcnt vmcnt(2)
	v_fma_f64 v[54:55], v[77:78], v[61:62], v[54:55]
	s_waitcnt vmcnt(0)
	v_add_f64 v[54:55], v[79:80], -v[54:55]
	buffer_store_dword v54, off, s[0:3], 0 offset:136
	buffer_store_dword v55, off, s[0:3], 0 offset:140
	v_cmpx_lt_u32_e32 16, v0
	s_cbranch_execz .LBB89_133
; %bb.132:
	s_clause 0x1
	buffer_load_dword v54, off, s[0:3], 0 offset:128
	buffer_load_dword v55, off, s[0:3], 0 offset:132
	v_mov_b32_e32 v56, 0
	buffer_store_dword v56, off, s[0:3], 0 offset:128
	buffer_store_dword v56, off, s[0:3], 0 offset:132
	s_waitcnt vmcnt(0)
	ds_write_b64 v53, v[54:55]
.LBB89_133:
	s_or_b32 exec_lo, exec_lo, s4
	s_waitcnt lgkmcnt(0)
	s_waitcnt_vscnt null, 0x0
	s_barrier
	buffer_gl0_inv
	s_clause 0x13
	buffer_load_dword v63, off, s[0:3], 0 offset:136
	buffer_load_dword v64, off, s[0:3], 0 offset:140
	;; [unrolled: 1-line block ×20, first 2 shown]
	v_mov_b32_e32 v54, 0
	ds_read2_b64 v[55:58], v54 offset0:43 offset1:44
	ds_read2_b64 v[59:62], v54 offset0:45 offset1:46
	s_mov_b32 s4, exec_lo
	s_waitcnt vmcnt(18) lgkmcnt(1)
	v_fma_f64 v[55:56], v[63:64], v[55:56], 0
	s_waitcnt vmcnt(16)
	v_fma_f64 v[55:56], v[65:66], v[57:58], v[55:56]
	s_waitcnt vmcnt(14) lgkmcnt(0)
	v_fma_f64 v[55:56], v[67:68], v[59:60], v[55:56]
	s_waitcnt vmcnt(12)
	v_fma_f64 v[63:64], v[69:70], v[61:62], v[55:56]
	ds_read2_b64 v[55:58], v54 offset0:47 offset1:48
	ds_read2_b64 v[59:62], v54 offset0:49 offset1:50
	s_waitcnt vmcnt(10) lgkmcnt(1)
	v_fma_f64 v[55:56], v[71:72], v[55:56], v[63:64]
	s_waitcnt vmcnt(8)
	v_fma_f64 v[55:56], v[73:74], v[57:58], v[55:56]
	ds_read_b64 v[57:58], v54 offset:408
	s_waitcnt vmcnt(6) lgkmcnt(1)
	v_fma_f64 v[55:56], v[75:76], v[59:60], v[55:56]
	s_waitcnt vmcnt(3)
	v_fma_f64 v[55:56], v[77:78], v[61:62], v[55:56]
	s_waitcnt vmcnt(2) lgkmcnt(0)
	v_fma_f64 v[55:56], v[79:80], v[57:58], v[55:56]
	s_waitcnt vmcnt(0)
	v_add_f64 v[55:56], v[81:82], -v[55:56]
	buffer_store_dword v55, off, s[0:3], 0 offset:128
	buffer_store_dword v56, off, s[0:3], 0 offset:132
	v_cmpx_lt_u32_e32 15, v0
	s_cbranch_execz .LBB89_135
; %bb.134:
	s_clause 0x1
	buffer_load_dword v55, off, s[0:3], 0 offset:120
	buffer_load_dword v56, off, s[0:3], 0 offset:124
	buffer_store_dword v54, off, s[0:3], 0 offset:120
	buffer_store_dword v54, off, s[0:3], 0 offset:124
	s_waitcnt vmcnt(0)
	ds_write_b64 v53, v[55:56]
.LBB89_135:
	s_or_b32 exec_lo, exec_lo, s4
	s_waitcnt lgkmcnt(0)
	s_waitcnt_vscnt null, 0x0
	s_barrier
	buffer_gl0_inv
	s_clause 0x15
	buffer_load_dword v63, off, s[0:3], 0 offset:128
	buffer_load_dword v64, off, s[0:3], 0 offset:132
	;; [unrolled: 1-line block ×22, first 2 shown]
	ds_read_b128 v[55:58], v54 offset:336
	ds_read_b128 v[59:62], v54 offset:352
	s_mov_b32 s4, exec_lo
	s_waitcnt vmcnt(20) lgkmcnt(1)
	v_fma_f64 v[55:56], v[63:64], v[55:56], 0
	s_waitcnt vmcnt(18)
	v_fma_f64 v[55:56], v[65:66], v[57:58], v[55:56]
	s_waitcnt vmcnt(16) lgkmcnt(0)
	v_fma_f64 v[55:56], v[67:68], v[59:60], v[55:56]
	s_waitcnt vmcnt(14)
	v_fma_f64 v[63:64], v[69:70], v[61:62], v[55:56]
	ds_read_b128 v[55:58], v54 offset:368
	ds_read_b128 v[59:62], v54 offset:384
	s_waitcnt vmcnt(12) lgkmcnt(1)
	v_fma_f64 v[55:56], v[71:72], v[55:56], v[63:64]
	s_waitcnt vmcnt(10)
	v_fma_f64 v[55:56], v[73:74], v[57:58], v[55:56]
	s_waitcnt vmcnt(8) lgkmcnt(0)
	v_fma_f64 v[55:56], v[75:76], v[59:60], v[55:56]
	s_waitcnt vmcnt(4)
	v_fma_f64 v[58:59], v[77:78], v[61:62], v[55:56]
	ds_read_b128 v[54:57], v54 offset:400
	s_waitcnt vmcnt(3) lgkmcnt(0)
	v_fma_f64 v[54:55], v[81:82], v[54:55], v[58:59]
	s_waitcnt vmcnt(2)
	v_fma_f64 v[54:55], v[79:80], v[56:57], v[54:55]
	s_waitcnt vmcnt(0)
	v_add_f64 v[54:55], v[83:84], -v[54:55]
	buffer_store_dword v54, off, s[0:3], 0 offset:120
	buffer_store_dword v55, off, s[0:3], 0 offset:124
	v_cmpx_lt_u32_e32 14, v0
	s_cbranch_execz .LBB89_137
; %bb.136:
	s_clause 0x1
	buffer_load_dword v54, off, s[0:3], 0 offset:112
	buffer_load_dword v55, off, s[0:3], 0 offset:116
	v_mov_b32_e32 v56, 0
	buffer_store_dword v56, off, s[0:3], 0 offset:112
	buffer_store_dword v56, off, s[0:3], 0 offset:116
	s_waitcnt vmcnt(0)
	ds_write_b64 v53, v[54:55]
.LBB89_137:
	s_or_b32 exec_lo, exec_lo, s4
	s_waitcnt lgkmcnt(0)
	s_waitcnt_vscnt null, 0x0
	s_barrier
	buffer_gl0_inv
	s_clause 0x17
	buffer_load_dword v63, off, s[0:3], 0 offset:120
	buffer_load_dword v64, off, s[0:3], 0 offset:124
	buffer_load_dword v65, off, s[0:3], 0 offset:128
	buffer_load_dword v66, off, s[0:3], 0 offset:132
	buffer_load_dword v67, off, s[0:3], 0 offset:136
	buffer_load_dword v68, off, s[0:3], 0 offset:140
	buffer_load_dword v69, off, s[0:3], 0 offset:144
	buffer_load_dword v70, off, s[0:3], 0 offset:148
	buffer_load_dword v71, off, s[0:3], 0 offset:152
	buffer_load_dword v72, off, s[0:3], 0 offset:156
	buffer_load_dword v73, off, s[0:3], 0 offset:160
	buffer_load_dword v74, off, s[0:3], 0 offset:164
	buffer_load_dword v75, off, s[0:3], 0 offset:168
	buffer_load_dword v76, off, s[0:3], 0 offset:172
	buffer_load_dword v78, off, s[0:3], 0 offset:180
	buffer_load_dword v79, off, s[0:3], 0 offset:200
	buffer_load_dword v81, off, s[0:3], 0 offset:192
	buffer_load_dword v83, off, s[0:3], 0 offset:184
	buffer_load_dword v77, off, s[0:3], 0 offset:176
	buffer_load_dword v84, off, s[0:3], 0 offset:188
	buffer_load_dword v82, off, s[0:3], 0 offset:196
	buffer_load_dword v80, off, s[0:3], 0 offset:204
	buffer_load_dword v85, off, s[0:3], 0 offset:112
	buffer_load_dword v86, off, s[0:3], 0 offset:116
	v_mov_b32_e32 v54, 0
	ds_read2_b64 v[55:58], v54 offset0:41 offset1:42
	ds_read2_b64 v[59:62], v54 offset0:43 offset1:44
	s_mov_b32 s4, exec_lo
	s_waitcnt vmcnt(22) lgkmcnt(1)
	v_fma_f64 v[55:56], v[63:64], v[55:56], 0
	s_waitcnt vmcnt(20)
	v_fma_f64 v[55:56], v[65:66], v[57:58], v[55:56]
	s_waitcnt vmcnt(18) lgkmcnt(0)
	v_fma_f64 v[55:56], v[67:68], v[59:60], v[55:56]
	s_waitcnt vmcnt(16)
	v_fma_f64 v[63:64], v[69:70], v[61:62], v[55:56]
	ds_read2_b64 v[55:58], v54 offset0:45 offset1:46
	ds_read2_b64 v[59:62], v54 offset0:47 offset1:48
	s_waitcnt vmcnt(14) lgkmcnt(1)
	v_fma_f64 v[55:56], v[71:72], v[55:56], v[63:64]
	s_waitcnt vmcnt(12)
	v_fma_f64 v[55:56], v[73:74], v[57:58], v[55:56]
	s_waitcnt vmcnt(10) lgkmcnt(0)
	v_fma_f64 v[55:56], v[75:76], v[59:60], v[55:56]
	s_waitcnt vmcnt(5)
	v_fma_f64 v[59:60], v[77:78], v[61:62], v[55:56]
	ds_read2_b64 v[55:58], v54 offset0:49 offset1:50
	ds_read_b64 v[61:62], v54 offset:408
	s_waitcnt vmcnt(4) lgkmcnt(1)
	v_fma_f64 v[55:56], v[83:84], v[55:56], v[59:60]
	s_waitcnt vmcnt(3)
	v_fma_f64 v[55:56], v[81:82], v[57:58], v[55:56]
	s_waitcnt vmcnt(2) lgkmcnt(0)
	v_fma_f64 v[55:56], v[79:80], v[61:62], v[55:56]
	s_waitcnt vmcnt(0)
	v_add_f64 v[55:56], v[85:86], -v[55:56]
	buffer_store_dword v56, off, s[0:3], 0 offset:116
	buffer_store_dword v55, off, s[0:3], 0 offset:112
	v_cmpx_lt_u32_e32 13, v0
	s_cbranch_execz .LBB89_139
; %bb.138:
	s_clause 0x1
	buffer_load_dword v55, off, s[0:3], 0 offset:104
	buffer_load_dword v56, off, s[0:3], 0 offset:108
	buffer_store_dword v54, off, s[0:3], 0 offset:104
	buffer_store_dword v54, off, s[0:3], 0 offset:108
	s_waitcnt vmcnt(0)
	ds_write_b64 v53, v[55:56]
.LBB89_139:
	s_or_b32 exec_lo, exec_lo, s4
	s_waitcnt lgkmcnt(0)
	s_waitcnt_vscnt null, 0x0
	s_barrier
	buffer_gl0_inv
	s_clause 0x19
	buffer_load_dword v63, off, s[0:3], 0 offset:112
	buffer_load_dword v64, off, s[0:3], 0 offset:116
	;; [unrolled: 1-line block ×26, first 2 shown]
	ds_read_b128 v[55:58], v54 offset:320
	ds_read_b128 v[59:62], v54 offset:336
	s_mov_b32 s4, exec_lo
	s_waitcnt vmcnt(24) lgkmcnt(1)
	v_fma_f64 v[55:56], v[63:64], v[55:56], 0
	s_waitcnt vmcnt(22)
	v_fma_f64 v[55:56], v[65:66], v[57:58], v[55:56]
	s_waitcnt vmcnt(20) lgkmcnt(0)
	v_fma_f64 v[55:56], v[67:68], v[59:60], v[55:56]
	s_waitcnt vmcnt(18)
	v_fma_f64 v[63:64], v[69:70], v[61:62], v[55:56]
	ds_read_b128 v[55:58], v54 offset:352
	ds_read_b128 v[59:62], v54 offset:368
	s_waitcnt vmcnt(16) lgkmcnt(1)
	v_fma_f64 v[55:56], v[71:72], v[55:56], v[63:64]
	s_waitcnt vmcnt(14)
	v_fma_f64 v[55:56], v[73:74], v[57:58], v[55:56]
	s_waitcnt vmcnt(12) lgkmcnt(0)
	v_fma_f64 v[55:56], v[75:76], v[59:60], v[55:56]
	s_waitcnt vmcnt(7)
	v_fma_f64 v[63:64], v[77:78], v[61:62], v[55:56]
	ds_read_b128 v[55:58], v54 offset:384
	ds_read_b128 v[59:62], v54 offset:400
	s_waitcnt vmcnt(6) lgkmcnt(1)
	v_fma_f64 v[54:55], v[83:84], v[55:56], v[63:64]
	s_waitcnt vmcnt(5)
	v_fma_f64 v[54:55], v[81:82], v[57:58], v[54:55]
	s_waitcnt vmcnt(4) lgkmcnt(0)
	v_fma_f64 v[54:55], v[79:80], v[59:60], v[54:55]
	s_waitcnt vmcnt(2)
	v_fma_f64 v[54:55], v[85:86], v[61:62], v[54:55]
	s_waitcnt vmcnt(0)
	v_add_f64 v[54:55], v[87:88], -v[54:55]
	buffer_store_dword v55, off, s[0:3], 0 offset:108
	buffer_store_dword v54, off, s[0:3], 0 offset:104
	v_cmpx_lt_u32_e32 12, v0
	s_cbranch_execz .LBB89_141
; %bb.140:
	s_clause 0x1
	buffer_load_dword v54, off, s[0:3], 0 offset:96
	buffer_load_dword v55, off, s[0:3], 0 offset:100
	v_mov_b32_e32 v56, 0
	buffer_store_dword v56, off, s[0:3], 0 offset:96
	buffer_store_dword v56, off, s[0:3], 0 offset:100
	s_waitcnt vmcnt(0)
	ds_write_b64 v53, v[54:55]
.LBB89_141:
	s_or_b32 exec_lo, exec_lo, s4
	s_waitcnt lgkmcnt(0)
	s_waitcnt_vscnt null, 0x0
	s_barrier
	buffer_gl0_inv
	s_clause 0x1b
	buffer_load_dword v63, off, s[0:3], 0 offset:104
	buffer_load_dword v64, off, s[0:3], 0 offset:108
	buffer_load_dword v65, off, s[0:3], 0 offset:112
	buffer_load_dword v66, off, s[0:3], 0 offset:116
	buffer_load_dword v67, off, s[0:3], 0 offset:120
	buffer_load_dword v68, off, s[0:3], 0 offset:124
	buffer_load_dword v69, off, s[0:3], 0 offset:128
	buffer_load_dword v70, off, s[0:3], 0 offset:132
	buffer_load_dword v71, off, s[0:3], 0 offset:136
	buffer_load_dword v72, off, s[0:3], 0 offset:140
	buffer_load_dword v73, off, s[0:3], 0 offset:144
	buffer_load_dword v74, off, s[0:3], 0 offset:148
	buffer_load_dword v75, off, s[0:3], 0 offset:152
	buffer_load_dword v76, off, s[0:3], 0 offset:156
	buffer_load_dword v78, off, s[0:3], 0 offset:164
	buffer_load_dword v79, off, s[0:3], 0 offset:184
	buffer_load_dword v81, off, s[0:3], 0 offset:176
	buffer_load_dword v83, off, s[0:3], 0 offset:168
	buffer_load_dword v77, off, s[0:3], 0 offset:160
	buffer_load_dword v84, off, s[0:3], 0 offset:172
	buffer_load_dword v82, off, s[0:3], 0 offset:180
	buffer_load_dword v80, off, s[0:3], 0 offset:188
	buffer_load_dword v86, off, s[0:3], 0 offset:196
	buffer_load_dword v87, off, s[0:3], 0 offset:200
	buffer_load_dword v85, off, s[0:3], 0 offset:192
	buffer_load_dword v88, off, s[0:3], 0 offset:204
	buffer_load_dword v89, off, s[0:3], 0 offset:96
	buffer_load_dword v90, off, s[0:3], 0 offset:100
	v_mov_b32_e32 v54, 0
	ds_read2_b64 v[55:58], v54 offset0:39 offset1:40
	ds_read2_b64 v[59:62], v54 offset0:41 offset1:42
	s_mov_b32 s4, exec_lo
	s_waitcnt vmcnt(26) lgkmcnt(1)
	v_fma_f64 v[55:56], v[63:64], v[55:56], 0
	s_waitcnt vmcnt(24)
	v_fma_f64 v[55:56], v[65:66], v[57:58], v[55:56]
	s_waitcnt vmcnt(22) lgkmcnt(0)
	v_fma_f64 v[55:56], v[67:68], v[59:60], v[55:56]
	s_waitcnt vmcnt(20)
	v_fma_f64 v[63:64], v[69:70], v[61:62], v[55:56]
	ds_read2_b64 v[55:58], v54 offset0:43 offset1:44
	ds_read2_b64 v[59:62], v54 offset0:45 offset1:46
	s_waitcnt vmcnt(18) lgkmcnt(1)
	v_fma_f64 v[55:56], v[71:72], v[55:56], v[63:64]
	s_waitcnt vmcnt(16)
	v_fma_f64 v[55:56], v[73:74], v[57:58], v[55:56]
	s_waitcnt vmcnt(14) lgkmcnt(0)
	v_fma_f64 v[55:56], v[75:76], v[59:60], v[55:56]
	s_waitcnt vmcnt(9)
	v_fma_f64 v[63:64], v[77:78], v[61:62], v[55:56]
	ds_read2_b64 v[55:58], v54 offset0:47 offset1:48
	ds_read2_b64 v[59:62], v54 offset0:49 offset1:50
	s_waitcnt vmcnt(8) lgkmcnt(1)
	v_fma_f64 v[55:56], v[83:84], v[55:56], v[63:64]
	s_waitcnt vmcnt(7)
	v_fma_f64 v[55:56], v[81:82], v[57:58], v[55:56]
	ds_read_b64 v[57:58], v54 offset:408
	s_waitcnt vmcnt(6) lgkmcnt(1)
	v_fma_f64 v[55:56], v[79:80], v[59:60], v[55:56]
	s_waitcnt vmcnt(3)
	v_fma_f64 v[55:56], v[85:86], v[61:62], v[55:56]
	s_waitcnt vmcnt(2) lgkmcnt(0)
	v_fma_f64 v[55:56], v[87:88], v[57:58], v[55:56]
	s_waitcnt vmcnt(0)
	v_add_f64 v[55:56], v[89:90], -v[55:56]
	buffer_store_dword v56, off, s[0:3], 0 offset:100
	buffer_store_dword v55, off, s[0:3], 0 offset:96
	v_cmpx_lt_u32_e32 11, v0
	s_cbranch_execz .LBB89_143
; %bb.142:
	s_clause 0x1
	buffer_load_dword v55, off, s[0:3], 0 offset:88
	buffer_load_dword v56, off, s[0:3], 0 offset:92
	buffer_store_dword v54, off, s[0:3], 0 offset:88
	buffer_store_dword v54, off, s[0:3], 0 offset:92
	s_waitcnt vmcnt(0)
	ds_write_b64 v53, v[55:56]
.LBB89_143:
	s_or_b32 exec_lo, exec_lo, s4
	s_waitcnt lgkmcnt(0)
	s_waitcnt_vscnt null, 0x0
	s_barrier
	buffer_gl0_inv
	s_clause 0x1b
	buffer_load_dword v63, off, s[0:3], 0 offset:96
	buffer_load_dword v64, off, s[0:3], 0 offset:100
	;; [unrolled: 1-line block ×28, first 2 shown]
	ds_read_b128 v[55:58], v54 offset:304
	s_clause 0x1
	buffer_load_dword v91, off, s[0:3], 0 offset:88
	buffer_load_dword v92, off, s[0:3], 0 offset:92
	ds_read_b128 v[59:62], v54 offset:320
	s_mov_b32 s4, exec_lo
	s_waitcnt vmcnt(28) lgkmcnt(1)
	v_fma_f64 v[55:56], v[63:64], v[55:56], 0
	s_waitcnt vmcnt(26)
	v_fma_f64 v[55:56], v[65:66], v[57:58], v[55:56]
	s_waitcnt vmcnt(24) lgkmcnt(0)
	v_fma_f64 v[55:56], v[67:68], v[59:60], v[55:56]
	s_waitcnt vmcnt(22)
	v_fma_f64 v[63:64], v[69:70], v[61:62], v[55:56]
	ds_read_b128 v[55:58], v54 offset:336
	ds_read_b128 v[59:62], v54 offset:352
	s_waitcnt vmcnt(20) lgkmcnt(1)
	v_fma_f64 v[55:56], v[71:72], v[55:56], v[63:64]
	s_waitcnt vmcnt(18)
	v_fma_f64 v[55:56], v[73:74], v[57:58], v[55:56]
	s_waitcnt vmcnt(16) lgkmcnt(0)
	v_fma_f64 v[55:56], v[75:76], v[59:60], v[55:56]
	s_waitcnt vmcnt(11)
	v_fma_f64 v[63:64], v[77:78], v[61:62], v[55:56]
	ds_read_b128 v[55:58], v54 offset:368
	ds_read_b128 v[59:62], v54 offset:384
	s_waitcnt vmcnt(10) lgkmcnt(1)
	v_fma_f64 v[55:56], v[83:84], v[55:56], v[63:64]
	s_waitcnt vmcnt(9)
	v_fma_f64 v[55:56], v[81:82], v[57:58], v[55:56]
	s_waitcnt vmcnt(8) lgkmcnt(0)
	v_fma_f64 v[55:56], v[79:80], v[59:60], v[55:56]
	s_waitcnt vmcnt(4)
	v_fma_f64 v[58:59], v[85:86], v[61:62], v[55:56]
	ds_read_b128 v[54:57], v54 offset:400
	s_waitcnt vmcnt(3) lgkmcnt(0)
	v_fma_f64 v[54:55], v[89:90], v[54:55], v[58:59]
	s_waitcnt vmcnt(2)
	v_fma_f64 v[54:55], v[87:88], v[56:57], v[54:55]
	s_waitcnt vmcnt(0)
	v_add_f64 v[54:55], v[91:92], -v[54:55]
	buffer_store_dword v55, off, s[0:3], 0 offset:92
	buffer_store_dword v54, off, s[0:3], 0 offset:88
	v_cmpx_lt_u32_e32 10, v0
	s_cbranch_execz .LBB89_145
; %bb.144:
	s_clause 0x1
	buffer_load_dword v54, off, s[0:3], 0 offset:80
	buffer_load_dword v55, off, s[0:3], 0 offset:84
	v_mov_b32_e32 v56, 0
	buffer_store_dword v56, off, s[0:3], 0 offset:80
	buffer_store_dword v56, off, s[0:3], 0 offset:84
	s_waitcnt vmcnt(0)
	ds_write_b64 v53, v[54:55]
.LBB89_145:
	s_or_b32 exec_lo, exec_lo, s4
	s_waitcnt lgkmcnt(0)
	s_waitcnt_vscnt null, 0x0
	s_barrier
	buffer_gl0_inv
	s_clause 0x1c
	buffer_load_dword v63, off, s[0:3], 0 offset:88
	buffer_load_dword v64, off, s[0:3], 0 offset:92
	;; [unrolled: 1-line block ×29, first 2 shown]
	v_mov_b32_e32 v54, 0
	buffer_load_dword v88, off, s[0:3], 0 offset:204
	s_mov_b32 s4, exec_lo
	ds_read2_b64 v[55:58], v54 offset0:37 offset1:38
	ds_read2_b64 v[59:62], v54 offset0:39 offset1:40
	s_waitcnt vmcnt(28) lgkmcnt(1)
	v_fma_f64 v[55:56], v[63:64], v[55:56], 0
	s_clause 0x1
	buffer_load_dword v63, off, s[0:3], 0 offset:80
	buffer_load_dword v64, off, s[0:3], 0 offset:84
	s_waitcnt vmcnt(28)
	v_fma_f64 v[55:56], v[65:66], v[57:58], v[55:56]
	s_waitcnt vmcnt(26) lgkmcnt(0)
	v_fma_f64 v[55:56], v[67:68], v[59:60], v[55:56]
	s_waitcnt vmcnt(24)
	v_fma_f64 v[65:66], v[69:70], v[61:62], v[55:56]
	ds_read2_b64 v[55:58], v54 offset0:41 offset1:42
	ds_read2_b64 v[59:62], v54 offset0:43 offset1:44
	s_waitcnt vmcnt(22) lgkmcnt(1)
	v_fma_f64 v[55:56], v[71:72], v[55:56], v[65:66]
	s_waitcnt vmcnt(20)
	v_fma_f64 v[55:56], v[73:74], v[57:58], v[55:56]
	s_waitcnt vmcnt(18) lgkmcnt(0)
	v_fma_f64 v[55:56], v[75:76], v[59:60], v[55:56]
	s_waitcnt vmcnt(13)
	v_fma_f64 v[65:66], v[77:78], v[61:62], v[55:56]
	ds_read2_b64 v[55:58], v54 offset0:45 offset1:46
	ds_read2_b64 v[59:62], v54 offset0:47 offset1:48
	s_waitcnt vmcnt(12) lgkmcnt(1)
	v_fma_f64 v[55:56], v[83:84], v[55:56], v[65:66]
	s_waitcnt vmcnt(11)
	v_fma_f64 v[55:56], v[81:82], v[57:58], v[55:56]
	s_waitcnt vmcnt(10) lgkmcnt(0)
	v_fma_f64 v[55:56], v[79:80], v[59:60], v[55:56]
	s_waitcnt vmcnt(5)
	v_fma_f64 v[59:60], v[85:86], v[61:62], v[55:56]
	ds_read2_b64 v[55:58], v54 offset0:49 offset1:50
	ds_read_b64 v[61:62], v54 offset:408
	s_waitcnt vmcnt(4) lgkmcnt(1)
	v_fma_f64 v[55:56], v[91:92], v[55:56], v[59:60]
	s_waitcnt vmcnt(3)
	v_fma_f64 v[55:56], v[89:90], v[57:58], v[55:56]
	s_waitcnt vmcnt(2) lgkmcnt(0)
	v_fma_f64 v[55:56], v[87:88], v[61:62], v[55:56]
	s_waitcnt vmcnt(0)
	v_add_f64 v[55:56], v[63:64], -v[55:56]
	buffer_store_dword v56, off, s[0:3], 0 offset:84
	buffer_store_dword v55, off, s[0:3], 0 offset:80
	v_cmpx_lt_u32_e32 9, v0
	s_cbranch_execz .LBB89_147
; %bb.146:
	s_clause 0x1
	buffer_load_dword v55, off, s[0:3], 0 offset:72
	buffer_load_dword v56, off, s[0:3], 0 offset:76
	buffer_store_dword v54, off, s[0:3], 0 offset:72
	buffer_store_dword v54, off, s[0:3], 0 offset:76
	s_waitcnt vmcnt(0)
	ds_write_b64 v53, v[55:56]
.LBB89_147:
	s_or_b32 exec_lo, exec_lo, s4
	s_waitcnt lgkmcnt(0)
	s_waitcnt_vscnt null, 0x0
	s_barrier
	buffer_gl0_inv
	s_clause 0x1c
	buffer_load_dword v63, off, s[0:3], 0 offset:80
	buffer_load_dword v64, off, s[0:3], 0 offset:84
	;; [unrolled: 1-line block ×29, first 2 shown]
	ds_read_b128 v[55:58], v54 offset:288
	ds_read_b128 v[59:62], v54 offset:304
	buffer_load_dword v88, off, s[0:3], 0 offset:196
	s_mov_b32 s4, exec_lo
	s_waitcnt vmcnt(28) lgkmcnt(1)
	v_fma_f64 v[55:56], v[63:64], v[55:56], 0
	s_clause 0x1
	buffer_load_dword v64, off, s[0:3], 0 offset:204
	buffer_load_dword v63, off, s[0:3], 0 offset:200
	s_waitcnt vmcnt(28)
	v_fma_f64 v[55:56], v[65:66], v[57:58], v[55:56]
	s_clause 0x1
	buffer_load_dword v65, off, s[0:3], 0 offset:72
	buffer_load_dword v66, off, s[0:3], 0 offset:76
	s_waitcnt vmcnt(28) lgkmcnt(0)
	v_fma_f64 v[55:56], v[67:68], v[59:60], v[55:56]
	s_waitcnt vmcnt(26)
	v_fma_f64 v[67:68], v[69:70], v[61:62], v[55:56]
	ds_read_b128 v[55:58], v54 offset:320
	ds_read_b128 v[59:62], v54 offset:336
	s_waitcnt vmcnt(24) lgkmcnt(1)
	v_fma_f64 v[55:56], v[71:72], v[55:56], v[67:68]
	s_waitcnt vmcnt(22)
	v_fma_f64 v[55:56], v[73:74], v[57:58], v[55:56]
	s_waitcnt vmcnt(20) lgkmcnt(0)
	v_fma_f64 v[55:56], v[75:76], v[59:60], v[55:56]
	s_waitcnt vmcnt(15)
	v_fma_f64 v[67:68], v[77:78], v[61:62], v[55:56]
	ds_read_b128 v[55:58], v54 offset:352
	ds_read_b128 v[59:62], v54 offset:368
	s_waitcnt vmcnt(14) lgkmcnt(1)
	v_fma_f64 v[55:56], v[83:84], v[55:56], v[67:68]
	s_waitcnt vmcnt(13)
	v_fma_f64 v[55:56], v[81:82], v[57:58], v[55:56]
	s_waitcnt vmcnt(12) lgkmcnt(0)
	v_fma_f64 v[55:56], v[79:80], v[59:60], v[55:56]
	s_waitcnt vmcnt(7)
	v_fma_f64 v[67:68], v[85:86], v[61:62], v[55:56]
	ds_read_b128 v[55:58], v54 offset:384
	ds_read_b128 v[59:62], v54 offset:400
	s_waitcnt vmcnt(6) lgkmcnt(1)
	v_fma_f64 v[54:55], v[91:92], v[55:56], v[67:68]
	s_waitcnt vmcnt(5)
	v_fma_f64 v[54:55], v[89:90], v[57:58], v[54:55]
	s_waitcnt vmcnt(4) lgkmcnt(0)
	v_fma_f64 v[54:55], v[87:88], v[59:60], v[54:55]
	s_waitcnt vmcnt(2)
	v_fma_f64 v[54:55], v[63:64], v[61:62], v[54:55]
	s_waitcnt vmcnt(0)
	v_add_f64 v[54:55], v[65:66], -v[54:55]
	buffer_store_dword v55, off, s[0:3], 0 offset:76
	buffer_store_dword v54, off, s[0:3], 0 offset:72
	v_cmpx_lt_u32_e32 8, v0
	s_cbranch_execz .LBB89_149
; %bb.148:
	s_clause 0x1
	buffer_load_dword v54, off, s[0:3], 0 offset:64
	buffer_load_dword v55, off, s[0:3], 0 offset:68
	v_mov_b32_e32 v56, 0
	buffer_store_dword v56, off, s[0:3], 0 offset:64
	buffer_store_dword v56, off, s[0:3], 0 offset:68
	s_waitcnt vmcnt(0)
	ds_write_b64 v53, v[54:55]
.LBB89_149:
	s_or_b32 exec_lo, exec_lo, s4
	s_waitcnt lgkmcnt(0)
	s_waitcnt_vscnt null, 0x0
	s_barrier
	buffer_gl0_inv
	s_clause 0x1c
	buffer_load_dword v63, off, s[0:3], 0 offset:72
	buffer_load_dword v64, off, s[0:3], 0 offset:76
	;; [unrolled: 1-line block ×29, first 2 shown]
	v_mov_b32_e32 v54, 0
	buffer_load_dword v88, off, s[0:3], 0 offset:188
	s_mov_b32 s4, exec_lo
	ds_read2_b64 v[55:58], v54 offset0:35 offset1:36
	ds_read2_b64 v[59:62], v54 offset0:37 offset1:38
	s_waitcnt vmcnt(28) lgkmcnt(1)
	v_fma_f64 v[55:56], v[63:64], v[55:56], 0
	s_clause 0x3
	buffer_load_dword v64, off, s[0:3], 0 offset:196
	buffer_load_dword v93, off, s[0:3], 0 offset:200
	buffer_load_dword v63, off, s[0:3], 0 offset:192
	buffer_load_dword v94, off, s[0:3], 0 offset:204
	s_waitcnt vmcnt(30)
	v_fma_f64 v[55:56], v[65:66], v[57:58], v[55:56]
	s_clause 0x1
	buffer_load_dword v65, off, s[0:3], 0 offset:64
	buffer_load_dword v66, off, s[0:3], 0 offset:68
	s_waitcnt vmcnt(30) lgkmcnt(0)
	v_fma_f64 v[55:56], v[67:68], v[59:60], v[55:56]
	s_waitcnt vmcnt(28)
	v_fma_f64 v[67:68], v[69:70], v[61:62], v[55:56]
	ds_read2_b64 v[55:58], v54 offset0:39 offset1:40
	ds_read2_b64 v[59:62], v54 offset0:41 offset1:42
	s_waitcnt vmcnt(26) lgkmcnt(1)
	v_fma_f64 v[55:56], v[71:72], v[55:56], v[67:68]
	s_waitcnt vmcnt(24)
	v_fma_f64 v[55:56], v[73:74], v[57:58], v[55:56]
	s_waitcnt vmcnt(22) lgkmcnt(0)
	v_fma_f64 v[55:56], v[75:76], v[59:60], v[55:56]
	s_waitcnt vmcnt(17)
	v_fma_f64 v[67:68], v[77:78], v[61:62], v[55:56]
	ds_read2_b64 v[55:58], v54 offset0:43 offset1:44
	ds_read2_b64 v[59:62], v54 offset0:45 offset1:46
	s_waitcnt vmcnt(16) lgkmcnt(1)
	v_fma_f64 v[55:56], v[83:84], v[55:56], v[67:68]
	s_waitcnt vmcnt(15)
	v_fma_f64 v[55:56], v[81:82], v[57:58], v[55:56]
	s_waitcnt vmcnt(14) lgkmcnt(0)
	v_fma_f64 v[55:56], v[79:80], v[59:60], v[55:56]
	s_waitcnt vmcnt(9)
	v_fma_f64 v[67:68], v[85:86], v[61:62], v[55:56]
	ds_read2_b64 v[55:58], v54 offset0:47 offset1:48
	ds_read2_b64 v[59:62], v54 offset0:49 offset1:50
	s_waitcnt vmcnt(8) lgkmcnt(1)
	v_fma_f64 v[55:56], v[91:92], v[55:56], v[67:68]
	s_waitcnt vmcnt(7)
	v_fma_f64 v[55:56], v[89:90], v[57:58], v[55:56]
	ds_read_b64 v[57:58], v54 offset:408
	s_waitcnt vmcnt(6) lgkmcnt(1)
	v_fma_f64 v[55:56], v[87:88], v[59:60], v[55:56]
	s_waitcnt vmcnt(3)
	v_fma_f64 v[55:56], v[63:64], v[61:62], v[55:56]
	s_waitcnt vmcnt(2) lgkmcnt(0)
	v_fma_f64 v[55:56], v[93:94], v[57:58], v[55:56]
	s_waitcnt vmcnt(0)
	v_add_f64 v[55:56], v[65:66], -v[55:56]
	buffer_store_dword v56, off, s[0:3], 0 offset:68
	buffer_store_dword v55, off, s[0:3], 0 offset:64
	v_cmpx_lt_u32_e32 7, v0
	s_cbranch_execz .LBB89_151
; %bb.150:
	s_clause 0x1
	buffer_load_dword v55, off, s[0:3], 0 offset:56
	buffer_load_dword v56, off, s[0:3], 0 offset:60
	buffer_store_dword v54, off, s[0:3], 0 offset:56
	buffer_store_dword v54, off, s[0:3], 0 offset:60
	s_waitcnt vmcnt(0)
	ds_write_b64 v53, v[55:56]
.LBB89_151:
	s_or_b32 exec_lo, exec_lo, s4
	s_waitcnt lgkmcnt(0)
	s_waitcnt_vscnt null, 0x0
	s_barrier
	buffer_gl0_inv
	s_clause 0x1c
	buffer_load_dword v63, off, s[0:3], 0 offset:64
	buffer_load_dword v64, off, s[0:3], 0 offset:68
	;; [unrolled: 1-line block ×29, first 2 shown]
	ds_read_b128 v[55:58], v54 offset:272
	ds_read_b128 v[59:62], v54 offset:288
	buffer_load_dword v88, off, s[0:3], 0 offset:180
	s_mov_b32 s4, exec_lo
	s_waitcnt vmcnt(28) lgkmcnt(1)
	v_fma_f64 v[55:56], v[63:64], v[55:56], 0
	s_clause 0x5
	buffer_load_dword v64, off, s[0:3], 0 offset:188
	buffer_load_dword v93, off, s[0:3], 0 offset:200
	;; [unrolled: 1-line block ×6, first 2 shown]
	s_waitcnt vmcnt(32)
	v_fma_f64 v[55:56], v[65:66], v[57:58], v[55:56]
	s_waitcnt vmcnt(30) lgkmcnt(0)
	v_fma_f64 v[55:56], v[67:68], v[59:60], v[55:56]
	s_waitcnt vmcnt(28)
	v_fma_f64 v[65:66], v[69:70], v[61:62], v[55:56]
	ds_read_b128 v[55:58], v54 offset:304
	s_clause 0x1
	buffer_load_dword v67, off, s[0:3], 0 offset:56
	buffer_load_dword v68, off, s[0:3], 0 offset:60
	ds_read_b128 v[59:62], v54 offset:320
	s_waitcnt vmcnt(28) lgkmcnt(1)
	v_fma_f64 v[55:56], v[71:72], v[55:56], v[65:66]
	s_waitcnt vmcnt(26)
	v_fma_f64 v[55:56], v[73:74], v[57:58], v[55:56]
	s_waitcnt vmcnt(24) lgkmcnt(0)
	v_fma_f64 v[55:56], v[75:76], v[59:60], v[55:56]
	s_waitcnt vmcnt(19)
	v_fma_f64 v[65:66], v[77:78], v[61:62], v[55:56]
	ds_read_b128 v[55:58], v54 offset:336
	ds_read_b128 v[59:62], v54 offset:352
	s_waitcnt vmcnt(18) lgkmcnt(1)
	v_fma_f64 v[55:56], v[83:84], v[55:56], v[65:66]
	s_waitcnt vmcnt(17)
	v_fma_f64 v[55:56], v[81:82], v[57:58], v[55:56]
	s_waitcnt vmcnt(16) lgkmcnt(0)
	v_fma_f64 v[55:56], v[79:80], v[59:60], v[55:56]
	s_waitcnt vmcnt(11)
	v_fma_f64 v[65:66], v[85:86], v[61:62], v[55:56]
	ds_read_b128 v[55:58], v54 offset:368
	;; [unrolled: 10-line block ×3, first 2 shown]
	s_waitcnt vmcnt(3) lgkmcnt(0)
	v_fma_f64 v[54:55], v[95:96], v[54:55], v[58:59]
	s_waitcnt vmcnt(2)
	v_fma_f64 v[54:55], v[93:94], v[56:57], v[54:55]
	s_waitcnt vmcnt(0)
	v_add_f64 v[54:55], v[67:68], -v[54:55]
	buffer_store_dword v55, off, s[0:3], 0 offset:60
	buffer_store_dword v54, off, s[0:3], 0 offset:56
	v_cmpx_lt_u32_e32 6, v0
	s_cbranch_execz .LBB89_153
; %bb.152:
	s_clause 0x1
	buffer_load_dword v54, off, s[0:3], 0 offset:48
	buffer_load_dword v55, off, s[0:3], 0 offset:52
	v_mov_b32_e32 v56, 0
	buffer_store_dword v56, off, s[0:3], 0 offset:48
	buffer_store_dword v56, off, s[0:3], 0 offset:52
	s_waitcnt vmcnt(0)
	ds_write_b64 v53, v[54:55]
.LBB89_153:
	s_or_b32 exec_lo, exec_lo, s4
	s_waitcnt lgkmcnt(0)
	s_waitcnt_vscnt null, 0x0
	s_barrier
	buffer_gl0_inv
	s_clause 0x1c
	buffer_load_dword v63, off, s[0:3], 0 offset:56
	buffer_load_dword v64, off, s[0:3], 0 offset:60
	;; [unrolled: 1-line block ×29, first 2 shown]
	v_mov_b32_e32 v54, 0
	buffer_load_dword v88, off, s[0:3], 0 offset:172
	s_mov_b32 s4, exec_lo
	ds_read2_b64 v[55:58], v54 offset0:33 offset1:34
	ds_read2_b64 v[59:62], v54 offset0:35 offset1:36
	s_waitcnt vmcnt(28) lgkmcnt(1)
	v_fma_f64 v[55:56], v[63:64], v[55:56], 0
	s_clause 0x7
	buffer_load_dword v64, off, s[0:3], 0 offset:180
	buffer_load_dword v93, off, s[0:3], 0 offset:200
	;; [unrolled: 1-line block ×8, first 2 shown]
	s_waitcnt vmcnt(34)
	v_fma_f64 v[55:56], v[65:66], v[57:58], v[55:56]
	s_waitcnt vmcnt(32) lgkmcnt(0)
	v_fma_f64 v[55:56], v[67:68], v[59:60], v[55:56]
	s_waitcnt vmcnt(30)
	v_fma_f64 v[65:66], v[69:70], v[61:62], v[55:56]
	ds_read2_b64 v[55:58], v54 offset0:37 offset1:38
	ds_read2_b64 v[59:62], v54 offset0:39 offset1:40
	s_waitcnt vmcnt(28) lgkmcnt(1)
	v_fma_f64 v[55:56], v[71:72], v[55:56], v[65:66]
	s_clause 0x1
	buffer_load_dword v65, off, s[0:3], 0 offset:48
	buffer_load_dword v66, off, s[0:3], 0 offset:52
	s_waitcnt vmcnt(28)
	v_fma_f64 v[55:56], v[73:74], v[57:58], v[55:56]
	s_waitcnt vmcnt(26) lgkmcnt(0)
	v_fma_f64 v[55:56], v[75:76], v[59:60], v[55:56]
	s_waitcnt vmcnt(21)
	v_fma_f64 v[67:68], v[77:78], v[61:62], v[55:56]
	ds_read2_b64 v[55:58], v54 offset0:41 offset1:42
	ds_read2_b64 v[59:62], v54 offset0:43 offset1:44
	s_waitcnt vmcnt(20) lgkmcnt(1)
	v_fma_f64 v[55:56], v[83:84], v[55:56], v[67:68]
	s_waitcnt vmcnt(19)
	v_fma_f64 v[55:56], v[81:82], v[57:58], v[55:56]
	s_waitcnt vmcnt(18) lgkmcnt(0)
	v_fma_f64 v[55:56], v[79:80], v[59:60], v[55:56]
	s_waitcnt vmcnt(13)
	v_fma_f64 v[67:68], v[85:86], v[61:62], v[55:56]
	ds_read2_b64 v[55:58], v54 offset0:45 offset1:46
	ds_read2_b64 v[59:62], v54 offset0:47 offset1:48
	s_waitcnt vmcnt(12) lgkmcnt(1)
	v_fma_f64 v[55:56], v[91:92], v[55:56], v[67:68]
	s_waitcnt vmcnt(11)
	v_fma_f64 v[55:56], v[89:90], v[57:58], v[55:56]
	s_waitcnt vmcnt(10) lgkmcnt(0)
	v_fma_f64 v[55:56], v[87:88], v[59:60], v[55:56]
	s_waitcnt vmcnt(5)
	v_fma_f64 v[59:60], v[63:64], v[61:62], v[55:56]
	ds_read2_b64 v[55:58], v54 offset0:49 offset1:50
	ds_read_b64 v[61:62], v54 offset:408
	s_waitcnt vmcnt(4) lgkmcnt(1)
	v_fma_f64 v[55:56], v[97:98], v[55:56], v[59:60]
	s_waitcnt vmcnt(3)
	v_fma_f64 v[55:56], v[95:96], v[57:58], v[55:56]
	s_waitcnt vmcnt(2) lgkmcnt(0)
	v_fma_f64 v[55:56], v[93:94], v[61:62], v[55:56]
	s_waitcnt vmcnt(0)
	v_add_f64 v[55:56], v[65:66], -v[55:56]
	buffer_store_dword v56, off, s[0:3], 0 offset:52
	buffer_store_dword v55, off, s[0:3], 0 offset:48
	v_cmpx_lt_u32_e32 5, v0
	s_cbranch_execz .LBB89_155
; %bb.154:
	s_clause 0x1
	buffer_load_dword v55, off, s[0:3], 0 offset:40
	buffer_load_dword v56, off, s[0:3], 0 offset:44
	buffer_store_dword v54, off, s[0:3], 0 offset:40
	buffer_store_dword v54, off, s[0:3], 0 offset:44
	s_waitcnt vmcnt(0)
	ds_write_b64 v53, v[55:56]
.LBB89_155:
	s_or_b32 exec_lo, exec_lo, s4
	s_waitcnt lgkmcnt(0)
	s_waitcnt_vscnt null, 0x0
	s_barrier
	buffer_gl0_inv
	s_clause 0x1c
	buffer_load_dword v63, off, s[0:3], 0 offset:48
	buffer_load_dword v64, off, s[0:3], 0 offset:52
	;; [unrolled: 1-line block ×29, first 2 shown]
	ds_read_b128 v[55:58], v54 offset:256
	ds_read_b128 v[59:62], v54 offset:272
	buffer_load_dword v88, off, s[0:3], 0 offset:164
	s_mov_b32 s4, exec_lo
	s_waitcnt vmcnt(28) lgkmcnt(1)
	v_fma_f64 v[55:56], v[63:64], v[55:56], 0
	s_clause 0x7
	buffer_load_dword v64, off, s[0:3], 0 offset:172
	buffer_load_dword v93, off, s[0:3], 0 offset:192
	buffer_load_dword v95, off, s[0:3], 0 offset:184
	buffer_load_dword v97, off, s[0:3], 0 offset:176
	buffer_load_dword v63, off, s[0:3], 0 offset:168
	buffer_load_dword v98, off, s[0:3], 0 offset:180
	buffer_load_dword v96, off, s[0:3], 0 offset:188
	buffer_load_dword v94, off, s[0:3], 0 offset:196
	s_waitcnt vmcnt(34)
	v_fma_f64 v[55:56], v[65:66], v[57:58], v[55:56]
	s_waitcnt vmcnt(32) lgkmcnt(0)
	v_fma_f64 v[55:56], v[67:68], v[59:60], v[55:56]
	s_waitcnt vmcnt(30)
	v_fma_f64 v[65:66], v[69:70], v[61:62], v[55:56]
	ds_read_b128 v[55:58], v54 offset:288
	ds_read_b128 v[59:62], v54 offset:304
	s_waitcnt vmcnt(28) lgkmcnt(1)
	v_fma_f64 v[55:56], v[71:72], v[55:56], v[65:66]
	s_clause 0x3
	buffer_load_dword v66, off, s[0:3], 0 offset:204
	buffer_load_dword v65, off, s[0:3], 0 offset:200
	;; [unrolled: 1-line block ×4, first 2 shown]
	s_waitcnt vmcnt(30)
	v_fma_f64 v[55:56], v[73:74], v[57:58], v[55:56]
	s_waitcnt vmcnt(28) lgkmcnt(0)
	v_fma_f64 v[55:56], v[75:76], v[59:60], v[55:56]
	s_waitcnt vmcnt(23)
	v_fma_f64 v[69:70], v[77:78], v[61:62], v[55:56]
	ds_read_b128 v[55:58], v54 offset:320
	ds_read_b128 v[59:62], v54 offset:336
	s_waitcnt vmcnt(22) lgkmcnt(1)
	v_fma_f64 v[55:56], v[83:84], v[55:56], v[69:70]
	s_waitcnt vmcnt(21)
	v_fma_f64 v[55:56], v[81:82], v[57:58], v[55:56]
	s_waitcnt vmcnt(20) lgkmcnt(0)
	v_fma_f64 v[55:56], v[79:80], v[59:60], v[55:56]
	s_waitcnt vmcnt(15)
	v_fma_f64 v[69:70], v[85:86], v[61:62], v[55:56]
	ds_read_b128 v[55:58], v54 offset:352
	ds_read_b128 v[59:62], v54 offset:368
	s_waitcnt vmcnt(14) lgkmcnt(1)
	v_fma_f64 v[55:56], v[91:92], v[55:56], v[69:70]
	;; [unrolled: 10-line block ×3, first 2 shown]
	s_waitcnt vmcnt(5)
	v_fma_f64 v[54:55], v[95:96], v[57:58], v[54:55]
	s_waitcnt vmcnt(4) lgkmcnt(0)
	v_fma_f64 v[54:55], v[93:94], v[59:60], v[54:55]
	s_waitcnt vmcnt(2)
	v_fma_f64 v[54:55], v[65:66], v[61:62], v[54:55]
	s_waitcnt vmcnt(0)
	v_add_f64 v[54:55], v[67:68], -v[54:55]
	buffer_store_dword v55, off, s[0:3], 0 offset:44
	buffer_store_dword v54, off, s[0:3], 0 offset:40
	v_cmpx_lt_u32_e32 4, v0
	s_cbranch_execz .LBB89_157
; %bb.156:
	s_clause 0x1
	buffer_load_dword v54, off, s[0:3], 0 offset:32
	buffer_load_dword v55, off, s[0:3], 0 offset:36
	v_mov_b32_e32 v56, 0
	buffer_store_dword v56, off, s[0:3], 0 offset:32
	buffer_store_dword v56, off, s[0:3], 0 offset:36
	s_waitcnt vmcnt(0)
	ds_write_b64 v53, v[54:55]
.LBB89_157:
	s_or_b32 exec_lo, exec_lo, s4
	s_waitcnt lgkmcnt(0)
	s_waitcnt_vscnt null, 0x0
	s_barrier
	buffer_gl0_inv
	s_clause 0x1c
	buffer_load_dword v63, off, s[0:3], 0 offset:40
	buffer_load_dword v64, off, s[0:3], 0 offset:44
	;; [unrolled: 1-line block ×29, first 2 shown]
	v_mov_b32_e32 v54, 0
	buffer_load_dword v88, off, s[0:3], 0 offset:156
	s_mov_b32 s4, exec_lo
	ds_read2_b64 v[55:58], v54 offset0:31 offset1:32
	ds_read2_b64 v[59:62], v54 offset0:33 offset1:34
	s_waitcnt vmcnt(28) lgkmcnt(1)
	v_fma_f64 v[55:56], v[63:64], v[55:56], 0
	s_clause 0x7
	buffer_load_dword v64, off, s[0:3], 0 offset:164
	buffer_load_dword v93, off, s[0:3], 0 offset:184
	;; [unrolled: 1-line block ×8, first 2 shown]
	s_waitcnt vmcnt(34)
	v_fma_f64 v[55:56], v[65:66], v[57:58], v[55:56]
	s_waitcnt vmcnt(32) lgkmcnt(0)
	v_fma_f64 v[55:56], v[67:68], v[59:60], v[55:56]
	s_waitcnt vmcnt(30)
	v_fma_f64 v[65:66], v[69:70], v[61:62], v[55:56]
	ds_read2_b64 v[55:58], v54 offset0:35 offset1:36
	ds_read2_b64 v[59:62], v54 offset0:37 offset1:38
	s_waitcnt vmcnt(28) lgkmcnt(1)
	v_fma_f64 v[55:56], v[71:72], v[55:56], v[65:66]
	s_clause 0x5
	buffer_load_dword v66, off, s[0:3], 0 offset:196
	buffer_load_dword v67, off, s[0:3], 0 offset:200
	;; [unrolled: 1-line block ×6, first 2 shown]
	s_waitcnt vmcnt(32)
	v_fma_f64 v[55:56], v[73:74], v[57:58], v[55:56]
	s_waitcnt vmcnt(30) lgkmcnt(0)
	v_fma_f64 v[55:56], v[75:76], v[59:60], v[55:56]
	s_waitcnt vmcnt(25)
	v_fma_f64 v[71:72], v[77:78], v[61:62], v[55:56]
	ds_read2_b64 v[55:58], v54 offset0:39 offset1:40
	ds_read2_b64 v[59:62], v54 offset0:41 offset1:42
	s_waitcnt vmcnt(24) lgkmcnt(1)
	v_fma_f64 v[55:56], v[83:84], v[55:56], v[71:72]
	s_waitcnt vmcnt(23)
	v_fma_f64 v[55:56], v[81:82], v[57:58], v[55:56]
	s_waitcnt vmcnt(22) lgkmcnt(0)
	v_fma_f64 v[55:56], v[79:80], v[59:60], v[55:56]
	s_waitcnt vmcnt(17)
	v_fma_f64 v[71:72], v[85:86], v[61:62], v[55:56]
	ds_read2_b64 v[55:58], v54 offset0:43 offset1:44
	ds_read2_b64 v[59:62], v54 offset0:45 offset1:46
	s_waitcnt vmcnt(16) lgkmcnt(1)
	v_fma_f64 v[55:56], v[91:92], v[55:56], v[71:72]
	;; [unrolled: 10-line block ×3, first 2 shown]
	s_waitcnt vmcnt(7)
	v_fma_f64 v[55:56], v[95:96], v[57:58], v[55:56]
	ds_read_b64 v[57:58], v54 offset:408
	s_waitcnt vmcnt(6) lgkmcnt(1)
	v_fma_f64 v[55:56], v[93:94], v[59:60], v[55:56]
	s_waitcnt vmcnt(3)
	v_fma_f64 v[55:56], v[65:66], v[61:62], v[55:56]
	s_waitcnt vmcnt(2) lgkmcnt(0)
	v_fma_f64 v[55:56], v[67:68], v[57:58], v[55:56]
	s_waitcnt vmcnt(0)
	v_add_f64 v[55:56], v[69:70], -v[55:56]
	buffer_store_dword v56, off, s[0:3], 0 offset:36
	buffer_store_dword v55, off, s[0:3], 0 offset:32
	v_cmpx_lt_u32_e32 3, v0
	s_cbranch_execz .LBB89_159
; %bb.158:
	s_clause 0x1
	buffer_load_dword v55, off, s[0:3], 0 offset:24
	buffer_load_dword v56, off, s[0:3], 0 offset:28
	buffer_store_dword v54, off, s[0:3], 0 offset:24
	buffer_store_dword v54, off, s[0:3], 0 offset:28
	s_waitcnt vmcnt(0)
	ds_write_b64 v53, v[55:56]
.LBB89_159:
	s_or_b32 exec_lo, exec_lo, s4
	s_waitcnt lgkmcnt(0)
	s_waitcnt_vscnt null, 0x0
	s_barrier
	buffer_gl0_inv
	s_clause 0x1c
	buffer_load_dword v63, off, s[0:3], 0 offset:32
	buffer_load_dword v64, off, s[0:3], 0 offset:36
	;; [unrolled: 1-line block ×29, first 2 shown]
	ds_read_b128 v[55:58], v54 offset:240
	ds_read_b128 v[59:62], v54 offset:256
	buffer_load_dword v88, off, s[0:3], 0 offset:148
	s_mov_b32 s4, exec_lo
	s_waitcnt vmcnt(28) lgkmcnt(1)
	v_fma_f64 v[55:56], v[63:64], v[55:56], 0
	s_clause 0x7
	buffer_load_dword v64, off, s[0:3], 0 offset:156
	buffer_load_dword v93, off, s[0:3], 0 offset:176
	;; [unrolled: 1-line block ×8, first 2 shown]
	s_waitcnt vmcnt(34)
	v_fma_f64 v[55:56], v[65:66], v[57:58], v[55:56]
	s_waitcnt vmcnt(32) lgkmcnt(0)
	v_fma_f64 v[55:56], v[67:68], v[59:60], v[55:56]
	s_waitcnt vmcnt(30)
	v_fma_f64 v[65:66], v[69:70], v[61:62], v[55:56]
	ds_read_b128 v[55:58], v54 offset:272
	ds_read_b128 v[59:62], v54 offset:288
	s_waitcnt vmcnt(28) lgkmcnt(1)
	v_fma_f64 v[55:56], v[71:72], v[55:56], v[65:66]
	s_clause 0x5
	buffer_load_dword v66, off, s[0:3], 0 offset:188
	buffer_load_dword v67, off, s[0:3], 0 offset:200
	;; [unrolled: 1-line block ×6, first 2 shown]
	s_waitcnt vmcnt(32)
	v_fma_f64 v[55:56], v[73:74], v[57:58], v[55:56]
	s_waitcnt vmcnt(30) lgkmcnt(0)
	v_fma_f64 v[55:56], v[75:76], v[59:60], v[55:56]
	s_waitcnt vmcnt(25)
	v_fma_f64 v[71:72], v[77:78], v[61:62], v[55:56]
	ds_read_b128 v[55:58], v54 offset:304
	s_clause 0x1
	buffer_load_dword v73, off, s[0:3], 0 offset:24
	buffer_load_dword v74, off, s[0:3], 0 offset:28
	ds_read_b128 v[59:62], v54 offset:320
	s_waitcnt vmcnt(26) lgkmcnt(1)
	v_fma_f64 v[55:56], v[83:84], v[55:56], v[71:72]
	s_waitcnt vmcnt(25)
	v_fma_f64 v[55:56], v[81:82], v[57:58], v[55:56]
	s_waitcnt vmcnt(24) lgkmcnt(0)
	v_fma_f64 v[55:56], v[79:80], v[59:60], v[55:56]
	s_waitcnt vmcnt(19)
	v_fma_f64 v[71:72], v[85:86], v[61:62], v[55:56]
	ds_read_b128 v[55:58], v54 offset:336
	ds_read_b128 v[59:62], v54 offset:352
	s_waitcnt vmcnt(18) lgkmcnt(1)
	v_fma_f64 v[55:56], v[91:92], v[55:56], v[71:72]
	s_waitcnt vmcnt(17)
	v_fma_f64 v[55:56], v[89:90], v[57:58], v[55:56]
	s_waitcnt vmcnt(16) lgkmcnt(0)
	v_fma_f64 v[55:56], v[87:88], v[59:60], v[55:56]
	s_waitcnt vmcnt(11)
	v_fma_f64 v[63:64], v[63:64], v[61:62], v[55:56]
	ds_read_b128 v[55:58], v54 offset:368
	;; [unrolled: 10-line block ×3, first 2 shown]
	s_waitcnt vmcnt(3) lgkmcnt(0)
	v_fma_f64 v[54:55], v[69:70], v[54:55], v[58:59]
	s_waitcnt vmcnt(2)
	v_fma_f64 v[54:55], v[67:68], v[56:57], v[54:55]
	s_waitcnt vmcnt(0)
	v_add_f64 v[54:55], v[73:74], -v[54:55]
	buffer_store_dword v55, off, s[0:3], 0 offset:28
	buffer_store_dword v54, off, s[0:3], 0 offset:24
	v_cmpx_lt_u32_e32 2, v0
	s_cbranch_execz .LBB89_161
; %bb.160:
	s_clause 0x1
	buffer_load_dword v54, off, s[0:3], 0 offset:16
	buffer_load_dword v55, off, s[0:3], 0 offset:20
	v_mov_b32_e32 v56, 0
	buffer_store_dword v56, off, s[0:3], 0 offset:16
	buffer_store_dword v56, off, s[0:3], 0 offset:20
	s_waitcnt vmcnt(0)
	ds_write_b64 v53, v[54:55]
.LBB89_161:
	s_or_b32 exec_lo, exec_lo, s4
	s_waitcnt lgkmcnt(0)
	s_waitcnt_vscnt null, 0x0
	s_barrier
	buffer_gl0_inv
	s_clause 0x1c
	buffer_load_dword v63, off, s[0:3], 0 offset:24
	buffer_load_dword v64, off, s[0:3], 0 offset:28
	;; [unrolled: 1-line block ×29, first 2 shown]
	v_mov_b32_e32 v54, 0
	buffer_load_dword v88, off, s[0:3], 0 offset:140
	s_mov_b32 s4, exec_lo
	ds_read2_b64 v[55:58], v54 offset0:29 offset1:30
	ds_read2_b64 v[59:62], v54 offset0:31 offset1:32
	s_waitcnt vmcnt(28) lgkmcnt(1)
	v_fma_f64 v[55:56], v[63:64], v[55:56], 0
	s_clause 0x7
	buffer_load_dword v64, off, s[0:3], 0 offset:148
	buffer_load_dword v93, off, s[0:3], 0 offset:168
	;; [unrolled: 1-line block ×8, first 2 shown]
	s_waitcnt vmcnt(34)
	v_fma_f64 v[55:56], v[65:66], v[57:58], v[55:56]
	s_waitcnt vmcnt(32) lgkmcnt(0)
	v_fma_f64 v[55:56], v[67:68], v[59:60], v[55:56]
	s_waitcnt vmcnt(30)
	v_fma_f64 v[65:66], v[69:70], v[61:62], v[55:56]
	ds_read2_b64 v[55:58], v54 offset0:33 offset1:34
	ds_read2_b64 v[59:62], v54 offset0:35 offset1:36
	s_waitcnt vmcnt(28) lgkmcnt(1)
	v_fma_f64 v[55:56], v[71:72], v[55:56], v[65:66]
	s_clause 0x7
	buffer_load_dword v66, off, s[0:3], 0 offset:180
	buffer_load_dword v67, off, s[0:3], 0 offset:200
	;; [unrolled: 1-line block ×8, first 2 shown]
	s_waitcnt vmcnt(34)
	v_fma_f64 v[55:56], v[73:74], v[57:58], v[55:56]
	s_waitcnt vmcnt(32) lgkmcnt(0)
	v_fma_f64 v[55:56], v[75:76], v[59:60], v[55:56]
	s_waitcnt vmcnt(27)
	v_fma_f64 v[73:74], v[77:78], v[61:62], v[55:56]
	ds_read2_b64 v[55:58], v54 offset0:37 offset1:38
	ds_read2_b64 v[59:62], v54 offset0:39 offset1:40
	s_waitcnt vmcnt(26) lgkmcnt(1)
	v_fma_f64 v[55:56], v[83:84], v[55:56], v[73:74]
	s_clause 0x1
	buffer_load_dword v73, off, s[0:3], 0 offset:16
	buffer_load_dword v74, off, s[0:3], 0 offset:20
	s_waitcnt vmcnt(27)
	v_fma_f64 v[55:56], v[81:82], v[57:58], v[55:56]
	s_waitcnt vmcnt(26) lgkmcnt(0)
	v_fma_f64 v[55:56], v[79:80], v[59:60], v[55:56]
	s_waitcnt vmcnt(21)
	v_fma_f64 v[75:76], v[85:86], v[61:62], v[55:56]
	ds_read2_b64 v[55:58], v54 offset0:41 offset1:42
	ds_read2_b64 v[59:62], v54 offset0:43 offset1:44
	s_waitcnt vmcnt(20) lgkmcnt(1)
	v_fma_f64 v[55:56], v[91:92], v[55:56], v[75:76]
	s_waitcnt vmcnt(19)
	v_fma_f64 v[55:56], v[89:90], v[57:58], v[55:56]
	s_waitcnt vmcnt(18) lgkmcnt(0)
	v_fma_f64 v[55:56], v[87:88], v[59:60], v[55:56]
	s_waitcnt vmcnt(13)
	v_fma_f64 v[63:64], v[63:64], v[61:62], v[55:56]
	ds_read2_b64 v[55:58], v54 offset0:45 offset1:46
	ds_read2_b64 v[59:62], v54 offset0:47 offset1:48
	s_waitcnt vmcnt(12) lgkmcnt(1)
	v_fma_f64 v[55:56], v[97:98], v[55:56], v[63:64]
	s_waitcnt vmcnt(11)
	v_fma_f64 v[55:56], v[95:96], v[57:58], v[55:56]
	s_waitcnt vmcnt(10) lgkmcnt(0)
	v_fma_f64 v[55:56], v[93:94], v[59:60], v[55:56]
	s_waitcnt vmcnt(5)
	v_fma_f64 v[59:60], v[65:66], v[61:62], v[55:56]
	ds_read2_b64 v[55:58], v54 offset0:49 offset1:50
	ds_read_b64 v[61:62], v54 offset:408
	s_waitcnt vmcnt(4) lgkmcnt(1)
	v_fma_f64 v[55:56], v[71:72], v[55:56], v[59:60]
	s_waitcnt vmcnt(3)
	v_fma_f64 v[55:56], v[69:70], v[57:58], v[55:56]
	s_waitcnt vmcnt(2) lgkmcnt(0)
	v_fma_f64 v[55:56], v[67:68], v[61:62], v[55:56]
	s_waitcnt vmcnt(0)
	v_add_f64 v[55:56], v[73:74], -v[55:56]
	buffer_store_dword v56, off, s[0:3], 0 offset:20
	buffer_store_dword v55, off, s[0:3], 0 offset:16
	v_cmpx_lt_u32_e32 1, v0
	s_cbranch_execz .LBB89_163
; %bb.162:
	s_clause 0x1
	buffer_load_dword v55, off, s[0:3], 0 offset:8
	buffer_load_dword v56, off, s[0:3], 0 offset:12
	buffer_store_dword v54, off, s[0:3], 0 offset:8
	buffer_store_dword v54, off, s[0:3], 0 offset:12
	s_waitcnt vmcnt(0)
	ds_write_b64 v53, v[55:56]
.LBB89_163:
	s_or_b32 exec_lo, exec_lo, s4
	s_waitcnt lgkmcnt(0)
	s_waitcnt_vscnt null, 0x0
	s_barrier
	buffer_gl0_inv
	s_clause 0x1c
	buffer_load_dword v63, off, s[0:3], 0 offset:16
	buffer_load_dword v64, off, s[0:3], 0 offset:20
	;; [unrolled: 1-line block ×29, first 2 shown]
	ds_read_b128 v[55:58], v54 offset:224
	ds_read_b128 v[59:62], v54 offset:240
	buffer_load_dword v88, off, s[0:3], 0 offset:132
	s_mov_b32 s4, exec_lo
	s_waitcnt vmcnt(28) lgkmcnt(1)
	v_fma_f64 v[55:56], v[63:64], v[55:56], 0
	s_clause 0x7
	buffer_load_dword v64, off, s[0:3], 0 offset:140
	buffer_load_dword v93, off, s[0:3], 0 offset:160
	;; [unrolled: 1-line block ×8, first 2 shown]
	s_waitcnt vmcnt(34)
	v_fma_f64 v[55:56], v[65:66], v[57:58], v[55:56]
	s_waitcnt vmcnt(32) lgkmcnt(0)
	v_fma_f64 v[55:56], v[67:68], v[59:60], v[55:56]
	s_waitcnt vmcnt(30)
	v_fma_f64 v[65:66], v[69:70], v[61:62], v[55:56]
	ds_read_b128 v[55:58], v54 offset:256
	ds_read_b128 v[59:62], v54 offset:272
	s_waitcnt vmcnt(28) lgkmcnt(1)
	v_fma_f64 v[55:56], v[71:72], v[55:56], v[65:66]
	s_clause 0x7
	buffer_load_dword v66, off, s[0:3], 0 offset:172
	buffer_load_dword v67, off, s[0:3], 0 offset:192
	;; [unrolled: 1-line block ×8, first 2 shown]
	s_waitcnt vmcnt(34)
	v_fma_f64 v[55:56], v[73:74], v[57:58], v[55:56]
	s_waitcnt vmcnt(32) lgkmcnt(0)
	v_fma_f64 v[55:56], v[75:76], v[59:60], v[55:56]
	s_waitcnt vmcnt(27)
	v_fma_f64 v[73:74], v[77:78], v[61:62], v[55:56]
	ds_read_b128 v[55:58], v54 offset:288
	ds_read_b128 v[59:62], v54 offset:304
	s_waitcnt vmcnt(26) lgkmcnt(1)
	v_fma_f64 v[55:56], v[83:84], v[55:56], v[73:74]
	s_clause 0x3
	buffer_load_dword v74, off, s[0:3], 0 offset:204
	buffer_load_dword v73, off, s[0:3], 0 offset:200
	;; [unrolled: 1-line block ×4, first 2 shown]
	s_waitcnt vmcnt(29)
	v_fma_f64 v[55:56], v[81:82], v[57:58], v[55:56]
	s_waitcnt vmcnt(28) lgkmcnt(0)
	v_fma_f64 v[55:56], v[79:80], v[59:60], v[55:56]
	s_waitcnt vmcnt(23)
	v_fma_f64 v[77:78], v[85:86], v[61:62], v[55:56]
	ds_read_b128 v[55:58], v54 offset:320
	ds_read_b128 v[59:62], v54 offset:336
	s_waitcnt vmcnt(22) lgkmcnt(1)
	v_fma_f64 v[55:56], v[91:92], v[55:56], v[77:78]
	s_waitcnt vmcnt(21)
	v_fma_f64 v[55:56], v[89:90], v[57:58], v[55:56]
	s_waitcnt vmcnt(20) lgkmcnt(0)
	v_fma_f64 v[55:56], v[87:88], v[59:60], v[55:56]
	s_waitcnt vmcnt(15)
	v_fma_f64 v[63:64], v[63:64], v[61:62], v[55:56]
	ds_read_b128 v[55:58], v54 offset:352
	ds_read_b128 v[59:62], v54 offset:368
	s_waitcnt vmcnt(14) lgkmcnt(1)
	v_fma_f64 v[55:56], v[97:98], v[55:56], v[63:64]
	;; [unrolled: 10-line block ×3, first 2 shown]
	s_waitcnt vmcnt(5)
	v_fma_f64 v[54:55], v[69:70], v[57:58], v[54:55]
	s_waitcnt vmcnt(4) lgkmcnt(0)
	v_fma_f64 v[54:55], v[67:68], v[59:60], v[54:55]
	s_waitcnt vmcnt(2)
	v_fma_f64 v[54:55], v[73:74], v[61:62], v[54:55]
	s_waitcnt vmcnt(0)
	v_add_f64 v[54:55], v[75:76], -v[54:55]
	buffer_store_dword v55, off, s[0:3], 0 offset:12
	buffer_store_dword v54, off, s[0:3], 0 offset:8
	v_cmpx_ne_u32_e32 0, v0
	s_cbranch_execz .LBB89_165
; %bb.164:
	s_clause 0x1
	buffer_load_dword v54, off, s[0:3], 0
	buffer_load_dword v55, off, s[0:3], 0 offset:4
	v_mov_b32_e32 v0, 0
	buffer_store_dword v0, off, s[0:3], 0
	buffer_store_dword v0, off, s[0:3], 0 offset:4
	s_waitcnt vmcnt(0)
	ds_write_b64 v53, v[54:55]
.LBB89_165:
	s_or_b32 exec_lo, exec_lo, s4
	s_waitcnt lgkmcnt(0)
	s_waitcnt_vscnt null, 0x0
	s_barrier
	buffer_gl0_inv
	s_clause 0x1c
	buffer_load_dword v61, off, s[0:3], 0 offset:8
	buffer_load_dword v62, off, s[0:3], 0 offset:12
	;; [unrolled: 1-line block ×29, first 2 shown]
	v_mov_b32_e32 v0, 0
	buffer_load_dword v86, off, s[0:3], 0 offset:124
	s_and_b32 vcc_lo, exec_lo, s16
	ds_read2_b64 v[53:56], v0 offset0:27 offset1:28
	ds_read2_b64 v[57:60], v0 offset0:29 offset1:30
	s_clause 0x7
	buffer_load_dword v92, off, s[0:3], 0 offset:132
	buffer_load_dword v93, off, s[0:3], 0 offset:152
	;; [unrolled: 1-line block ×8, first 2 shown]
	s_waitcnt vmcnt(36) lgkmcnt(1)
	v_fma_f64 v[53:54], v[61:62], v[53:54], 0
	s_waitcnt vmcnt(34)
	v_fma_f64 v[53:54], v[63:64], v[55:56], v[53:54]
	s_waitcnt vmcnt(32) lgkmcnt(0)
	v_fma_f64 v[53:54], v[65:66], v[57:58], v[53:54]
	s_waitcnt vmcnt(30)
	v_fma_f64 v[61:62], v[67:68], v[59:60], v[53:54]
	ds_read2_b64 v[53:56], v0 offset0:31 offset1:32
	ds_read2_b64 v[57:60], v0 offset0:33 offset1:34
	s_waitcnt vmcnt(28) lgkmcnt(1)
	v_fma_f64 v[53:54], v[69:70], v[53:54], v[61:62]
	s_clause 0x7
	buffer_load_dword v64, off, s[0:3], 0 offset:164
	buffer_load_dword v65, off, s[0:3], 0 offset:184
	;; [unrolled: 1-line block ×8, first 2 shown]
	s_waitcnt vmcnt(34)
	v_fma_f64 v[53:54], v[71:72], v[55:56], v[53:54]
	s_waitcnt vmcnt(32) lgkmcnt(0)
	v_fma_f64 v[53:54], v[73:74], v[57:58], v[53:54]
	s_waitcnt vmcnt(27)
	v_fma_f64 v[61:62], v[75:76], v[59:60], v[53:54]
	ds_read2_b64 v[53:56], v0 offset0:35 offset1:36
	ds_read2_b64 v[57:60], v0 offset0:37 offset1:38
	s_waitcnt vmcnt(26) lgkmcnt(1)
	v_fma_f64 v[61:62], v[81:82], v[53:54], v[61:62]
	s_clause 0x5
	buffer_load_dword v54, off, s[0:3], 0 offset:196
	buffer_load_dword v71, off, s[0:3], 0 offset:200
	;; [unrolled: 1-line block ×4, first 2 shown]
	buffer_load_dword v73, off, s[0:3], 0
	buffer_load_dword v74, off, s[0:3], 0 offset:4
	s_waitcnt vmcnt(31)
	v_fma_f64 v[55:56], v[79:80], v[55:56], v[61:62]
	s_waitcnt vmcnt(30) lgkmcnt(0)
	v_fma_f64 v[55:56], v[77:78], v[57:58], v[55:56]
	s_waitcnt vmcnt(25)
	v_fma_f64 v[75:76], v[83:84], v[59:60], v[55:56]
	ds_read2_b64 v[55:58], v0 offset0:39 offset1:40
	ds_read2_b64 v[59:62], v0 offset0:41 offset1:42
	s_waitcnt vmcnt(24) lgkmcnt(1)
	v_fma_f64 v[55:56], v[89:90], v[55:56], v[75:76]
	s_waitcnt vmcnt(23)
	v_fma_f64 v[55:56], v[87:88], v[57:58], v[55:56]
	s_waitcnt vmcnt(22) lgkmcnt(0)
	v_fma_f64 v[55:56], v[85:86], v[59:60], v[55:56]
	s_waitcnt vmcnt(17)
	v_fma_f64 v[75:76], v[91:92], v[61:62], v[55:56]
	ds_read2_b64 v[55:58], v0 offset0:43 offset1:44
	ds_read2_b64 v[59:62], v0 offset0:45 offset1:46
	s_waitcnt vmcnt(16) lgkmcnt(1)
	v_fma_f64 v[55:56], v[97:98], v[55:56], v[75:76]
	;; [unrolled: 10-line block ×3, first 2 shown]
	s_waitcnt vmcnt(7)
	v_fma_f64 v[55:56], v[67:68], v[57:58], v[55:56]
	ds_read_b64 v[57:58], v0 offset:408
	s_waitcnt vmcnt(6) lgkmcnt(1)
	v_fma_f64 v[55:56], v[65:66], v[59:60], v[55:56]
	s_waitcnt vmcnt(3)
	v_fma_f64 v[55:56], v[53:54], v[61:62], v[55:56]
	s_waitcnt vmcnt(2) lgkmcnt(0)
	v_fma_f64 v[55:56], v[71:72], v[57:58], v[55:56]
	s_waitcnt vmcnt(0)
	v_add_f64 v[55:56], v[73:74], -v[55:56]
	buffer_store_dword v56, off, s[0:3], 0 offset:4
	buffer_store_dword v55, off, s[0:3], 0
	s_cbranch_vccz .LBB89_216
; %bb.166:
	global_load_dword v0, v0, s[12:13] offset:96
	s_waitcnt vmcnt(0)
	v_add_nc_u32_e32 v0, -1, v0
	v_cmp_ne_u32_e32 vcc_lo, 24, v0
	s_cbranch_vccz .LBB89_168
; %bb.167:
	v_lshlrev_b32_e32 v0, 3, v0
	s_clause 0x1
	buffer_load_dword v55, v0, s[0:3], 0 offen offset:4
	buffer_load_dword v56, v0, s[0:3], 0 offen
	s_waitcnt vmcnt(1)
	buffer_store_dword v55, off, s[0:3], 0 offset:196
	s_waitcnt vmcnt(0)
	buffer_store_dword v56, off, s[0:3], 0 offset:192
	buffer_store_dword v54, v0, s[0:3], 0 offen offset:4
	buffer_store_dword v53, v0, s[0:3], 0 offen
.LBB89_168:
	v_mov_b32_e32 v0, 0
	global_load_dword v53, v0, s[12:13] offset:92
	s_waitcnt vmcnt(0)
	v_add_nc_u32_e32 v53, -1, v53
	v_cmp_eq_u32_e32 vcc_lo, 23, v53
	s_cbranch_vccnz .LBB89_170
; %bb.169:
	v_lshlrev_b32_e32 v53, 3, v53
	s_clause 0x3
	buffer_load_dword v54, v53, s[0:3], 0 offen
	buffer_load_dword v55, v53, s[0:3], 0 offen offset:4
	buffer_load_dword v56, off, s[0:3], 0 offset:184
	buffer_load_dword v57, off, s[0:3], 0 offset:188
	s_waitcnt vmcnt(3)
	buffer_store_dword v54, off, s[0:3], 0 offset:184
	s_waitcnt vmcnt(2)
	buffer_store_dword v55, off, s[0:3], 0 offset:188
	s_waitcnt vmcnt(1)
	buffer_store_dword v56, v53, s[0:3], 0 offen
	s_waitcnt vmcnt(0)
	buffer_store_dword v57, v53, s[0:3], 0 offen offset:4
.LBB89_170:
	global_load_dword v0, v0, s[12:13] offset:88
	s_waitcnt vmcnt(0)
	v_add_nc_u32_e32 v0, -1, v0
	v_cmp_eq_u32_e32 vcc_lo, 22, v0
	s_cbranch_vccnz .LBB89_172
; %bb.171:
	v_lshlrev_b32_e32 v0, 3, v0
	s_clause 0x3
	buffer_load_dword v53, v0, s[0:3], 0 offen
	buffer_load_dword v54, v0, s[0:3], 0 offen offset:4
	buffer_load_dword v55, off, s[0:3], 0 offset:180
	buffer_load_dword v56, off, s[0:3], 0 offset:176
	s_waitcnt vmcnt(3)
	buffer_store_dword v53, off, s[0:3], 0 offset:176
	s_waitcnt vmcnt(2)
	buffer_store_dword v54, off, s[0:3], 0 offset:180
	s_waitcnt vmcnt(1)
	buffer_store_dword v55, v0, s[0:3], 0 offen offset:4
	s_waitcnt vmcnt(0)
	buffer_store_dword v56, v0, s[0:3], 0 offen
.LBB89_172:
	v_mov_b32_e32 v0, 0
	global_load_dword v53, v0, s[12:13] offset:84
	s_waitcnt vmcnt(0)
	v_add_nc_u32_e32 v53, -1, v53
	v_cmp_eq_u32_e32 vcc_lo, 21, v53
	s_cbranch_vccnz .LBB89_174
; %bb.173:
	v_lshlrev_b32_e32 v53, 3, v53
	s_clause 0x3
	buffer_load_dword v54, v53, s[0:3], 0 offen
	buffer_load_dword v55, v53, s[0:3], 0 offen offset:4
	buffer_load_dword v56, off, s[0:3], 0 offset:168
	buffer_load_dword v57, off, s[0:3], 0 offset:172
	s_waitcnt vmcnt(3)
	buffer_store_dword v54, off, s[0:3], 0 offset:168
	s_waitcnt vmcnt(2)
	buffer_store_dword v55, off, s[0:3], 0 offset:172
	s_waitcnt vmcnt(1)
	buffer_store_dword v56, v53, s[0:3], 0 offen
	s_waitcnt vmcnt(0)
	buffer_store_dword v57, v53, s[0:3], 0 offen offset:4
.LBB89_174:
	global_load_dword v0, v0, s[12:13] offset:80
	s_waitcnt vmcnt(0)
	v_add_nc_u32_e32 v0, -1, v0
	v_cmp_eq_u32_e32 vcc_lo, 20, v0
	s_cbranch_vccnz .LBB89_176
; %bb.175:
	v_lshlrev_b32_e32 v0, 3, v0
	s_clause 0x3
	buffer_load_dword v53, v0, s[0:3], 0 offen
	buffer_load_dword v54, v0, s[0:3], 0 offen offset:4
	buffer_load_dword v55, off, s[0:3], 0 offset:164
	buffer_load_dword v56, off, s[0:3], 0 offset:160
	s_waitcnt vmcnt(3)
	buffer_store_dword v53, off, s[0:3], 0 offset:160
	s_waitcnt vmcnt(2)
	buffer_store_dword v54, off, s[0:3], 0 offset:164
	s_waitcnt vmcnt(1)
	buffer_store_dword v55, v0, s[0:3], 0 offen offset:4
	s_waitcnt vmcnt(0)
	buffer_store_dword v56, v0, s[0:3], 0 offen
.LBB89_176:
	;; [unrolled: 43-line block ×11, first 2 shown]
	v_mov_b32_e32 v0, 0
	global_load_dword v53, v0, s[12:13] offset:4
	s_waitcnt vmcnt(0)
	v_add_nc_u32_e32 v53, -1, v53
	v_cmp_eq_u32_e32 vcc_lo, 1, v53
	s_cbranch_vccnz .LBB89_214
; %bb.213:
	v_lshlrev_b32_e32 v53, 3, v53
	s_clause 0x3
	buffer_load_dword v54, v53, s[0:3], 0 offen
	buffer_load_dword v55, v53, s[0:3], 0 offen offset:4
	buffer_load_dword v56, off, s[0:3], 0 offset:8
	buffer_load_dword v57, off, s[0:3], 0 offset:12
	s_waitcnt vmcnt(3)
	buffer_store_dword v54, off, s[0:3], 0 offset:8
	s_waitcnt vmcnt(2)
	buffer_store_dword v55, off, s[0:3], 0 offset:12
	s_waitcnt vmcnt(1)
	buffer_store_dword v56, v53, s[0:3], 0 offen
	s_waitcnt vmcnt(0)
	buffer_store_dword v57, v53, s[0:3], 0 offen offset:4
.LBB89_214:
	global_load_dword v0, v0, s[12:13]
	s_clause 0x1
	buffer_load_dword v55, off, s[0:3], 0
	buffer_load_dword v56, off, s[0:3], 0 offset:4
	s_waitcnt vmcnt(2)
	v_add_nc_u32_e32 v0, -1, v0
	v_cmp_eq_u32_e32 vcc_lo, 0, v0
	s_cbranch_vccnz .LBB89_216
; %bb.215:
	v_lshlrev_b32_e32 v0, 3, v0
	s_clause 0x1
	buffer_load_dword v53, v0, s[0:3], 0 offen offset:4
	buffer_load_dword v54, v0, s[0:3], 0 offen
	s_waitcnt vmcnt(1)
	buffer_store_dword v53, off, s[0:3], 0 offset:4
	s_waitcnt vmcnt(0)
	buffer_store_dword v54, off, s[0:3], 0
	buffer_store_dword v56, v0, s[0:3], 0 offen offset:4
	buffer_store_dword v55, v0, s[0:3], 0 offen
	s_clause 0x1
	buffer_load_dword v55, off, s[0:3], 0
	buffer_load_dword v56, off, s[0:3], 0 offset:4
.LBB89_216:
	s_waitcnt vmcnt(0)
	flat_store_dwordx2 v[1:2], v[55:56]
	s_clause 0x1
	buffer_load_dword v0, off, s[0:3], 0 offset:8
	buffer_load_dword v1, off, s[0:3], 0 offset:12
	s_waitcnt vmcnt(0)
	flat_store_dwordx2 v[3:4], v[0:1]
	s_clause 0x1
	buffer_load_dword v0, off, s[0:3], 0 offset:16
	buffer_load_dword v1, off, s[0:3], 0 offset:20
	;; [unrolled: 5-line block ×25, first 2 shown]
	s_waitcnt vmcnt(0)
	flat_store_dwordx2 v[51:52], v[0:1]
	s_endpgm
	.section	.rodata,"a",@progbits
	.p2align	6, 0x0
	.amdhsa_kernel _ZN9rocsolver6v33100L18getri_kernel_smallILi26EdPKPdEEvT1_iilPiilS6_bb
		.amdhsa_group_segment_fixed_size 424
		.amdhsa_private_segment_fixed_size 224
		.amdhsa_kernarg_size 60
		.amdhsa_user_sgpr_count 6
		.amdhsa_user_sgpr_private_segment_buffer 1
		.amdhsa_user_sgpr_dispatch_ptr 0
		.amdhsa_user_sgpr_queue_ptr 0
		.amdhsa_user_sgpr_kernarg_segment_ptr 1
		.amdhsa_user_sgpr_dispatch_id 0
		.amdhsa_user_sgpr_flat_scratch_init 0
		.amdhsa_user_sgpr_private_segment_size 0
		.amdhsa_wavefront_size32 1
		.amdhsa_uses_dynamic_stack 0
		.amdhsa_system_sgpr_private_segment_wavefront_offset 1
		.amdhsa_system_sgpr_workgroup_id_x 1
		.amdhsa_system_sgpr_workgroup_id_y 0
		.amdhsa_system_sgpr_workgroup_id_z 0
		.amdhsa_system_sgpr_workgroup_info 0
		.amdhsa_system_vgpr_workitem_id 0
		.amdhsa_next_free_vgpr 99
		.amdhsa_next_free_sgpr 20
		.amdhsa_reserve_vcc 1
		.amdhsa_reserve_flat_scratch 0
		.amdhsa_float_round_mode_32 0
		.amdhsa_float_round_mode_16_64 0
		.amdhsa_float_denorm_mode_32 3
		.amdhsa_float_denorm_mode_16_64 3
		.amdhsa_dx10_clamp 1
		.amdhsa_ieee_mode 1
		.amdhsa_fp16_overflow 0
		.amdhsa_workgroup_processor_mode 1
		.amdhsa_memory_ordered 1
		.amdhsa_forward_progress 1
		.amdhsa_shared_vgpr_count 0
		.amdhsa_exception_fp_ieee_invalid_op 0
		.amdhsa_exception_fp_denorm_src 0
		.amdhsa_exception_fp_ieee_div_zero 0
		.amdhsa_exception_fp_ieee_overflow 0
		.amdhsa_exception_fp_ieee_underflow 0
		.amdhsa_exception_fp_ieee_inexact 0
		.amdhsa_exception_int_div_zero 0
	.end_amdhsa_kernel
	.section	.text._ZN9rocsolver6v33100L18getri_kernel_smallILi26EdPKPdEEvT1_iilPiilS6_bb,"axG",@progbits,_ZN9rocsolver6v33100L18getri_kernel_smallILi26EdPKPdEEvT1_iilPiilS6_bb,comdat
.Lfunc_end89:
	.size	_ZN9rocsolver6v33100L18getri_kernel_smallILi26EdPKPdEEvT1_iilPiilS6_bb, .Lfunc_end89-_ZN9rocsolver6v33100L18getri_kernel_smallILi26EdPKPdEEvT1_iilPiilS6_bb
                                        ; -- End function
	.set _ZN9rocsolver6v33100L18getri_kernel_smallILi26EdPKPdEEvT1_iilPiilS6_bb.num_vgpr, 99
	.set _ZN9rocsolver6v33100L18getri_kernel_smallILi26EdPKPdEEvT1_iilPiilS6_bb.num_agpr, 0
	.set _ZN9rocsolver6v33100L18getri_kernel_smallILi26EdPKPdEEvT1_iilPiilS6_bb.numbered_sgpr, 20
	.set _ZN9rocsolver6v33100L18getri_kernel_smallILi26EdPKPdEEvT1_iilPiilS6_bb.num_named_barrier, 0
	.set _ZN9rocsolver6v33100L18getri_kernel_smallILi26EdPKPdEEvT1_iilPiilS6_bb.private_seg_size, 224
	.set _ZN9rocsolver6v33100L18getri_kernel_smallILi26EdPKPdEEvT1_iilPiilS6_bb.uses_vcc, 1
	.set _ZN9rocsolver6v33100L18getri_kernel_smallILi26EdPKPdEEvT1_iilPiilS6_bb.uses_flat_scratch, 0
	.set _ZN9rocsolver6v33100L18getri_kernel_smallILi26EdPKPdEEvT1_iilPiilS6_bb.has_dyn_sized_stack, 0
	.set _ZN9rocsolver6v33100L18getri_kernel_smallILi26EdPKPdEEvT1_iilPiilS6_bb.has_recursion, 0
	.set _ZN9rocsolver6v33100L18getri_kernel_smallILi26EdPKPdEEvT1_iilPiilS6_bb.has_indirect_call, 0
	.section	.AMDGPU.csdata,"",@progbits
; Kernel info:
; codeLenInByte = 25304
; TotalNumSgprs: 22
; NumVgprs: 99
; ScratchSize: 224
; MemoryBound: 0
; FloatMode: 240
; IeeeMode: 1
; LDSByteSize: 424 bytes/workgroup (compile time only)
; SGPRBlocks: 0
; VGPRBlocks: 12
; NumSGPRsForWavesPerEU: 22
; NumVGPRsForWavesPerEU: 99
; Occupancy: 9
; WaveLimiterHint : 1
; COMPUTE_PGM_RSRC2:SCRATCH_EN: 1
; COMPUTE_PGM_RSRC2:USER_SGPR: 6
; COMPUTE_PGM_RSRC2:TRAP_HANDLER: 0
; COMPUTE_PGM_RSRC2:TGID_X_EN: 1
; COMPUTE_PGM_RSRC2:TGID_Y_EN: 0
; COMPUTE_PGM_RSRC2:TGID_Z_EN: 0
; COMPUTE_PGM_RSRC2:TIDIG_COMP_CNT: 0
	.section	.text._ZN9rocsolver6v33100L18getri_kernel_smallILi27EdPKPdEEvT1_iilPiilS6_bb,"axG",@progbits,_ZN9rocsolver6v33100L18getri_kernel_smallILi27EdPKPdEEvT1_iilPiilS6_bb,comdat
	.globl	_ZN9rocsolver6v33100L18getri_kernel_smallILi27EdPKPdEEvT1_iilPiilS6_bb ; -- Begin function _ZN9rocsolver6v33100L18getri_kernel_smallILi27EdPKPdEEvT1_iilPiilS6_bb
	.p2align	8
	.type	_ZN9rocsolver6v33100L18getri_kernel_smallILi27EdPKPdEEvT1_iilPiilS6_bb,@function
_ZN9rocsolver6v33100L18getri_kernel_smallILi27EdPKPdEEvT1_iilPiilS6_bb: ; @_ZN9rocsolver6v33100L18getri_kernel_smallILi27EdPKPdEEvT1_iilPiilS6_bb
; %bb.0:
	s_add_u32 s0, s0, s7
	s_addc_u32 s1, s1, 0
	s_mov_b32 s7, exec_lo
	v_cmpx_gt_u32_e32 27, v0
	s_cbranch_execz .LBB90_118
; %bb.1:
	s_clause 0x2
	s_load_dword s17, s[4:5], 0x38
	s_load_dwordx2 s[12:13], s[4:5], 0x0
	s_load_dwordx4 s[8:11], s[4:5], 0x28
	s_waitcnt lgkmcnt(0)
	s_bitcmp1_b32 s17, 8
	s_cselect_b32 s16, -1, 0
	s_ashr_i32 s7, s6, 31
	s_lshl_b64 s[14:15], s[6:7], 3
	s_add_u32 s12, s12, s14
	s_addc_u32 s13, s13, s15
	s_load_dwordx2 s[14:15], s[12:13], 0x0
	s_bfe_u32 s12, s17, 0x10008
	s_cmp_eq_u32 s12, 0
                                        ; implicit-def: $sgpr12_sgpr13
	s_cbranch_scc1 .LBB90_3
; %bb.2:
	s_clause 0x1
	s_load_dword s12, s[4:5], 0x20
	s_load_dwordx2 s[18:19], s[4:5], 0x18
	s_mul_i32 s13, s8, s7
	s_mul_hi_u32 s17, s8, s6
	s_mul_i32 s9, s9, s6
	s_add_i32 s13, s17, s13
	s_mul_i32 s8, s8, s6
	s_add_i32 s9, s13, s9
	s_lshl_b64 s[8:9], s[8:9], 2
	s_waitcnt lgkmcnt(0)
	s_ashr_i32 s13, s12, 31
	s_add_u32 s17, s18, s8
	s_addc_u32 s18, s19, s9
	s_lshl_b64 s[8:9], s[12:13], 2
	s_add_u32 s12, s17, s8
	s_addc_u32 s13, s18, s9
.LBB90_3:
	s_clause 0x1
	s_load_dwordx2 s[8:9], s[4:5], 0x8
	s_load_dword s4, s[4:5], 0x38
	v_lshlrev_b32_e32 v57, 3, v0
	s_waitcnt lgkmcnt(0)
	s_ashr_i32 s19, s8, 31
	s_mov_b32 s18, s8
	v_add3_u32 v9, s9, s9, v0
	s_lshl_b64 s[18:19], s[18:19], 3
	s_add_u32 s5, s14, s18
	s_addc_u32 s8, s15, s19
	v_add_co_u32 v1, s14, s5, v57
	v_add_co_ci_u32_e64 v2, null, s8, 0, s14
	s_mov_b32 s14, s9
	s_ashr_i32 s15, s9, 31
	v_ashrrev_i32_e32 v10, 31, v9
	flat_load_dwordx2 v[5:6], v[1:2]
	s_lshl_b64 s[14:15], s[14:15], 3
	v_add_nc_u32_e32 v12, s9, v9
	v_add_co_u32 v3, vcc_lo, v1, s14
	v_add_co_ci_u32_e64 v4, null, s15, v2, vcc_lo
	v_ashrrev_i32_e32 v13, 31, v12
	s_bitcmp0_b32 s4, 0
	s_waitcnt vmcnt(0) lgkmcnt(0)
	buffer_store_dword v6, off, s[0:3], 0 offset:4
	buffer_store_dword v5, off, s[0:3], 0
	flat_load_dwordx2 v[7:8], v[3:4]
	v_lshlrev_b64 v[5:6], 3, v[9:10]
	s_waitcnt vmcnt(0) lgkmcnt(0)
	buffer_store_dword v8, off, s[0:3], 0 offset:12
	buffer_store_dword v7, off, s[0:3], 0 offset:8
	v_add_co_u32 v5, vcc_lo, s5, v5
	v_add_co_ci_u32_e64 v6, null, s8, v6, vcc_lo
	v_lshlrev_b64 v[7:8], 3, v[12:13]
	flat_load_dwordx2 v[10:11], v[5:6]
	s_waitcnt vmcnt(0) lgkmcnt(0)
	buffer_store_dword v11, off, s[0:3], 0 offset:20
	buffer_store_dword v10, off, s[0:3], 0 offset:16
	v_add_co_u32 v7, vcc_lo, s5, v7
	v_add_co_ci_u32_e64 v8, null, s8, v8, vcc_lo
	v_add_nc_u32_e32 v11, s9, v12
	flat_load_dwordx2 v[13:14], v[7:8]
	s_waitcnt vmcnt(0) lgkmcnt(0)
	buffer_store_dword v14, off, s[0:3], 0 offset:28
	buffer_store_dword v13, off, s[0:3], 0 offset:24
	v_ashrrev_i32_e32 v12, 31, v11
	v_add_nc_u32_e32 v15, s9, v11
	v_lshlrev_b64 v[9:10], 3, v[11:12]
	v_ashrrev_i32_e32 v16, 31, v15
	v_add_nc_u32_e32 v18, s9, v15
	v_add_co_u32 v9, vcc_lo, s5, v9
	v_add_co_ci_u32_e64 v10, null, s8, v10, vcc_lo
	v_lshlrev_b64 v[11:12], 3, v[15:16]
	v_ashrrev_i32_e32 v19, 31, v18
	flat_load_dwordx2 v[13:14], v[9:10]
	s_waitcnt vmcnt(0) lgkmcnt(0)
	buffer_store_dword v14, off, s[0:3], 0 offset:36
	buffer_store_dword v13, off, s[0:3], 0 offset:32
	v_add_co_u32 v11, vcc_lo, s5, v11
	v_add_co_ci_u32_e64 v12, null, s8, v12, vcc_lo
	v_lshlrev_b64 v[13:14], 3, v[18:19]
	flat_load_dwordx2 v[16:17], v[11:12]
	s_waitcnt vmcnt(0) lgkmcnt(0)
	buffer_store_dword v17, off, s[0:3], 0 offset:44
	buffer_store_dword v16, off, s[0:3], 0 offset:40
	v_add_co_u32 v13, vcc_lo, s5, v13
	v_add_co_ci_u32_e64 v14, null, s8, v14, vcc_lo
	v_add_nc_u32_e32 v17, s9, v18
	flat_load_dwordx2 v[19:20], v[13:14]
	s_waitcnt vmcnt(0) lgkmcnt(0)
	buffer_store_dword v20, off, s[0:3], 0 offset:52
	buffer_store_dword v19, off, s[0:3], 0 offset:48
	v_ashrrev_i32_e32 v18, 31, v17
	v_add_nc_u32_e32 v21, s9, v17
	v_lshlrev_b64 v[15:16], 3, v[17:18]
	v_ashrrev_i32_e32 v22, 31, v21
	v_add_nc_u32_e32 v24, s9, v21
	v_add_co_u32 v15, vcc_lo, s5, v15
	v_add_co_ci_u32_e64 v16, null, s8, v16, vcc_lo
	v_lshlrev_b64 v[17:18], 3, v[21:22]
	v_ashrrev_i32_e32 v25, 31, v24
	flat_load_dwordx2 v[19:20], v[15:16]
	;; [unrolled: 27-line block ×7, first 2 shown]
	s_waitcnt vmcnt(0) lgkmcnt(0)
	buffer_store_dword v50, off, s[0:3], 0 offset:180
	buffer_store_dword v49, off, s[0:3], 0 offset:176
	v_add_co_u32 v47, vcc_lo, s5, v47
	v_add_co_ci_u32_e64 v48, null, s8, v48, vcc_lo
	v_lshlrev_b64 v[49:50], 3, v[54:55]
	flat_load_dwordx2 v[52:53], v[47:48]
	s_waitcnt vmcnt(0) lgkmcnt(0)
	buffer_store_dword v53, off, s[0:3], 0 offset:188
	buffer_store_dword v52, off, s[0:3], 0 offset:184
	v_add_co_u32 v49, vcc_lo, s5, v49
	v_add_co_ci_u32_e64 v50, null, s8, v50, vcc_lo
	v_add_nc_u32_e32 v53, s9, v54
	flat_load_dwordx2 v[55:56], v[49:50]
	s_waitcnt vmcnt(0) lgkmcnt(0)
	buffer_store_dword v56, off, s[0:3], 0 offset:196
	buffer_store_dword v55, off, s[0:3], 0 offset:192
	v_ashrrev_i32_e32 v54, 31, v53
	v_lshlrev_b64 v[51:52], 3, v[53:54]
	v_add_nc_u32_e32 v53, s9, v53
	v_add_co_u32 v51, vcc_lo, s5, v51
	v_add_co_ci_u32_e64 v52, null, s8, v52, vcc_lo
	v_ashrrev_i32_e32 v54, 31, v53
	flat_load_dwordx2 v[55:56], v[51:52]
	s_waitcnt vmcnt(0) lgkmcnt(0)
	buffer_store_dword v56, off, s[0:3], 0 offset:204
	buffer_store_dword v55, off, s[0:3], 0 offset:200
	v_lshlrev_b64 v[53:54], 3, v[53:54]
	v_add_co_u32 v53, vcc_lo, s5, v53
	v_add_co_ci_u32_e64 v54, null, s8, v54, vcc_lo
	s_mov_b32 s5, -1
	flat_load_dwordx2 v[55:56], v[53:54]
	s_waitcnt vmcnt(0) lgkmcnt(0)
	buffer_store_dword v56, off, s[0:3], 0 offset:212
	buffer_store_dword v55, off, s[0:3], 0 offset:208
	s_cbranch_scc1 .LBB90_116
; %bb.4:
	v_cmp_eq_u32_e64 s4, 0, v0
	s_and_saveexec_b32 s5, s4
; %bb.5:
	v_mov_b32_e32 v55, 0
	ds_write_b32 v55, v55 offset:216
; %bb.6:
	s_or_b32 exec_lo, exec_lo, s5
	v_lshl_add_u32 v55, v0, 3, 0
	s_waitcnt lgkmcnt(0)
	s_waitcnt_vscnt null, 0x0
	s_barrier
	buffer_gl0_inv
	s_mov_b32 s8, exec_lo
	s_clause 0x1
	buffer_load_dword v58, v55, s[0:3], 0 offen
	buffer_load_dword v59, v55, s[0:3], 0 offen offset:4
	s_waitcnt vmcnt(0)
	v_cmpx_eq_f64_e32 0, v[58:59]
	s_cbranch_execz .LBB90_10
; %bb.7:
	v_mov_b32_e32 v56, 0
	s_mov_b32 s9, 0
	ds_read_b32 v58, v56 offset:216
	s_waitcnt lgkmcnt(0)
	v_readfirstlane_b32 s5, v58
	v_add_nc_u32_e32 v58, 1, v0
	s_cmp_eq_u32 s5, 0
	v_cmp_gt_i32_e32 vcc_lo, s5, v58
	s_cselect_b32 s14, -1, 0
	s_or_b32 s14, s14, vcc_lo
	s_and_b32 exec_lo, exec_lo, s14
	s_cbranch_execz .LBB90_10
; %bb.8:
	v_mov_b32_e32 v59, s5
.LBB90_9:                               ; =>This Inner Loop Header: Depth=1
	ds_cmpst_rtn_b32 v59, v56, v59, v58 offset:216
	s_waitcnt lgkmcnt(0)
	v_cmp_ne_u32_e32 vcc_lo, 0, v59
	v_cmp_le_i32_e64 s5, v59, v58
	s_and_b32 s5, vcc_lo, s5
	s_and_b32 s5, exec_lo, s5
	s_or_b32 s9, s5, s9
	s_andn2_b32 exec_lo, exec_lo, s9
	s_cbranch_execnz .LBB90_9
.LBB90_10:
	s_or_b32 exec_lo, exec_lo, s8
	v_mov_b32_e32 v56, 0
	s_barrier
	buffer_gl0_inv
	ds_read_b32 v58, v56 offset:216
	s_and_saveexec_b32 s5, s4
	s_cbranch_execz .LBB90_12
; %bb.11:
	s_lshl_b64 s[8:9], s[6:7], 2
	s_add_u32 s8, s10, s8
	s_addc_u32 s9, s11, s9
	s_waitcnt lgkmcnt(0)
	global_store_dword v56, v58, s[8:9]
.LBB90_12:
	s_or_b32 exec_lo, exec_lo, s5
	s_waitcnt lgkmcnt(0)
	v_cmp_ne_u32_e32 vcc_lo, 0, v58
	s_mov_b32 s5, 0
	s_cbranch_vccnz .LBB90_116
; %bb.13:
	s_clause 0x1
	buffer_load_dword v58, v55, s[0:3], 0 offen
	buffer_load_dword v59, v55, s[0:3], 0 offen offset:4
	s_waitcnt vmcnt(0)
	v_div_scale_f64 v[60:61], null, v[58:59], v[58:59], 1.0
	v_div_scale_f64 v[66:67], vcc_lo, 1.0, v[58:59], 1.0
	v_rcp_f64_e32 v[62:63], v[60:61]
	v_fma_f64 v[64:65], -v[60:61], v[62:63], 1.0
	v_fma_f64 v[62:63], v[62:63], v[64:65], v[62:63]
	v_fma_f64 v[64:65], -v[60:61], v[62:63], 1.0
	v_fma_f64 v[62:63], v[62:63], v[64:65], v[62:63]
	v_mul_f64 v[64:65], v[66:67], v[62:63]
	v_fma_f64 v[60:61], -v[60:61], v[64:65], v[66:67]
	v_div_fmas_f64 v[60:61], v[60:61], v[62:63], v[64:65]
	v_div_fixup_f64 v[59:60], v[60:61], v[58:59], 1.0
	v_add_nc_u32_e32 v58, 0xe0, v57
	buffer_store_dword v60, v55, s[0:3], 0 offen offset:4
	buffer_store_dword v59, v55, s[0:3], 0 offen
	s_clause 0x1
	buffer_load_dword v62, off, s[0:3], 0 offset:12
	buffer_load_dword v61, off, s[0:3], 0 offset:8
	v_xor_b32_e32 v60, 0x80000000, v60
	s_waitcnt vmcnt(0)
	ds_write2_b64 v57, v[59:60], v[61:62] offset1:28
	s_waitcnt lgkmcnt(0)
	s_waitcnt_vscnt null, 0x0
	s_barrier
	buffer_gl0_inv
	s_and_saveexec_b32 s5, s4
	s_cbranch_execz .LBB90_15
; %bb.14:
	s_clause 0x1
	buffer_load_dword v59, v55, s[0:3], 0 offen
	buffer_load_dword v60, v55, s[0:3], 0 offen offset:4
	ds_read_b64 v[61:62], v58
	v_mov_b32_e32 v56, 0
	ds_read_b64 v[63:64], v56 offset:8
	s_waitcnt vmcnt(0) lgkmcnt(1)
	v_fma_f64 v[59:60], v[59:60], v[61:62], 0
	s_waitcnt lgkmcnt(0)
	v_mul_f64 v[59:60], v[59:60], v[63:64]
	buffer_store_dword v59, off, s[0:3], 0 offset:8
	buffer_store_dword v60, off, s[0:3], 0 offset:12
.LBB90_15:
	s_or_b32 exec_lo, exec_lo, s5
	s_waitcnt_vscnt null, 0x0
	s_barrier
	buffer_gl0_inv
	s_clause 0x1
	buffer_load_dword v59, off, s[0:3], 0 offset:16
	buffer_load_dword v60, off, s[0:3], 0 offset:20
	s_mov_b32 s5, exec_lo
	s_waitcnt vmcnt(0)
	ds_write_b64 v58, v[59:60]
	s_waitcnt lgkmcnt(0)
	s_barrier
	buffer_gl0_inv
	v_cmpx_gt_u32_e32 2, v0
	s_cbranch_execz .LBB90_19
; %bb.16:
	s_clause 0x1
	buffer_load_dword v59, v55, s[0:3], 0 offen
	buffer_load_dword v60, v55, s[0:3], 0 offen offset:4
	ds_read_b64 v[55:56], v58
	s_waitcnt vmcnt(0) lgkmcnt(0)
	v_fma_f64 v[55:56], v[59:60], v[55:56], 0
	s_and_saveexec_b32 s8, s4
	s_cbranch_execz .LBB90_18
; %bb.17:
	s_clause 0x1
	buffer_load_dword v59, off, s[0:3], 0 offset:8
	buffer_load_dword v60, off, s[0:3], 0 offset:12
	v_mov_b32_e32 v61, 0
	ds_read_b64 v[61:62], v61 offset:232
	s_waitcnt vmcnt(0) lgkmcnt(0)
	v_fma_f64 v[55:56], v[59:60], v[61:62], v[55:56]
.LBB90_18:
	s_or_b32 exec_lo, exec_lo, s8
	v_mov_b32_e32 v59, 0
	ds_read_b64 v[59:60], v59 offset:16
	s_waitcnt lgkmcnt(0)
	v_mul_f64 v[55:56], v[55:56], v[59:60]
	buffer_store_dword v56, off, s[0:3], 0 offset:20
	buffer_store_dword v55, off, s[0:3], 0 offset:16
.LBB90_19:
	s_or_b32 exec_lo, exec_lo, s5
	s_waitcnt_vscnt null, 0x0
	s_barrier
	buffer_gl0_inv
	s_clause 0x1
	buffer_load_dword v55, off, s[0:3], 0 offset:24
	buffer_load_dword v56, off, s[0:3], 0 offset:28
	v_add_nc_u32_e32 v59, -1, v0
	s_mov_b32 s4, exec_lo
	s_waitcnt vmcnt(0)
	ds_write_b64 v58, v[55:56]
	s_waitcnt lgkmcnt(0)
	s_barrier
	buffer_gl0_inv
	v_cmpx_gt_u32_e32 3, v0
	s_cbranch_execz .LBB90_23
; %bb.20:
	v_mov_b32_e32 v55, 0
	v_add_nc_u32_e32 v60, -1, v0
	v_add_nc_u32_e32 v61, 0xe0, v57
	v_mov_b32_e32 v56, 0
	v_mov_b32_e32 v62, v57
	s_mov_b32 s5, 0
.LBB90_21:                              ; =>This Inner Loop Header: Depth=1
	s_clause 0x1
	buffer_load_dword v63, v62, s[0:3], 0 offen
	buffer_load_dword v64, v62, s[0:3], 0 offen offset:4
	ds_read_b64 v[65:66], v61
	v_add_nc_u32_e32 v60, 1, v60
	v_add_nc_u32_e32 v61, 8, v61
	v_add_nc_u32_e32 v62, 8, v62
	v_cmp_lt_u32_e32 vcc_lo, 1, v60
	s_or_b32 s5, vcc_lo, s5
	s_waitcnt vmcnt(0) lgkmcnt(0)
	v_fma_f64 v[55:56], v[63:64], v[65:66], v[55:56]
	s_andn2_b32 exec_lo, exec_lo, s5
	s_cbranch_execnz .LBB90_21
; %bb.22:
	s_or_b32 exec_lo, exec_lo, s5
	v_mov_b32_e32 v60, 0
	ds_read_b64 v[60:61], v60 offset:24
	s_waitcnt lgkmcnt(0)
	v_mul_f64 v[55:56], v[55:56], v[60:61]
	buffer_store_dword v56, off, s[0:3], 0 offset:28
	buffer_store_dword v55, off, s[0:3], 0 offset:24
.LBB90_23:
	s_or_b32 exec_lo, exec_lo, s4
	s_waitcnt_vscnt null, 0x0
	s_barrier
	buffer_gl0_inv
	s_clause 0x1
	buffer_load_dword v55, off, s[0:3], 0 offset:32
	buffer_load_dword v56, off, s[0:3], 0 offset:36
	s_mov_b32 s4, exec_lo
	s_waitcnt vmcnt(0)
	ds_write_b64 v58, v[55:56]
	s_waitcnt lgkmcnt(0)
	s_barrier
	buffer_gl0_inv
	v_cmpx_gt_u32_e32 4, v0
	s_cbranch_execz .LBB90_27
; %bb.24:
	v_mov_b32_e32 v55, 0
	v_add_nc_u32_e32 v60, -1, v0
	v_add_nc_u32_e32 v61, 0xe0, v57
	v_mov_b32_e32 v56, 0
	v_mov_b32_e32 v62, v57
	s_mov_b32 s5, 0
.LBB90_25:                              ; =>This Inner Loop Header: Depth=1
	s_clause 0x1
	buffer_load_dword v63, v62, s[0:3], 0 offen
	buffer_load_dword v64, v62, s[0:3], 0 offen offset:4
	ds_read_b64 v[65:66], v61
	v_add_nc_u32_e32 v60, 1, v60
	v_add_nc_u32_e32 v61, 8, v61
	v_add_nc_u32_e32 v62, 8, v62
	v_cmp_lt_u32_e32 vcc_lo, 2, v60
	s_or_b32 s5, vcc_lo, s5
	s_waitcnt vmcnt(0) lgkmcnt(0)
	v_fma_f64 v[55:56], v[63:64], v[65:66], v[55:56]
	s_andn2_b32 exec_lo, exec_lo, s5
	s_cbranch_execnz .LBB90_25
; %bb.26:
	s_or_b32 exec_lo, exec_lo, s5
	v_mov_b32_e32 v60, 0
	ds_read_b64 v[60:61], v60 offset:32
	s_waitcnt lgkmcnt(0)
	v_mul_f64 v[55:56], v[55:56], v[60:61]
	buffer_store_dword v56, off, s[0:3], 0 offset:36
	buffer_store_dword v55, off, s[0:3], 0 offset:32
.LBB90_27:
	s_or_b32 exec_lo, exec_lo, s4
	s_waitcnt_vscnt null, 0x0
	s_barrier
	buffer_gl0_inv
	s_clause 0x1
	buffer_load_dword v55, off, s[0:3], 0 offset:40
	buffer_load_dword v56, off, s[0:3], 0 offset:44
	;; [unrolled: 45-line block ×20, first 2 shown]
	s_mov_b32 s4, exec_lo
	s_waitcnt vmcnt(0)
	ds_write_b64 v58, v[55:56]
	s_waitcnt lgkmcnt(0)
	s_barrier
	buffer_gl0_inv
	v_cmpx_gt_u32_e32 23, v0
	s_cbranch_execz .LBB90_103
; %bb.100:
	v_mov_b32_e32 v55, 0
	v_add_nc_u32_e32 v60, -1, v0
	v_add_nc_u32_e32 v61, 0xe0, v57
	v_mov_b32_e32 v56, 0
	v_mov_b32_e32 v62, v57
	s_mov_b32 s5, 0
.LBB90_101:                             ; =>This Inner Loop Header: Depth=1
	s_clause 0x1
	buffer_load_dword v63, v62, s[0:3], 0 offen
	buffer_load_dword v64, v62, s[0:3], 0 offen offset:4
	ds_read_b64 v[65:66], v61
	v_add_nc_u32_e32 v60, 1, v60
	v_add_nc_u32_e32 v61, 8, v61
	v_add_nc_u32_e32 v62, 8, v62
	v_cmp_lt_u32_e32 vcc_lo, 21, v60
	s_or_b32 s5, vcc_lo, s5
	s_waitcnt vmcnt(0) lgkmcnt(0)
	v_fma_f64 v[55:56], v[63:64], v[65:66], v[55:56]
	s_andn2_b32 exec_lo, exec_lo, s5
	s_cbranch_execnz .LBB90_101
; %bb.102:
	s_or_b32 exec_lo, exec_lo, s5
	v_mov_b32_e32 v60, 0
	ds_read_b64 v[60:61], v60 offset:184
	s_waitcnt lgkmcnt(0)
	v_mul_f64 v[55:56], v[55:56], v[60:61]
	buffer_store_dword v56, off, s[0:3], 0 offset:188
	buffer_store_dword v55, off, s[0:3], 0 offset:184
.LBB90_103:
	s_or_b32 exec_lo, exec_lo, s4
	s_waitcnt_vscnt null, 0x0
	s_barrier
	buffer_gl0_inv
	s_clause 0x1
	buffer_load_dword v55, off, s[0:3], 0 offset:192
	buffer_load_dword v56, off, s[0:3], 0 offset:196
	s_mov_b32 s4, exec_lo
	s_waitcnt vmcnt(0)
	ds_write_b64 v58, v[55:56]
	s_waitcnt lgkmcnt(0)
	s_barrier
	buffer_gl0_inv
	v_cmpx_gt_u32_e32 24, v0
	s_cbranch_execz .LBB90_107
; %bb.104:
	v_mov_b32_e32 v55, 0
	v_add_nc_u32_e32 v60, -1, v0
	v_add_nc_u32_e32 v61, 0xe0, v57
	v_mov_b32_e32 v56, 0
	v_mov_b32_e32 v62, v57
	s_mov_b32 s5, 0
.LBB90_105:                             ; =>This Inner Loop Header: Depth=1
	s_clause 0x1
	buffer_load_dword v63, v62, s[0:3], 0 offen
	buffer_load_dword v64, v62, s[0:3], 0 offen offset:4
	ds_read_b64 v[65:66], v61
	v_add_nc_u32_e32 v60, 1, v60
	v_add_nc_u32_e32 v61, 8, v61
	v_add_nc_u32_e32 v62, 8, v62
	v_cmp_lt_u32_e32 vcc_lo, 22, v60
	s_or_b32 s5, vcc_lo, s5
	s_waitcnt vmcnt(0) lgkmcnt(0)
	v_fma_f64 v[55:56], v[63:64], v[65:66], v[55:56]
	s_andn2_b32 exec_lo, exec_lo, s5
	s_cbranch_execnz .LBB90_105
; %bb.106:
	s_or_b32 exec_lo, exec_lo, s5
	v_mov_b32_e32 v60, 0
	ds_read_b64 v[60:61], v60 offset:192
	s_waitcnt lgkmcnt(0)
	v_mul_f64 v[55:56], v[55:56], v[60:61]
	buffer_store_dword v56, off, s[0:3], 0 offset:196
	buffer_store_dword v55, off, s[0:3], 0 offset:192
.LBB90_107:
	s_or_b32 exec_lo, exec_lo, s4
	s_waitcnt_vscnt null, 0x0
	s_barrier
	buffer_gl0_inv
	s_clause 0x1
	buffer_load_dword v55, off, s[0:3], 0 offset:200
	buffer_load_dword v56, off, s[0:3], 0 offset:204
	;; [unrolled: 45-line block ×3, first 2 shown]
	s_mov_b32 s4, exec_lo
	s_waitcnt vmcnt(0)
	ds_write_b64 v58, v[55:56]
	s_waitcnt lgkmcnt(0)
	s_barrier
	buffer_gl0_inv
	v_cmpx_ne_u32_e32 26, v0
	s_cbranch_execz .LBB90_115
; %bb.112:
	v_mov_b32_e32 v55, 0
	v_mov_b32_e32 v56, 0
	s_mov_b32 s5, 0
.LBB90_113:                             ; =>This Inner Loop Header: Depth=1
	s_clause 0x1
	buffer_load_dword v60, v57, s[0:3], 0 offen
	buffer_load_dword v61, v57, s[0:3], 0 offen offset:4
	ds_read_b64 v[62:63], v58
	v_add_nc_u32_e32 v59, 1, v59
	v_add_nc_u32_e32 v58, 8, v58
	;; [unrolled: 1-line block ×3, first 2 shown]
	v_cmp_lt_u32_e32 vcc_lo, 24, v59
	s_or_b32 s5, vcc_lo, s5
	s_waitcnt vmcnt(0) lgkmcnt(0)
	v_fma_f64 v[55:56], v[60:61], v[62:63], v[55:56]
	s_andn2_b32 exec_lo, exec_lo, s5
	s_cbranch_execnz .LBB90_113
; %bb.114:
	s_or_b32 exec_lo, exec_lo, s5
	v_mov_b32_e32 v57, 0
	ds_read_b64 v[57:58], v57 offset:208
	s_waitcnt lgkmcnt(0)
	v_mul_f64 v[55:56], v[55:56], v[57:58]
	buffer_store_dword v56, off, s[0:3], 0 offset:212
	buffer_store_dword v55, off, s[0:3], 0 offset:208
.LBB90_115:
	s_or_b32 exec_lo, exec_lo, s4
	s_mov_b32 s5, -1
	s_waitcnt_vscnt null, 0x0
	s_barrier
	buffer_gl0_inv
.LBB90_116:
	s_and_b32 vcc_lo, exec_lo, s5
	s_cbranch_vccz .LBB90_118
; %bb.117:
	s_lshl_b64 s[4:5], s[6:7], 2
	v_mov_b32_e32 v55, 0
	s_add_u32 s4, s10, s4
	s_addc_u32 s5, s11, s5
	global_load_dword v55, v55, s[4:5]
	s_waitcnt vmcnt(0)
	v_cmp_ne_u32_e32 vcc_lo, 0, v55
	s_cbranch_vccz .LBB90_119
.LBB90_118:
	s_endpgm
.LBB90_119:
	v_lshl_add_u32 v55, v0, 3, 0xe0
	s_mov_b32 s4, exec_lo
	v_cmpx_eq_u32_e32 26, v0
	s_cbranch_execz .LBB90_121
; %bb.120:
	s_clause 0x1
	buffer_load_dword v56, off, s[0:3], 0 offset:200
	buffer_load_dword v57, off, s[0:3], 0 offset:204
	v_mov_b32_e32 v58, 0
	buffer_store_dword v58, off, s[0:3], 0 offset:200
	buffer_store_dword v58, off, s[0:3], 0 offset:204
	s_waitcnt vmcnt(0)
	ds_write_b64 v55, v[56:57]
.LBB90_121:
	s_or_b32 exec_lo, exec_lo, s4
	s_waitcnt lgkmcnt(0)
	s_waitcnt_vscnt null, 0x0
	s_barrier
	buffer_gl0_inv
	s_clause 0x3
	buffer_load_dword v57, off, s[0:3], 0 offset:208
	buffer_load_dword v58, off, s[0:3], 0 offset:212
	;; [unrolled: 1-line block ×4, first 2 shown]
	v_mov_b32_e32 v56, 0
	s_mov_b32 s4, exec_lo
	ds_read_b64 v[61:62], v56 offset:432
	s_waitcnt vmcnt(2) lgkmcnt(0)
	v_fma_f64 v[57:58], v[57:58], v[61:62], 0
	s_waitcnt vmcnt(0)
	v_add_f64 v[57:58], v[59:60], -v[57:58]
	buffer_store_dword v57, off, s[0:3], 0 offset:200
	buffer_store_dword v58, off, s[0:3], 0 offset:204
	v_cmpx_lt_u32_e32 24, v0
	s_cbranch_execz .LBB90_123
; %bb.122:
	s_clause 0x1
	buffer_load_dword v57, off, s[0:3], 0 offset:192
	buffer_load_dword v58, off, s[0:3], 0 offset:196
	buffer_store_dword v56, off, s[0:3], 0 offset:192
	buffer_store_dword v56, off, s[0:3], 0 offset:196
	s_waitcnt vmcnt(0)
	ds_write_b64 v55, v[57:58]
.LBB90_123:
	s_or_b32 exec_lo, exec_lo, s4
	s_waitcnt lgkmcnt(0)
	s_waitcnt_vscnt null, 0x0
	s_barrier
	buffer_gl0_inv
	s_clause 0x5
	buffer_load_dword v60, off, s[0:3], 0 offset:200
	buffer_load_dword v61, off, s[0:3], 0 offset:204
	;; [unrolled: 1-line block ×6, first 2 shown]
	ds_read2_b64 v[56:59], v56 offset0:53 offset1:54
	s_mov_b32 s4, exec_lo
	s_waitcnt vmcnt(4) lgkmcnt(0)
	v_fma_f64 v[56:57], v[60:61], v[56:57], 0
	s_waitcnt vmcnt(2)
	v_fma_f64 v[56:57], v[62:63], v[58:59], v[56:57]
	s_waitcnt vmcnt(0)
	v_add_f64 v[56:57], v[64:65], -v[56:57]
	buffer_store_dword v56, off, s[0:3], 0 offset:192
	buffer_store_dword v57, off, s[0:3], 0 offset:196
	v_cmpx_lt_u32_e32 23, v0
	s_cbranch_execz .LBB90_125
; %bb.124:
	s_clause 0x1
	buffer_load_dword v56, off, s[0:3], 0 offset:184
	buffer_load_dword v57, off, s[0:3], 0 offset:188
	v_mov_b32_e32 v58, 0
	buffer_store_dword v58, off, s[0:3], 0 offset:184
	buffer_store_dword v58, off, s[0:3], 0 offset:188
	s_waitcnt vmcnt(0)
	ds_write_b64 v55, v[56:57]
.LBB90_125:
	s_or_b32 exec_lo, exec_lo, s4
	s_waitcnt lgkmcnt(0)
	s_waitcnt_vscnt null, 0x0
	s_barrier
	buffer_gl0_inv
	s_clause 0x7
	buffer_load_dword v61, off, s[0:3], 0 offset:192
	buffer_load_dword v62, off, s[0:3], 0 offset:196
	;; [unrolled: 1-line block ×8, first 2 shown]
	v_mov_b32_e32 v56, 0
	ds_read_b128 v[57:60], v56 offset:416
	ds_read_b64 v[69:70], v56 offset:432
	s_mov_b32 s4, exec_lo
	s_waitcnt vmcnt(6) lgkmcnt(1)
	v_fma_f64 v[57:58], v[61:62], v[57:58], 0
	s_waitcnt vmcnt(4)
	v_fma_f64 v[57:58], v[63:64], v[59:60], v[57:58]
	s_waitcnt vmcnt(2) lgkmcnt(0)
	v_fma_f64 v[57:58], v[65:66], v[69:70], v[57:58]
	s_waitcnt vmcnt(0)
	v_add_f64 v[57:58], v[67:68], -v[57:58]
	buffer_store_dword v57, off, s[0:3], 0 offset:184
	buffer_store_dword v58, off, s[0:3], 0 offset:188
	v_cmpx_lt_u32_e32 22, v0
	s_cbranch_execz .LBB90_127
; %bb.126:
	s_clause 0x1
	buffer_load_dword v57, off, s[0:3], 0 offset:176
	buffer_load_dword v58, off, s[0:3], 0 offset:180
	buffer_store_dword v56, off, s[0:3], 0 offset:176
	buffer_store_dword v56, off, s[0:3], 0 offset:180
	s_waitcnt vmcnt(0)
	ds_write_b64 v55, v[57:58]
.LBB90_127:
	s_or_b32 exec_lo, exec_lo, s4
	s_waitcnt lgkmcnt(0)
	s_waitcnt_vscnt null, 0x0
	s_barrier
	buffer_gl0_inv
	s_clause 0x9
	buffer_load_dword v65, off, s[0:3], 0 offset:184
	buffer_load_dword v66, off, s[0:3], 0 offset:188
	;; [unrolled: 1-line block ×10, first 2 shown]
	ds_read2_b64 v[57:60], v56 offset0:51 offset1:52
	ds_read2_b64 v[61:64], v56 offset0:53 offset1:54
	s_mov_b32 s4, exec_lo
	s_waitcnt vmcnt(8) lgkmcnt(1)
	v_fma_f64 v[56:57], v[65:66], v[57:58], 0
	s_waitcnt vmcnt(6)
	v_fma_f64 v[56:57], v[67:68], v[59:60], v[56:57]
	s_waitcnt vmcnt(4) lgkmcnt(0)
	v_fma_f64 v[56:57], v[69:70], v[61:62], v[56:57]
	s_waitcnt vmcnt(2)
	v_fma_f64 v[56:57], v[71:72], v[63:64], v[56:57]
	s_waitcnt vmcnt(0)
	v_add_f64 v[56:57], v[73:74], -v[56:57]
	buffer_store_dword v56, off, s[0:3], 0 offset:176
	buffer_store_dword v57, off, s[0:3], 0 offset:180
	v_cmpx_lt_u32_e32 21, v0
	s_cbranch_execz .LBB90_129
; %bb.128:
	s_clause 0x1
	buffer_load_dword v56, off, s[0:3], 0 offset:168
	buffer_load_dword v57, off, s[0:3], 0 offset:172
	v_mov_b32_e32 v58, 0
	buffer_store_dword v58, off, s[0:3], 0 offset:168
	buffer_store_dword v58, off, s[0:3], 0 offset:172
	s_waitcnt vmcnt(0)
	ds_write_b64 v55, v[56:57]
.LBB90_129:
	s_or_b32 exec_lo, exec_lo, s4
	s_waitcnt lgkmcnt(0)
	s_waitcnt_vscnt null, 0x0
	s_barrier
	buffer_gl0_inv
	s_clause 0xb
	buffer_load_dword v65, off, s[0:3], 0 offset:176
	buffer_load_dword v66, off, s[0:3], 0 offset:180
	;; [unrolled: 1-line block ×12, first 2 shown]
	v_mov_b32_e32 v56, 0
	ds_read_b128 v[57:60], v56 offset:400
	ds_read_b128 v[61:64], v56 offset:416
	s_mov_b32 s4, exec_lo
	s_waitcnt vmcnt(10) lgkmcnt(1)
	v_fma_f64 v[57:58], v[65:66], v[57:58], 0
	s_waitcnt vmcnt(8)
	v_fma_f64 v[57:58], v[67:68], v[59:60], v[57:58]
	ds_read_b64 v[59:60], v56 offset:432
	s_waitcnt vmcnt(6) lgkmcnt(1)
	v_fma_f64 v[57:58], v[69:70], v[61:62], v[57:58]
	s_waitcnt vmcnt(4)
	v_fma_f64 v[57:58], v[71:72], v[63:64], v[57:58]
	s_waitcnt vmcnt(2) lgkmcnt(0)
	v_fma_f64 v[57:58], v[73:74], v[59:60], v[57:58]
	s_waitcnt vmcnt(0)
	v_add_f64 v[57:58], v[75:76], -v[57:58]
	buffer_store_dword v57, off, s[0:3], 0 offset:168
	buffer_store_dword v58, off, s[0:3], 0 offset:172
	v_cmpx_lt_u32_e32 20, v0
	s_cbranch_execz .LBB90_131
; %bb.130:
	s_clause 0x1
	buffer_load_dword v57, off, s[0:3], 0 offset:160
	buffer_load_dword v58, off, s[0:3], 0 offset:164
	buffer_store_dword v56, off, s[0:3], 0 offset:160
	buffer_store_dword v56, off, s[0:3], 0 offset:164
	s_waitcnt vmcnt(0)
	ds_write_b64 v55, v[57:58]
.LBB90_131:
	s_or_b32 exec_lo, exec_lo, s4
	s_waitcnt lgkmcnt(0)
	s_waitcnt_vscnt null, 0x0
	s_barrier
	buffer_gl0_inv
	s_clause 0xd
	buffer_load_dword v65, off, s[0:3], 0 offset:168
	buffer_load_dword v66, off, s[0:3], 0 offset:172
	;; [unrolled: 1-line block ×14, first 2 shown]
	ds_read2_b64 v[57:60], v56 offset0:49 offset1:50
	ds_read2_b64 v[61:64], v56 offset0:51 offset1:52
	s_mov_b32 s4, exec_lo
	s_waitcnt vmcnt(12) lgkmcnt(1)
	v_fma_f64 v[57:58], v[65:66], v[57:58], 0
	s_waitcnt vmcnt(10)
	v_fma_f64 v[57:58], v[67:68], v[59:60], v[57:58]
	s_waitcnt vmcnt(8) lgkmcnt(0)
	v_fma_f64 v[57:58], v[69:70], v[61:62], v[57:58]
	s_waitcnt vmcnt(6)
	v_fma_f64 v[60:61], v[71:72], v[63:64], v[57:58]
	ds_read2_b64 v[56:59], v56 offset0:53 offset1:54
	s_waitcnt vmcnt(4) lgkmcnt(0)
	v_fma_f64 v[56:57], v[73:74], v[56:57], v[60:61]
	s_waitcnt vmcnt(2)
	v_fma_f64 v[56:57], v[75:76], v[58:59], v[56:57]
	s_waitcnt vmcnt(0)
	v_add_f64 v[56:57], v[77:78], -v[56:57]
	buffer_store_dword v56, off, s[0:3], 0 offset:160
	buffer_store_dword v57, off, s[0:3], 0 offset:164
	v_cmpx_lt_u32_e32 19, v0
	s_cbranch_execz .LBB90_133
; %bb.132:
	s_clause 0x1
	buffer_load_dword v56, off, s[0:3], 0 offset:152
	buffer_load_dword v57, off, s[0:3], 0 offset:156
	v_mov_b32_e32 v58, 0
	buffer_store_dword v58, off, s[0:3], 0 offset:152
	buffer_store_dword v58, off, s[0:3], 0 offset:156
	s_waitcnt vmcnt(0)
	ds_write_b64 v55, v[56:57]
.LBB90_133:
	s_or_b32 exec_lo, exec_lo, s4
	s_waitcnt lgkmcnt(0)
	s_waitcnt_vscnt null, 0x0
	s_barrier
	buffer_gl0_inv
	s_clause 0xf
	buffer_load_dword v65, off, s[0:3], 0 offset:160
	buffer_load_dword v66, off, s[0:3], 0 offset:164
	;; [unrolled: 1-line block ×16, first 2 shown]
	v_mov_b32_e32 v56, 0
	ds_read_b128 v[57:60], v56 offset:384
	ds_read_b128 v[61:64], v56 offset:400
	s_mov_b32 s4, exec_lo
	s_waitcnt vmcnt(14) lgkmcnt(1)
	v_fma_f64 v[57:58], v[65:66], v[57:58], 0
	s_waitcnt vmcnt(12)
	v_fma_f64 v[57:58], v[67:68], v[59:60], v[57:58]
	s_waitcnt vmcnt(10) lgkmcnt(0)
	v_fma_f64 v[57:58], v[69:70], v[61:62], v[57:58]
	s_waitcnt vmcnt(8)
	v_fma_f64 v[61:62], v[71:72], v[63:64], v[57:58]
	ds_read_b128 v[57:60], v56 offset:416
	ds_read_b64 v[63:64], v56 offset:432
	s_waitcnt vmcnt(6) lgkmcnt(1)
	v_fma_f64 v[57:58], v[73:74], v[57:58], v[61:62]
	s_waitcnt vmcnt(4)
	v_fma_f64 v[57:58], v[75:76], v[59:60], v[57:58]
	s_waitcnt vmcnt(2) lgkmcnt(0)
	v_fma_f64 v[57:58], v[77:78], v[63:64], v[57:58]
	s_waitcnt vmcnt(0)
	v_add_f64 v[57:58], v[79:80], -v[57:58]
	buffer_store_dword v57, off, s[0:3], 0 offset:152
	buffer_store_dword v58, off, s[0:3], 0 offset:156
	v_cmpx_lt_u32_e32 18, v0
	s_cbranch_execz .LBB90_135
; %bb.134:
	s_clause 0x1
	buffer_load_dword v57, off, s[0:3], 0 offset:144
	buffer_load_dword v58, off, s[0:3], 0 offset:148
	buffer_store_dword v56, off, s[0:3], 0 offset:144
	buffer_store_dword v56, off, s[0:3], 0 offset:148
	s_waitcnt vmcnt(0)
	ds_write_b64 v55, v[57:58]
.LBB90_135:
	s_or_b32 exec_lo, exec_lo, s4
	s_waitcnt lgkmcnt(0)
	s_waitcnt_vscnt null, 0x0
	s_barrier
	buffer_gl0_inv
	s_clause 0x11
	buffer_load_dword v65, off, s[0:3], 0 offset:152
	buffer_load_dword v66, off, s[0:3], 0 offset:156
	;; [unrolled: 1-line block ×18, first 2 shown]
	ds_read2_b64 v[57:60], v56 offset0:47 offset1:48
	ds_read2_b64 v[61:64], v56 offset0:49 offset1:50
	s_mov_b32 s4, exec_lo
	s_waitcnt vmcnt(16) lgkmcnt(1)
	v_fma_f64 v[57:58], v[65:66], v[57:58], 0
	s_waitcnt vmcnt(14)
	v_fma_f64 v[57:58], v[67:68], v[59:60], v[57:58]
	s_waitcnt vmcnt(12) lgkmcnt(0)
	v_fma_f64 v[57:58], v[69:70], v[61:62], v[57:58]
	s_waitcnt vmcnt(10)
	v_fma_f64 v[65:66], v[71:72], v[63:64], v[57:58]
	ds_read2_b64 v[57:60], v56 offset0:51 offset1:52
	ds_read2_b64 v[61:64], v56 offset0:53 offset1:54
	s_waitcnt vmcnt(8) lgkmcnt(1)
	v_fma_f64 v[56:57], v[73:74], v[57:58], v[65:66]
	s_waitcnt vmcnt(6)
	v_fma_f64 v[56:57], v[75:76], v[59:60], v[56:57]
	s_waitcnt vmcnt(4) lgkmcnt(0)
	v_fma_f64 v[56:57], v[77:78], v[61:62], v[56:57]
	s_waitcnt vmcnt(2)
	v_fma_f64 v[56:57], v[79:80], v[63:64], v[56:57]
	s_waitcnt vmcnt(0)
	v_add_f64 v[56:57], v[81:82], -v[56:57]
	buffer_store_dword v56, off, s[0:3], 0 offset:144
	buffer_store_dword v57, off, s[0:3], 0 offset:148
	v_cmpx_lt_u32_e32 17, v0
	s_cbranch_execz .LBB90_137
; %bb.136:
	s_clause 0x1
	buffer_load_dword v56, off, s[0:3], 0 offset:136
	buffer_load_dword v57, off, s[0:3], 0 offset:140
	v_mov_b32_e32 v58, 0
	buffer_store_dword v58, off, s[0:3], 0 offset:136
	buffer_store_dword v58, off, s[0:3], 0 offset:140
	s_waitcnt vmcnt(0)
	ds_write_b64 v55, v[56:57]
.LBB90_137:
	s_or_b32 exec_lo, exec_lo, s4
	s_waitcnt lgkmcnt(0)
	s_waitcnt_vscnt null, 0x0
	s_barrier
	buffer_gl0_inv
	s_clause 0x13
	buffer_load_dword v65, off, s[0:3], 0 offset:144
	buffer_load_dword v66, off, s[0:3], 0 offset:148
	;; [unrolled: 1-line block ×20, first 2 shown]
	v_mov_b32_e32 v56, 0
	ds_read_b128 v[57:60], v56 offset:368
	ds_read_b128 v[61:64], v56 offset:384
	s_mov_b32 s4, exec_lo
	s_waitcnt vmcnt(18) lgkmcnt(1)
	v_fma_f64 v[57:58], v[65:66], v[57:58], 0
	s_waitcnt vmcnt(16)
	v_fma_f64 v[57:58], v[67:68], v[59:60], v[57:58]
	s_waitcnt vmcnt(14) lgkmcnt(0)
	v_fma_f64 v[57:58], v[69:70], v[61:62], v[57:58]
	s_waitcnt vmcnt(12)
	v_fma_f64 v[65:66], v[71:72], v[63:64], v[57:58]
	ds_read_b128 v[57:60], v56 offset:400
	ds_read_b128 v[61:64], v56 offset:416
	s_waitcnt vmcnt(10) lgkmcnt(1)
	v_fma_f64 v[57:58], v[73:74], v[57:58], v[65:66]
	s_waitcnt vmcnt(8)
	v_fma_f64 v[57:58], v[75:76], v[59:60], v[57:58]
	ds_read_b64 v[59:60], v56 offset:432
	s_waitcnt vmcnt(6) lgkmcnt(1)
	v_fma_f64 v[57:58], v[77:78], v[61:62], v[57:58]
	s_waitcnt vmcnt(3)
	v_fma_f64 v[57:58], v[79:80], v[63:64], v[57:58]
	s_waitcnt vmcnt(2) lgkmcnt(0)
	v_fma_f64 v[57:58], v[81:82], v[59:60], v[57:58]
	s_waitcnt vmcnt(0)
	v_add_f64 v[57:58], v[83:84], -v[57:58]
	buffer_store_dword v57, off, s[0:3], 0 offset:136
	buffer_store_dword v58, off, s[0:3], 0 offset:140
	v_cmpx_lt_u32_e32 16, v0
	s_cbranch_execz .LBB90_139
; %bb.138:
	s_clause 0x1
	buffer_load_dword v57, off, s[0:3], 0 offset:128
	buffer_load_dword v58, off, s[0:3], 0 offset:132
	buffer_store_dword v56, off, s[0:3], 0 offset:128
	buffer_store_dword v56, off, s[0:3], 0 offset:132
	s_waitcnt vmcnt(0)
	ds_write_b64 v55, v[57:58]
.LBB90_139:
	s_or_b32 exec_lo, exec_lo, s4
	s_waitcnt lgkmcnt(0)
	s_waitcnt_vscnt null, 0x0
	s_barrier
	buffer_gl0_inv
	s_clause 0x15
	buffer_load_dword v65, off, s[0:3], 0 offset:136
	buffer_load_dword v66, off, s[0:3], 0 offset:140
	;; [unrolled: 1-line block ×22, first 2 shown]
	ds_read2_b64 v[57:60], v56 offset0:45 offset1:46
	ds_read2_b64 v[61:64], v56 offset0:47 offset1:48
	s_mov_b32 s4, exec_lo
	s_waitcnt vmcnt(20) lgkmcnt(1)
	v_fma_f64 v[57:58], v[65:66], v[57:58], 0
	s_waitcnt vmcnt(18)
	v_fma_f64 v[57:58], v[67:68], v[59:60], v[57:58]
	s_waitcnt vmcnt(16) lgkmcnt(0)
	v_fma_f64 v[57:58], v[69:70], v[61:62], v[57:58]
	s_waitcnt vmcnt(14)
	v_fma_f64 v[65:66], v[71:72], v[63:64], v[57:58]
	ds_read2_b64 v[57:60], v56 offset0:49 offset1:50
	ds_read2_b64 v[61:64], v56 offset0:51 offset1:52
	s_waitcnt vmcnt(12) lgkmcnt(1)
	v_fma_f64 v[57:58], v[73:74], v[57:58], v[65:66]
	s_waitcnt vmcnt(10)
	v_fma_f64 v[57:58], v[75:76], v[59:60], v[57:58]
	s_waitcnt vmcnt(8) lgkmcnt(0)
	v_fma_f64 v[57:58], v[77:78], v[61:62], v[57:58]
	s_waitcnt vmcnt(4)
	v_fma_f64 v[60:61], v[79:80], v[63:64], v[57:58]
	ds_read2_b64 v[56:59], v56 offset0:53 offset1:54
	s_waitcnt vmcnt(3) lgkmcnt(0)
	v_fma_f64 v[56:57], v[83:84], v[56:57], v[60:61]
	s_waitcnt vmcnt(2)
	v_fma_f64 v[56:57], v[81:82], v[58:59], v[56:57]
	s_waitcnt vmcnt(0)
	v_add_f64 v[56:57], v[85:86], -v[56:57]
	buffer_store_dword v56, off, s[0:3], 0 offset:128
	buffer_store_dword v57, off, s[0:3], 0 offset:132
	v_cmpx_lt_u32_e32 15, v0
	s_cbranch_execz .LBB90_141
; %bb.140:
	s_clause 0x1
	buffer_load_dword v56, off, s[0:3], 0 offset:120
	buffer_load_dword v57, off, s[0:3], 0 offset:124
	v_mov_b32_e32 v58, 0
	buffer_store_dword v58, off, s[0:3], 0 offset:120
	buffer_store_dword v58, off, s[0:3], 0 offset:124
	s_waitcnt vmcnt(0)
	ds_write_b64 v55, v[56:57]
.LBB90_141:
	s_or_b32 exec_lo, exec_lo, s4
	s_waitcnt lgkmcnt(0)
	s_waitcnt_vscnt null, 0x0
	s_barrier
	buffer_gl0_inv
	s_clause 0x17
	buffer_load_dword v65, off, s[0:3], 0 offset:128
	buffer_load_dword v66, off, s[0:3], 0 offset:132
	;; [unrolled: 1-line block ×24, first 2 shown]
	v_mov_b32_e32 v56, 0
	ds_read_b128 v[57:60], v56 offset:352
	ds_read_b128 v[61:64], v56 offset:368
	s_mov_b32 s4, exec_lo
	s_waitcnt vmcnt(22) lgkmcnt(1)
	v_fma_f64 v[57:58], v[65:66], v[57:58], 0
	s_waitcnt vmcnt(20)
	v_fma_f64 v[57:58], v[67:68], v[59:60], v[57:58]
	s_waitcnt vmcnt(18) lgkmcnt(0)
	v_fma_f64 v[57:58], v[69:70], v[61:62], v[57:58]
	s_waitcnt vmcnt(16)
	v_fma_f64 v[65:66], v[71:72], v[63:64], v[57:58]
	ds_read_b128 v[57:60], v56 offset:384
	ds_read_b128 v[61:64], v56 offset:400
	s_waitcnt vmcnt(14) lgkmcnt(1)
	v_fma_f64 v[57:58], v[73:74], v[57:58], v[65:66]
	s_waitcnt vmcnt(12)
	v_fma_f64 v[57:58], v[75:76], v[59:60], v[57:58]
	s_waitcnt vmcnt(10) lgkmcnt(0)
	v_fma_f64 v[57:58], v[77:78], v[61:62], v[57:58]
	s_waitcnt vmcnt(5)
	v_fma_f64 v[61:62], v[79:80], v[63:64], v[57:58]
	ds_read_b128 v[57:60], v56 offset:416
	ds_read_b64 v[63:64], v56 offset:432
	s_waitcnt vmcnt(4) lgkmcnt(1)
	v_fma_f64 v[57:58], v[85:86], v[57:58], v[61:62]
	s_waitcnt vmcnt(3)
	v_fma_f64 v[57:58], v[83:84], v[59:60], v[57:58]
	s_waitcnt vmcnt(2) lgkmcnt(0)
	v_fma_f64 v[57:58], v[81:82], v[63:64], v[57:58]
	s_waitcnt vmcnt(0)
	v_add_f64 v[57:58], v[87:88], -v[57:58]
	buffer_store_dword v58, off, s[0:3], 0 offset:124
	buffer_store_dword v57, off, s[0:3], 0 offset:120
	v_cmpx_lt_u32_e32 14, v0
	s_cbranch_execz .LBB90_143
; %bb.142:
	s_clause 0x1
	buffer_load_dword v57, off, s[0:3], 0 offset:112
	buffer_load_dword v58, off, s[0:3], 0 offset:116
	buffer_store_dword v56, off, s[0:3], 0 offset:112
	buffer_store_dword v56, off, s[0:3], 0 offset:116
	s_waitcnt vmcnt(0)
	ds_write_b64 v55, v[57:58]
.LBB90_143:
	s_or_b32 exec_lo, exec_lo, s4
	s_waitcnt lgkmcnt(0)
	s_waitcnt_vscnt null, 0x0
	s_barrier
	buffer_gl0_inv
	s_clause 0x19
	buffer_load_dword v65, off, s[0:3], 0 offset:120
	buffer_load_dword v66, off, s[0:3], 0 offset:124
	;; [unrolled: 1-line block ×26, first 2 shown]
	ds_read2_b64 v[57:60], v56 offset0:43 offset1:44
	ds_read2_b64 v[61:64], v56 offset0:45 offset1:46
	s_mov_b32 s4, exec_lo
	s_waitcnt vmcnt(24) lgkmcnt(1)
	v_fma_f64 v[57:58], v[65:66], v[57:58], 0
	s_waitcnt vmcnt(22)
	v_fma_f64 v[57:58], v[67:68], v[59:60], v[57:58]
	s_waitcnt vmcnt(20) lgkmcnt(0)
	v_fma_f64 v[57:58], v[69:70], v[61:62], v[57:58]
	s_waitcnt vmcnt(18)
	v_fma_f64 v[65:66], v[71:72], v[63:64], v[57:58]
	ds_read2_b64 v[57:60], v56 offset0:47 offset1:48
	ds_read2_b64 v[61:64], v56 offset0:49 offset1:50
	s_waitcnt vmcnt(16) lgkmcnt(1)
	v_fma_f64 v[57:58], v[73:74], v[57:58], v[65:66]
	s_waitcnt vmcnt(14)
	v_fma_f64 v[57:58], v[75:76], v[59:60], v[57:58]
	s_waitcnt vmcnt(12) lgkmcnt(0)
	v_fma_f64 v[57:58], v[77:78], v[61:62], v[57:58]
	s_waitcnt vmcnt(7)
	v_fma_f64 v[65:66], v[79:80], v[63:64], v[57:58]
	ds_read2_b64 v[57:60], v56 offset0:51 offset1:52
	ds_read2_b64 v[61:64], v56 offset0:53 offset1:54
	s_waitcnt vmcnt(6) lgkmcnt(1)
	v_fma_f64 v[56:57], v[85:86], v[57:58], v[65:66]
	s_waitcnt vmcnt(5)
	v_fma_f64 v[56:57], v[83:84], v[59:60], v[56:57]
	s_waitcnt vmcnt(4) lgkmcnt(0)
	v_fma_f64 v[56:57], v[81:82], v[61:62], v[56:57]
	s_waitcnt vmcnt(2)
	v_fma_f64 v[56:57], v[87:88], v[63:64], v[56:57]
	s_waitcnt vmcnt(0)
	v_add_f64 v[56:57], v[89:90], -v[56:57]
	buffer_store_dword v57, off, s[0:3], 0 offset:116
	buffer_store_dword v56, off, s[0:3], 0 offset:112
	v_cmpx_lt_u32_e32 13, v0
	s_cbranch_execz .LBB90_145
; %bb.144:
	s_clause 0x1
	buffer_load_dword v56, off, s[0:3], 0 offset:104
	buffer_load_dword v57, off, s[0:3], 0 offset:108
	v_mov_b32_e32 v58, 0
	buffer_store_dword v58, off, s[0:3], 0 offset:104
	buffer_store_dword v58, off, s[0:3], 0 offset:108
	s_waitcnt vmcnt(0)
	ds_write_b64 v55, v[56:57]
.LBB90_145:
	s_or_b32 exec_lo, exec_lo, s4
	s_waitcnt lgkmcnt(0)
	s_waitcnt_vscnt null, 0x0
	s_barrier
	buffer_gl0_inv
	s_clause 0x1b
	buffer_load_dword v65, off, s[0:3], 0 offset:112
	buffer_load_dword v66, off, s[0:3], 0 offset:116
	;; [unrolled: 1-line block ×28, first 2 shown]
	v_mov_b32_e32 v56, 0
	ds_read_b128 v[57:60], v56 offset:336
	ds_read_b128 v[61:64], v56 offset:352
	s_mov_b32 s4, exec_lo
	s_waitcnt vmcnt(26) lgkmcnt(1)
	v_fma_f64 v[57:58], v[65:66], v[57:58], 0
	s_waitcnt vmcnt(24)
	v_fma_f64 v[57:58], v[67:68], v[59:60], v[57:58]
	s_waitcnt vmcnt(22) lgkmcnt(0)
	v_fma_f64 v[57:58], v[69:70], v[61:62], v[57:58]
	s_waitcnt vmcnt(20)
	v_fma_f64 v[65:66], v[71:72], v[63:64], v[57:58]
	ds_read_b128 v[57:60], v56 offset:368
	ds_read_b128 v[61:64], v56 offset:384
	s_waitcnt vmcnt(18) lgkmcnt(1)
	v_fma_f64 v[57:58], v[73:74], v[57:58], v[65:66]
	s_waitcnt vmcnt(16)
	v_fma_f64 v[57:58], v[75:76], v[59:60], v[57:58]
	s_waitcnt vmcnt(14) lgkmcnt(0)
	v_fma_f64 v[57:58], v[77:78], v[61:62], v[57:58]
	s_waitcnt vmcnt(9)
	v_fma_f64 v[65:66], v[79:80], v[63:64], v[57:58]
	ds_read_b128 v[57:60], v56 offset:400
	ds_read_b128 v[61:64], v56 offset:416
	s_waitcnt vmcnt(8) lgkmcnt(1)
	v_fma_f64 v[57:58], v[85:86], v[57:58], v[65:66]
	s_waitcnt vmcnt(7)
	v_fma_f64 v[57:58], v[83:84], v[59:60], v[57:58]
	ds_read_b64 v[59:60], v56 offset:432
	s_waitcnt vmcnt(6) lgkmcnt(1)
	v_fma_f64 v[57:58], v[81:82], v[61:62], v[57:58]
	s_waitcnt vmcnt(3)
	v_fma_f64 v[57:58], v[87:88], v[63:64], v[57:58]
	s_waitcnt vmcnt(2) lgkmcnt(0)
	v_fma_f64 v[57:58], v[89:90], v[59:60], v[57:58]
	s_waitcnt vmcnt(0)
	v_add_f64 v[57:58], v[91:92], -v[57:58]
	buffer_store_dword v58, off, s[0:3], 0 offset:108
	buffer_store_dword v57, off, s[0:3], 0 offset:104
	v_cmpx_lt_u32_e32 12, v0
	s_cbranch_execz .LBB90_147
; %bb.146:
	s_clause 0x1
	buffer_load_dword v57, off, s[0:3], 0 offset:96
	buffer_load_dword v58, off, s[0:3], 0 offset:100
	buffer_store_dword v56, off, s[0:3], 0 offset:96
	buffer_store_dword v56, off, s[0:3], 0 offset:100
	s_waitcnt vmcnt(0)
	ds_write_b64 v55, v[57:58]
.LBB90_147:
	s_or_b32 exec_lo, exec_lo, s4
	s_waitcnt lgkmcnt(0)
	s_waitcnt_vscnt null, 0x0
	s_barrier
	buffer_gl0_inv
	s_clause 0x1b
	buffer_load_dword v65, off, s[0:3], 0 offset:104
	buffer_load_dword v66, off, s[0:3], 0 offset:108
	;; [unrolled: 1-line block ×28, first 2 shown]
	ds_read2_b64 v[57:60], v56 offset0:41 offset1:42
	s_clause 0x1
	buffer_load_dword v93, off, s[0:3], 0 offset:96
	buffer_load_dword v94, off, s[0:3], 0 offset:100
	ds_read2_b64 v[61:64], v56 offset0:43 offset1:44
	s_mov_b32 s4, exec_lo
	s_waitcnt vmcnt(28) lgkmcnt(1)
	v_fma_f64 v[57:58], v[65:66], v[57:58], 0
	s_waitcnt vmcnt(26)
	v_fma_f64 v[57:58], v[67:68], v[59:60], v[57:58]
	s_waitcnt vmcnt(24) lgkmcnt(0)
	v_fma_f64 v[57:58], v[69:70], v[61:62], v[57:58]
	s_waitcnt vmcnt(22)
	v_fma_f64 v[65:66], v[71:72], v[63:64], v[57:58]
	ds_read2_b64 v[57:60], v56 offset0:45 offset1:46
	ds_read2_b64 v[61:64], v56 offset0:47 offset1:48
	s_waitcnt vmcnt(20) lgkmcnt(1)
	v_fma_f64 v[57:58], v[73:74], v[57:58], v[65:66]
	s_waitcnt vmcnt(18)
	v_fma_f64 v[57:58], v[75:76], v[59:60], v[57:58]
	s_waitcnt vmcnt(16) lgkmcnt(0)
	v_fma_f64 v[57:58], v[77:78], v[61:62], v[57:58]
	s_waitcnt vmcnt(11)
	v_fma_f64 v[65:66], v[79:80], v[63:64], v[57:58]
	ds_read2_b64 v[57:60], v56 offset0:49 offset1:50
	ds_read2_b64 v[61:64], v56 offset0:51 offset1:52
	s_waitcnt vmcnt(10) lgkmcnt(1)
	v_fma_f64 v[57:58], v[85:86], v[57:58], v[65:66]
	s_waitcnt vmcnt(9)
	v_fma_f64 v[57:58], v[83:84], v[59:60], v[57:58]
	s_waitcnt vmcnt(8) lgkmcnt(0)
	v_fma_f64 v[57:58], v[81:82], v[61:62], v[57:58]
	s_waitcnt vmcnt(4)
	v_fma_f64 v[60:61], v[87:88], v[63:64], v[57:58]
	ds_read2_b64 v[56:59], v56 offset0:53 offset1:54
	s_waitcnt vmcnt(3) lgkmcnt(0)
	v_fma_f64 v[56:57], v[91:92], v[56:57], v[60:61]
	s_waitcnt vmcnt(2)
	v_fma_f64 v[56:57], v[89:90], v[58:59], v[56:57]
	s_waitcnt vmcnt(0)
	v_add_f64 v[56:57], v[93:94], -v[56:57]
	buffer_store_dword v57, off, s[0:3], 0 offset:100
	buffer_store_dword v56, off, s[0:3], 0 offset:96
	v_cmpx_lt_u32_e32 11, v0
	s_cbranch_execz .LBB90_149
; %bb.148:
	s_clause 0x1
	buffer_load_dword v56, off, s[0:3], 0 offset:88
	buffer_load_dword v57, off, s[0:3], 0 offset:92
	v_mov_b32_e32 v58, 0
	buffer_store_dword v58, off, s[0:3], 0 offset:88
	buffer_store_dword v58, off, s[0:3], 0 offset:92
	s_waitcnt vmcnt(0)
	ds_write_b64 v55, v[56:57]
.LBB90_149:
	s_or_b32 exec_lo, exec_lo, s4
	s_waitcnt lgkmcnt(0)
	s_waitcnt_vscnt null, 0x0
	s_barrier
	buffer_gl0_inv
	s_clause 0x1c
	buffer_load_dword v65, off, s[0:3], 0 offset:96
	buffer_load_dword v66, off, s[0:3], 0 offset:100
	;; [unrolled: 1-line block ×29, first 2 shown]
	v_mov_b32_e32 v56, 0
	buffer_load_dword v90, off, s[0:3], 0 offset:212
	s_mov_b32 s4, exec_lo
	ds_read_b128 v[57:60], v56 offset:320
	ds_read_b128 v[61:64], v56 offset:336
	s_waitcnt vmcnt(28) lgkmcnt(1)
	v_fma_f64 v[57:58], v[65:66], v[57:58], 0
	s_clause 0x1
	buffer_load_dword v65, off, s[0:3], 0 offset:88
	buffer_load_dword v66, off, s[0:3], 0 offset:92
	s_waitcnt vmcnt(28)
	v_fma_f64 v[57:58], v[67:68], v[59:60], v[57:58]
	s_waitcnt vmcnt(26) lgkmcnt(0)
	v_fma_f64 v[57:58], v[69:70], v[61:62], v[57:58]
	s_waitcnt vmcnt(24)
	v_fma_f64 v[67:68], v[71:72], v[63:64], v[57:58]
	ds_read_b128 v[57:60], v56 offset:352
	ds_read_b128 v[61:64], v56 offset:368
	s_waitcnt vmcnt(22) lgkmcnt(1)
	v_fma_f64 v[57:58], v[73:74], v[57:58], v[67:68]
	s_waitcnt vmcnt(20)
	v_fma_f64 v[57:58], v[75:76], v[59:60], v[57:58]
	s_waitcnt vmcnt(18) lgkmcnt(0)
	v_fma_f64 v[57:58], v[77:78], v[61:62], v[57:58]
	s_waitcnt vmcnt(13)
	v_fma_f64 v[67:68], v[79:80], v[63:64], v[57:58]
	ds_read_b128 v[57:60], v56 offset:384
	ds_read_b128 v[61:64], v56 offset:400
	s_waitcnt vmcnt(12) lgkmcnt(1)
	v_fma_f64 v[57:58], v[85:86], v[57:58], v[67:68]
	s_waitcnt vmcnt(11)
	v_fma_f64 v[57:58], v[83:84], v[59:60], v[57:58]
	s_waitcnt vmcnt(10) lgkmcnt(0)
	v_fma_f64 v[57:58], v[81:82], v[61:62], v[57:58]
	s_waitcnt vmcnt(5)
	v_fma_f64 v[61:62], v[87:88], v[63:64], v[57:58]
	ds_read_b128 v[57:60], v56 offset:416
	ds_read_b64 v[63:64], v56 offset:432
	s_waitcnt vmcnt(4) lgkmcnt(1)
	v_fma_f64 v[57:58], v[93:94], v[57:58], v[61:62]
	s_waitcnt vmcnt(3)
	v_fma_f64 v[57:58], v[91:92], v[59:60], v[57:58]
	s_waitcnt vmcnt(2) lgkmcnt(0)
	v_fma_f64 v[57:58], v[89:90], v[63:64], v[57:58]
	s_waitcnt vmcnt(0)
	v_add_f64 v[57:58], v[65:66], -v[57:58]
	buffer_store_dword v58, off, s[0:3], 0 offset:92
	buffer_store_dword v57, off, s[0:3], 0 offset:88
	v_cmpx_lt_u32_e32 10, v0
	s_cbranch_execz .LBB90_151
; %bb.150:
	s_clause 0x1
	buffer_load_dword v57, off, s[0:3], 0 offset:80
	buffer_load_dword v58, off, s[0:3], 0 offset:84
	buffer_store_dword v56, off, s[0:3], 0 offset:80
	buffer_store_dword v56, off, s[0:3], 0 offset:84
	s_waitcnt vmcnt(0)
	ds_write_b64 v55, v[57:58]
.LBB90_151:
	s_or_b32 exec_lo, exec_lo, s4
	s_waitcnt lgkmcnt(0)
	s_waitcnt_vscnt null, 0x0
	s_barrier
	buffer_gl0_inv
	s_clause 0x1c
	buffer_load_dword v65, off, s[0:3], 0 offset:88
	buffer_load_dword v66, off, s[0:3], 0 offset:92
	;; [unrolled: 1-line block ×29, first 2 shown]
	ds_read2_b64 v[57:60], v56 offset0:39 offset1:40
	ds_read2_b64 v[61:64], v56 offset0:41 offset1:42
	buffer_load_dword v90, off, s[0:3], 0 offset:204
	s_mov_b32 s4, exec_lo
	s_waitcnt vmcnt(28) lgkmcnt(1)
	v_fma_f64 v[57:58], v[65:66], v[57:58], 0
	s_clause 0x1
	buffer_load_dword v66, off, s[0:3], 0 offset:212
	buffer_load_dword v65, off, s[0:3], 0 offset:208
	s_waitcnt vmcnt(28)
	v_fma_f64 v[57:58], v[67:68], v[59:60], v[57:58]
	s_clause 0x1
	buffer_load_dword v67, off, s[0:3], 0 offset:80
	buffer_load_dword v68, off, s[0:3], 0 offset:84
	s_waitcnt vmcnt(28) lgkmcnt(0)
	v_fma_f64 v[57:58], v[69:70], v[61:62], v[57:58]
	s_waitcnt vmcnt(26)
	v_fma_f64 v[69:70], v[71:72], v[63:64], v[57:58]
	ds_read2_b64 v[57:60], v56 offset0:43 offset1:44
	ds_read2_b64 v[61:64], v56 offset0:45 offset1:46
	s_waitcnt vmcnt(24) lgkmcnt(1)
	v_fma_f64 v[57:58], v[73:74], v[57:58], v[69:70]
	s_waitcnt vmcnt(22)
	v_fma_f64 v[57:58], v[75:76], v[59:60], v[57:58]
	s_waitcnt vmcnt(20) lgkmcnt(0)
	v_fma_f64 v[57:58], v[77:78], v[61:62], v[57:58]
	s_waitcnt vmcnt(15)
	v_fma_f64 v[69:70], v[79:80], v[63:64], v[57:58]
	ds_read2_b64 v[57:60], v56 offset0:47 offset1:48
	ds_read2_b64 v[61:64], v56 offset0:49 offset1:50
	s_waitcnt vmcnt(14) lgkmcnt(1)
	v_fma_f64 v[57:58], v[85:86], v[57:58], v[69:70]
	s_waitcnt vmcnt(13)
	v_fma_f64 v[57:58], v[83:84], v[59:60], v[57:58]
	;; [unrolled: 10-line block ×3, first 2 shown]
	s_waitcnt vmcnt(4) lgkmcnt(0)
	v_fma_f64 v[56:57], v[89:90], v[61:62], v[56:57]
	s_waitcnt vmcnt(2)
	v_fma_f64 v[56:57], v[65:66], v[63:64], v[56:57]
	s_waitcnt vmcnt(0)
	v_add_f64 v[56:57], v[67:68], -v[56:57]
	buffer_store_dword v57, off, s[0:3], 0 offset:84
	buffer_store_dword v56, off, s[0:3], 0 offset:80
	v_cmpx_lt_u32_e32 9, v0
	s_cbranch_execz .LBB90_153
; %bb.152:
	s_clause 0x1
	buffer_load_dword v56, off, s[0:3], 0 offset:72
	buffer_load_dword v57, off, s[0:3], 0 offset:76
	v_mov_b32_e32 v58, 0
	buffer_store_dword v58, off, s[0:3], 0 offset:72
	buffer_store_dword v58, off, s[0:3], 0 offset:76
	s_waitcnt vmcnt(0)
	ds_write_b64 v55, v[56:57]
.LBB90_153:
	s_or_b32 exec_lo, exec_lo, s4
	s_waitcnt lgkmcnt(0)
	s_waitcnt_vscnt null, 0x0
	s_barrier
	buffer_gl0_inv
	s_clause 0x1c
	buffer_load_dword v65, off, s[0:3], 0 offset:80
	buffer_load_dword v66, off, s[0:3], 0 offset:84
	;; [unrolled: 1-line block ×29, first 2 shown]
	v_mov_b32_e32 v56, 0
	buffer_load_dword v90, off, s[0:3], 0 offset:196
	s_mov_b32 s4, exec_lo
	ds_read_b128 v[57:60], v56 offset:304
	ds_read_b128 v[61:64], v56 offset:320
	s_waitcnt vmcnt(28) lgkmcnt(1)
	v_fma_f64 v[57:58], v[65:66], v[57:58], 0
	s_clause 0x3
	buffer_load_dword v66, off, s[0:3], 0 offset:204
	buffer_load_dword v95, off, s[0:3], 0 offset:208
	;; [unrolled: 1-line block ×4, first 2 shown]
	s_waitcnt vmcnt(30)
	v_fma_f64 v[57:58], v[67:68], v[59:60], v[57:58]
	s_clause 0x1
	buffer_load_dword v67, off, s[0:3], 0 offset:72
	buffer_load_dword v68, off, s[0:3], 0 offset:76
	s_waitcnt vmcnt(30) lgkmcnt(0)
	v_fma_f64 v[57:58], v[69:70], v[61:62], v[57:58]
	s_waitcnt vmcnt(28)
	v_fma_f64 v[69:70], v[71:72], v[63:64], v[57:58]
	ds_read_b128 v[57:60], v56 offset:336
	ds_read_b128 v[61:64], v56 offset:352
	s_waitcnt vmcnt(26) lgkmcnt(1)
	v_fma_f64 v[57:58], v[73:74], v[57:58], v[69:70]
	s_waitcnt vmcnt(24)
	v_fma_f64 v[57:58], v[75:76], v[59:60], v[57:58]
	s_waitcnt vmcnt(22) lgkmcnt(0)
	v_fma_f64 v[57:58], v[77:78], v[61:62], v[57:58]
	s_waitcnt vmcnt(17)
	v_fma_f64 v[69:70], v[79:80], v[63:64], v[57:58]
	ds_read_b128 v[57:60], v56 offset:368
	ds_read_b128 v[61:64], v56 offset:384
	s_waitcnt vmcnt(16) lgkmcnt(1)
	v_fma_f64 v[57:58], v[85:86], v[57:58], v[69:70]
	s_waitcnt vmcnt(15)
	v_fma_f64 v[57:58], v[83:84], v[59:60], v[57:58]
	s_waitcnt vmcnt(14) lgkmcnt(0)
	v_fma_f64 v[57:58], v[81:82], v[61:62], v[57:58]
	s_waitcnt vmcnt(9)
	v_fma_f64 v[69:70], v[87:88], v[63:64], v[57:58]
	ds_read_b128 v[57:60], v56 offset:400
	ds_read_b128 v[61:64], v56 offset:416
	s_waitcnt vmcnt(8) lgkmcnt(1)
	v_fma_f64 v[57:58], v[93:94], v[57:58], v[69:70]
	s_waitcnt vmcnt(7)
	v_fma_f64 v[57:58], v[91:92], v[59:60], v[57:58]
	ds_read_b64 v[59:60], v56 offset:432
	s_waitcnt vmcnt(6) lgkmcnt(1)
	v_fma_f64 v[57:58], v[89:90], v[61:62], v[57:58]
	s_waitcnt vmcnt(3)
	v_fma_f64 v[57:58], v[65:66], v[63:64], v[57:58]
	s_waitcnt vmcnt(2) lgkmcnt(0)
	v_fma_f64 v[57:58], v[95:96], v[59:60], v[57:58]
	s_waitcnt vmcnt(0)
	v_add_f64 v[57:58], v[67:68], -v[57:58]
	buffer_store_dword v58, off, s[0:3], 0 offset:76
	buffer_store_dword v57, off, s[0:3], 0 offset:72
	v_cmpx_lt_u32_e32 8, v0
	s_cbranch_execz .LBB90_155
; %bb.154:
	s_clause 0x1
	buffer_load_dword v57, off, s[0:3], 0 offset:64
	buffer_load_dword v58, off, s[0:3], 0 offset:68
	buffer_store_dword v56, off, s[0:3], 0 offset:64
	buffer_store_dword v56, off, s[0:3], 0 offset:68
	s_waitcnt vmcnt(0)
	ds_write_b64 v55, v[57:58]
.LBB90_155:
	s_or_b32 exec_lo, exec_lo, s4
	s_waitcnt lgkmcnt(0)
	s_waitcnt_vscnt null, 0x0
	s_barrier
	buffer_gl0_inv
	s_clause 0x1c
	buffer_load_dword v65, off, s[0:3], 0 offset:72
	buffer_load_dword v66, off, s[0:3], 0 offset:76
	;; [unrolled: 1-line block ×29, first 2 shown]
	ds_read2_b64 v[57:60], v56 offset0:37 offset1:38
	ds_read2_b64 v[61:64], v56 offset0:39 offset1:40
	buffer_load_dword v90, off, s[0:3], 0 offset:188
	s_mov_b32 s4, exec_lo
	s_waitcnt vmcnt(28) lgkmcnt(1)
	v_fma_f64 v[57:58], v[65:66], v[57:58], 0
	s_clause 0x5
	buffer_load_dword v66, off, s[0:3], 0 offset:196
	buffer_load_dword v95, off, s[0:3], 0 offset:208
	;; [unrolled: 1-line block ×6, first 2 shown]
	s_waitcnt vmcnt(32)
	v_fma_f64 v[57:58], v[67:68], v[59:60], v[57:58]
	s_waitcnt vmcnt(30) lgkmcnt(0)
	v_fma_f64 v[57:58], v[69:70], v[61:62], v[57:58]
	s_waitcnt vmcnt(28)
	v_fma_f64 v[67:68], v[71:72], v[63:64], v[57:58]
	ds_read2_b64 v[57:60], v56 offset0:41 offset1:42
	s_clause 0x1
	buffer_load_dword v69, off, s[0:3], 0 offset:64
	buffer_load_dword v70, off, s[0:3], 0 offset:68
	ds_read2_b64 v[61:64], v56 offset0:43 offset1:44
	s_waitcnt vmcnt(28) lgkmcnt(1)
	v_fma_f64 v[57:58], v[73:74], v[57:58], v[67:68]
	s_waitcnt vmcnt(26)
	v_fma_f64 v[57:58], v[75:76], v[59:60], v[57:58]
	s_waitcnt vmcnt(24) lgkmcnt(0)
	v_fma_f64 v[57:58], v[77:78], v[61:62], v[57:58]
	s_waitcnt vmcnt(19)
	v_fma_f64 v[67:68], v[79:80], v[63:64], v[57:58]
	ds_read2_b64 v[57:60], v56 offset0:45 offset1:46
	ds_read2_b64 v[61:64], v56 offset0:47 offset1:48
	s_waitcnt vmcnt(18) lgkmcnt(1)
	v_fma_f64 v[57:58], v[85:86], v[57:58], v[67:68]
	s_waitcnt vmcnt(17)
	v_fma_f64 v[57:58], v[83:84], v[59:60], v[57:58]
	s_waitcnt vmcnt(16) lgkmcnt(0)
	v_fma_f64 v[57:58], v[81:82], v[61:62], v[57:58]
	s_waitcnt vmcnt(11)
	v_fma_f64 v[67:68], v[87:88], v[63:64], v[57:58]
	ds_read2_b64 v[57:60], v56 offset0:49 offset1:50
	;; [unrolled: 10-line block ×3, first 2 shown]
	s_waitcnt vmcnt(3) lgkmcnt(0)
	v_fma_f64 v[56:57], v[97:98], v[56:57], v[60:61]
	s_waitcnt vmcnt(2)
	v_fma_f64 v[56:57], v[95:96], v[58:59], v[56:57]
	s_waitcnt vmcnt(0)
	v_add_f64 v[56:57], v[69:70], -v[56:57]
	buffer_store_dword v57, off, s[0:3], 0 offset:68
	buffer_store_dword v56, off, s[0:3], 0 offset:64
	v_cmpx_lt_u32_e32 7, v0
	s_cbranch_execz .LBB90_157
; %bb.156:
	s_clause 0x1
	buffer_load_dword v56, off, s[0:3], 0 offset:56
	buffer_load_dword v57, off, s[0:3], 0 offset:60
	v_mov_b32_e32 v58, 0
	buffer_store_dword v58, off, s[0:3], 0 offset:56
	buffer_store_dword v58, off, s[0:3], 0 offset:60
	s_waitcnt vmcnt(0)
	ds_write_b64 v55, v[56:57]
.LBB90_157:
	s_or_b32 exec_lo, exec_lo, s4
	s_waitcnt lgkmcnt(0)
	s_waitcnt_vscnt null, 0x0
	s_barrier
	buffer_gl0_inv
	s_clause 0x1c
	buffer_load_dword v65, off, s[0:3], 0 offset:64
	buffer_load_dword v66, off, s[0:3], 0 offset:68
	;; [unrolled: 1-line block ×29, first 2 shown]
	v_mov_b32_e32 v56, 0
	buffer_load_dword v90, off, s[0:3], 0 offset:180
	s_mov_b32 s4, exec_lo
	ds_read_b128 v[57:60], v56 offset:288
	ds_read_b128 v[61:64], v56 offset:304
	s_waitcnt vmcnt(28) lgkmcnt(1)
	v_fma_f64 v[57:58], v[65:66], v[57:58], 0
	s_clause 0x7
	buffer_load_dword v66, off, s[0:3], 0 offset:188
	buffer_load_dword v95, off, s[0:3], 0 offset:208
	;; [unrolled: 1-line block ×8, first 2 shown]
	s_waitcnt vmcnt(34)
	v_fma_f64 v[57:58], v[67:68], v[59:60], v[57:58]
	s_waitcnt vmcnt(32) lgkmcnt(0)
	v_fma_f64 v[57:58], v[69:70], v[61:62], v[57:58]
	s_waitcnt vmcnt(30)
	v_fma_f64 v[67:68], v[71:72], v[63:64], v[57:58]
	ds_read_b128 v[57:60], v56 offset:320
	ds_read_b128 v[61:64], v56 offset:336
	s_waitcnt vmcnt(28) lgkmcnt(1)
	v_fma_f64 v[57:58], v[73:74], v[57:58], v[67:68]
	s_clause 0x1
	buffer_load_dword v67, off, s[0:3], 0 offset:56
	buffer_load_dword v68, off, s[0:3], 0 offset:60
	s_waitcnt vmcnt(28)
	v_fma_f64 v[57:58], v[75:76], v[59:60], v[57:58]
	s_waitcnt vmcnt(26) lgkmcnt(0)
	v_fma_f64 v[57:58], v[77:78], v[61:62], v[57:58]
	s_waitcnt vmcnt(21)
	v_fma_f64 v[69:70], v[79:80], v[63:64], v[57:58]
	ds_read_b128 v[57:60], v56 offset:352
	ds_read_b128 v[61:64], v56 offset:368
	s_waitcnt vmcnt(20) lgkmcnt(1)
	v_fma_f64 v[57:58], v[85:86], v[57:58], v[69:70]
	s_waitcnt vmcnt(19)
	v_fma_f64 v[57:58], v[83:84], v[59:60], v[57:58]
	s_waitcnt vmcnt(18) lgkmcnt(0)
	v_fma_f64 v[57:58], v[81:82], v[61:62], v[57:58]
	s_waitcnt vmcnt(13)
	v_fma_f64 v[69:70], v[87:88], v[63:64], v[57:58]
	ds_read_b128 v[57:60], v56 offset:384
	ds_read_b128 v[61:64], v56 offset:400
	s_waitcnt vmcnt(12) lgkmcnt(1)
	v_fma_f64 v[57:58], v[93:94], v[57:58], v[69:70]
	s_waitcnt vmcnt(11)
	v_fma_f64 v[57:58], v[91:92], v[59:60], v[57:58]
	s_waitcnt vmcnt(10) lgkmcnt(0)
	v_fma_f64 v[57:58], v[89:90], v[61:62], v[57:58]
	s_waitcnt vmcnt(5)
	v_fma_f64 v[61:62], v[65:66], v[63:64], v[57:58]
	ds_read_b128 v[57:60], v56 offset:416
	ds_read_b64 v[63:64], v56 offset:432
	s_waitcnt vmcnt(4) lgkmcnt(1)
	v_fma_f64 v[57:58], v[99:100], v[57:58], v[61:62]
	s_waitcnt vmcnt(3)
	v_fma_f64 v[57:58], v[97:98], v[59:60], v[57:58]
	s_waitcnt vmcnt(2) lgkmcnt(0)
	v_fma_f64 v[57:58], v[95:96], v[63:64], v[57:58]
	s_waitcnt vmcnt(0)
	v_add_f64 v[57:58], v[67:68], -v[57:58]
	buffer_store_dword v58, off, s[0:3], 0 offset:60
	buffer_store_dword v57, off, s[0:3], 0 offset:56
	v_cmpx_lt_u32_e32 6, v0
	s_cbranch_execz .LBB90_159
; %bb.158:
	s_clause 0x1
	buffer_load_dword v57, off, s[0:3], 0 offset:48
	buffer_load_dword v58, off, s[0:3], 0 offset:52
	buffer_store_dword v56, off, s[0:3], 0 offset:48
	buffer_store_dword v56, off, s[0:3], 0 offset:52
	s_waitcnt vmcnt(0)
	ds_write_b64 v55, v[57:58]
.LBB90_159:
	s_or_b32 exec_lo, exec_lo, s4
	s_waitcnt lgkmcnt(0)
	s_waitcnt_vscnt null, 0x0
	s_barrier
	buffer_gl0_inv
	s_clause 0x1c
	buffer_load_dword v65, off, s[0:3], 0 offset:56
	buffer_load_dword v66, off, s[0:3], 0 offset:60
	;; [unrolled: 1-line block ×29, first 2 shown]
	ds_read2_b64 v[57:60], v56 offset0:35 offset1:36
	ds_read2_b64 v[61:64], v56 offset0:37 offset1:38
	buffer_load_dword v90, off, s[0:3], 0 offset:172
	s_mov_b32 s4, exec_lo
	s_waitcnt vmcnt(28) lgkmcnt(1)
	v_fma_f64 v[57:58], v[65:66], v[57:58], 0
	s_clause 0x7
	buffer_load_dword v66, off, s[0:3], 0 offset:180
	buffer_load_dword v95, off, s[0:3], 0 offset:200
	;; [unrolled: 1-line block ×8, first 2 shown]
	s_waitcnt vmcnt(34)
	v_fma_f64 v[57:58], v[67:68], v[59:60], v[57:58]
	s_waitcnt vmcnt(32) lgkmcnt(0)
	v_fma_f64 v[57:58], v[69:70], v[61:62], v[57:58]
	s_waitcnt vmcnt(30)
	v_fma_f64 v[67:68], v[71:72], v[63:64], v[57:58]
	ds_read2_b64 v[57:60], v56 offset0:39 offset1:40
	ds_read2_b64 v[61:64], v56 offset0:41 offset1:42
	s_waitcnt vmcnt(28) lgkmcnt(1)
	v_fma_f64 v[57:58], v[73:74], v[57:58], v[67:68]
	s_clause 0x3
	buffer_load_dword v68, off, s[0:3], 0 offset:212
	buffer_load_dword v67, off, s[0:3], 0 offset:208
	;; [unrolled: 1-line block ×4, first 2 shown]
	s_waitcnt vmcnt(30)
	v_fma_f64 v[57:58], v[75:76], v[59:60], v[57:58]
	s_waitcnt vmcnt(28) lgkmcnt(0)
	v_fma_f64 v[57:58], v[77:78], v[61:62], v[57:58]
	s_waitcnt vmcnt(23)
	v_fma_f64 v[71:72], v[79:80], v[63:64], v[57:58]
	ds_read2_b64 v[57:60], v56 offset0:43 offset1:44
	ds_read2_b64 v[61:64], v56 offset0:45 offset1:46
	s_waitcnt vmcnt(22) lgkmcnt(1)
	v_fma_f64 v[57:58], v[85:86], v[57:58], v[71:72]
	s_waitcnt vmcnt(21)
	v_fma_f64 v[57:58], v[83:84], v[59:60], v[57:58]
	s_waitcnt vmcnt(20) lgkmcnt(0)
	v_fma_f64 v[57:58], v[81:82], v[61:62], v[57:58]
	s_waitcnt vmcnt(15)
	v_fma_f64 v[71:72], v[87:88], v[63:64], v[57:58]
	ds_read2_b64 v[57:60], v56 offset0:47 offset1:48
	ds_read2_b64 v[61:64], v56 offset0:49 offset1:50
	s_waitcnt vmcnt(14) lgkmcnt(1)
	v_fma_f64 v[57:58], v[93:94], v[57:58], v[71:72]
	;; [unrolled: 10-line block ×3, first 2 shown]
	s_waitcnt vmcnt(5)
	v_fma_f64 v[56:57], v[97:98], v[59:60], v[56:57]
	s_waitcnt vmcnt(4) lgkmcnt(0)
	v_fma_f64 v[56:57], v[95:96], v[61:62], v[56:57]
	s_waitcnt vmcnt(2)
	v_fma_f64 v[56:57], v[67:68], v[63:64], v[56:57]
	s_waitcnt vmcnt(0)
	v_add_f64 v[56:57], v[69:70], -v[56:57]
	buffer_store_dword v57, off, s[0:3], 0 offset:52
	buffer_store_dword v56, off, s[0:3], 0 offset:48
	v_cmpx_lt_u32_e32 5, v0
	s_cbranch_execz .LBB90_161
; %bb.160:
	s_clause 0x1
	buffer_load_dword v56, off, s[0:3], 0 offset:40
	buffer_load_dword v57, off, s[0:3], 0 offset:44
	v_mov_b32_e32 v58, 0
	buffer_store_dword v58, off, s[0:3], 0 offset:40
	buffer_store_dword v58, off, s[0:3], 0 offset:44
	s_waitcnt vmcnt(0)
	ds_write_b64 v55, v[56:57]
.LBB90_161:
	s_or_b32 exec_lo, exec_lo, s4
	s_waitcnt lgkmcnt(0)
	s_waitcnt_vscnt null, 0x0
	s_barrier
	buffer_gl0_inv
	s_clause 0x1c
	buffer_load_dword v65, off, s[0:3], 0 offset:48
	buffer_load_dword v66, off, s[0:3], 0 offset:52
	;; [unrolled: 1-line block ×29, first 2 shown]
	v_mov_b32_e32 v56, 0
	buffer_load_dword v90, off, s[0:3], 0 offset:164
	s_mov_b32 s4, exec_lo
	ds_read_b128 v[57:60], v56 offset:272
	ds_read_b128 v[61:64], v56 offset:288
	s_waitcnt vmcnt(28) lgkmcnt(1)
	v_fma_f64 v[57:58], v[65:66], v[57:58], 0
	s_clause 0x7
	buffer_load_dword v66, off, s[0:3], 0 offset:172
	buffer_load_dword v95, off, s[0:3], 0 offset:192
	;; [unrolled: 1-line block ×8, first 2 shown]
	s_waitcnt vmcnt(34)
	v_fma_f64 v[57:58], v[67:68], v[59:60], v[57:58]
	s_waitcnt vmcnt(32) lgkmcnt(0)
	v_fma_f64 v[57:58], v[69:70], v[61:62], v[57:58]
	s_waitcnt vmcnt(30)
	v_fma_f64 v[67:68], v[71:72], v[63:64], v[57:58]
	ds_read_b128 v[57:60], v56 offset:304
	ds_read_b128 v[61:64], v56 offset:320
	s_waitcnt vmcnt(28) lgkmcnt(1)
	v_fma_f64 v[57:58], v[73:74], v[57:58], v[67:68]
	s_clause 0x5
	buffer_load_dword v68, off, s[0:3], 0 offset:204
	buffer_load_dword v69, off, s[0:3], 0 offset:208
	;; [unrolled: 1-line block ×6, first 2 shown]
	s_waitcnt vmcnt(32)
	v_fma_f64 v[57:58], v[75:76], v[59:60], v[57:58]
	s_waitcnt vmcnt(30) lgkmcnt(0)
	v_fma_f64 v[57:58], v[77:78], v[61:62], v[57:58]
	s_waitcnt vmcnt(25)
	v_fma_f64 v[73:74], v[79:80], v[63:64], v[57:58]
	ds_read_b128 v[57:60], v56 offset:336
	ds_read_b128 v[61:64], v56 offset:352
	s_waitcnt vmcnt(24) lgkmcnt(1)
	v_fma_f64 v[57:58], v[85:86], v[57:58], v[73:74]
	s_waitcnt vmcnt(23)
	v_fma_f64 v[57:58], v[83:84], v[59:60], v[57:58]
	s_waitcnt vmcnt(22) lgkmcnt(0)
	v_fma_f64 v[57:58], v[81:82], v[61:62], v[57:58]
	s_waitcnt vmcnt(17)
	v_fma_f64 v[73:74], v[87:88], v[63:64], v[57:58]
	ds_read_b128 v[57:60], v56 offset:368
	ds_read_b128 v[61:64], v56 offset:384
	s_waitcnt vmcnt(16) lgkmcnt(1)
	v_fma_f64 v[57:58], v[93:94], v[57:58], v[73:74]
	;; [unrolled: 10-line block ×3, first 2 shown]
	s_waitcnt vmcnt(7)
	v_fma_f64 v[57:58], v[97:98], v[59:60], v[57:58]
	ds_read_b64 v[59:60], v56 offset:432
	s_waitcnt vmcnt(6) lgkmcnt(1)
	v_fma_f64 v[57:58], v[95:96], v[61:62], v[57:58]
	s_waitcnt vmcnt(3)
	v_fma_f64 v[57:58], v[67:68], v[63:64], v[57:58]
	s_waitcnt vmcnt(2) lgkmcnt(0)
	v_fma_f64 v[57:58], v[69:70], v[59:60], v[57:58]
	s_waitcnt vmcnt(0)
	v_add_f64 v[57:58], v[71:72], -v[57:58]
	buffer_store_dword v58, off, s[0:3], 0 offset:44
	buffer_store_dword v57, off, s[0:3], 0 offset:40
	v_cmpx_lt_u32_e32 4, v0
	s_cbranch_execz .LBB90_163
; %bb.162:
	s_clause 0x1
	buffer_load_dword v57, off, s[0:3], 0 offset:32
	buffer_load_dword v58, off, s[0:3], 0 offset:36
	buffer_store_dword v56, off, s[0:3], 0 offset:32
	buffer_store_dword v56, off, s[0:3], 0 offset:36
	s_waitcnt vmcnt(0)
	ds_write_b64 v55, v[57:58]
.LBB90_163:
	s_or_b32 exec_lo, exec_lo, s4
	s_waitcnt lgkmcnt(0)
	s_waitcnt_vscnt null, 0x0
	s_barrier
	buffer_gl0_inv
	s_clause 0x1c
	buffer_load_dword v65, off, s[0:3], 0 offset:40
	buffer_load_dword v66, off, s[0:3], 0 offset:44
	buffer_load_dword v67, off, s[0:3], 0 offset:48
	buffer_load_dword v68, off, s[0:3], 0 offset:52
	buffer_load_dword v69, off, s[0:3], 0 offset:56
	buffer_load_dword v70, off, s[0:3], 0 offset:60
	buffer_load_dword v71, off, s[0:3], 0 offset:64
	buffer_load_dword v72, off, s[0:3], 0 offset:68
	buffer_load_dword v73, off, s[0:3], 0 offset:72
	buffer_load_dword v74, off, s[0:3], 0 offset:76
	buffer_load_dword v75, off, s[0:3], 0 offset:80
	buffer_load_dword v76, off, s[0:3], 0 offset:84
	buffer_load_dword v77, off, s[0:3], 0 offset:88
	buffer_load_dword v78, off, s[0:3], 0 offset:92
	buffer_load_dword v80, off, s[0:3], 0 offset:100
	buffer_load_dword v81, off, s[0:3], 0 offset:120
	buffer_load_dword v83, off, s[0:3], 0 offset:112
	buffer_load_dword v85, off, s[0:3], 0 offset:104
	buffer_load_dword v79, off, s[0:3], 0 offset:96
	buffer_load_dword v86, off, s[0:3], 0 offset:108
	buffer_load_dword v84, off, s[0:3], 0 offset:116
	buffer_load_dword v82, off, s[0:3], 0 offset:124
	buffer_load_dword v88, off, s[0:3], 0 offset:132
	buffer_load_dword v89, off, s[0:3], 0 offset:152
	buffer_load_dword v91, off, s[0:3], 0 offset:144
	buffer_load_dword v93, off, s[0:3], 0 offset:136
	buffer_load_dword v87, off, s[0:3], 0 offset:128
	buffer_load_dword v94, off, s[0:3], 0 offset:140
	buffer_load_dword v92, off, s[0:3], 0 offset:148
	ds_read2_b64 v[57:60], v56 offset0:33 offset1:34
	ds_read2_b64 v[61:64], v56 offset0:35 offset1:36
	buffer_load_dword v90, off, s[0:3], 0 offset:156
	s_mov_b32 s4, exec_lo
	s_waitcnt vmcnt(28) lgkmcnt(1)
	v_fma_f64 v[57:58], v[65:66], v[57:58], 0
	s_clause 0x7
	buffer_load_dword v66, off, s[0:3], 0 offset:164
	buffer_load_dword v95, off, s[0:3], 0 offset:184
	;; [unrolled: 1-line block ×8, first 2 shown]
	s_waitcnt vmcnt(34)
	v_fma_f64 v[57:58], v[67:68], v[59:60], v[57:58]
	s_waitcnt vmcnt(32) lgkmcnt(0)
	v_fma_f64 v[57:58], v[69:70], v[61:62], v[57:58]
	s_waitcnt vmcnt(30)
	v_fma_f64 v[67:68], v[71:72], v[63:64], v[57:58]
	ds_read2_b64 v[57:60], v56 offset0:37 offset1:38
	ds_read2_b64 v[61:64], v56 offset0:39 offset1:40
	s_waitcnt vmcnt(28) lgkmcnt(1)
	v_fma_f64 v[57:58], v[73:74], v[57:58], v[67:68]
	s_clause 0x5
	buffer_load_dword v68, off, s[0:3], 0 offset:196
	buffer_load_dword v69, off, s[0:3], 0 offset:208
	;; [unrolled: 1-line block ×6, first 2 shown]
	s_waitcnt vmcnt(32)
	v_fma_f64 v[57:58], v[75:76], v[59:60], v[57:58]
	s_waitcnt vmcnt(30) lgkmcnt(0)
	v_fma_f64 v[57:58], v[77:78], v[61:62], v[57:58]
	s_waitcnt vmcnt(25)
	v_fma_f64 v[73:74], v[79:80], v[63:64], v[57:58]
	ds_read2_b64 v[57:60], v56 offset0:41 offset1:42
	s_clause 0x1
	buffer_load_dword v75, off, s[0:3], 0 offset:32
	buffer_load_dword v76, off, s[0:3], 0 offset:36
	ds_read2_b64 v[61:64], v56 offset0:43 offset1:44
	s_waitcnt vmcnt(26) lgkmcnt(1)
	v_fma_f64 v[57:58], v[85:86], v[57:58], v[73:74]
	s_waitcnt vmcnt(25)
	v_fma_f64 v[57:58], v[83:84], v[59:60], v[57:58]
	s_waitcnt vmcnt(24) lgkmcnt(0)
	v_fma_f64 v[57:58], v[81:82], v[61:62], v[57:58]
	s_waitcnt vmcnt(19)
	v_fma_f64 v[73:74], v[87:88], v[63:64], v[57:58]
	ds_read2_b64 v[57:60], v56 offset0:45 offset1:46
	ds_read2_b64 v[61:64], v56 offset0:47 offset1:48
	s_waitcnt vmcnt(18) lgkmcnt(1)
	v_fma_f64 v[57:58], v[93:94], v[57:58], v[73:74]
	s_waitcnt vmcnt(17)
	v_fma_f64 v[57:58], v[91:92], v[59:60], v[57:58]
	s_waitcnt vmcnt(16) lgkmcnt(0)
	v_fma_f64 v[57:58], v[89:90], v[61:62], v[57:58]
	s_waitcnt vmcnt(11)
	v_fma_f64 v[65:66], v[65:66], v[63:64], v[57:58]
	ds_read2_b64 v[57:60], v56 offset0:49 offset1:50
	ds_read2_b64 v[61:64], v56 offset0:51 offset1:52
	s_waitcnt vmcnt(10) lgkmcnt(1)
	v_fma_f64 v[57:58], v[99:100], v[57:58], v[65:66]
	s_waitcnt vmcnt(9)
	v_fma_f64 v[57:58], v[97:98], v[59:60], v[57:58]
	s_waitcnt vmcnt(8) lgkmcnt(0)
	v_fma_f64 v[57:58], v[95:96], v[61:62], v[57:58]
	s_waitcnt vmcnt(4)
	v_fma_f64 v[60:61], v[67:68], v[63:64], v[57:58]
	ds_read2_b64 v[56:59], v56 offset0:53 offset1:54
	s_waitcnt vmcnt(3) lgkmcnt(0)
	v_fma_f64 v[56:57], v[71:72], v[56:57], v[60:61]
	s_waitcnt vmcnt(2)
	v_fma_f64 v[56:57], v[69:70], v[58:59], v[56:57]
	s_waitcnt vmcnt(0)
	v_add_f64 v[56:57], v[75:76], -v[56:57]
	buffer_store_dword v57, off, s[0:3], 0 offset:36
	buffer_store_dword v56, off, s[0:3], 0 offset:32
	v_cmpx_lt_u32_e32 3, v0
	s_cbranch_execz .LBB90_165
; %bb.164:
	s_clause 0x1
	buffer_load_dword v56, off, s[0:3], 0 offset:24
	buffer_load_dword v57, off, s[0:3], 0 offset:28
	v_mov_b32_e32 v58, 0
	buffer_store_dword v58, off, s[0:3], 0 offset:24
	buffer_store_dword v58, off, s[0:3], 0 offset:28
	s_waitcnt vmcnt(0)
	ds_write_b64 v55, v[56:57]
.LBB90_165:
	s_or_b32 exec_lo, exec_lo, s4
	s_waitcnt lgkmcnt(0)
	s_waitcnt_vscnt null, 0x0
	s_barrier
	buffer_gl0_inv
	s_clause 0x1c
	buffer_load_dword v65, off, s[0:3], 0 offset:32
	buffer_load_dword v66, off, s[0:3], 0 offset:36
	;; [unrolled: 1-line block ×29, first 2 shown]
	v_mov_b32_e32 v56, 0
	buffer_load_dword v90, off, s[0:3], 0 offset:148
	s_mov_b32 s4, exec_lo
	ds_read_b128 v[57:60], v56 offset:256
	ds_read_b128 v[61:64], v56 offset:272
	s_waitcnt vmcnt(28) lgkmcnt(1)
	v_fma_f64 v[57:58], v[65:66], v[57:58], 0
	s_clause 0x7
	buffer_load_dword v66, off, s[0:3], 0 offset:156
	buffer_load_dword v95, off, s[0:3], 0 offset:176
	;; [unrolled: 1-line block ×8, first 2 shown]
	s_waitcnt vmcnt(34)
	v_fma_f64 v[57:58], v[67:68], v[59:60], v[57:58]
	s_waitcnt vmcnt(32) lgkmcnt(0)
	v_fma_f64 v[57:58], v[69:70], v[61:62], v[57:58]
	s_waitcnt vmcnt(30)
	v_fma_f64 v[67:68], v[71:72], v[63:64], v[57:58]
	ds_read_b128 v[57:60], v56 offset:288
	ds_read_b128 v[61:64], v56 offset:304
	s_waitcnt vmcnt(28) lgkmcnt(1)
	v_fma_f64 v[57:58], v[73:74], v[57:58], v[67:68]
	s_clause 0x7
	buffer_load_dword v68, off, s[0:3], 0 offset:188
	buffer_load_dword v69, off, s[0:3], 0 offset:208
	;; [unrolled: 1-line block ×8, first 2 shown]
	s_waitcnt vmcnt(34)
	v_fma_f64 v[57:58], v[75:76], v[59:60], v[57:58]
	s_waitcnt vmcnt(32) lgkmcnt(0)
	v_fma_f64 v[57:58], v[77:78], v[61:62], v[57:58]
	s_waitcnt vmcnt(27)
	v_fma_f64 v[75:76], v[79:80], v[63:64], v[57:58]
	ds_read_b128 v[57:60], v56 offset:320
	ds_read_b128 v[61:64], v56 offset:336
	s_waitcnt vmcnt(26) lgkmcnt(1)
	v_fma_f64 v[57:58], v[85:86], v[57:58], v[75:76]
	s_clause 0x1
	buffer_load_dword v75, off, s[0:3], 0 offset:24
	buffer_load_dword v76, off, s[0:3], 0 offset:28
	s_waitcnt vmcnt(27)
	v_fma_f64 v[57:58], v[83:84], v[59:60], v[57:58]
	s_waitcnt vmcnt(26) lgkmcnt(0)
	v_fma_f64 v[57:58], v[81:82], v[61:62], v[57:58]
	s_waitcnt vmcnt(21)
	v_fma_f64 v[77:78], v[87:88], v[63:64], v[57:58]
	ds_read_b128 v[57:60], v56 offset:352
	ds_read_b128 v[61:64], v56 offset:368
	s_waitcnt vmcnt(20) lgkmcnt(1)
	v_fma_f64 v[57:58], v[93:94], v[57:58], v[77:78]
	s_waitcnt vmcnt(19)
	v_fma_f64 v[57:58], v[91:92], v[59:60], v[57:58]
	s_waitcnt vmcnt(18) lgkmcnt(0)
	v_fma_f64 v[57:58], v[89:90], v[61:62], v[57:58]
	s_waitcnt vmcnt(13)
	v_fma_f64 v[65:66], v[65:66], v[63:64], v[57:58]
	ds_read_b128 v[57:60], v56 offset:384
	ds_read_b128 v[61:64], v56 offset:400
	s_waitcnt vmcnt(12) lgkmcnt(1)
	v_fma_f64 v[57:58], v[99:100], v[57:58], v[65:66]
	s_waitcnt vmcnt(11)
	v_fma_f64 v[57:58], v[97:98], v[59:60], v[57:58]
	s_waitcnt vmcnt(10) lgkmcnt(0)
	v_fma_f64 v[57:58], v[95:96], v[61:62], v[57:58]
	s_waitcnt vmcnt(5)
	v_fma_f64 v[61:62], v[67:68], v[63:64], v[57:58]
	ds_read_b128 v[57:60], v56 offset:416
	ds_read_b64 v[63:64], v56 offset:432
	s_waitcnt vmcnt(4) lgkmcnt(1)
	v_fma_f64 v[57:58], v[73:74], v[57:58], v[61:62]
	s_waitcnt vmcnt(3)
	v_fma_f64 v[57:58], v[71:72], v[59:60], v[57:58]
	s_waitcnt vmcnt(2) lgkmcnt(0)
	v_fma_f64 v[57:58], v[69:70], v[63:64], v[57:58]
	s_waitcnt vmcnt(0)
	v_add_f64 v[57:58], v[75:76], -v[57:58]
	buffer_store_dword v58, off, s[0:3], 0 offset:28
	buffer_store_dword v57, off, s[0:3], 0 offset:24
	v_cmpx_lt_u32_e32 2, v0
	s_cbranch_execz .LBB90_167
; %bb.166:
	s_clause 0x1
	buffer_load_dword v57, off, s[0:3], 0 offset:16
	buffer_load_dword v58, off, s[0:3], 0 offset:20
	buffer_store_dword v56, off, s[0:3], 0 offset:16
	buffer_store_dword v56, off, s[0:3], 0 offset:20
	s_waitcnt vmcnt(0)
	ds_write_b64 v55, v[57:58]
.LBB90_167:
	s_or_b32 exec_lo, exec_lo, s4
	s_waitcnt lgkmcnt(0)
	s_waitcnt_vscnt null, 0x0
	s_barrier
	buffer_gl0_inv
	s_clause 0x1c
	buffer_load_dword v65, off, s[0:3], 0 offset:24
	buffer_load_dword v66, off, s[0:3], 0 offset:28
	;; [unrolled: 1-line block ×29, first 2 shown]
	ds_read2_b64 v[57:60], v56 offset0:31 offset1:32
	ds_read2_b64 v[61:64], v56 offset0:33 offset1:34
	buffer_load_dword v90, off, s[0:3], 0 offset:140
	s_mov_b32 s4, exec_lo
	s_waitcnt vmcnt(28) lgkmcnt(1)
	v_fma_f64 v[57:58], v[65:66], v[57:58], 0
	s_clause 0x7
	buffer_load_dword v66, off, s[0:3], 0 offset:148
	buffer_load_dword v95, off, s[0:3], 0 offset:168
	;; [unrolled: 1-line block ×8, first 2 shown]
	s_waitcnt vmcnt(34)
	v_fma_f64 v[57:58], v[67:68], v[59:60], v[57:58]
	s_waitcnt vmcnt(32) lgkmcnt(0)
	v_fma_f64 v[57:58], v[69:70], v[61:62], v[57:58]
	s_waitcnt vmcnt(30)
	v_fma_f64 v[67:68], v[71:72], v[63:64], v[57:58]
	ds_read2_b64 v[57:60], v56 offset0:35 offset1:36
	ds_read2_b64 v[61:64], v56 offset0:37 offset1:38
	s_waitcnt vmcnt(28) lgkmcnt(1)
	v_fma_f64 v[57:58], v[73:74], v[57:58], v[67:68]
	s_clause 0x7
	buffer_load_dword v68, off, s[0:3], 0 offset:180
	buffer_load_dword v69, off, s[0:3], 0 offset:200
	;; [unrolled: 1-line block ×8, first 2 shown]
	s_waitcnt vmcnt(34)
	v_fma_f64 v[57:58], v[75:76], v[59:60], v[57:58]
	s_waitcnt vmcnt(32) lgkmcnt(0)
	v_fma_f64 v[57:58], v[77:78], v[61:62], v[57:58]
	s_waitcnt vmcnt(27)
	v_fma_f64 v[75:76], v[79:80], v[63:64], v[57:58]
	ds_read2_b64 v[57:60], v56 offset0:39 offset1:40
	ds_read2_b64 v[61:64], v56 offset0:41 offset1:42
	s_waitcnt vmcnt(26) lgkmcnt(1)
	v_fma_f64 v[57:58], v[85:86], v[57:58], v[75:76]
	s_clause 0x3
	buffer_load_dword v76, off, s[0:3], 0 offset:212
	buffer_load_dword v75, off, s[0:3], 0 offset:208
	;; [unrolled: 1-line block ×4, first 2 shown]
	s_waitcnt vmcnt(29)
	v_fma_f64 v[57:58], v[83:84], v[59:60], v[57:58]
	s_waitcnt vmcnt(28) lgkmcnt(0)
	v_fma_f64 v[57:58], v[81:82], v[61:62], v[57:58]
	s_waitcnt vmcnt(23)
	v_fma_f64 v[79:80], v[87:88], v[63:64], v[57:58]
	ds_read2_b64 v[57:60], v56 offset0:43 offset1:44
	ds_read2_b64 v[61:64], v56 offset0:45 offset1:46
	s_waitcnt vmcnt(22) lgkmcnt(1)
	v_fma_f64 v[57:58], v[93:94], v[57:58], v[79:80]
	s_waitcnt vmcnt(21)
	v_fma_f64 v[57:58], v[91:92], v[59:60], v[57:58]
	s_waitcnt vmcnt(20) lgkmcnt(0)
	v_fma_f64 v[57:58], v[89:90], v[61:62], v[57:58]
	s_waitcnt vmcnt(15)
	v_fma_f64 v[65:66], v[65:66], v[63:64], v[57:58]
	ds_read2_b64 v[57:60], v56 offset0:47 offset1:48
	ds_read2_b64 v[61:64], v56 offset0:49 offset1:50
	s_waitcnt vmcnt(14) lgkmcnt(1)
	v_fma_f64 v[57:58], v[99:100], v[57:58], v[65:66]
	;; [unrolled: 10-line block ×3, first 2 shown]
	s_waitcnt vmcnt(5)
	v_fma_f64 v[56:57], v[71:72], v[59:60], v[56:57]
	s_waitcnt vmcnt(4) lgkmcnt(0)
	v_fma_f64 v[56:57], v[69:70], v[61:62], v[56:57]
	s_waitcnt vmcnt(2)
	v_fma_f64 v[56:57], v[75:76], v[63:64], v[56:57]
	s_waitcnt vmcnt(0)
	v_add_f64 v[56:57], v[77:78], -v[56:57]
	buffer_store_dword v57, off, s[0:3], 0 offset:20
	buffer_store_dword v56, off, s[0:3], 0 offset:16
	v_cmpx_lt_u32_e32 1, v0
	s_cbranch_execz .LBB90_169
; %bb.168:
	s_clause 0x1
	buffer_load_dword v56, off, s[0:3], 0 offset:8
	buffer_load_dword v57, off, s[0:3], 0 offset:12
	v_mov_b32_e32 v58, 0
	buffer_store_dword v58, off, s[0:3], 0 offset:8
	buffer_store_dword v58, off, s[0:3], 0 offset:12
	s_waitcnt vmcnt(0)
	ds_write_b64 v55, v[56:57]
.LBB90_169:
	s_or_b32 exec_lo, exec_lo, s4
	s_waitcnt lgkmcnt(0)
	s_waitcnt_vscnt null, 0x0
	s_barrier
	buffer_gl0_inv
	s_clause 0x1c
	buffer_load_dword v66, off, s[0:3], 0 offset:16
	buffer_load_dword v67, off, s[0:3], 0 offset:20
	;; [unrolled: 1-line block ×29, first 2 shown]
	v_mov_b32_e32 v57, 0
	buffer_load_dword v91, off, s[0:3], 0 offset:132
	s_mov_b32 s4, exec_lo
	ds_read_b128 v[58:61], v57 offset:240
	ds_read_b128 v[62:65], v57 offset:256
	s_waitcnt vmcnt(28) lgkmcnt(1)
	v_fma_f64 v[58:59], v[66:67], v[58:59], 0
	s_clause 0x7
	buffer_load_dword v67, off, s[0:3], 0 offset:140
	buffer_load_dword v96, off, s[0:3], 0 offset:160
	;; [unrolled: 1-line block ×8, first 2 shown]
	s_waitcnt vmcnt(34)
	v_fma_f64 v[58:59], v[68:69], v[60:61], v[58:59]
	s_waitcnt vmcnt(32) lgkmcnt(0)
	v_fma_f64 v[58:59], v[70:71], v[62:63], v[58:59]
	s_waitcnt vmcnt(30)
	v_fma_f64 v[68:69], v[72:73], v[64:65], v[58:59]
	ds_read_b128 v[58:61], v57 offset:272
	ds_read_b128 v[62:65], v57 offset:288
	s_waitcnt vmcnt(28) lgkmcnt(1)
	v_fma_f64 v[58:59], v[74:75], v[58:59], v[68:69]
	s_clause 0x7
	buffer_load_dword v69, off, s[0:3], 0 offset:172
	buffer_load_dword v70, off, s[0:3], 0 offset:192
	;; [unrolled: 1-line block ×8, first 2 shown]
	s_waitcnt vmcnt(34)
	v_fma_f64 v[58:59], v[76:77], v[60:61], v[58:59]
	s_waitcnt vmcnt(32) lgkmcnt(0)
	v_fma_f64 v[58:59], v[78:79], v[62:63], v[58:59]
	s_waitcnt vmcnt(27)
	v_fma_f64 v[76:77], v[80:81], v[64:65], v[58:59]
	ds_read_b128 v[58:61], v57 offset:304
	ds_read_b128 v[62:65], v57 offset:320
	s_waitcnt vmcnt(26) lgkmcnt(1)
	v_fma_f64 v[58:59], v[86:87], v[58:59], v[76:77]
	s_clause 0x5
	buffer_load_dword v77, off, s[0:3], 0 offset:204
	buffer_load_dword v78, off, s[0:3], 0 offset:208
	;; [unrolled: 1-line block ×6, first 2 shown]
	s_waitcnt vmcnt(31)
	v_fma_f64 v[58:59], v[84:85], v[60:61], v[58:59]
	s_waitcnt vmcnt(30) lgkmcnt(0)
	v_fma_f64 v[58:59], v[82:83], v[62:63], v[58:59]
	s_waitcnt vmcnt(25)
	v_fma_f64 v[82:83], v[88:89], v[64:65], v[58:59]
	ds_read_b128 v[58:61], v57 offset:336
	ds_read_b128 v[62:65], v57 offset:352
	s_waitcnt vmcnt(24) lgkmcnt(1)
	v_fma_f64 v[58:59], v[94:95], v[58:59], v[82:83]
	s_waitcnt vmcnt(23)
	v_fma_f64 v[58:59], v[92:93], v[60:61], v[58:59]
	s_waitcnt vmcnt(22) lgkmcnt(0)
	v_fma_f64 v[58:59], v[90:91], v[62:63], v[58:59]
	s_waitcnt vmcnt(17)
	v_fma_f64 v[66:67], v[66:67], v[64:65], v[58:59]
	ds_read_b128 v[58:61], v57 offset:368
	ds_read_b128 v[62:65], v57 offset:384
	s_waitcnt vmcnt(16) lgkmcnt(1)
	v_fma_f64 v[58:59], v[100:101], v[58:59], v[66:67]
	;; [unrolled: 10-line block ×3, first 2 shown]
	s_waitcnt vmcnt(7)
	v_fma_f64 v[58:59], v[72:73], v[60:61], v[58:59]
	ds_read_b64 v[60:61], v57 offset:432
	s_waitcnt vmcnt(6) lgkmcnt(1)
	v_fma_f64 v[58:59], v[70:71], v[62:63], v[58:59]
	s_waitcnt vmcnt(3)
	v_fma_f64 v[58:59], v[76:77], v[64:65], v[58:59]
	s_waitcnt vmcnt(2) lgkmcnt(0)
	v_fma_f64 v[58:59], v[78:79], v[60:61], v[58:59]
	s_waitcnt vmcnt(0)
	v_add_f64 v[58:59], v[80:81], -v[58:59]
	buffer_store_dword v59, off, s[0:3], 0 offset:12
	buffer_store_dword v58, off, s[0:3], 0 offset:8
	v_cmpx_ne_u32_e32 0, v0
	s_cbranch_execz .LBB90_171
; %bb.170:
	s_clause 0x1
	buffer_load_dword v58, off, s[0:3], 0
	buffer_load_dword v59, off, s[0:3], 0 offset:4
	buffer_store_dword v57, off, s[0:3], 0
	buffer_store_dword v57, off, s[0:3], 0 offset:4
	s_waitcnt vmcnt(0)
	ds_write_b64 v55, v[58:59]
.LBB90_171:
	s_or_b32 exec_lo, exec_lo, s4
	s_waitcnt lgkmcnt(0)
	s_waitcnt_vscnt null, 0x0
	s_barrier
	buffer_gl0_inv
	s_clause 0x1c
	buffer_load_dword v55, off, s[0:3], 0 offset:8
	buffer_load_dword v56, off, s[0:3], 0 offset:12
	;; [unrolled: 1-line block ×29, first 2 shown]
	ds_read2_b64 v[58:61], v57 offset0:29 offset1:30
	ds_read2_b64 v[62:65], v57 offset0:31 offset1:32
	s_clause 0x8
	buffer_load_dword v89, off, s[0:3], 0 offset:124
	buffer_load_dword v95, off, s[0:3], 0 offset:132
	;; [unrolled: 1-line block ×9, first 2 shown]
	s_and_b32 vcc_lo, exec_lo, s16
	s_waitcnt vmcnt(36) lgkmcnt(1)
	v_fma_f64 v[55:56], v[55:56], v[58:59], 0
	s_waitcnt vmcnt(34)
	v_fma_f64 v[55:56], v[66:67], v[60:61], v[55:56]
	ds_read2_b64 v[58:61], v57 offset0:33 offset1:34
	s_waitcnt vmcnt(32) lgkmcnt(1)
	v_fma_f64 v[55:56], v[68:69], v[62:63], v[55:56]
	s_waitcnt vmcnt(30)
	v_fma_f64 v[55:56], v[70:71], v[64:65], v[55:56]
	ds_read2_b64 v[62:65], v57 offset0:35 offset1:36
	s_waitcnt vmcnt(28) lgkmcnt(1)
	v_fma_f64 v[55:56], v[72:73], v[58:59], v[55:56]
	s_clause 0x7
	buffer_load_dword v67, off, s[0:3], 0 offset:164
	buffer_load_dword v68, off, s[0:3], 0 offset:184
	;; [unrolled: 1-line block ×8, first 2 shown]
	s_waitcnt vmcnt(34)
	v_fma_f64 v[55:56], v[74:75], v[60:61], v[55:56]
	ds_read2_b64 v[58:61], v57 offset0:37 offset1:38
	s_waitcnt vmcnt(32) lgkmcnt(1)
	v_fma_f64 v[55:56], v[76:77], v[62:63], v[55:56]
	s_waitcnt vmcnt(27)
	v_fma_f64 v[55:56], v[78:79], v[64:65], v[55:56]
	ds_read2_b64 v[62:65], v57 offset0:39 offset1:40
	s_waitcnt vmcnt(26) lgkmcnt(1)
	v_fma_f64 v[58:59], v[84:85], v[58:59], v[55:56]
	s_clause 0x5
	buffer_load_dword v75, off, s[0:3], 0 offset:196
	buffer_load_dword v76, off, s[0:3], 0 offset:208
	;; [unrolled: 1-line block ×6, first 2 shown]
	s_waitcnt vmcnt(31)
	v_fma_f64 v[58:59], v[82:83], v[60:61], v[58:59]
	s_waitcnt vmcnt(30) lgkmcnt(0)
	v_fma_f64 v[58:59], v[80:81], v[62:63], v[58:59]
	s_waitcnt vmcnt(25)
	v_fma_f64 v[78:79], v[86:87], v[64:65], v[58:59]
	ds_read2_b64 v[58:61], v57 offset0:41 offset1:42
	s_clause 0x1
	buffer_load_dword v80, off, s[0:3], 0
	buffer_load_dword v81, off, s[0:3], 0 offset:4
	ds_read2_b64 v[62:65], v57 offset0:43 offset1:44
	s_waitcnt vmcnt(26) lgkmcnt(1)
	v_fma_f64 v[58:59], v[92:93], v[58:59], v[78:79]
	s_waitcnt vmcnt(25)
	v_fma_f64 v[58:59], v[90:91], v[60:61], v[58:59]
	s_waitcnt vmcnt(24) lgkmcnt(0)
	v_fma_f64 v[58:59], v[88:89], v[62:63], v[58:59]
	s_waitcnt vmcnt(19)
	v_fma_f64 v[78:79], v[94:95], v[64:65], v[58:59]
	ds_read2_b64 v[58:61], v57 offset0:45 offset1:46
	ds_read2_b64 v[62:65], v57 offset0:47 offset1:48
	s_waitcnt vmcnt(18) lgkmcnt(1)
	v_fma_f64 v[58:59], v[100:101], v[58:59], v[78:79]
	s_waitcnt vmcnt(17)
	v_fma_f64 v[58:59], v[98:99], v[60:61], v[58:59]
	s_waitcnt vmcnt(16) lgkmcnt(0)
	v_fma_f64 v[58:59], v[96:97], v[62:63], v[58:59]
	s_waitcnt vmcnt(11)
	v_fma_f64 v[66:67], v[66:67], v[64:65], v[58:59]
	ds_read2_b64 v[58:61], v57 offset0:49 offset1:50
	;; [unrolled: 10-line block ×3, first 2 shown]
	s_waitcnt vmcnt(3) lgkmcnt(0)
	v_fma_f64 v[57:58], v[55:56], v[57:58], v[61:62]
	s_waitcnt vmcnt(2)
	v_fma_f64 v[57:58], v[76:77], v[59:60], v[57:58]
	s_waitcnt vmcnt(0)
	v_add_f64 v[57:58], v[80:81], -v[57:58]
	buffer_store_dword v58, off, s[0:3], 0 offset:4
	buffer_store_dword v57, off, s[0:3], 0
	s_cbranch_vccz .LBB90_224
; %bb.172:
	v_mov_b32_e32 v0, 0
	global_load_dword v57, v0, s[12:13] offset:100
	s_waitcnt vmcnt(0)
	v_add_nc_u32_e32 v57, -1, v57
	v_cmp_ne_u32_e32 vcc_lo, 25, v57
	s_cbranch_vccz .LBB90_174
; %bb.173:
	v_lshlrev_b32_e32 v57, 3, v57
	s_clause 0x1
	buffer_load_dword v58, v57, s[0:3], 0 offen
	buffer_load_dword v59, v57, s[0:3], 0 offen offset:4
	s_waitcnt vmcnt(1)
	buffer_store_dword v58, off, s[0:3], 0 offset:200
	s_waitcnt vmcnt(0)
	buffer_store_dword v59, off, s[0:3], 0 offset:204
	buffer_store_dword v55, v57, s[0:3], 0 offen
	buffer_store_dword v56, v57, s[0:3], 0 offen offset:4
.LBB90_174:
	global_load_dword v0, v0, s[12:13] offset:96
	s_waitcnt vmcnt(0)
	v_add_nc_u32_e32 v0, -1, v0
	v_cmp_eq_u32_e32 vcc_lo, 24, v0
	s_cbranch_vccnz .LBB90_176
; %bb.175:
	v_lshlrev_b32_e32 v0, 3, v0
	s_clause 0x3
	buffer_load_dword v55, v0, s[0:3], 0 offen
	buffer_load_dword v56, v0, s[0:3], 0 offen offset:4
	buffer_load_dword v57, off, s[0:3], 0 offset:196
	buffer_load_dword v58, off, s[0:3], 0 offset:192
	s_waitcnt vmcnt(3)
	buffer_store_dword v55, off, s[0:3], 0 offset:192
	s_waitcnt vmcnt(2)
	buffer_store_dword v56, off, s[0:3], 0 offset:196
	s_waitcnt vmcnt(1)
	buffer_store_dword v57, v0, s[0:3], 0 offen offset:4
	s_waitcnt vmcnt(0)
	buffer_store_dword v58, v0, s[0:3], 0 offen
.LBB90_176:
	v_mov_b32_e32 v0, 0
	global_load_dword v55, v0, s[12:13] offset:92
	s_waitcnt vmcnt(0)
	v_add_nc_u32_e32 v55, -1, v55
	v_cmp_eq_u32_e32 vcc_lo, 23, v55
	s_cbranch_vccnz .LBB90_178
; %bb.177:
	v_lshlrev_b32_e32 v55, 3, v55
	s_clause 0x3
	buffer_load_dword v56, v55, s[0:3], 0 offen
	buffer_load_dword v57, v55, s[0:3], 0 offen offset:4
	buffer_load_dword v58, off, s[0:3], 0 offset:184
	buffer_load_dword v59, off, s[0:3], 0 offset:188
	s_waitcnt vmcnt(3)
	buffer_store_dword v56, off, s[0:3], 0 offset:184
	s_waitcnt vmcnt(2)
	buffer_store_dword v57, off, s[0:3], 0 offset:188
	s_waitcnt vmcnt(1)
	buffer_store_dword v58, v55, s[0:3], 0 offen
	s_waitcnt vmcnt(0)
	buffer_store_dword v59, v55, s[0:3], 0 offen offset:4
.LBB90_178:
	global_load_dword v0, v0, s[12:13] offset:88
	s_waitcnt vmcnt(0)
	v_add_nc_u32_e32 v0, -1, v0
	v_cmp_eq_u32_e32 vcc_lo, 22, v0
	s_cbranch_vccnz .LBB90_180
; %bb.179:
	v_lshlrev_b32_e32 v0, 3, v0
	s_clause 0x3
	buffer_load_dword v55, v0, s[0:3], 0 offen
	buffer_load_dword v56, v0, s[0:3], 0 offen offset:4
	buffer_load_dword v57, off, s[0:3], 0 offset:180
	buffer_load_dword v58, off, s[0:3], 0 offset:176
	s_waitcnt vmcnt(3)
	buffer_store_dword v55, off, s[0:3], 0 offset:176
	s_waitcnt vmcnt(2)
	buffer_store_dword v56, off, s[0:3], 0 offset:180
	s_waitcnt vmcnt(1)
	buffer_store_dword v57, v0, s[0:3], 0 offen offset:4
	s_waitcnt vmcnt(0)
	buffer_store_dword v58, v0, s[0:3], 0 offen
.LBB90_180:
	v_mov_b32_e32 v0, 0
	global_load_dword v55, v0, s[12:13] offset:84
	s_waitcnt vmcnt(0)
	v_add_nc_u32_e32 v55, -1, v55
	v_cmp_eq_u32_e32 vcc_lo, 21, v55
	s_cbranch_vccnz .LBB90_182
; %bb.181:
	v_lshlrev_b32_e32 v55, 3, v55
	s_clause 0x3
	buffer_load_dword v56, v55, s[0:3], 0 offen
	buffer_load_dword v57, v55, s[0:3], 0 offen offset:4
	buffer_load_dword v58, off, s[0:3], 0 offset:168
	buffer_load_dword v59, off, s[0:3], 0 offset:172
	s_waitcnt vmcnt(3)
	buffer_store_dword v56, off, s[0:3], 0 offset:168
	s_waitcnt vmcnt(2)
	buffer_store_dword v57, off, s[0:3], 0 offset:172
	s_waitcnt vmcnt(1)
	buffer_store_dword v58, v55, s[0:3], 0 offen
	s_waitcnt vmcnt(0)
	buffer_store_dword v59, v55, s[0:3], 0 offen offset:4
.LBB90_182:
	;; [unrolled: 43-line block ×12, first 2 shown]
	global_load_dword v0, v0, s[12:13]
	s_clause 0x1
	buffer_load_dword v57, off, s[0:3], 0
	buffer_load_dword v58, off, s[0:3], 0 offset:4
	s_waitcnt vmcnt(2)
	v_add_nc_u32_e32 v0, -1, v0
	v_cmp_eq_u32_e32 vcc_lo, 0, v0
	s_cbranch_vccnz .LBB90_224
; %bb.223:
	v_lshlrev_b32_e32 v0, 3, v0
	s_clause 0x1
	buffer_load_dword v55, v0, s[0:3], 0 offen offset:4
	buffer_load_dword v56, v0, s[0:3], 0 offen
	s_waitcnt vmcnt(1)
	buffer_store_dword v55, off, s[0:3], 0 offset:4
	s_waitcnt vmcnt(0)
	buffer_store_dword v56, off, s[0:3], 0
	buffer_store_dword v58, v0, s[0:3], 0 offen offset:4
	buffer_store_dword v57, v0, s[0:3], 0 offen
	s_clause 0x1
	buffer_load_dword v57, off, s[0:3], 0
	buffer_load_dword v58, off, s[0:3], 0 offset:4
.LBB90_224:
	s_waitcnt vmcnt(0)
	flat_store_dwordx2 v[1:2], v[57:58]
	s_clause 0x1
	buffer_load_dword v0, off, s[0:3], 0 offset:8
	buffer_load_dword v1, off, s[0:3], 0 offset:12
	s_waitcnt vmcnt(0)
	flat_store_dwordx2 v[3:4], v[0:1]
	s_clause 0x1
	buffer_load_dword v0, off, s[0:3], 0 offset:16
	buffer_load_dword v1, off, s[0:3], 0 offset:20
	;; [unrolled: 5-line block ×26, first 2 shown]
	s_waitcnt vmcnt(0)
	flat_store_dwordx2 v[53:54], v[0:1]
	s_endpgm
	.section	.rodata,"a",@progbits
	.p2align	6, 0x0
	.amdhsa_kernel _ZN9rocsolver6v33100L18getri_kernel_smallILi27EdPKPdEEvT1_iilPiilS6_bb
		.amdhsa_group_segment_fixed_size 440
		.amdhsa_private_segment_fixed_size 224
		.amdhsa_kernarg_size 60
		.amdhsa_user_sgpr_count 6
		.amdhsa_user_sgpr_private_segment_buffer 1
		.amdhsa_user_sgpr_dispatch_ptr 0
		.amdhsa_user_sgpr_queue_ptr 0
		.amdhsa_user_sgpr_kernarg_segment_ptr 1
		.amdhsa_user_sgpr_dispatch_id 0
		.amdhsa_user_sgpr_flat_scratch_init 0
		.amdhsa_user_sgpr_private_segment_size 0
		.amdhsa_wavefront_size32 1
		.amdhsa_uses_dynamic_stack 0
		.amdhsa_system_sgpr_private_segment_wavefront_offset 1
		.amdhsa_system_sgpr_workgroup_id_x 1
		.amdhsa_system_sgpr_workgroup_id_y 0
		.amdhsa_system_sgpr_workgroup_id_z 0
		.amdhsa_system_sgpr_workgroup_info 0
		.amdhsa_system_vgpr_workitem_id 0
		.amdhsa_next_free_vgpr 102
		.amdhsa_next_free_sgpr 20
		.amdhsa_reserve_vcc 1
		.amdhsa_reserve_flat_scratch 0
		.amdhsa_float_round_mode_32 0
		.amdhsa_float_round_mode_16_64 0
		.amdhsa_float_denorm_mode_32 3
		.amdhsa_float_denorm_mode_16_64 3
		.amdhsa_dx10_clamp 1
		.amdhsa_ieee_mode 1
		.amdhsa_fp16_overflow 0
		.amdhsa_workgroup_processor_mode 1
		.amdhsa_memory_ordered 1
		.amdhsa_forward_progress 1
		.amdhsa_shared_vgpr_count 0
		.amdhsa_exception_fp_ieee_invalid_op 0
		.amdhsa_exception_fp_denorm_src 0
		.amdhsa_exception_fp_ieee_div_zero 0
		.amdhsa_exception_fp_ieee_overflow 0
		.amdhsa_exception_fp_ieee_underflow 0
		.amdhsa_exception_fp_ieee_inexact 0
		.amdhsa_exception_int_div_zero 0
	.end_amdhsa_kernel
	.section	.text._ZN9rocsolver6v33100L18getri_kernel_smallILi27EdPKPdEEvT1_iilPiilS6_bb,"axG",@progbits,_ZN9rocsolver6v33100L18getri_kernel_smallILi27EdPKPdEEvT1_iilPiilS6_bb,comdat
.Lfunc_end90:
	.size	_ZN9rocsolver6v33100L18getri_kernel_smallILi27EdPKPdEEvT1_iilPiilS6_bb, .Lfunc_end90-_ZN9rocsolver6v33100L18getri_kernel_smallILi27EdPKPdEEvT1_iilPiilS6_bb
                                        ; -- End function
	.set _ZN9rocsolver6v33100L18getri_kernel_smallILi27EdPKPdEEvT1_iilPiilS6_bb.num_vgpr, 102
	.set _ZN9rocsolver6v33100L18getri_kernel_smallILi27EdPKPdEEvT1_iilPiilS6_bb.num_agpr, 0
	.set _ZN9rocsolver6v33100L18getri_kernel_smallILi27EdPKPdEEvT1_iilPiilS6_bb.numbered_sgpr, 20
	.set _ZN9rocsolver6v33100L18getri_kernel_smallILi27EdPKPdEEvT1_iilPiilS6_bb.num_named_barrier, 0
	.set _ZN9rocsolver6v33100L18getri_kernel_smallILi27EdPKPdEEvT1_iilPiilS6_bb.private_seg_size, 224
	.set _ZN9rocsolver6v33100L18getri_kernel_smallILi27EdPKPdEEvT1_iilPiilS6_bb.uses_vcc, 1
	.set _ZN9rocsolver6v33100L18getri_kernel_smallILi27EdPKPdEEvT1_iilPiilS6_bb.uses_flat_scratch, 0
	.set _ZN9rocsolver6v33100L18getri_kernel_smallILi27EdPKPdEEvT1_iilPiilS6_bb.has_dyn_sized_stack, 0
	.set _ZN9rocsolver6v33100L18getri_kernel_smallILi27EdPKPdEEvT1_iilPiilS6_bb.has_recursion, 0
	.set _ZN9rocsolver6v33100L18getri_kernel_smallILi27EdPKPdEEvT1_iilPiilS6_bb.has_indirect_call, 0
	.section	.AMDGPU.csdata,"",@progbits
; Kernel info:
; codeLenInByte = 26712
; TotalNumSgprs: 22
; NumVgprs: 102
; ScratchSize: 224
; MemoryBound: 0
; FloatMode: 240
; IeeeMode: 1
; LDSByteSize: 440 bytes/workgroup (compile time only)
; SGPRBlocks: 0
; VGPRBlocks: 12
; NumSGPRsForWavesPerEU: 22
; NumVGPRsForWavesPerEU: 102
; Occupancy: 9
; WaveLimiterHint : 1
; COMPUTE_PGM_RSRC2:SCRATCH_EN: 1
; COMPUTE_PGM_RSRC2:USER_SGPR: 6
; COMPUTE_PGM_RSRC2:TRAP_HANDLER: 0
; COMPUTE_PGM_RSRC2:TGID_X_EN: 1
; COMPUTE_PGM_RSRC2:TGID_Y_EN: 0
; COMPUTE_PGM_RSRC2:TGID_Z_EN: 0
; COMPUTE_PGM_RSRC2:TIDIG_COMP_CNT: 0
	.section	.text._ZN9rocsolver6v33100L18getri_kernel_smallILi28EdPKPdEEvT1_iilPiilS6_bb,"axG",@progbits,_ZN9rocsolver6v33100L18getri_kernel_smallILi28EdPKPdEEvT1_iilPiilS6_bb,comdat
	.globl	_ZN9rocsolver6v33100L18getri_kernel_smallILi28EdPKPdEEvT1_iilPiilS6_bb ; -- Begin function _ZN9rocsolver6v33100L18getri_kernel_smallILi28EdPKPdEEvT1_iilPiilS6_bb
	.p2align	8
	.type	_ZN9rocsolver6v33100L18getri_kernel_smallILi28EdPKPdEEvT1_iilPiilS6_bb,@function
_ZN9rocsolver6v33100L18getri_kernel_smallILi28EdPKPdEEvT1_iilPiilS6_bb: ; @_ZN9rocsolver6v33100L18getri_kernel_smallILi28EdPKPdEEvT1_iilPiilS6_bb
; %bb.0:
	s_add_u32 s0, s0, s7
	s_addc_u32 s1, s1, 0
	s_mov_b32 s7, exec_lo
	v_cmpx_gt_u32_e32 28, v0
	s_cbranch_execz .LBB91_122
; %bb.1:
	s_clause 0x2
	s_load_dword s17, s[4:5], 0x38
	s_load_dwordx2 s[12:13], s[4:5], 0x0
	s_load_dwordx4 s[8:11], s[4:5], 0x28
	s_waitcnt lgkmcnt(0)
	s_bitcmp1_b32 s17, 8
	s_cselect_b32 s16, -1, 0
	s_ashr_i32 s7, s6, 31
	s_lshl_b64 s[14:15], s[6:7], 3
	s_add_u32 s12, s12, s14
	s_addc_u32 s13, s13, s15
	s_load_dwordx2 s[14:15], s[12:13], 0x0
	s_bfe_u32 s12, s17, 0x10008
	s_cmp_eq_u32 s12, 0
                                        ; implicit-def: $sgpr12_sgpr13
	s_cbranch_scc1 .LBB91_3
; %bb.2:
	s_clause 0x1
	s_load_dword s12, s[4:5], 0x20
	s_load_dwordx2 s[18:19], s[4:5], 0x18
	s_mul_i32 s13, s8, s7
	s_mul_hi_u32 s17, s8, s6
	s_mul_i32 s9, s9, s6
	s_add_i32 s13, s17, s13
	s_mul_i32 s8, s8, s6
	s_add_i32 s9, s13, s9
	s_lshl_b64 s[8:9], s[8:9], 2
	s_waitcnt lgkmcnt(0)
	s_ashr_i32 s13, s12, 31
	s_add_u32 s17, s18, s8
	s_addc_u32 s18, s19, s9
	s_lshl_b64 s[8:9], s[12:13], 2
	s_add_u32 s12, s17, s8
	s_addc_u32 s13, s18, s9
.LBB91_3:
	s_clause 0x1
	s_load_dwordx2 s[8:9], s[4:5], 0x8
	s_load_dword s17, s[4:5], 0x38
	v_lshlrev_b32_e32 v59, 3, v0
	s_waitcnt lgkmcnt(0)
	s_ashr_i32 s5, s8, 31
	s_mov_b32 s4, s8
	v_add3_u32 v9, s9, s9, v0
	s_lshl_b64 s[4:5], s[4:5], 3
	s_add_u32 s8, s14, s4
	s_addc_u32 s14, s15, s5
	v_add_co_u32 v1, s4, s8, v59
	v_add_co_ci_u32_e64 v2, null, s14, 0, s4
	s_mov_b32 s4, s9
	s_ashr_i32 s5, s9, 31
	v_ashrrev_i32_e32 v10, 31, v9
	flat_load_dwordx2 v[5:6], v[1:2]
	s_lshl_b64 s[4:5], s[4:5], 3
	v_add_nc_u32_e32 v12, s9, v9
	v_add_co_u32 v3, vcc_lo, v1, s4
	v_add_co_ci_u32_e64 v4, null, s5, v2, vcc_lo
	v_ashrrev_i32_e32 v13, 31, v12
	s_mov_b32 s5, -1
	s_bitcmp0_b32 s17, 0
	s_waitcnt vmcnt(0) lgkmcnt(0)
	buffer_store_dword v6, off, s[0:3], 0 offset:4
	buffer_store_dword v5, off, s[0:3], 0
	flat_load_dwordx2 v[7:8], v[3:4]
	v_lshlrev_b64 v[5:6], 3, v[9:10]
	s_waitcnt vmcnt(0) lgkmcnt(0)
	buffer_store_dword v8, off, s[0:3], 0 offset:12
	buffer_store_dword v7, off, s[0:3], 0 offset:8
	v_add_co_u32 v5, vcc_lo, s8, v5
	v_add_co_ci_u32_e64 v6, null, s14, v6, vcc_lo
	v_lshlrev_b64 v[7:8], 3, v[12:13]
	flat_load_dwordx2 v[10:11], v[5:6]
	s_waitcnt vmcnt(0) lgkmcnt(0)
	buffer_store_dword v11, off, s[0:3], 0 offset:20
	buffer_store_dword v10, off, s[0:3], 0 offset:16
	v_add_co_u32 v7, vcc_lo, s8, v7
	v_add_co_ci_u32_e64 v8, null, s14, v8, vcc_lo
	v_add_nc_u32_e32 v11, s9, v12
	flat_load_dwordx2 v[13:14], v[7:8]
	s_waitcnt vmcnt(0) lgkmcnt(0)
	buffer_store_dword v14, off, s[0:3], 0 offset:28
	buffer_store_dword v13, off, s[0:3], 0 offset:24
	v_ashrrev_i32_e32 v12, 31, v11
	v_add_nc_u32_e32 v15, s9, v11
	v_lshlrev_b64 v[9:10], 3, v[11:12]
	v_ashrrev_i32_e32 v16, 31, v15
	v_add_nc_u32_e32 v18, s9, v15
	v_add_co_u32 v9, vcc_lo, s8, v9
	v_add_co_ci_u32_e64 v10, null, s14, v10, vcc_lo
	v_lshlrev_b64 v[11:12], 3, v[15:16]
	v_ashrrev_i32_e32 v19, 31, v18
	flat_load_dwordx2 v[13:14], v[9:10]
	s_waitcnt vmcnt(0) lgkmcnt(0)
	buffer_store_dword v14, off, s[0:3], 0 offset:36
	buffer_store_dword v13, off, s[0:3], 0 offset:32
	v_add_co_u32 v11, vcc_lo, s8, v11
	v_add_co_ci_u32_e64 v12, null, s14, v12, vcc_lo
	v_lshlrev_b64 v[13:14], 3, v[18:19]
	flat_load_dwordx2 v[16:17], v[11:12]
	s_waitcnt vmcnt(0) lgkmcnt(0)
	buffer_store_dword v17, off, s[0:3], 0 offset:44
	buffer_store_dword v16, off, s[0:3], 0 offset:40
	v_add_co_u32 v13, vcc_lo, s8, v13
	v_add_co_ci_u32_e64 v14, null, s14, v14, vcc_lo
	v_add_nc_u32_e32 v17, s9, v18
	flat_load_dwordx2 v[19:20], v[13:14]
	s_waitcnt vmcnt(0) lgkmcnt(0)
	buffer_store_dword v20, off, s[0:3], 0 offset:52
	buffer_store_dword v19, off, s[0:3], 0 offset:48
	v_ashrrev_i32_e32 v18, 31, v17
	v_add_nc_u32_e32 v21, s9, v17
	v_lshlrev_b64 v[15:16], 3, v[17:18]
	v_ashrrev_i32_e32 v22, 31, v21
	v_add_nc_u32_e32 v24, s9, v21
	v_add_co_u32 v15, vcc_lo, s8, v15
	v_add_co_ci_u32_e64 v16, null, s14, v16, vcc_lo
	v_lshlrev_b64 v[17:18], 3, v[21:22]
	v_ashrrev_i32_e32 v25, 31, v24
	flat_load_dwordx2 v[19:20], v[15:16]
	;; [unrolled: 27-line block ×7, first 2 shown]
	s_waitcnt vmcnt(0) lgkmcnt(0)
	buffer_store_dword v50, off, s[0:3], 0 offset:180
	buffer_store_dword v49, off, s[0:3], 0 offset:176
	v_add_co_u32 v47, vcc_lo, s8, v47
	v_add_co_ci_u32_e64 v48, null, s14, v48, vcc_lo
	v_lshlrev_b64 v[49:50], 3, v[54:55]
	flat_load_dwordx2 v[52:53], v[47:48]
	s_waitcnt vmcnt(0) lgkmcnt(0)
	buffer_store_dword v53, off, s[0:3], 0 offset:188
	buffer_store_dword v52, off, s[0:3], 0 offset:184
	v_add_co_u32 v49, vcc_lo, s8, v49
	v_add_co_ci_u32_e64 v50, null, s14, v50, vcc_lo
	v_add_nc_u32_e32 v53, s9, v54
	flat_load_dwordx2 v[55:56], v[49:50]
	s_waitcnt vmcnt(0) lgkmcnt(0)
	buffer_store_dword v56, off, s[0:3], 0 offset:196
	buffer_store_dword v55, off, s[0:3], 0 offset:192
	v_ashrrev_i32_e32 v54, 31, v53
	v_add_nc_u32_e32 v57, s9, v53
	v_lshlrev_b64 v[51:52], 3, v[53:54]
	v_ashrrev_i32_e32 v58, 31, v57
	v_add_co_u32 v51, vcc_lo, s8, v51
	v_add_co_ci_u32_e64 v52, null, s14, v52, vcc_lo
	v_lshlrev_b64 v[53:54], 3, v[57:58]
	flat_load_dwordx2 v[55:56], v[51:52]
	s_waitcnt vmcnt(0) lgkmcnt(0)
	buffer_store_dword v56, off, s[0:3], 0 offset:204
	buffer_store_dword v55, off, s[0:3], 0 offset:200
	v_add_co_u32 v53, vcc_lo, s8, v53
	v_add_co_ci_u32_e64 v54, null, s14, v54, vcc_lo
	v_add_nc_u32_e32 v55, s9, v57
	flat_load_dwordx2 v[60:61], v[53:54]
	s_waitcnt vmcnt(0) lgkmcnt(0)
	buffer_store_dword v61, off, s[0:3], 0 offset:212
	buffer_store_dword v60, off, s[0:3], 0 offset:208
	v_ashrrev_i32_e32 v56, 31, v55
	v_lshlrev_b64 v[55:56], 3, v[55:56]
	v_add_co_u32 v55, vcc_lo, s8, v55
	v_add_co_ci_u32_e64 v56, null, s14, v56, vcc_lo
	flat_load_dwordx2 v[57:58], v[55:56]
	s_waitcnt vmcnt(0) lgkmcnt(0)
	buffer_store_dword v58, off, s[0:3], 0 offset:220
	buffer_store_dword v57, off, s[0:3], 0 offset:216
	s_cbranch_scc1 .LBB91_120
; %bb.4:
	v_cmp_eq_u32_e64 s4, 0, v0
	s_and_saveexec_b32 s5, s4
; %bb.5:
	v_mov_b32_e32 v57, 0
	ds_write_b32 v57, v57 offset:448
; %bb.6:
	s_or_b32 exec_lo, exec_lo, s5
	v_lshl_add_u32 v57, v0, 3, 0
	s_waitcnt lgkmcnt(0)
	s_waitcnt_vscnt null, 0x0
	s_barrier
	buffer_gl0_inv
	s_mov_b32 s8, exec_lo
	s_clause 0x1
	buffer_load_dword v60, v57, s[0:3], 0 offen
	buffer_load_dword v61, v57, s[0:3], 0 offen offset:4
	s_waitcnt vmcnt(0)
	v_cmpx_eq_f64_e32 0, v[60:61]
	s_cbranch_execz .LBB91_10
; %bb.7:
	v_mov_b32_e32 v58, 0
	s_mov_b32 s9, 0
	ds_read_b32 v60, v58 offset:448
	s_waitcnt lgkmcnt(0)
	v_readfirstlane_b32 s5, v60
	v_add_nc_u32_e32 v60, 1, v0
	s_cmp_eq_u32 s5, 0
	v_cmp_gt_i32_e32 vcc_lo, s5, v60
	s_cselect_b32 s14, -1, 0
	s_or_b32 s14, s14, vcc_lo
	s_and_b32 exec_lo, exec_lo, s14
	s_cbranch_execz .LBB91_10
; %bb.8:
	v_mov_b32_e32 v61, s5
.LBB91_9:                               ; =>This Inner Loop Header: Depth=1
	ds_cmpst_rtn_b32 v61, v58, v61, v60 offset:448
	s_waitcnt lgkmcnt(0)
	v_cmp_ne_u32_e32 vcc_lo, 0, v61
	v_cmp_le_i32_e64 s5, v61, v60
	s_and_b32 s5, vcc_lo, s5
	s_and_b32 s5, exec_lo, s5
	s_or_b32 s9, s5, s9
	s_andn2_b32 exec_lo, exec_lo, s9
	s_cbranch_execnz .LBB91_9
.LBB91_10:
	s_or_b32 exec_lo, exec_lo, s8
	v_mov_b32_e32 v58, 0
	s_barrier
	buffer_gl0_inv
	ds_read_b32 v60, v58 offset:448
	s_and_saveexec_b32 s5, s4
	s_cbranch_execz .LBB91_12
; %bb.11:
	s_lshl_b64 s[8:9], s[6:7], 2
	s_add_u32 s8, s10, s8
	s_addc_u32 s9, s11, s9
	s_waitcnt lgkmcnt(0)
	global_store_dword v58, v60, s[8:9]
.LBB91_12:
	s_or_b32 exec_lo, exec_lo, s5
	s_waitcnt lgkmcnt(0)
	v_cmp_ne_u32_e32 vcc_lo, 0, v60
	s_mov_b32 s5, 0
	s_cbranch_vccnz .LBB91_120
; %bb.13:
	s_clause 0x1
	buffer_load_dword v60, v57, s[0:3], 0 offen
	buffer_load_dword v61, v57, s[0:3], 0 offen offset:4
	s_waitcnt vmcnt(0)
	v_div_scale_f64 v[62:63], null, v[60:61], v[60:61], 1.0
	v_div_scale_f64 v[68:69], vcc_lo, 1.0, v[60:61], 1.0
	v_rcp_f64_e32 v[64:65], v[62:63]
	v_fma_f64 v[66:67], -v[62:63], v[64:65], 1.0
	v_fma_f64 v[64:65], v[64:65], v[66:67], v[64:65]
	v_fma_f64 v[66:67], -v[62:63], v[64:65], 1.0
	v_fma_f64 v[64:65], v[64:65], v[66:67], v[64:65]
	v_mul_f64 v[66:67], v[68:69], v[64:65]
	v_fma_f64 v[62:63], -v[62:63], v[66:67], v[68:69]
	v_div_fmas_f64 v[62:63], v[62:63], v[64:65], v[66:67]
	v_div_fixup_f64 v[61:62], v[62:63], v[60:61], 1.0
	v_add_nc_u32_e32 v60, 0xe0, v59
	buffer_store_dword v62, v57, s[0:3], 0 offen offset:4
	buffer_store_dword v61, v57, s[0:3], 0 offen
	s_clause 0x1
	buffer_load_dword v64, off, s[0:3], 0 offset:12
	buffer_load_dword v63, off, s[0:3], 0 offset:8
	v_xor_b32_e32 v62, 0x80000000, v62
	s_waitcnt vmcnt(0)
	ds_write2_b64 v59, v[61:62], v[63:64] offset1:28
	s_waitcnt lgkmcnt(0)
	s_waitcnt_vscnt null, 0x0
	s_barrier
	buffer_gl0_inv
	s_and_saveexec_b32 s5, s4
	s_cbranch_execz .LBB91_15
; %bb.14:
	s_clause 0x1
	buffer_load_dword v61, v57, s[0:3], 0 offen
	buffer_load_dword v62, v57, s[0:3], 0 offen offset:4
	ds_read_b64 v[63:64], v60
	v_mov_b32_e32 v58, 0
	ds_read_b64 v[65:66], v58 offset:8
	s_waitcnt vmcnt(0) lgkmcnt(1)
	v_fma_f64 v[61:62], v[61:62], v[63:64], 0
	s_waitcnt lgkmcnt(0)
	v_mul_f64 v[61:62], v[61:62], v[65:66]
	buffer_store_dword v61, off, s[0:3], 0 offset:8
	buffer_store_dword v62, off, s[0:3], 0 offset:12
.LBB91_15:
	s_or_b32 exec_lo, exec_lo, s5
	s_waitcnt_vscnt null, 0x0
	s_barrier
	buffer_gl0_inv
	s_clause 0x1
	buffer_load_dword v61, off, s[0:3], 0 offset:16
	buffer_load_dword v62, off, s[0:3], 0 offset:20
	s_mov_b32 s5, exec_lo
	s_waitcnt vmcnt(0)
	ds_write_b64 v60, v[61:62]
	s_waitcnt lgkmcnt(0)
	s_barrier
	buffer_gl0_inv
	v_cmpx_gt_u32_e32 2, v0
	s_cbranch_execz .LBB91_19
; %bb.16:
	s_clause 0x1
	buffer_load_dword v61, v57, s[0:3], 0 offen
	buffer_load_dword v62, v57, s[0:3], 0 offen offset:4
	ds_read_b64 v[57:58], v60
	s_waitcnt vmcnt(0) lgkmcnt(0)
	v_fma_f64 v[57:58], v[61:62], v[57:58], 0
	s_and_saveexec_b32 s8, s4
	s_cbranch_execz .LBB91_18
; %bb.17:
	s_clause 0x1
	buffer_load_dword v61, off, s[0:3], 0 offset:8
	buffer_load_dword v62, off, s[0:3], 0 offset:12
	v_mov_b32_e32 v63, 0
	ds_read_b64 v[63:64], v63 offset:232
	s_waitcnt vmcnt(0) lgkmcnt(0)
	v_fma_f64 v[57:58], v[61:62], v[63:64], v[57:58]
.LBB91_18:
	s_or_b32 exec_lo, exec_lo, s8
	v_mov_b32_e32 v61, 0
	ds_read_b64 v[61:62], v61 offset:16
	s_waitcnt lgkmcnt(0)
	v_mul_f64 v[57:58], v[57:58], v[61:62]
	buffer_store_dword v58, off, s[0:3], 0 offset:20
	buffer_store_dword v57, off, s[0:3], 0 offset:16
.LBB91_19:
	s_or_b32 exec_lo, exec_lo, s5
	s_waitcnt_vscnt null, 0x0
	s_barrier
	buffer_gl0_inv
	s_clause 0x1
	buffer_load_dword v57, off, s[0:3], 0 offset:24
	buffer_load_dword v58, off, s[0:3], 0 offset:28
	v_add_nc_u32_e32 v61, -1, v0
	s_mov_b32 s4, exec_lo
	s_waitcnt vmcnt(0)
	ds_write_b64 v60, v[57:58]
	s_waitcnt lgkmcnt(0)
	s_barrier
	buffer_gl0_inv
	v_cmpx_gt_u32_e32 3, v0
	s_cbranch_execz .LBB91_23
; %bb.20:
	v_mov_b32_e32 v57, 0
	v_add_nc_u32_e32 v62, -1, v0
	v_add_nc_u32_e32 v63, 0xe0, v59
	v_mov_b32_e32 v58, 0
	v_mov_b32_e32 v64, v59
	s_mov_b32 s5, 0
.LBB91_21:                              ; =>This Inner Loop Header: Depth=1
	s_clause 0x1
	buffer_load_dword v65, v64, s[0:3], 0 offen
	buffer_load_dword v66, v64, s[0:3], 0 offen offset:4
	ds_read_b64 v[67:68], v63
	v_add_nc_u32_e32 v62, 1, v62
	v_add_nc_u32_e32 v63, 8, v63
	v_add_nc_u32_e32 v64, 8, v64
	v_cmp_lt_u32_e32 vcc_lo, 1, v62
	s_or_b32 s5, vcc_lo, s5
	s_waitcnt vmcnt(0) lgkmcnt(0)
	v_fma_f64 v[57:58], v[65:66], v[67:68], v[57:58]
	s_andn2_b32 exec_lo, exec_lo, s5
	s_cbranch_execnz .LBB91_21
; %bb.22:
	s_or_b32 exec_lo, exec_lo, s5
	v_mov_b32_e32 v62, 0
	ds_read_b64 v[62:63], v62 offset:24
	s_waitcnt lgkmcnt(0)
	v_mul_f64 v[57:58], v[57:58], v[62:63]
	buffer_store_dword v58, off, s[0:3], 0 offset:28
	buffer_store_dword v57, off, s[0:3], 0 offset:24
.LBB91_23:
	s_or_b32 exec_lo, exec_lo, s4
	s_waitcnt_vscnt null, 0x0
	s_barrier
	buffer_gl0_inv
	s_clause 0x1
	buffer_load_dword v57, off, s[0:3], 0 offset:32
	buffer_load_dword v58, off, s[0:3], 0 offset:36
	s_mov_b32 s4, exec_lo
	s_waitcnt vmcnt(0)
	ds_write_b64 v60, v[57:58]
	s_waitcnt lgkmcnt(0)
	s_barrier
	buffer_gl0_inv
	v_cmpx_gt_u32_e32 4, v0
	s_cbranch_execz .LBB91_27
; %bb.24:
	v_mov_b32_e32 v57, 0
	v_add_nc_u32_e32 v62, -1, v0
	v_add_nc_u32_e32 v63, 0xe0, v59
	v_mov_b32_e32 v58, 0
	v_mov_b32_e32 v64, v59
	s_mov_b32 s5, 0
.LBB91_25:                              ; =>This Inner Loop Header: Depth=1
	s_clause 0x1
	buffer_load_dword v65, v64, s[0:3], 0 offen
	buffer_load_dword v66, v64, s[0:3], 0 offen offset:4
	ds_read_b64 v[67:68], v63
	v_add_nc_u32_e32 v62, 1, v62
	v_add_nc_u32_e32 v63, 8, v63
	v_add_nc_u32_e32 v64, 8, v64
	v_cmp_lt_u32_e32 vcc_lo, 2, v62
	s_or_b32 s5, vcc_lo, s5
	s_waitcnt vmcnt(0) lgkmcnt(0)
	v_fma_f64 v[57:58], v[65:66], v[67:68], v[57:58]
	s_andn2_b32 exec_lo, exec_lo, s5
	s_cbranch_execnz .LBB91_25
; %bb.26:
	s_or_b32 exec_lo, exec_lo, s5
	v_mov_b32_e32 v62, 0
	ds_read_b64 v[62:63], v62 offset:32
	s_waitcnt lgkmcnt(0)
	v_mul_f64 v[57:58], v[57:58], v[62:63]
	buffer_store_dword v58, off, s[0:3], 0 offset:36
	buffer_store_dword v57, off, s[0:3], 0 offset:32
.LBB91_27:
	s_or_b32 exec_lo, exec_lo, s4
	s_waitcnt_vscnt null, 0x0
	s_barrier
	buffer_gl0_inv
	s_clause 0x1
	buffer_load_dword v57, off, s[0:3], 0 offset:40
	buffer_load_dword v58, off, s[0:3], 0 offset:44
	;; [unrolled: 45-line block ×20, first 2 shown]
	s_mov_b32 s4, exec_lo
	s_waitcnt vmcnt(0)
	ds_write_b64 v60, v[57:58]
	s_waitcnt lgkmcnt(0)
	s_barrier
	buffer_gl0_inv
	v_cmpx_gt_u32_e32 23, v0
	s_cbranch_execz .LBB91_103
; %bb.100:
	v_mov_b32_e32 v57, 0
	v_add_nc_u32_e32 v62, -1, v0
	v_add_nc_u32_e32 v63, 0xe0, v59
	v_mov_b32_e32 v58, 0
	v_mov_b32_e32 v64, v59
	s_mov_b32 s5, 0
.LBB91_101:                             ; =>This Inner Loop Header: Depth=1
	s_clause 0x1
	buffer_load_dword v65, v64, s[0:3], 0 offen
	buffer_load_dword v66, v64, s[0:3], 0 offen offset:4
	ds_read_b64 v[67:68], v63
	v_add_nc_u32_e32 v62, 1, v62
	v_add_nc_u32_e32 v63, 8, v63
	v_add_nc_u32_e32 v64, 8, v64
	v_cmp_lt_u32_e32 vcc_lo, 21, v62
	s_or_b32 s5, vcc_lo, s5
	s_waitcnt vmcnt(0) lgkmcnt(0)
	v_fma_f64 v[57:58], v[65:66], v[67:68], v[57:58]
	s_andn2_b32 exec_lo, exec_lo, s5
	s_cbranch_execnz .LBB91_101
; %bb.102:
	s_or_b32 exec_lo, exec_lo, s5
	v_mov_b32_e32 v62, 0
	ds_read_b64 v[62:63], v62 offset:184
	s_waitcnt lgkmcnt(0)
	v_mul_f64 v[57:58], v[57:58], v[62:63]
	buffer_store_dword v58, off, s[0:3], 0 offset:188
	buffer_store_dword v57, off, s[0:3], 0 offset:184
.LBB91_103:
	s_or_b32 exec_lo, exec_lo, s4
	s_waitcnt_vscnt null, 0x0
	s_barrier
	buffer_gl0_inv
	s_clause 0x1
	buffer_load_dword v57, off, s[0:3], 0 offset:192
	buffer_load_dword v58, off, s[0:3], 0 offset:196
	s_mov_b32 s4, exec_lo
	s_waitcnt vmcnt(0)
	ds_write_b64 v60, v[57:58]
	s_waitcnt lgkmcnt(0)
	s_barrier
	buffer_gl0_inv
	v_cmpx_gt_u32_e32 24, v0
	s_cbranch_execz .LBB91_107
; %bb.104:
	v_mov_b32_e32 v57, 0
	v_add_nc_u32_e32 v62, -1, v0
	v_add_nc_u32_e32 v63, 0xe0, v59
	v_mov_b32_e32 v58, 0
	v_mov_b32_e32 v64, v59
	s_mov_b32 s5, 0
.LBB91_105:                             ; =>This Inner Loop Header: Depth=1
	s_clause 0x1
	buffer_load_dword v65, v64, s[0:3], 0 offen
	buffer_load_dword v66, v64, s[0:3], 0 offen offset:4
	ds_read_b64 v[67:68], v63
	v_add_nc_u32_e32 v62, 1, v62
	v_add_nc_u32_e32 v63, 8, v63
	v_add_nc_u32_e32 v64, 8, v64
	v_cmp_lt_u32_e32 vcc_lo, 22, v62
	s_or_b32 s5, vcc_lo, s5
	s_waitcnt vmcnt(0) lgkmcnt(0)
	v_fma_f64 v[57:58], v[65:66], v[67:68], v[57:58]
	s_andn2_b32 exec_lo, exec_lo, s5
	s_cbranch_execnz .LBB91_105
; %bb.106:
	s_or_b32 exec_lo, exec_lo, s5
	v_mov_b32_e32 v62, 0
	ds_read_b64 v[62:63], v62 offset:192
	s_waitcnt lgkmcnt(0)
	v_mul_f64 v[57:58], v[57:58], v[62:63]
	buffer_store_dword v58, off, s[0:3], 0 offset:196
	buffer_store_dword v57, off, s[0:3], 0 offset:192
.LBB91_107:
	s_or_b32 exec_lo, exec_lo, s4
	s_waitcnt_vscnt null, 0x0
	s_barrier
	buffer_gl0_inv
	s_clause 0x1
	buffer_load_dword v57, off, s[0:3], 0 offset:200
	buffer_load_dword v58, off, s[0:3], 0 offset:204
	;; [unrolled: 45-line block ×4, first 2 shown]
	s_mov_b32 s4, exec_lo
	s_waitcnt vmcnt(0)
	ds_write_b64 v60, v[57:58]
	s_waitcnt lgkmcnt(0)
	s_barrier
	buffer_gl0_inv
	v_cmpx_ne_u32_e32 27, v0
	s_cbranch_execz .LBB91_119
; %bb.116:
	v_mov_b32_e32 v57, 0
	v_mov_b32_e32 v58, 0
	s_mov_b32 s5, 0
.LBB91_117:                             ; =>This Inner Loop Header: Depth=1
	s_clause 0x1
	buffer_load_dword v62, v59, s[0:3], 0 offen
	buffer_load_dword v63, v59, s[0:3], 0 offen offset:4
	ds_read_b64 v[64:65], v60
	v_add_nc_u32_e32 v61, 1, v61
	v_add_nc_u32_e32 v60, 8, v60
	;; [unrolled: 1-line block ×3, first 2 shown]
	v_cmp_lt_u32_e32 vcc_lo, 25, v61
	s_or_b32 s5, vcc_lo, s5
	s_waitcnt vmcnt(0) lgkmcnt(0)
	v_fma_f64 v[57:58], v[62:63], v[64:65], v[57:58]
	s_andn2_b32 exec_lo, exec_lo, s5
	s_cbranch_execnz .LBB91_117
; %bb.118:
	s_or_b32 exec_lo, exec_lo, s5
	v_mov_b32_e32 v59, 0
	ds_read_b64 v[59:60], v59 offset:216
	s_waitcnt lgkmcnt(0)
	v_mul_f64 v[57:58], v[57:58], v[59:60]
	buffer_store_dword v58, off, s[0:3], 0 offset:220
	buffer_store_dword v57, off, s[0:3], 0 offset:216
.LBB91_119:
	s_or_b32 exec_lo, exec_lo, s4
	s_mov_b32 s5, -1
	s_waitcnt_vscnt null, 0x0
	s_barrier
	buffer_gl0_inv
.LBB91_120:
	s_and_b32 vcc_lo, exec_lo, s5
	s_cbranch_vccz .LBB91_122
; %bb.121:
	s_lshl_b64 s[4:5], s[6:7], 2
	v_mov_b32_e32 v57, 0
	s_add_u32 s4, s10, s4
	s_addc_u32 s5, s11, s5
	global_load_dword v57, v57, s[4:5]
	s_waitcnt vmcnt(0)
	v_cmp_ne_u32_e32 vcc_lo, 0, v57
	s_cbranch_vccz .LBB91_123
.LBB91_122:
	s_endpgm
.LBB91_123:
	v_lshl_add_u32 v57, v0, 3, 0xe0
	s_mov_b32 s4, exec_lo
	v_cmpx_eq_u32_e32 27, v0
	s_cbranch_execz .LBB91_125
; %bb.124:
	s_clause 0x1
	buffer_load_dword v58, off, s[0:3], 0 offset:208
	buffer_load_dword v59, off, s[0:3], 0 offset:212
	v_mov_b32_e32 v60, 0
	buffer_store_dword v60, off, s[0:3], 0 offset:208
	buffer_store_dword v60, off, s[0:3], 0 offset:212
	s_waitcnt vmcnt(0)
	ds_write_b64 v57, v[58:59]
.LBB91_125:
	s_or_b32 exec_lo, exec_lo, s4
	s_waitcnt lgkmcnt(0)
	s_waitcnt_vscnt null, 0x0
	s_barrier
	buffer_gl0_inv
	s_clause 0x3
	buffer_load_dword v59, off, s[0:3], 0 offset:216
	buffer_load_dword v60, off, s[0:3], 0 offset:220
	;; [unrolled: 1-line block ×4, first 2 shown]
	v_mov_b32_e32 v58, 0
	s_mov_b32 s4, exec_lo
	ds_read_b64 v[63:64], v58 offset:440
	s_waitcnt vmcnt(2) lgkmcnt(0)
	v_fma_f64 v[59:60], v[59:60], v[63:64], 0
	s_waitcnt vmcnt(0)
	v_add_f64 v[59:60], v[61:62], -v[59:60]
	buffer_store_dword v59, off, s[0:3], 0 offset:208
	buffer_store_dword v60, off, s[0:3], 0 offset:212
	v_cmpx_lt_u32_e32 25, v0
	s_cbranch_execz .LBB91_127
; %bb.126:
	s_clause 0x1
	buffer_load_dword v59, off, s[0:3], 0 offset:200
	buffer_load_dword v60, off, s[0:3], 0 offset:204
	buffer_store_dword v58, off, s[0:3], 0 offset:200
	buffer_store_dword v58, off, s[0:3], 0 offset:204
	s_waitcnt vmcnt(0)
	ds_write_b64 v57, v[59:60]
.LBB91_127:
	s_or_b32 exec_lo, exec_lo, s4
	s_waitcnt lgkmcnt(0)
	s_waitcnt_vscnt null, 0x0
	s_barrier
	buffer_gl0_inv
	s_clause 0x5
	buffer_load_dword v62, off, s[0:3], 0 offset:208
	buffer_load_dword v63, off, s[0:3], 0 offset:212
	;; [unrolled: 1-line block ×6, first 2 shown]
	ds_read_b128 v[58:61], v58 offset:432
	s_mov_b32 s4, exec_lo
	s_waitcnt vmcnt(4) lgkmcnt(0)
	v_fma_f64 v[58:59], v[62:63], v[58:59], 0
	s_waitcnt vmcnt(2)
	v_fma_f64 v[58:59], v[64:65], v[60:61], v[58:59]
	s_waitcnt vmcnt(0)
	v_add_f64 v[58:59], v[66:67], -v[58:59]
	buffer_store_dword v58, off, s[0:3], 0 offset:200
	buffer_store_dword v59, off, s[0:3], 0 offset:204
	v_cmpx_lt_u32_e32 24, v0
	s_cbranch_execz .LBB91_129
; %bb.128:
	s_clause 0x1
	buffer_load_dword v58, off, s[0:3], 0 offset:192
	buffer_load_dword v59, off, s[0:3], 0 offset:196
	v_mov_b32_e32 v60, 0
	buffer_store_dword v60, off, s[0:3], 0 offset:192
	buffer_store_dword v60, off, s[0:3], 0 offset:196
	s_waitcnt vmcnt(0)
	ds_write_b64 v57, v[58:59]
.LBB91_129:
	s_or_b32 exec_lo, exec_lo, s4
	s_waitcnt lgkmcnt(0)
	s_waitcnt_vscnt null, 0x0
	s_barrier
	buffer_gl0_inv
	s_clause 0x7
	buffer_load_dword v63, off, s[0:3], 0 offset:200
	buffer_load_dword v64, off, s[0:3], 0 offset:204
	;; [unrolled: 1-line block ×8, first 2 shown]
	v_mov_b32_e32 v58, 0
	ds_read2_b64 v[59:62], v58 offset0:53 offset1:54
	ds_read_b64 v[71:72], v58 offset:440
	s_mov_b32 s4, exec_lo
	s_waitcnt vmcnt(6) lgkmcnt(1)
	v_fma_f64 v[59:60], v[63:64], v[59:60], 0
	s_waitcnt vmcnt(4)
	v_fma_f64 v[59:60], v[65:66], v[61:62], v[59:60]
	s_waitcnt vmcnt(2) lgkmcnt(0)
	v_fma_f64 v[59:60], v[67:68], v[71:72], v[59:60]
	s_waitcnt vmcnt(0)
	v_add_f64 v[59:60], v[69:70], -v[59:60]
	buffer_store_dword v59, off, s[0:3], 0 offset:192
	buffer_store_dword v60, off, s[0:3], 0 offset:196
	v_cmpx_lt_u32_e32 23, v0
	s_cbranch_execz .LBB91_131
; %bb.130:
	s_clause 0x1
	buffer_load_dword v59, off, s[0:3], 0 offset:184
	buffer_load_dword v60, off, s[0:3], 0 offset:188
	buffer_store_dword v58, off, s[0:3], 0 offset:184
	buffer_store_dword v58, off, s[0:3], 0 offset:188
	s_waitcnt vmcnt(0)
	ds_write_b64 v57, v[59:60]
.LBB91_131:
	s_or_b32 exec_lo, exec_lo, s4
	s_waitcnt lgkmcnt(0)
	s_waitcnt_vscnt null, 0x0
	s_barrier
	buffer_gl0_inv
	s_clause 0x9
	buffer_load_dword v67, off, s[0:3], 0 offset:192
	buffer_load_dword v68, off, s[0:3], 0 offset:196
	;; [unrolled: 1-line block ×10, first 2 shown]
	ds_read_b128 v[59:62], v58 offset:416
	ds_read_b128 v[63:66], v58 offset:432
	s_mov_b32 s4, exec_lo
	s_waitcnt vmcnt(8) lgkmcnt(1)
	v_fma_f64 v[58:59], v[67:68], v[59:60], 0
	s_waitcnt vmcnt(6)
	v_fma_f64 v[58:59], v[69:70], v[61:62], v[58:59]
	s_waitcnt vmcnt(4) lgkmcnt(0)
	v_fma_f64 v[58:59], v[71:72], v[63:64], v[58:59]
	s_waitcnt vmcnt(2)
	v_fma_f64 v[58:59], v[73:74], v[65:66], v[58:59]
	s_waitcnt vmcnt(0)
	v_add_f64 v[58:59], v[75:76], -v[58:59]
	buffer_store_dword v58, off, s[0:3], 0 offset:184
	buffer_store_dword v59, off, s[0:3], 0 offset:188
	v_cmpx_lt_u32_e32 22, v0
	s_cbranch_execz .LBB91_133
; %bb.132:
	s_clause 0x1
	buffer_load_dword v58, off, s[0:3], 0 offset:176
	buffer_load_dword v59, off, s[0:3], 0 offset:180
	v_mov_b32_e32 v60, 0
	buffer_store_dword v60, off, s[0:3], 0 offset:176
	buffer_store_dword v60, off, s[0:3], 0 offset:180
	s_waitcnt vmcnt(0)
	ds_write_b64 v57, v[58:59]
.LBB91_133:
	s_or_b32 exec_lo, exec_lo, s4
	s_waitcnt lgkmcnt(0)
	s_waitcnt_vscnt null, 0x0
	s_barrier
	buffer_gl0_inv
	s_clause 0xb
	buffer_load_dword v67, off, s[0:3], 0 offset:184
	buffer_load_dword v68, off, s[0:3], 0 offset:188
	;; [unrolled: 1-line block ×12, first 2 shown]
	v_mov_b32_e32 v58, 0
	ds_read2_b64 v[59:62], v58 offset0:51 offset1:52
	ds_read2_b64 v[63:66], v58 offset0:53 offset1:54
	s_mov_b32 s4, exec_lo
	s_waitcnt vmcnt(10) lgkmcnt(1)
	v_fma_f64 v[59:60], v[67:68], v[59:60], 0
	s_waitcnt vmcnt(8)
	v_fma_f64 v[59:60], v[69:70], v[61:62], v[59:60]
	ds_read_b64 v[61:62], v58 offset:440
	s_waitcnt vmcnt(6) lgkmcnt(1)
	v_fma_f64 v[59:60], v[71:72], v[63:64], v[59:60]
	s_waitcnt vmcnt(4)
	v_fma_f64 v[59:60], v[73:74], v[65:66], v[59:60]
	s_waitcnt vmcnt(2) lgkmcnt(0)
	v_fma_f64 v[59:60], v[75:76], v[61:62], v[59:60]
	s_waitcnt vmcnt(0)
	v_add_f64 v[59:60], v[77:78], -v[59:60]
	buffer_store_dword v59, off, s[0:3], 0 offset:176
	buffer_store_dword v60, off, s[0:3], 0 offset:180
	v_cmpx_lt_u32_e32 21, v0
	s_cbranch_execz .LBB91_135
; %bb.134:
	s_clause 0x1
	buffer_load_dword v59, off, s[0:3], 0 offset:168
	buffer_load_dword v60, off, s[0:3], 0 offset:172
	buffer_store_dword v58, off, s[0:3], 0 offset:168
	buffer_store_dword v58, off, s[0:3], 0 offset:172
	s_waitcnt vmcnt(0)
	ds_write_b64 v57, v[59:60]
.LBB91_135:
	s_or_b32 exec_lo, exec_lo, s4
	s_waitcnt lgkmcnt(0)
	s_waitcnt_vscnt null, 0x0
	s_barrier
	buffer_gl0_inv
	s_clause 0xd
	buffer_load_dword v67, off, s[0:3], 0 offset:176
	buffer_load_dword v68, off, s[0:3], 0 offset:180
	;; [unrolled: 1-line block ×14, first 2 shown]
	ds_read_b128 v[59:62], v58 offset:400
	ds_read_b128 v[63:66], v58 offset:416
	s_mov_b32 s4, exec_lo
	s_waitcnt vmcnt(12) lgkmcnt(1)
	v_fma_f64 v[59:60], v[67:68], v[59:60], 0
	s_waitcnt vmcnt(10)
	v_fma_f64 v[59:60], v[69:70], v[61:62], v[59:60]
	s_waitcnt vmcnt(8) lgkmcnt(0)
	v_fma_f64 v[59:60], v[71:72], v[63:64], v[59:60]
	s_waitcnt vmcnt(6)
	v_fma_f64 v[62:63], v[73:74], v[65:66], v[59:60]
	ds_read_b128 v[58:61], v58 offset:432
	s_waitcnt vmcnt(4) lgkmcnt(0)
	v_fma_f64 v[58:59], v[75:76], v[58:59], v[62:63]
	s_waitcnt vmcnt(2)
	v_fma_f64 v[58:59], v[77:78], v[60:61], v[58:59]
	s_waitcnt vmcnt(0)
	v_add_f64 v[58:59], v[79:80], -v[58:59]
	buffer_store_dword v58, off, s[0:3], 0 offset:168
	buffer_store_dword v59, off, s[0:3], 0 offset:172
	v_cmpx_lt_u32_e32 20, v0
	s_cbranch_execz .LBB91_137
; %bb.136:
	s_clause 0x1
	buffer_load_dword v58, off, s[0:3], 0 offset:160
	buffer_load_dword v59, off, s[0:3], 0 offset:164
	v_mov_b32_e32 v60, 0
	buffer_store_dword v60, off, s[0:3], 0 offset:160
	buffer_store_dword v60, off, s[0:3], 0 offset:164
	s_waitcnt vmcnt(0)
	ds_write_b64 v57, v[58:59]
.LBB91_137:
	s_or_b32 exec_lo, exec_lo, s4
	s_waitcnt lgkmcnt(0)
	s_waitcnt_vscnt null, 0x0
	s_barrier
	buffer_gl0_inv
	s_clause 0xf
	buffer_load_dword v67, off, s[0:3], 0 offset:168
	buffer_load_dword v68, off, s[0:3], 0 offset:172
	;; [unrolled: 1-line block ×16, first 2 shown]
	v_mov_b32_e32 v58, 0
	ds_read2_b64 v[59:62], v58 offset0:49 offset1:50
	ds_read2_b64 v[63:66], v58 offset0:51 offset1:52
	s_mov_b32 s4, exec_lo
	s_waitcnt vmcnt(14) lgkmcnt(1)
	v_fma_f64 v[59:60], v[67:68], v[59:60], 0
	s_waitcnt vmcnt(12)
	v_fma_f64 v[59:60], v[69:70], v[61:62], v[59:60]
	s_waitcnt vmcnt(10) lgkmcnt(0)
	v_fma_f64 v[59:60], v[71:72], v[63:64], v[59:60]
	s_waitcnt vmcnt(8)
	v_fma_f64 v[63:64], v[73:74], v[65:66], v[59:60]
	ds_read2_b64 v[59:62], v58 offset0:53 offset1:54
	ds_read_b64 v[65:66], v58 offset:440
	s_waitcnt vmcnt(6) lgkmcnt(1)
	v_fma_f64 v[59:60], v[75:76], v[59:60], v[63:64]
	s_waitcnt vmcnt(4)
	v_fma_f64 v[59:60], v[77:78], v[61:62], v[59:60]
	s_waitcnt vmcnt(2) lgkmcnt(0)
	v_fma_f64 v[59:60], v[79:80], v[65:66], v[59:60]
	s_waitcnt vmcnt(0)
	v_add_f64 v[59:60], v[81:82], -v[59:60]
	buffer_store_dword v59, off, s[0:3], 0 offset:160
	buffer_store_dword v60, off, s[0:3], 0 offset:164
	v_cmpx_lt_u32_e32 19, v0
	s_cbranch_execz .LBB91_139
; %bb.138:
	s_clause 0x1
	buffer_load_dword v59, off, s[0:3], 0 offset:152
	buffer_load_dword v60, off, s[0:3], 0 offset:156
	buffer_store_dword v58, off, s[0:3], 0 offset:152
	buffer_store_dword v58, off, s[0:3], 0 offset:156
	s_waitcnt vmcnt(0)
	ds_write_b64 v57, v[59:60]
.LBB91_139:
	s_or_b32 exec_lo, exec_lo, s4
	s_waitcnt lgkmcnt(0)
	s_waitcnt_vscnt null, 0x0
	s_barrier
	buffer_gl0_inv
	s_clause 0x11
	buffer_load_dword v67, off, s[0:3], 0 offset:160
	buffer_load_dword v68, off, s[0:3], 0 offset:164
	;; [unrolled: 1-line block ×18, first 2 shown]
	ds_read_b128 v[59:62], v58 offset:384
	ds_read_b128 v[63:66], v58 offset:400
	s_mov_b32 s4, exec_lo
	s_waitcnt vmcnt(16) lgkmcnt(1)
	v_fma_f64 v[59:60], v[67:68], v[59:60], 0
	s_waitcnt vmcnt(14)
	v_fma_f64 v[59:60], v[69:70], v[61:62], v[59:60]
	s_waitcnt vmcnt(12) lgkmcnt(0)
	v_fma_f64 v[59:60], v[71:72], v[63:64], v[59:60]
	s_waitcnt vmcnt(10)
	v_fma_f64 v[67:68], v[73:74], v[65:66], v[59:60]
	ds_read_b128 v[59:62], v58 offset:416
	ds_read_b128 v[63:66], v58 offset:432
	s_waitcnt vmcnt(8) lgkmcnt(1)
	v_fma_f64 v[58:59], v[75:76], v[59:60], v[67:68]
	s_waitcnt vmcnt(6)
	v_fma_f64 v[58:59], v[77:78], v[61:62], v[58:59]
	s_waitcnt vmcnt(4) lgkmcnt(0)
	v_fma_f64 v[58:59], v[79:80], v[63:64], v[58:59]
	s_waitcnt vmcnt(2)
	v_fma_f64 v[58:59], v[81:82], v[65:66], v[58:59]
	s_waitcnt vmcnt(0)
	v_add_f64 v[58:59], v[83:84], -v[58:59]
	buffer_store_dword v58, off, s[0:3], 0 offset:152
	buffer_store_dword v59, off, s[0:3], 0 offset:156
	v_cmpx_lt_u32_e32 18, v0
	s_cbranch_execz .LBB91_141
; %bb.140:
	s_clause 0x1
	buffer_load_dword v58, off, s[0:3], 0 offset:144
	buffer_load_dword v59, off, s[0:3], 0 offset:148
	v_mov_b32_e32 v60, 0
	buffer_store_dword v60, off, s[0:3], 0 offset:144
	buffer_store_dword v60, off, s[0:3], 0 offset:148
	s_waitcnt vmcnt(0)
	ds_write_b64 v57, v[58:59]
.LBB91_141:
	s_or_b32 exec_lo, exec_lo, s4
	s_waitcnt lgkmcnt(0)
	s_waitcnt_vscnt null, 0x0
	s_barrier
	buffer_gl0_inv
	s_clause 0x13
	buffer_load_dword v67, off, s[0:3], 0 offset:152
	buffer_load_dword v68, off, s[0:3], 0 offset:156
	;; [unrolled: 1-line block ×20, first 2 shown]
	v_mov_b32_e32 v58, 0
	ds_read2_b64 v[59:62], v58 offset0:47 offset1:48
	ds_read2_b64 v[63:66], v58 offset0:49 offset1:50
	s_mov_b32 s4, exec_lo
	s_waitcnt vmcnt(18) lgkmcnt(1)
	v_fma_f64 v[59:60], v[67:68], v[59:60], 0
	s_waitcnt vmcnt(16)
	v_fma_f64 v[59:60], v[69:70], v[61:62], v[59:60]
	s_waitcnt vmcnt(14) lgkmcnt(0)
	v_fma_f64 v[59:60], v[71:72], v[63:64], v[59:60]
	s_waitcnt vmcnt(12)
	v_fma_f64 v[67:68], v[73:74], v[65:66], v[59:60]
	ds_read2_b64 v[59:62], v58 offset0:51 offset1:52
	ds_read2_b64 v[63:66], v58 offset0:53 offset1:54
	s_waitcnt vmcnt(10) lgkmcnt(1)
	v_fma_f64 v[59:60], v[75:76], v[59:60], v[67:68]
	s_waitcnt vmcnt(8)
	v_fma_f64 v[59:60], v[77:78], v[61:62], v[59:60]
	ds_read_b64 v[61:62], v58 offset:440
	s_waitcnt vmcnt(6) lgkmcnt(1)
	v_fma_f64 v[59:60], v[79:80], v[63:64], v[59:60]
	s_waitcnt vmcnt(3)
	v_fma_f64 v[59:60], v[81:82], v[65:66], v[59:60]
	s_waitcnt vmcnt(2) lgkmcnt(0)
	v_fma_f64 v[59:60], v[83:84], v[61:62], v[59:60]
	s_waitcnt vmcnt(0)
	v_add_f64 v[59:60], v[85:86], -v[59:60]
	buffer_store_dword v59, off, s[0:3], 0 offset:144
	buffer_store_dword v60, off, s[0:3], 0 offset:148
	v_cmpx_lt_u32_e32 17, v0
	s_cbranch_execz .LBB91_143
; %bb.142:
	s_clause 0x1
	buffer_load_dword v59, off, s[0:3], 0 offset:136
	buffer_load_dword v60, off, s[0:3], 0 offset:140
	buffer_store_dword v58, off, s[0:3], 0 offset:136
	buffer_store_dword v58, off, s[0:3], 0 offset:140
	s_waitcnt vmcnt(0)
	ds_write_b64 v57, v[59:60]
.LBB91_143:
	s_or_b32 exec_lo, exec_lo, s4
	s_waitcnt lgkmcnt(0)
	s_waitcnt_vscnt null, 0x0
	s_barrier
	buffer_gl0_inv
	s_clause 0x15
	buffer_load_dword v67, off, s[0:3], 0 offset:144
	buffer_load_dword v68, off, s[0:3], 0 offset:148
	;; [unrolled: 1-line block ×22, first 2 shown]
	ds_read_b128 v[59:62], v58 offset:368
	ds_read_b128 v[63:66], v58 offset:384
	s_mov_b32 s4, exec_lo
	s_waitcnt vmcnt(20) lgkmcnt(1)
	v_fma_f64 v[59:60], v[67:68], v[59:60], 0
	s_waitcnt vmcnt(18)
	v_fma_f64 v[59:60], v[69:70], v[61:62], v[59:60]
	s_waitcnt vmcnt(16) lgkmcnt(0)
	v_fma_f64 v[59:60], v[71:72], v[63:64], v[59:60]
	s_waitcnt vmcnt(14)
	v_fma_f64 v[67:68], v[73:74], v[65:66], v[59:60]
	ds_read_b128 v[59:62], v58 offset:400
	ds_read_b128 v[63:66], v58 offset:416
	s_waitcnt vmcnt(12) lgkmcnt(1)
	v_fma_f64 v[59:60], v[75:76], v[59:60], v[67:68]
	s_waitcnt vmcnt(10)
	v_fma_f64 v[59:60], v[77:78], v[61:62], v[59:60]
	s_waitcnt vmcnt(8) lgkmcnt(0)
	v_fma_f64 v[59:60], v[79:80], v[63:64], v[59:60]
	s_waitcnt vmcnt(4)
	v_fma_f64 v[62:63], v[81:82], v[65:66], v[59:60]
	ds_read_b128 v[58:61], v58 offset:432
	s_waitcnt vmcnt(3) lgkmcnt(0)
	v_fma_f64 v[58:59], v[85:86], v[58:59], v[62:63]
	s_waitcnt vmcnt(2)
	v_fma_f64 v[58:59], v[83:84], v[60:61], v[58:59]
	s_waitcnt vmcnt(0)
	v_add_f64 v[58:59], v[87:88], -v[58:59]
	buffer_store_dword v58, off, s[0:3], 0 offset:136
	buffer_store_dword v59, off, s[0:3], 0 offset:140
	v_cmpx_lt_u32_e32 16, v0
	s_cbranch_execz .LBB91_145
; %bb.144:
	s_clause 0x1
	buffer_load_dword v58, off, s[0:3], 0 offset:128
	buffer_load_dword v59, off, s[0:3], 0 offset:132
	v_mov_b32_e32 v60, 0
	buffer_store_dword v60, off, s[0:3], 0 offset:128
	buffer_store_dword v60, off, s[0:3], 0 offset:132
	s_waitcnt vmcnt(0)
	ds_write_b64 v57, v[58:59]
.LBB91_145:
	s_or_b32 exec_lo, exec_lo, s4
	s_waitcnt lgkmcnt(0)
	s_waitcnt_vscnt null, 0x0
	s_barrier
	buffer_gl0_inv
	s_clause 0x17
	buffer_load_dword v67, off, s[0:3], 0 offset:136
	buffer_load_dword v68, off, s[0:3], 0 offset:140
	;; [unrolled: 1-line block ×24, first 2 shown]
	v_mov_b32_e32 v58, 0
	ds_read2_b64 v[59:62], v58 offset0:45 offset1:46
	ds_read2_b64 v[63:66], v58 offset0:47 offset1:48
	s_mov_b32 s4, exec_lo
	s_waitcnt vmcnt(22) lgkmcnt(1)
	v_fma_f64 v[59:60], v[67:68], v[59:60], 0
	s_waitcnt vmcnt(20)
	v_fma_f64 v[59:60], v[69:70], v[61:62], v[59:60]
	s_waitcnt vmcnt(18) lgkmcnt(0)
	v_fma_f64 v[59:60], v[71:72], v[63:64], v[59:60]
	s_waitcnt vmcnt(16)
	v_fma_f64 v[67:68], v[73:74], v[65:66], v[59:60]
	ds_read2_b64 v[59:62], v58 offset0:49 offset1:50
	ds_read2_b64 v[63:66], v58 offset0:51 offset1:52
	s_waitcnt vmcnt(14) lgkmcnt(1)
	v_fma_f64 v[59:60], v[75:76], v[59:60], v[67:68]
	s_waitcnt vmcnt(12)
	v_fma_f64 v[59:60], v[77:78], v[61:62], v[59:60]
	s_waitcnt vmcnt(10) lgkmcnt(0)
	v_fma_f64 v[59:60], v[79:80], v[63:64], v[59:60]
	s_waitcnt vmcnt(5)
	v_fma_f64 v[63:64], v[81:82], v[65:66], v[59:60]
	ds_read2_b64 v[59:62], v58 offset0:53 offset1:54
	ds_read_b64 v[65:66], v58 offset:440
	s_waitcnt vmcnt(4) lgkmcnt(1)
	v_fma_f64 v[59:60], v[87:88], v[59:60], v[63:64]
	s_waitcnt vmcnt(3)
	v_fma_f64 v[59:60], v[85:86], v[61:62], v[59:60]
	s_waitcnt vmcnt(2) lgkmcnt(0)
	v_fma_f64 v[59:60], v[83:84], v[65:66], v[59:60]
	s_waitcnt vmcnt(0)
	v_add_f64 v[59:60], v[89:90], -v[59:60]
	buffer_store_dword v60, off, s[0:3], 0 offset:132
	buffer_store_dword v59, off, s[0:3], 0 offset:128
	v_cmpx_lt_u32_e32 15, v0
	s_cbranch_execz .LBB91_147
; %bb.146:
	s_clause 0x1
	buffer_load_dword v59, off, s[0:3], 0 offset:120
	buffer_load_dword v60, off, s[0:3], 0 offset:124
	buffer_store_dword v58, off, s[0:3], 0 offset:120
	buffer_store_dword v58, off, s[0:3], 0 offset:124
	s_waitcnt vmcnt(0)
	ds_write_b64 v57, v[59:60]
.LBB91_147:
	s_or_b32 exec_lo, exec_lo, s4
	s_waitcnt lgkmcnt(0)
	s_waitcnt_vscnt null, 0x0
	s_barrier
	buffer_gl0_inv
	s_clause 0x19
	buffer_load_dword v67, off, s[0:3], 0 offset:128
	buffer_load_dword v68, off, s[0:3], 0 offset:132
	;; [unrolled: 1-line block ×26, first 2 shown]
	ds_read_b128 v[59:62], v58 offset:352
	ds_read_b128 v[63:66], v58 offset:368
	s_mov_b32 s4, exec_lo
	s_waitcnt vmcnt(24) lgkmcnt(1)
	v_fma_f64 v[59:60], v[67:68], v[59:60], 0
	s_waitcnt vmcnt(22)
	v_fma_f64 v[59:60], v[69:70], v[61:62], v[59:60]
	s_waitcnt vmcnt(20) lgkmcnt(0)
	v_fma_f64 v[59:60], v[71:72], v[63:64], v[59:60]
	s_waitcnt vmcnt(18)
	v_fma_f64 v[67:68], v[73:74], v[65:66], v[59:60]
	ds_read_b128 v[59:62], v58 offset:384
	ds_read_b128 v[63:66], v58 offset:400
	s_waitcnt vmcnt(16) lgkmcnt(1)
	v_fma_f64 v[59:60], v[75:76], v[59:60], v[67:68]
	s_waitcnt vmcnt(14)
	v_fma_f64 v[59:60], v[77:78], v[61:62], v[59:60]
	s_waitcnt vmcnt(12) lgkmcnt(0)
	v_fma_f64 v[59:60], v[79:80], v[63:64], v[59:60]
	s_waitcnt vmcnt(7)
	v_fma_f64 v[67:68], v[81:82], v[65:66], v[59:60]
	ds_read_b128 v[59:62], v58 offset:416
	ds_read_b128 v[63:66], v58 offset:432
	s_waitcnt vmcnt(6) lgkmcnt(1)
	v_fma_f64 v[58:59], v[87:88], v[59:60], v[67:68]
	s_waitcnt vmcnt(5)
	v_fma_f64 v[58:59], v[85:86], v[61:62], v[58:59]
	s_waitcnt vmcnt(4) lgkmcnt(0)
	v_fma_f64 v[58:59], v[83:84], v[63:64], v[58:59]
	s_waitcnt vmcnt(2)
	v_fma_f64 v[58:59], v[89:90], v[65:66], v[58:59]
	s_waitcnt vmcnt(0)
	v_add_f64 v[58:59], v[91:92], -v[58:59]
	buffer_store_dword v59, off, s[0:3], 0 offset:124
	buffer_store_dword v58, off, s[0:3], 0 offset:120
	v_cmpx_lt_u32_e32 14, v0
	s_cbranch_execz .LBB91_149
; %bb.148:
	s_clause 0x1
	buffer_load_dword v58, off, s[0:3], 0 offset:112
	buffer_load_dword v59, off, s[0:3], 0 offset:116
	v_mov_b32_e32 v60, 0
	buffer_store_dword v60, off, s[0:3], 0 offset:112
	buffer_store_dword v60, off, s[0:3], 0 offset:116
	s_waitcnt vmcnt(0)
	ds_write_b64 v57, v[58:59]
.LBB91_149:
	s_or_b32 exec_lo, exec_lo, s4
	s_waitcnt lgkmcnt(0)
	s_waitcnt_vscnt null, 0x0
	s_barrier
	buffer_gl0_inv
	s_clause 0x1b
	buffer_load_dword v63, off, s[0:3], 0 offset:120
	buffer_load_dword v64, off, s[0:3], 0 offset:124
	;; [unrolled: 1-line block ×28, first 2 shown]
	v_mov_b32_e32 v58, 0
	s_mov_b32 s4, exec_lo
	ds_read2_b64 v[59:62], v58 offset0:43 offset1:44
	s_waitcnt vmcnt(26) lgkmcnt(0)
	v_fma_f64 v[59:60], v[63:64], v[59:60], 0
	s_waitcnt vmcnt(24)
	v_fma_f64 v[63:64], v[65:66], v[61:62], v[59:60]
	ds_read2_b64 v[59:62], v58 offset0:45 offset1:46
	s_waitcnt vmcnt(22) lgkmcnt(0)
	v_fma_f64 v[59:60], v[67:68], v[59:60], v[63:64]
	s_waitcnt vmcnt(20)
	v_fma_f64 v[63:64], v[69:70], v[61:62], v[59:60]
	;; [unrolled: 5-line block ×6, first 2 shown]
	ds_read_b64 v[61:62], v58 offset:440
	s_waitcnt vmcnt(2) lgkmcnt(0)
	v_fma_f64 v[59:60], v[87:88], v[61:62], v[59:60]
	s_waitcnt vmcnt(0)
	v_add_f64 v[59:60], v[89:90], -v[59:60]
	buffer_store_dword v60, off, s[0:3], 0 offset:116
	buffer_store_dword v59, off, s[0:3], 0 offset:112
	v_cmpx_lt_u32_e32 13, v0
	s_cbranch_execz .LBB91_151
; %bb.150:
	s_clause 0x1
	buffer_load_dword v59, off, s[0:3], 0 offset:104
	buffer_load_dword v60, off, s[0:3], 0 offset:108
	buffer_store_dword v58, off, s[0:3], 0 offset:104
	buffer_store_dword v58, off, s[0:3], 0 offset:108
	s_waitcnt vmcnt(0)
	ds_write_b64 v57, v[59:60]
.LBB91_151:
	s_or_b32 exec_lo, exec_lo, s4
	s_waitcnt lgkmcnt(0)
	s_waitcnt_vscnt null, 0x0
	s_barrier
	buffer_gl0_inv
	s_clause 0x1b
	buffer_load_dword v63, off, s[0:3], 0 offset:112
	buffer_load_dword v64, off, s[0:3], 0 offset:116
	;; [unrolled: 1-line block ×28, first 2 shown]
	ds_read_b128 v[59:62], v58 offset:336
	s_clause 0x1
	buffer_load_dword v91, off, s[0:3], 0 offset:104
	buffer_load_dword v92, off, s[0:3], 0 offset:108
	s_mov_b32 s4, exec_lo
	s_waitcnt vmcnt(28) lgkmcnt(0)
	v_fma_f64 v[59:60], v[63:64], v[59:60], 0
	s_waitcnt vmcnt(26)
	v_fma_f64 v[63:64], v[65:66], v[61:62], v[59:60]
	ds_read_b128 v[59:62], v58 offset:352
	s_waitcnt vmcnt(24) lgkmcnt(0)
	v_fma_f64 v[59:60], v[67:68], v[59:60], v[63:64]
	s_waitcnt vmcnt(22)
	v_fma_f64 v[63:64], v[69:70], v[61:62], v[59:60]
	ds_read_b128 v[59:62], v58 offset:368
	;; [unrolled: 5-line block ×6, first 2 shown]
	s_waitcnt vmcnt(4) lgkmcnt(0)
	v_fma_f64 v[58:59], v[87:88], v[58:59], v[62:63]
	s_waitcnt vmcnt(2)
	v_fma_f64 v[58:59], v[89:90], v[60:61], v[58:59]
	s_waitcnt vmcnt(0)
	v_add_f64 v[58:59], v[91:92], -v[58:59]
	buffer_store_dword v59, off, s[0:3], 0 offset:108
	buffer_store_dword v58, off, s[0:3], 0 offset:104
	v_cmpx_lt_u32_e32 12, v0
	s_cbranch_execz .LBB91_153
; %bb.152:
	s_clause 0x1
	buffer_load_dword v58, off, s[0:3], 0 offset:96
	buffer_load_dword v59, off, s[0:3], 0 offset:100
	v_mov_b32_e32 v60, 0
	buffer_store_dword v60, off, s[0:3], 0 offset:96
	buffer_store_dword v60, off, s[0:3], 0 offset:100
	s_waitcnt vmcnt(0)
	ds_write_b64 v57, v[58:59]
.LBB91_153:
	s_or_b32 exec_lo, exec_lo, s4
	s_waitcnt lgkmcnt(0)
	s_waitcnt_vscnt null, 0x0
	s_barrier
	buffer_gl0_inv
	s_clause 0x1b
	buffer_load_dword v63, off, s[0:3], 0 offset:104
	buffer_load_dword v64, off, s[0:3], 0 offset:108
	;; [unrolled: 1-line block ×28, first 2 shown]
	v_mov_b32_e32 v58, 0
	s_mov_b32 s4, exec_lo
	ds_read2_b64 v[59:62], v58 offset0:41 offset1:42
	s_clause 0x1
	buffer_load_dword v91, off, s[0:3], 0 offset:216
	buffer_load_dword v92, off, s[0:3], 0 offset:220
	s_waitcnt vmcnt(28) lgkmcnt(0)
	v_fma_f64 v[59:60], v[63:64], v[59:60], 0
	s_clause 0x1
	buffer_load_dword v63, off, s[0:3], 0 offset:96
	buffer_load_dword v64, off, s[0:3], 0 offset:100
	s_waitcnt vmcnt(28)
	v_fma_f64 v[65:66], v[65:66], v[61:62], v[59:60]
	ds_read2_b64 v[59:62], v58 offset0:43 offset1:44
	s_waitcnt vmcnt(26) lgkmcnt(0)
	v_fma_f64 v[59:60], v[67:68], v[59:60], v[65:66]
	s_waitcnt vmcnt(24)
	v_fma_f64 v[65:66], v[69:70], v[61:62], v[59:60]
	ds_read2_b64 v[59:62], v58 offset0:45 offset1:46
	s_waitcnt vmcnt(22) lgkmcnt(0)
	v_fma_f64 v[59:60], v[71:72], v[59:60], v[65:66]
	;; [unrolled: 5-line block ×6, first 2 shown]
	s_waitcnt vmcnt(4)
	v_fma_f64 v[59:60], v[89:90], v[61:62], v[59:60]
	ds_read_b64 v[61:62], v58 offset:440
	s_waitcnt vmcnt(2) lgkmcnt(0)
	v_fma_f64 v[59:60], v[91:92], v[61:62], v[59:60]
	s_waitcnt vmcnt(0)
	v_add_f64 v[59:60], v[63:64], -v[59:60]
	buffer_store_dword v60, off, s[0:3], 0 offset:100
	buffer_store_dword v59, off, s[0:3], 0 offset:96
	v_cmpx_lt_u32_e32 11, v0
	s_cbranch_execz .LBB91_155
; %bb.154:
	s_clause 0x1
	buffer_load_dword v59, off, s[0:3], 0 offset:88
	buffer_load_dword v60, off, s[0:3], 0 offset:92
	buffer_store_dword v58, off, s[0:3], 0 offset:88
	buffer_store_dword v58, off, s[0:3], 0 offset:92
	s_waitcnt vmcnt(0)
	ds_write_b64 v57, v[59:60]
.LBB91_155:
	s_or_b32 exec_lo, exec_lo, s4
	s_waitcnt lgkmcnt(0)
	s_waitcnt_vscnt null, 0x0
	s_barrier
	buffer_gl0_inv
	s_clause 0x1b
	buffer_load_dword v63, off, s[0:3], 0 offset:96
	buffer_load_dword v64, off, s[0:3], 0 offset:100
	;; [unrolled: 1-line block ×28, first 2 shown]
	ds_read_b128 v[59:62], v58 offset:320
	s_clause 0x1
	buffer_load_dword v91, off, s[0:3], 0 offset:208
	buffer_load_dword v92, off, s[0:3], 0 offset:212
	s_mov_b32 s4, exec_lo
	s_waitcnt vmcnt(28) lgkmcnt(0)
	v_fma_f64 v[59:60], v[63:64], v[59:60], 0
	s_clause 0x1
	buffer_load_dword v64, off, s[0:3], 0 offset:220
	buffer_load_dword v63, off, s[0:3], 0 offset:216
	s_waitcnt vmcnt(28)
	v_fma_f64 v[65:66], v[65:66], v[61:62], v[59:60]
	ds_read_b128 v[59:62], v58 offset:336
	s_clause 0x1
	buffer_load_dword v93, off, s[0:3], 0 offset:88
	buffer_load_dword v94, off, s[0:3], 0 offset:92
	s_waitcnt vmcnt(28) lgkmcnt(0)
	v_fma_f64 v[59:60], v[67:68], v[59:60], v[65:66]
	s_waitcnt vmcnt(26)
	v_fma_f64 v[65:66], v[69:70], v[61:62], v[59:60]
	ds_read_b128 v[59:62], v58 offset:352
	s_waitcnt vmcnt(24) lgkmcnt(0)
	v_fma_f64 v[59:60], v[71:72], v[59:60], v[65:66]
	s_waitcnt vmcnt(22)
	v_fma_f64 v[65:66], v[73:74], v[61:62], v[59:60]
	ds_read_b128 v[59:62], v58 offset:368
	;; [unrolled: 5-line block ×6, first 2 shown]
	s_waitcnt vmcnt(4) lgkmcnt(0)
	v_fma_f64 v[58:59], v[91:92], v[58:59], v[65:66]
	s_waitcnt vmcnt(2)
	v_fma_f64 v[58:59], v[63:64], v[60:61], v[58:59]
	s_waitcnt vmcnt(0)
	v_add_f64 v[58:59], v[93:94], -v[58:59]
	buffer_store_dword v59, off, s[0:3], 0 offset:92
	buffer_store_dword v58, off, s[0:3], 0 offset:88
	v_cmpx_lt_u32_e32 10, v0
	s_cbranch_execz .LBB91_157
; %bb.156:
	s_clause 0x1
	buffer_load_dword v58, off, s[0:3], 0 offset:80
	buffer_load_dword v59, off, s[0:3], 0 offset:84
	v_mov_b32_e32 v60, 0
	buffer_store_dword v60, off, s[0:3], 0 offset:80
	buffer_store_dword v60, off, s[0:3], 0 offset:84
	s_waitcnt vmcnt(0)
	ds_write_b64 v57, v[58:59]
.LBB91_157:
	s_or_b32 exec_lo, exec_lo, s4
	s_waitcnt lgkmcnt(0)
	s_waitcnt_vscnt null, 0x0
	s_barrier
	buffer_gl0_inv
	s_clause 0x1c
	buffer_load_dword v67, off, s[0:3], 0 offset:88
	buffer_load_dword v68, off, s[0:3], 0 offset:92
	buffer_load_dword v69, off, s[0:3], 0 offset:96
	buffer_load_dword v70, off, s[0:3], 0 offset:100
	buffer_load_dword v71, off, s[0:3], 0 offset:104
	buffer_load_dword v72, off, s[0:3], 0 offset:108
	buffer_load_dword v73, off, s[0:3], 0 offset:112
	buffer_load_dword v74, off, s[0:3], 0 offset:116
	buffer_load_dword v75, off, s[0:3], 0 offset:120
	buffer_load_dword v76, off, s[0:3], 0 offset:124
	buffer_load_dword v77, off, s[0:3], 0 offset:128
	buffer_load_dword v78, off, s[0:3], 0 offset:132
	buffer_load_dword v79, off, s[0:3], 0 offset:136
	buffer_load_dword v80, off, s[0:3], 0 offset:140
	buffer_load_dword v82, off, s[0:3], 0 offset:148
	buffer_load_dword v83, off, s[0:3], 0 offset:168
	buffer_load_dword v85, off, s[0:3], 0 offset:160
	buffer_load_dword v87, off, s[0:3], 0 offset:152
	buffer_load_dword v81, off, s[0:3], 0 offset:144
	buffer_load_dword v88, off, s[0:3], 0 offset:156
	buffer_load_dword v86, off, s[0:3], 0 offset:164
	buffer_load_dword v84, off, s[0:3], 0 offset:172
	buffer_load_dword v90, off, s[0:3], 0 offset:180
	buffer_load_dword v91, off, s[0:3], 0 offset:200
	buffer_load_dword v93, off, s[0:3], 0 offset:192
	buffer_load_dword v95, off, s[0:3], 0 offset:184
	buffer_load_dword v89, off, s[0:3], 0 offset:176
	buffer_load_dword v96, off, s[0:3], 0 offset:188
	buffer_load_dword v94, off, s[0:3], 0 offset:196
	v_mov_b32_e32 v58, 0
	buffer_load_dword v92, off, s[0:3], 0 offset:204
	s_mov_b32 s4, exec_lo
	ds_read2_b64 v[59:62], v58 offset0:39 offset1:40
	ds_read2_b64 v[63:66], v58 offset0:41 offset1:42
	s_waitcnt vmcnt(28) lgkmcnt(1)
	v_fma_f64 v[59:60], v[67:68], v[59:60], 0
	s_clause 0x3
	buffer_load_dword v68, off, s[0:3], 0 offset:212
	buffer_load_dword v97, off, s[0:3], 0 offset:216
	;; [unrolled: 1-line block ×4, first 2 shown]
	s_waitcnt vmcnt(30)
	v_fma_f64 v[59:60], v[69:70], v[61:62], v[59:60]
	s_clause 0x1
	buffer_load_dword v69, off, s[0:3], 0 offset:80
	buffer_load_dword v70, off, s[0:3], 0 offset:84
	s_waitcnt vmcnt(30) lgkmcnt(0)
	v_fma_f64 v[59:60], v[71:72], v[63:64], v[59:60]
	s_waitcnt vmcnt(28)
	v_fma_f64 v[71:72], v[73:74], v[65:66], v[59:60]
	ds_read2_b64 v[59:62], v58 offset0:43 offset1:44
	ds_read2_b64 v[63:66], v58 offset0:45 offset1:46
	s_waitcnt vmcnt(26) lgkmcnt(1)
	v_fma_f64 v[59:60], v[75:76], v[59:60], v[71:72]
	s_waitcnt vmcnt(24)
	v_fma_f64 v[59:60], v[77:78], v[61:62], v[59:60]
	s_waitcnt vmcnt(22) lgkmcnt(0)
	v_fma_f64 v[59:60], v[79:80], v[63:64], v[59:60]
	s_waitcnt vmcnt(17)
	v_fma_f64 v[71:72], v[81:82], v[65:66], v[59:60]
	ds_read2_b64 v[59:62], v58 offset0:47 offset1:48
	ds_read2_b64 v[63:66], v58 offset0:49 offset1:50
	s_waitcnt vmcnt(16) lgkmcnt(1)
	v_fma_f64 v[59:60], v[87:88], v[59:60], v[71:72]
	s_waitcnt vmcnt(15)
	v_fma_f64 v[59:60], v[85:86], v[61:62], v[59:60]
	;; [unrolled: 10-line block ×3, first 2 shown]
	ds_read_b64 v[61:62], v58 offset:440
	s_waitcnt vmcnt(6) lgkmcnt(1)
	v_fma_f64 v[59:60], v[91:92], v[63:64], v[59:60]
	s_waitcnt vmcnt(3)
	v_fma_f64 v[59:60], v[67:68], v[65:66], v[59:60]
	s_waitcnt vmcnt(2) lgkmcnt(0)
	v_fma_f64 v[59:60], v[97:98], v[61:62], v[59:60]
	s_waitcnt vmcnt(0)
	v_add_f64 v[59:60], v[69:70], -v[59:60]
	buffer_store_dword v60, off, s[0:3], 0 offset:84
	buffer_store_dword v59, off, s[0:3], 0 offset:80
	v_cmpx_lt_u32_e32 9, v0
	s_cbranch_execz .LBB91_159
; %bb.158:
	s_clause 0x1
	buffer_load_dword v59, off, s[0:3], 0 offset:72
	buffer_load_dword v60, off, s[0:3], 0 offset:76
	buffer_store_dword v58, off, s[0:3], 0 offset:72
	buffer_store_dword v58, off, s[0:3], 0 offset:76
	s_waitcnt vmcnt(0)
	ds_write_b64 v57, v[59:60]
.LBB91_159:
	s_or_b32 exec_lo, exec_lo, s4
	s_waitcnt lgkmcnt(0)
	s_waitcnt_vscnt null, 0x0
	s_barrier
	buffer_gl0_inv
	s_clause 0x1c
	buffer_load_dword v67, off, s[0:3], 0 offset:80
	buffer_load_dword v68, off, s[0:3], 0 offset:84
	;; [unrolled: 1-line block ×29, first 2 shown]
	ds_read_b128 v[59:62], v58 offset:304
	ds_read_b128 v[63:66], v58 offset:320
	buffer_load_dword v92, off, s[0:3], 0 offset:196
	s_mov_b32 s4, exec_lo
	s_waitcnt vmcnt(28) lgkmcnt(1)
	v_fma_f64 v[59:60], v[67:68], v[59:60], 0
	s_clause 0x5
	buffer_load_dword v68, off, s[0:3], 0 offset:204
	buffer_load_dword v97, off, s[0:3], 0 offset:216
	;; [unrolled: 1-line block ×6, first 2 shown]
	s_waitcnt vmcnt(32)
	v_fma_f64 v[59:60], v[69:70], v[61:62], v[59:60]
	s_waitcnt vmcnt(30) lgkmcnt(0)
	v_fma_f64 v[59:60], v[71:72], v[63:64], v[59:60]
	s_waitcnt vmcnt(28)
	v_fma_f64 v[69:70], v[73:74], v[65:66], v[59:60]
	ds_read_b128 v[59:62], v58 offset:336
	s_clause 0x1
	buffer_load_dword v71, off, s[0:3], 0 offset:72
	buffer_load_dword v72, off, s[0:3], 0 offset:76
	ds_read_b128 v[63:66], v58 offset:352
	s_waitcnt vmcnt(28) lgkmcnt(1)
	v_fma_f64 v[59:60], v[75:76], v[59:60], v[69:70]
	s_waitcnt vmcnt(26)
	v_fma_f64 v[59:60], v[77:78], v[61:62], v[59:60]
	s_waitcnt vmcnt(24) lgkmcnt(0)
	v_fma_f64 v[59:60], v[79:80], v[63:64], v[59:60]
	s_waitcnt vmcnt(19)
	v_fma_f64 v[69:70], v[81:82], v[65:66], v[59:60]
	ds_read_b128 v[59:62], v58 offset:368
	ds_read_b128 v[63:66], v58 offset:384
	s_waitcnt vmcnt(18) lgkmcnt(1)
	v_fma_f64 v[59:60], v[87:88], v[59:60], v[69:70]
	s_waitcnt vmcnt(17)
	v_fma_f64 v[59:60], v[85:86], v[61:62], v[59:60]
	s_waitcnt vmcnt(16) lgkmcnt(0)
	v_fma_f64 v[59:60], v[83:84], v[63:64], v[59:60]
	s_waitcnt vmcnt(11)
	v_fma_f64 v[69:70], v[89:90], v[65:66], v[59:60]
	ds_read_b128 v[59:62], v58 offset:400
	;; [unrolled: 10-line block ×3, first 2 shown]
	s_waitcnt vmcnt(3) lgkmcnt(0)
	v_fma_f64 v[58:59], v[99:100], v[58:59], v[62:63]
	s_waitcnt vmcnt(2)
	v_fma_f64 v[58:59], v[97:98], v[60:61], v[58:59]
	s_waitcnt vmcnt(0)
	v_add_f64 v[58:59], v[71:72], -v[58:59]
	buffer_store_dword v59, off, s[0:3], 0 offset:76
	buffer_store_dword v58, off, s[0:3], 0 offset:72
	v_cmpx_lt_u32_e32 8, v0
	s_cbranch_execz .LBB91_161
; %bb.160:
	s_clause 0x1
	buffer_load_dword v58, off, s[0:3], 0 offset:64
	buffer_load_dword v59, off, s[0:3], 0 offset:68
	v_mov_b32_e32 v60, 0
	buffer_store_dword v60, off, s[0:3], 0 offset:64
	buffer_store_dword v60, off, s[0:3], 0 offset:68
	s_waitcnt vmcnt(0)
	ds_write_b64 v57, v[58:59]
.LBB91_161:
	s_or_b32 exec_lo, exec_lo, s4
	s_waitcnt lgkmcnt(0)
	s_waitcnt_vscnt null, 0x0
	s_barrier
	buffer_gl0_inv
	s_clause 0x1c
	buffer_load_dword v67, off, s[0:3], 0 offset:72
	buffer_load_dword v68, off, s[0:3], 0 offset:76
	;; [unrolled: 1-line block ×29, first 2 shown]
	v_mov_b32_e32 v58, 0
	buffer_load_dword v92, off, s[0:3], 0 offset:188
	s_mov_b32 s4, exec_lo
	ds_read2_b64 v[59:62], v58 offset0:37 offset1:38
	ds_read2_b64 v[63:66], v58 offset0:39 offset1:40
	s_waitcnt vmcnt(28) lgkmcnt(1)
	v_fma_f64 v[59:60], v[67:68], v[59:60], 0
	s_clause 0x7
	buffer_load_dword v68, off, s[0:3], 0 offset:196
	buffer_load_dword v97, off, s[0:3], 0 offset:216
	buffer_load_dword v99, off, s[0:3], 0 offset:208
	buffer_load_dword v101, off, s[0:3], 0 offset:200
	buffer_load_dword v67, off, s[0:3], 0 offset:192
	buffer_load_dword v102, off, s[0:3], 0 offset:204
	buffer_load_dword v100, off, s[0:3], 0 offset:212
	buffer_load_dword v98, off, s[0:3], 0 offset:220
	s_waitcnt vmcnt(34)
	v_fma_f64 v[59:60], v[69:70], v[61:62], v[59:60]
	s_waitcnt vmcnt(32) lgkmcnt(0)
	v_fma_f64 v[59:60], v[71:72], v[63:64], v[59:60]
	s_waitcnt vmcnt(30)
	v_fma_f64 v[69:70], v[73:74], v[65:66], v[59:60]
	ds_read2_b64 v[59:62], v58 offset0:41 offset1:42
	ds_read2_b64 v[63:66], v58 offset0:43 offset1:44
	s_waitcnt vmcnt(28) lgkmcnt(1)
	v_fma_f64 v[59:60], v[75:76], v[59:60], v[69:70]
	s_clause 0x1
	buffer_load_dword v69, off, s[0:3], 0 offset:64
	buffer_load_dword v70, off, s[0:3], 0 offset:68
	s_waitcnt vmcnt(28)
	v_fma_f64 v[59:60], v[77:78], v[61:62], v[59:60]
	s_waitcnt vmcnt(26) lgkmcnt(0)
	v_fma_f64 v[59:60], v[79:80], v[63:64], v[59:60]
	s_waitcnt vmcnt(21)
	v_fma_f64 v[71:72], v[81:82], v[65:66], v[59:60]
	ds_read2_b64 v[59:62], v58 offset0:45 offset1:46
	ds_read2_b64 v[63:66], v58 offset0:47 offset1:48
	s_waitcnt vmcnt(20) lgkmcnt(1)
	v_fma_f64 v[59:60], v[87:88], v[59:60], v[71:72]
	s_waitcnt vmcnt(19)
	v_fma_f64 v[59:60], v[85:86], v[61:62], v[59:60]
	s_waitcnt vmcnt(18) lgkmcnt(0)
	v_fma_f64 v[59:60], v[83:84], v[63:64], v[59:60]
	s_waitcnt vmcnt(13)
	v_fma_f64 v[71:72], v[89:90], v[65:66], v[59:60]
	ds_read2_b64 v[59:62], v58 offset0:49 offset1:50
	ds_read2_b64 v[63:66], v58 offset0:51 offset1:52
	s_waitcnt vmcnt(12) lgkmcnt(1)
	v_fma_f64 v[59:60], v[95:96], v[59:60], v[71:72]
	s_waitcnt vmcnt(11)
	v_fma_f64 v[59:60], v[93:94], v[61:62], v[59:60]
	s_waitcnt vmcnt(10) lgkmcnt(0)
	v_fma_f64 v[59:60], v[91:92], v[63:64], v[59:60]
	s_waitcnt vmcnt(5)
	v_fma_f64 v[63:64], v[67:68], v[65:66], v[59:60]
	ds_read2_b64 v[59:62], v58 offset0:53 offset1:54
	ds_read_b64 v[65:66], v58 offset:440
	s_waitcnt vmcnt(4) lgkmcnt(1)
	v_fma_f64 v[59:60], v[101:102], v[59:60], v[63:64]
	s_waitcnt vmcnt(3)
	v_fma_f64 v[59:60], v[99:100], v[61:62], v[59:60]
	s_waitcnt vmcnt(2) lgkmcnt(0)
	v_fma_f64 v[59:60], v[97:98], v[65:66], v[59:60]
	s_waitcnt vmcnt(0)
	v_add_f64 v[59:60], v[69:70], -v[59:60]
	buffer_store_dword v60, off, s[0:3], 0 offset:68
	buffer_store_dword v59, off, s[0:3], 0 offset:64
	v_cmpx_lt_u32_e32 7, v0
	s_cbranch_execz .LBB91_163
; %bb.162:
	s_clause 0x1
	buffer_load_dword v59, off, s[0:3], 0 offset:56
	buffer_load_dword v60, off, s[0:3], 0 offset:60
	buffer_store_dword v58, off, s[0:3], 0 offset:56
	buffer_store_dword v58, off, s[0:3], 0 offset:60
	s_waitcnt vmcnt(0)
	ds_write_b64 v57, v[59:60]
.LBB91_163:
	s_or_b32 exec_lo, exec_lo, s4
	s_waitcnt lgkmcnt(0)
	s_waitcnt_vscnt null, 0x0
	s_barrier
	buffer_gl0_inv
	s_clause 0x1c
	buffer_load_dword v67, off, s[0:3], 0 offset:64
	buffer_load_dword v68, off, s[0:3], 0 offset:68
	;; [unrolled: 1-line block ×29, first 2 shown]
	ds_read_b128 v[59:62], v58 offset:288
	ds_read_b128 v[63:66], v58 offset:304
	buffer_load_dword v92, off, s[0:3], 0 offset:180
	s_mov_b32 s4, exec_lo
	s_waitcnt vmcnt(28) lgkmcnt(1)
	v_fma_f64 v[59:60], v[67:68], v[59:60], 0
	s_clause 0x7
	buffer_load_dword v68, off, s[0:3], 0 offset:188
	buffer_load_dword v97, off, s[0:3], 0 offset:208
	;; [unrolled: 1-line block ×8, first 2 shown]
	s_waitcnt vmcnt(34)
	v_fma_f64 v[59:60], v[69:70], v[61:62], v[59:60]
	s_waitcnt vmcnt(32) lgkmcnt(0)
	v_fma_f64 v[59:60], v[71:72], v[63:64], v[59:60]
	s_waitcnt vmcnt(30)
	v_fma_f64 v[69:70], v[73:74], v[65:66], v[59:60]
	ds_read_b128 v[59:62], v58 offset:320
	ds_read_b128 v[63:66], v58 offset:336
	s_waitcnt vmcnt(28) lgkmcnt(1)
	v_fma_f64 v[59:60], v[75:76], v[59:60], v[69:70]
	s_clause 0x3
	buffer_load_dword v70, off, s[0:3], 0 offset:220
	buffer_load_dword v69, off, s[0:3], 0 offset:216
	;; [unrolled: 1-line block ×4, first 2 shown]
	s_waitcnt vmcnt(30)
	v_fma_f64 v[59:60], v[77:78], v[61:62], v[59:60]
	s_waitcnt vmcnt(28) lgkmcnt(0)
	v_fma_f64 v[59:60], v[79:80], v[63:64], v[59:60]
	s_waitcnt vmcnt(23)
	v_fma_f64 v[73:74], v[81:82], v[65:66], v[59:60]
	ds_read_b128 v[59:62], v58 offset:352
	ds_read_b128 v[63:66], v58 offset:368
	s_waitcnt vmcnt(22) lgkmcnt(1)
	v_fma_f64 v[59:60], v[87:88], v[59:60], v[73:74]
	s_waitcnt vmcnt(21)
	v_fma_f64 v[59:60], v[85:86], v[61:62], v[59:60]
	s_waitcnt vmcnt(20) lgkmcnt(0)
	v_fma_f64 v[59:60], v[83:84], v[63:64], v[59:60]
	s_waitcnt vmcnt(15)
	v_fma_f64 v[73:74], v[89:90], v[65:66], v[59:60]
	ds_read_b128 v[59:62], v58 offset:384
	ds_read_b128 v[63:66], v58 offset:400
	s_waitcnt vmcnt(14) lgkmcnt(1)
	v_fma_f64 v[59:60], v[95:96], v[59:60], v[73:74]
	;; [unrolled: 10-line block ×3, first 2 shown]
	s_waitcnt vmcnt(5)
	v_fma_f64 v[58:59], v[99:100], v[61:62], v[58:59]
	s_waitcnt vmcnt(4) lgkmcnt(0)
	v_fma_f64 v[58:59], v[97:98], v[63:64], v[58:59]
	s_waitcnt vmcnt(2)
	v_fma_f64 v[58:59], v[69:70], v[65:66], v[58:59]
	s_waitcnt vmcnt(0)
	v_add_f64 v[58:59], v[71:72], -v[58:59]
	buffer_store_dword v59, off, s[0:3], 0 offset:60
	buffer_store_dword v58, off, s[0:3], 0 offset:56
	v_cmpx_lt_u32_e32 6, v0
	s_cbranch_execz .LBB91_165
; %bb.164:
	s_clause 0x1
	buffer_load_dword v58, off, s[0:3], 0 offset:48
	buffer_load_dword v59, off, s[0:3], 0 offset:52
	v_mov_b32_e32 v60, 0
	buffer_store_dword v60, off, s[0:3], 0 offset:48
	buffer_store_dword v60, off, s[0:3], 0 offset:52
	s_waitcnt vmcnt(0)
	ds_write_b64 v57, v[58:59]
.LBB91_165:
	s_or_b32 exec_lo, exec_lo, s4
	s_waitcnt lgkmcnt(0)
	s_waitcnt_vscnt null, 0x0
	s_barrier
	buffer_gl0_inv
	s_clause 0x1c
	buffer_load_dword v67, off, s[0:3], 0 offset:56
	buffer_load_dword v68, off, s[0:3], 0 offset:60
	;; [unrolled: 1-line block ×29, first 2 shown]
	v_mov_b32_e32 v58, 0
	buffer_load_dword v92, off, s[0:3], 0 offset:172
	s_mov_b32 s4, exec_lo
	ds_read2_b64 v[59:62], v58 offset0:35 offset1:36
	ds_read2_b64 v[63:66], v58 offset0:37 offset1:38
	s_waitcnt vmcnt(28) lgkmcnt(1)
	v_fma_f64 v[59:60], v[67:68], v[59:60], 0
	s_clause 0x7
	buffer_load_dword v68, off, s[0:3], 0 offset:180
	buffer_load_dword v97, off, s[0:3], 0 offset:200
	;; [unrolled: 1-line block ×8, first 2 shown]
	s_waitcnt vmcnt(34)
	v_fma_f64 v[59:60], v[69:70], v[61:62], v[59:60]
	s_waitcnt vmcnt(32) lgkmcnt(0)
	v_fma_f64 v[59:60], v[71:72], v[63:64], v[59:60]
	s_waitcnt vmcnt(30)
	v_fma_f64 v[69:70], v[73:74], v[65:66], v[59:60]
	ds_read2_b64 v[59:62], v58 offset0:39 offset1:40
	ds_read2_b64 v[63:66], v58 offset0:41 offset1:42
	s_waitcnt vmcnt(28) lgkmcnt(1)
	v_fma_f64 v[59:60], v[75:76], v[59:60], v[69:70]
	s_clause 0x5
	buffer_load_dword v70, off, s[0:3], 0 offset:212
	buffer_load_dword v71, off, s[0:3], 0 offset:216
	;; [unrolled: 1-line block ×6, first 2 shown]
	s_waitcnt vmcnt(32)
	v_fma_f64 v[59:60], v[77:78], v[61:62], v[59:60]
	s_waitcnt vmcnt(30) lgkmcnt(0)
	v_fma_f64 v[59:60], v[79:80], v[63:64], v[59:60]
	s_waitcnt vmcnt(25)
	v_fma_f64 v[75:76], v[81:82], v[65:66], v[59:60]
	ds_read2_b64 v[59:62], v58 offset0:43 offset1:44
	ds_read2_b64 v[63:66], v58 offset0:45 offset1:46
	s_waitcnt vmcnt(24) lgkmcnt(1)
	v_fma_f64 v[59:60], v[87:88], v[59:60], v[75:76]
	s_waitcnt vmcnt(23)
	v_fma_f64 v[59:60], v[85:86], v[61:62], v[59:60]
	s_waitcnt vmcnt(22) lgkmcnt(0)
	v_fma_f64 v[59:60], v[83:84], v[63:64], v[59:60]
	s_waitcnt vmcnt(17)
	v_fma_f64 v[75:76], v[89:90], v[65:66], v[59:60]
	ds_read2_b64 v[59:62], v58 offset0:47 offset1:48
	ds_read2_b64 v[63:66], v58 offset0:49 offset1:50
	s_waitcnt vmcnt(16) lgkmcnt(1)
	v_fma_f64 v[59:60], v[95:96], v[59:60], v[75:76]
	;; [unrolled: 10-line block ×3, first 2 shown]
	s_waitcnt vmcnt(7)
	v_fma_f64 v[59:60], v[99:100], v[61:62], v[59:60]
	ds_read_b64 v[61:62], v58 offset:440
	s_waitcnt vmcnt(6) lgkmcnt(1)
	v_fma_f64 v[59:60], v[97:98], v[63:64], v[59:60]
	s_waitcnt vmcnt(3)
	v_fma_f64 v[59:60], v[69:70], v[65:66], v[59:60]
	s_waitcnt vmcnt(2) lgkmcnt(0)
	v_fma_f64 v[59:60], v[71:72], v[61:62], v[59:60]
	s_waitcnt vmcnt(0)
	v_add_f64 v[59:60], v[73:74], -v[59:60]
	buffer_store_dword v60, off, s[0:3], 0 offset:52
	buffer_store_dword v59, off, s[0:3], 0 offset:48
	v_cmpx_lt_u32_e32 5, v0
	s_cbranch_execz .LBB91_167
; %bb.166:
	s_clause 0x1
	buffer_load_dword v59, off, s[0:3], 0 offset:40
	buffer_load_dword v60, off, s[0:3], 0 offset:44
	buffer_store_dword v58, off, s[0:3], 0 offset:40
	buffer_store_dword v58, off, s[0:3], 0 offset:44
	s_waitcnt vmcnt(0)
	ds_write_b64 v57, v[59:60]
.LBB91_167:
	s_or_b32 exec_lo, exec_lo, s4
	s_waitcnt lgkmcnt(0)
	s_waitcnt_vscnt null, 0x0
	s_barrier
	buffer_gl0_inv
	s_clause 0x1c
	buffer_load_dword v67, off, s[0:3], 0 offset:48
	buffer_load_dword v68, off, s[0:3], 0 offset:52
	;; [unrolled: 1-line block ×29, first 2 shown]
	ds_read_b128 v[59:62], v58 offset:272
	ds_read_b128 v[63:66], v58 offset:288
	buffer_load_dword v92, off, s[0:3], 0 offset:164
	s_mov_b32 s4, exec_lo
	s_waitcnt vmcnt(28) lgkmcnt(1)
	v_fma_f64 v[59:60], v[67:68], v[59:60], 0
	s_clause 0x7
	buffer_load_dword v68, off, s[0:3], 0 offset:172
	buffer_load_dword v97, off, s[0:3], 0 offset:192
	buffer_load_dword v99, off, s[0:3], 0 offset:184
	buffer_load_dword v101, off, s[0:3], 0 offset:176
	buffer_load_dword v67, off, s[0:3], 0 offset:168
	buffer_load_dword v102, off, s[0:3], 0 offset:180
	buffer_load_dword v100, off, s[0:3], 0 offset:188
	buffer_load_dword v98, off, s[0:3], 0 offset:196
	s_waitcnt vmcnt(34)
	v_fma_f64 v[59:60], v[69:70], v[61:62], v[59:60]
	s_waitcnt vmcnt(32) lgkmcnt(0)
	v_fma_f64 v[59:60], v[71:72], v[63:64], v[59:60]
	s_waitcnt vmcnt(30)
	v_fma_f64 v[69:70], v[73:74], v[65:66], v[59:60]
	ds_read_b128 v[59:62], v58 offset:304
	ds_read_b128 v[63:66], v58 offset:320
	s_waitcnt vmcnt(28) lgkmcnt(1)
	v_fma_f64 v[59:60], v[75:76], v[59:60], v[69:70]
	s_clause 0x5
	buffer_load_dword v70, off, s[0:3], 0 offset:204
	buffer_load_dword v71, off, s[0:3], 0 offset:216
	;; [unrolled: 1-line block ×6, first 2 shown]
	s_waitcnt vmcnt(32)
	v_fma_f64 v[59:60], v[77:78], v[61:62], v[59:60]
	s_waitcnt vmcnt(30) lgkmcnt(0)
	v_fma_f64 v[59:60], v[79:80], v[63:64], v[59:60]
	s_waitcnt vmcnt(25)
	v_fma_f64 v[75:76], v[81:82], v[65:66], v[59:60]
	ds_read_b128 v[59:62], v58 offset:336
	s_clause 0x1
	buffer_load_dword v77, off, s[0:3], 0 offset:40
	buffer_load_dword v78, off, s[0:3], 0 offset:44
	ds_read_b128 v[63:66], v58 offset:352
	s_waitcnt vmcnt(26) lgkmcnt(1)
	v_fma_f64 v[59:60], v[87:88], v[59:60], v[75:76]
	s_waitcnt vmcnt(25)
	v_fma_f64 v[59:60], v[85:86], v[61:62], v[59:60]
	s_waitcnt vmcnt(24) lgkmcnt(0)
	v_fma_f64 v[59:60], v[83:84], v[63:64], v[59:60]
	s_waitcnt vmcnt(19)
	v_fma_f64 v[75:76], v[89:90], v[65:66], v[59:60]
	ds_read_b128 v[59:62], v58 offset:368
	ds_read_b128 v[63:66], v58 offset:384
	s_waitcnt vmcnt(18) lgkmcnt(1)
	v_fma_f64 v[59:60], v[95:96], v[59:60], v[75:76]
	s_waitcnt vmcnt(17)
	v_fma_f64 v[59:60], v[93:94], v[61:62], v[59:60]
	s_waitcnt vmcnt(16) lgkmcnt(0)
	v_fma_f64 v[59:60], v[91:92], v[63:64], v[59:60]
	s_waitcnt vmcnt(11)
	v_fma_f64 v[67:68], v[67:68], v[65:66], v[59:60]
	ds_read_b128 v[59:62], v58 offset:400
	;; [unrolled: 10-line block ×3, first 2 shown]
	s_waitcnt vmcnt(3) lgkmcnt(0)
	v_fma_f64 v[58:59], v[73:74], v[58:59], v[62:63]
	s_waitcnt vmcnt(2)
	v_fma_f64 v[58:59], v[71:72], v[60:61], v[58:59]
	s_waitcnt vmcnt(0)
	v_add_f64 v[58:59], v[77:78], -v[58:59]
	buffer_store_dword v59, off, s[0:3], 0 offset:44
	buffer_store_dword v58, off, s[0:3], 0 offset:40
	v_cmpx_lt_u32_e32 4, v0
	s_cbranch_execz .LBB91_169
; %bb.168:
	s_clause 0x1
	buffer_load_dword v58, off, s[0:3], 0 offset:32
	buffer_load_dword v59, off, s[0:3], 0 offset:36
	v_mov_b32_e32 v60, 0
	buffer_store_dword v60, off, s[0:3], 0 offset:32
	buffer_store_dword v60, off, s[0:3], 0 offset:36
	s_waitcnt vmcnt(0)
	ds_write_b64 v57, v[58:59]
.LBB91_169:
	s_or_b32 exec_lo, exec_lo, s4
	s_waitcnt lgkmcnt(0)
	s_waitcnt_vscnt null, 0x0
	s_barrier
	buffer_gl0_inv
	s_clause 0x1c
	buffer_load_dword v67, off, s[0:3], 0 offset:40
	buffer_load_dword v68, off, s[0:3], 0 offset:44
	;; [unrolled: 1-line block ×29, first 2 shown]
	v_mov_b32_e32 v58, 0
	buffer_load_dword v92, off, s[0:3], 0 offset:156
	s_mov_b32 s4, exec_lo
	ds_read2_b64 v[59:62], v58 offset0:33 offset1:34
	ds_read2_b64 v[63:66], v58 offset0:35 offset1:36
	s_waitcnt vmcnt(28) lgkmcnt(1)
	v_fma_f64 v[59:60], v[67:68], v[59:60], 0
	s_clause 0x7
	buffer_load_dword v68, off, s[0:3], 0 offset:164
	buffer_load_dword v97, off, s[0:3], 0 offset:184
	;; [unrolled: 1-line block ×8, first 2 shown]
	s_waitcnt vmcnt(34)
	v_fma_f64 v[59:60], v[69:70], v[61:62], v[59:60]
	s_waitcnt vmcnt(32) lgkmcnt(0)
	v_fma_f64 v[59:60], v[71:72], v[63:64], v[59:60]
	s_waitcnt vmcnt(30)
	v_fma_f64 v[69:70], v[73:74], v[65:66], v[59:60]
	ds_read2_b64 v[59:62], v58 offset0:37 offset1:38
	ds_read2_b64 v[63:66], v58 offset0:39 offset1:40
	s_waitcnt vmcnt(28) lgkmcnt(1)
	v_fma_f64 v[59:60], v[75:76], v[59:60], v[69:70]
	s_clause 0x7
	buffer_load_dword v70, off, s[0:3], 0 offset:196
	buffer_load_dword v71, off, s[0:3], 0 offset:216
	;; [unrolled: 1-line block ×8, first 2 shown]
	s_waitcnt vmcnt(34)
	v_fma_f64 v[59:60], v[77:78], v[61:62], v[59:60]
	s_waitcnt vmcnt(32) lgkmcnt(0)
	v_fma_f64 v[59:60], v[79:80], v[63:64], v[59:60]
	s_waitcnt vmcnt(27)
	v_fma_f64 v[77:78], v[81:82], v[65:66], v[59:60]
	ds_read2_b64 v[59:62], v58 offset0:41 offset1:42
	ds_read2_b64 v[63:66], v58 offset0:43 offset1:44
	s_waitcnt vmcnt(26) lgkmcnt(1)
	v_fma_f64 v[59:60], v[87:88], v[59:60], v[77:78]
	s_clause 0x1
	buffer_load_dword v77, off, s[0:3], 0 offset:32
	buffer_load_dword v78, off, s[0:3], 0 offset:36
	s_waitcnt vmcnt(27)
	v_fma_f64 v[59:60], v[85:86], v[61:62], v[59:60]
	s_waitcnt vmcnt(26) lgkmcnt(0)
	v_fma_f64 v[59:60], v[83:84], v[63:64], v[59:60]
	s_waitcnt vmcnt(21)
	v_fma_f64 v[79:80], v[89:90], v[65:66], v[59:60]
	ds_read2_b64 v[59:62], v58 offset0:45 offset1:46
	ds_read2_b64 v[63:66], v58 offset0:47 offset1:48
	s_waitcnt vmcnt(20) lgkmcnt(1)
	v_fma_f64 v[59:60], v[95:96], v[59:60], v[79:80]
	s_waitcnt vmcnt(19)
	v_fma_f64 v[59:60], v[93:94], v[61:62], v[59:60]
	s_waitcnt vmcnt(18) lgkmcnt(0)
	v_fma_f64 v[59:60], v[91:92], v[63:64], v[59:60]
	s_waitcnt vmcnt(13)
	v_fma_f64 v[67:68], v[67:68], v[65:66], v[59:60]
	ds_read2_b64 v[59:62], v58 offset0:49 offset1:50
	ds_read2_b64 v[63:66], v58 offset0:51 offset1:52
	s_waitcnt vmcnt(12) lgkmcnt(1)
	v_fma_f64 v[59:60], v[101:102], v[59:60], v[67:68]
	s_waitcnt vmcnt(11)
	v_fma_f64 v[59:60], v[99:100], v[61:62], v[59:60]
	s_waitcnt vmcnt(10) lgkmcnt(0)
	v_fma_f64 v[59:60], v[97:98], v[63:64], v[59:60]
	s_waitcnt vmcnt(5)
	v_fma_f64 v[63:64], v[69:70], v[65:66], v[59:60]
	ds_read2_b64 v[59:62], v58 offset0:53 offset1:54
	ds_read_b64 v[65:66], v58 offset:440
	s_waitcnt vmcnt(4) lgkmcnt(1)
	v_fma_f64 v[59:60], v[75:76], v[59:60], v[63:64]
	s_waitcnt vmcnt(3)
	v_fma_f64 v[59:60], v[73:74], v[61:62], v[59:60]
	s_waitcnt vmcnt(2) lgkmcnt(0)
	v_fma_f64 v[59:60], v[71:72], v[65:66], v[59:60]
	s_waitcnt vmcnt(0)
	v_add_f64 v[59:60], v[77:78], -v[59:60]
	buffer_store_dword v60, off, s[0:3], 0 offset:36
	buffer_store_dword v59, off, s[0:3], 0 offset:32
	v_cmpx_lt_u32_e32 3, v0
	s_cbranch_execz .LBB91_171
; %bb.170:
	s_clause 0x1
	buffer_load_dword v59, off, s[0:3], 0 offset:24
	buffer_load_dword v60, off, s[0:3], 0 offset:28
	buffer_store_dword v58, off, s[0:3], 0 offset:24
	buffer_store_dword v58, off, s[0:3], 0 offset:28
	s_waitcnt vmcnt(0)
	ds_write_b64 v57, v[59:60]
.LBB91_171:
	s_or_b32 exec_lo, exec_lo, s4
	s_waitcnt lgkmcnt(0)
	s_waitcnt_vscnt null, 0x0
	s_barrier
	buffer_gl0_inv
	s_clause 0x1c
	buffer_load_dword v67, off, s[0:3], 0 offset:32
	buffer_load_dword v68, off, s[0:3], 0 offset:36
	;; [unrolled: 1-line block ×29, first 2 shown]
	ds_read_b128 v[59:62], v58 offset:256
	ds_read_b128 v[63:66], v58 offset:272
	buffer_load_dword v92, off, s[0:3], 0 offset:148
	s_mov_b32 s4, exec_lo
	s_waitcnt vmcnt(28) lgkmcnt(1)
	v_fma_f64 v[59:60], v[67:68], v[59:60], 0
	s_clause 0x7
	buffer_load_dword v68, off, s[0:3], 0 offset:156
	buffer_load_dword v97, off, s[0:3], 0 offset:176
	;; [unrolled: 1-line block ×8, first 2 shown]
	s_waitcnt vmcnt(34)
	v_fma_f64 v[59:60], v[69:70], v[61:62], v[59:60]
	s_waitcnt vmcnt(32) lgkmcnt(0)
	v_fma_f64 v[59:60], v[71:72], v[63:64], v[59:60]
	s_waitcnt vmcnt(30)
	v_fma_f64 v[69:70], v[73:74], v[65:66], v[59:60]
	ds_read_b128 v[59:62], v58 offset:288
	ds_read_b128 v[63:66], v58 offset:304
	s_waitcnt vmcnt(28) lgkmcnt(1)
	v_fma_f64 v[59:60], v[75:76], v[59:60], v[69:70]
	s_clause 0x7
	buffer_load_dword v70, off, s[0:3], 0 offset:188
	buffer_load_dword v71, off, s[0:3], 0 offset:208
	;; [unrolled: 1-line block ×8, first 2 shown]
	s_waitcnt vmcnt(34)
	v_fma_f64 v[59:60], v[77:78], v[61:62], v[59:60]
	s_waitcnt vmcnt(32) lgkmcnt(0)
	v_fma_f64 v[59:60], v[79:80], v[63:64], v[59:60]
	s_waitcnt vmcnt(27)
	v_fma_f64 v[77:78], v[81:82], v[65:66], v[59:60]
	ds_read_b128 v[59:62], v58 offset:320
	ds_read_b128 v[63:66], v58 offset:336
	s_waitcnt vmcnt(26) lgkmcnt(1)
	v_fma_f64 v[59:60], v[87:88], v[59:60], v[77:78]
	s_clause 0x3
	buffer_load_dword v78, off, s[0:3], 0 offset:220
	buffer_load_dword v77, off, s[0:3], 0 offset:216
	;; [unrolled: 1-line block ×4, first 2 shown]
	s_waitcnt vmcnt(29)
	v_fma_f64 v[59:60], v[85:86], v[61:62], v[59:60]
	s_waitcnt vmcnt(28) lgkmcnt(0)
	v_fma_f64 v[59:60], v[83:84], v[63:64], v[59:60]
	s_waitcnt vmcnt(23)
	v_fma_f64 v[81:82], v[89:90], v[65:66], v[59:60]
	ds_read_b128 v[59:62], v58 offset:352
	ds_read_b128 v[63:66], v58 offset:368
	s_waitcnt vmcnt(22) lgkmcnt(1)
	v_fma_f64 v[59:60], v[95:96], v[59:60], v[81:82]
	s_waitcnt vmcnt(21)
	v_fma_f64 v[59:60], v[93:94], v[61:62], v[59:60]
	s_waitcnt vmcnt(20) lgkmcnt(0)
	v_fma_f64 v[59:60], v[91:92], v[63:64], v[59:60]
	s_waitcnt vmcnt(15)
	v_fma_f64 v[67:68], v[67:68], v[65:66], v[59:60]
	ds_read_b128 v[59:62], v58 offset:384
	ds_read_b128 v[63:66], v58 offset:400
	s_waitcnt vmcnt(14) lgkmcnt(1)
	v_fma_f64 v[59:60], v[101:102], v[59:60], v[67:68]
	;; [unrolled: 10-line block ×3, first 2 shown]
	s_waitcnt vmcnt(5)
	v_fma_f64 v[58:59], v[73:74], v[61:62], v[58:59]
	s_waitcnt vmcnt(4) lgkmcnt(0)
	v_fma_f64 v[58:59], v[71:72], v[63:64], v[58:59]
	s_waitcnt vmcnt(2)
	v_fma_f64 v[58:59], v[77:78], v[65:66], v[58:59]
	s_waitcnt vmcnt(0)
	v_add_f64 v[58:59], v[79:80], -v[58:59]
	buffer_store_dword v59, off, s[0:3], 0 offset:28
	buffer_store_dword v58, off, s[0:3], 0 offset:24
	v_cmpx_lt_u32_e32 2, v0
	s_cbranch_execz .LBB91_173
; %bb.172:
	s_clause 0x1
	buffer_load_dword v58, off, s[0:3], 0 offset:16
	buffer_load_dword v59, off, s[0:3], 0 offset:20
	v_mov_b32_e32 v60, 0
	buffer_store_dword v60, off, s[0:3], 0 offset:16
	buffer_store_dword v60, off, s[0:3], 0 offset:20
	s_waitcnt vmcnt(0)
	ds_write_b64 v57, v[58:59]
.LBB91_173:
	s_or_b32 exec_lo, exec_lo, s4
	s_waitcnt lgkmcnt(0)
	s_waitcnt_vscnt null, 0x0
	s_barrier
	buffer_gl0_inv
	s_clause 0x1c
	buffer_load_dword v67, off, s[0:3], 0 offset:24
	buffer_load_dword v68, off, s[0:3], 0 offset:28
	;; [unrolled: 1-line block ×29, first 2 shown]
	v_mov_b32_e32 v58, 0
	buffer_load_dword v92, off, s[0:3], 0 offset:140
	s_mov_b32 s4, exec_lo
	ds_read2_b64 v[59:62], v58 offset0:31 offset1:32
	ds_read2_b64 v[63:66], v58 offset0:33 offset1:34
	s_waitcnt vmcnt(28) lgkmcnt(1)
	v_fma_f64 v[59:60], v[67:68], v[59:60], 0
	s_clause 0x7
	buffer_load_dword v68, off, s[0:3], 0 offset:148
	buffer_load_dword v97, off, s[0:3], 0 offset:168
	;; [unrolled: 1-line block ×8, first 2 shown]
	s_waitcnt vmcnt(34)
	v_fma_f64 v[59:60], v[69:70], v[61:62], v[59:60]
	s_waitcnt vmcnt(32) lgkmcnt(0)
	v_fma_f64 v[59:60], v[71:72], v[63:64], v[59:60]
	s_waitcnt vmcnt(30)
	v_fma_f64 v[69:70], v[73:74], v[65:66], v[59:60]
	ds_read2_b64 v[59:62], v58 offset0:35 offset1:36
	ds_read2_b64 v[63:66], v58 offset0:37 offset1:38
	s_waitcnt vmcnt(28) lgkmcnt(1)
	v_fma_f64 v[59:60], v[75:76], v[59:60], v[69:70]
	s_clause 0x7
	buffer_load_dword v70, off, s[0:3], 0 offset:180
	buffer_load_dword v71, off, s[0:3], 0 offset:200
	buffer_load_dword v73, off, s[0:3], 0 offset:192
	buffer_load_dword v75, off, s[0:3], 0 offset:184
	buffer_load_dword v69, off, s[0:3], 0 offset:176
	buffer_load_dword v76, off, s[0:3], 0 offset:188
	buffer_load_dword v74, off, s[0:3], 0 offset:196
	buffer_load_dword v72, off, s[0:3], 0 offset:204
	s_waitcnt vmcnt(34)
	v_fma_f64 v[59:60], v[77:78], v[61:62], v[59:60]
	s_waitcnt vmcnt(32) lgkmcnt(0)
	v_fma_f64 v[59:60], v[79:80], v[63:64], v[59:60]
	s_waitcnt vmcnt(27)
	v_fma_f64 v[77:78], v[81:82], v[65:66], v[59:60]
	ds_read2_b64 v[59:62], v58 offset0:39 offset1:40
	ds_read2_b64 v[63:66], v58 offset0:41 offset1:42
	s_waitcnt vmcnt(26) lgkmcnt(1)
	v_fma_f64 v[59:60], v[87:88], v[59:60], v[77:78]
	s_clause 0x5
	buffer_load_dword v78, off, s[0:3], 0 offset:212
	buffer_load_dword v79, off, s[0:3], 0 offset:216
	;; [unrolled: 1-line block ×6, first 2 shown]
	s_waitcnt vmcnt(31)
	v_fma_f64 v[59:60], v[85:86], v[61:62], v[59:60]
	s_waitcnt vmcnt(30) lgkmcnt(0)
	v_fma_f64 v[59:60], v[83:84], v[63:64], v[59:60]
	s_waitcnt vmcnt(25)
	v_fma_f64 v[83:84], v[89:90], v[65:66], v[59:60]
	ds_read2_b64 v[59:62], v58 offset0:43 offset1:44
	ds_read2_b64 v[63:66], v58 offset0:45 offset1:46
	s_waitcnt vmcnt(24) lgkmcnt(1)
	v_fma_f64 v[59:60], v[95:96], v[59:60], v[83:84]
	s_waitcnt vmcnt(23)
	v_fma_f64 v[59:60], v[93:94], v[61:62], v[59:60]
	s_waitcnt vmcnt(22) lgkmcnt(0)
	v_fma_f64 v[59:60], v[91:92], v[63:64], v[59:60]
	s_waitcnt vmcnt(17)
	v_fma_f64 v[67:68], v[67:68], v[65:66], v[59:60]
	ds_read2_b64 v[59:62], v58 offset0:47 offset1:48
	ds_read2_b64 v[63:66], v58 offset0:49 offset1:50
	s_waitcnt vmcnt(16) lgkmcnt(1)
	v_fma_f64 v[59:60], v[101:102], v[59:60], v[67:68]
	s_waitcnt vmcnt(15)
	v_fma_f64 v[59:60], v[99:100], v[61:62], v[59:60]
	s_waitcnt vmcnt(14) lgkmcnt(0)
	v_fma_f64 v[59:60], v[97:98], v[63:64], v[59:60]
	s_waitcnt vmcnt(9)
	v_fma_f64 v[67:68], v[69:70], v[65:66], v[59:60]
	ds_read2_b64 v[59:62], v58 offset0:51 offset1:52
	ds_read2_b64 v[63:66], v58 offset0:53 offset1:54
	s_waitcnt vmcnt(8) lgkmcnt(1)
	v_fma_f64 v[59:60], v[75:76], v[59:60], v[67:68]
	s_waitcnt vmcnt(7)
	v_fma_f64 v[59:60], v[73:74], v[61:62], v[59:60]
	ds_read_b64 v[61:62], v58 offset:440
	s_waitcnt vmcnt(6) lgkmcnt(1)
	v_fma_f64 v[59:60], v[71:72], v[63:64], v[59:60]
	s_waitcnt vmcnt(3)
	v_fma_f64 v[59:60], v[77:78], v[65:66], v[59:60]
	s_waitcnt vmcnt(2) lgkmcnt(0)
	v_fma_f64 v[59:60], v[79:80], v[61:62], v[59:60]
	s_waitcnt vmcnt(0)
	v_add_f64 v[59:60], v[81:82], -v[59:60]
	buffer_store_dword v60, off, s[0:3], 0 offset:20
	buffer_store_dword v59, off, s[0:3], 0 offset:16
	v_cmpx_lt_u32_e32 1, v0
	s_cbranch_execz .LBB91_175
; %bb.174:
	s_clause 0x1
	buffer_load_dword v59, off, s[0:3], 0 offset:8
	buffer_load_dword v60, off, s[0:3], 0 offset:12
	buffer_store_dword v58, off, s[0:3], 0 offset:8
	buffer_store_dword v58, off, s[0:3], 0 offset:12
	s_waitcnt vmcnt(0)
	ds_write_b64 v57, v[59:60]
.LBB91_175:
	s_or_b32 exec_lo, exec_lo, s4
	s_waitcnt lgkmcnt(0)
	s_waitcnt_vscnt null, 0x0
	s_barrier
	buffer_gl0_inv
	s_clause 0x1c
	buffer_load_dword v67, off, s[0:3], 0 offset:16
	buffer_load_dword v68, off, s[0:3], 0 offset:20
	;; [unrolled: 1-line block ×29, first 2 shown]
	ds_read_b128 v[59:62], v58 offset:240
	ds_read_b128 v[63:66], v58 offset:256
	buffer_load_dword v92, off, s[0:3], 0 offset:132
	s_mov_b32 s4, exec_lo
	s_waitcnt vmcnt(28) lgkmcnt(1)
	v_fma_f64 v[59:60], v[67:68], v[59:60], 0
	s_clause 0x7
	buffer_load_dword v68, off, s[0:3], 0 offset:140
	buffer_load_dword v97, off, s[0:3], 0 offset:160
	;; [unrolled: 1-line block ×8, first 2 shown]
	s_waitcnt vmcnt(34)
	v_fma_f64 v[59:60], v[69:70], v[61:62], v[59:60]
	s_waitcnt vmcnt(32) lgkmcnt(0)
	v_fma_f64 v[59:60], v[71:72], v[63:64], v[59:60]
	s_waitcnt vmcnt(30)
	v_fma_f64 v[69:70], v[73:74], v[65:66], v[59:60]
	ds_read_b128 v[59:62], v58 offset:272
	ds_read_b128 v[63:66], v58 offset:288
	s_waitcnt vmcnt(28) lgkmcnt(1)
	v_fma_f64 v[59:60], v[75:76], v[59:60], v[69:70]
	s_clause 0x7
	buffer_load_dword v70, off, s[0:3], 0 offset:172
	buffer_load_dword v71, off, s[0:3], 0 offset:192
	buffer_load_dword v73, off, s[0:3], 0 offset:184
	buffer_load_dword v75, off, s[0:3], 0 offset:176
	buffer_load_dword v69, off, s[0:3], 0 offset:168
	buffer_load_dword v76, off, s[0:3], 0 offset:180
	buffer_load_dword v74, off, s[0:3], 0 offset:188
	buffer_load_dword v72, off, s[0:3], 0 offset:196
	s_waitcnt vmcnt(34)
	v_fma_f64 v[59:60], v[77:78], v[61:62], v[59:60]
	s_waitcnt vmcnt(32) lgkmcnt(0)
	v_fma_f64 v[59:60], v[79:80], v[63:64], v[59:60]
	s_waitcnt vmcnt(27)
	v_fma_f64 v[77:78], v[81:82], v[65:66], v[59:60]
	ds_read_b128 v[59:62], v58 offset:304
	ds_read_b128 v[63:66], v58 offset:320
	s_waitcnt vmcnt(26) lgkmcnt(1)
	v_fma_f64 v[59:60], v[87:88], v[59:60], v[77:78]
	s_clause 0x5
	buffer_load_dword v78, off, s[0:3], 0 offset:204
	buffer_load_dword v79, off, s[0:3], 0 offset:216
	;; [unrolled: 1-line block ×6, first 2 shown]
	s_waitcnt vmcnt(31)
	v_fma_f64 v[59:60], v[85:86], v[61:62], v[59:60]
	s_waitcnt vmcnt(30) lgkmcnt(0)
	v_fma_f64 v[59:60], v[83:84], v[63:64], v[59:60]
	s_waitcnt vmcnt(25)
	v_fma_f64 v[83:84], v[89:90], v[65:66], v[59:60]
	ds_read_b128 v[59:62], v58 offset:336
	s_clause 0x1
	buffer_load_dword v85, off, s[0:3], 0 offset:8
	buffer_load_dword v86, off, s[0:3], 0 offset:12
	ds_read_b128 v[63:66], v58 offset:352
	s_waitcnt vmcnt(26) lgkmcnt(1)
	v_fma_f64 v[59:60], v[95:96], v[59:60], v[83:84]
	s_waitcnt vmcnt(25)
	v_fma_f64 v[59:60], v[93:94], v[61:62], v[59:60]
	s_waitcnt vmcnt(24) lgkmcnt(0)
	v_fma_f64 v[59:60], v[91:92], v[63:64], v[59:60]
	s_waitcnt vmcnt(19)
	v_fma_f64 v[67:68], v[67:68], v[65:66], v[59:60]
	ds_read_b128 v[59:62], v58 offset:368
	ds_read_b128 v[63:66], v58 offset:384
	s_waitcnt vmcnt(18) lgkmcnt(1)
	v_fma_f64 v[59:60], v[101:102], v[59:60], v[67:68]
	s_waitcnt vmcnt(17)
	v_fma_f64 v[59:60], v[99:100], v[61:62], v[59:60]
	s_waitcnt vmcnt(16) lgkmcnt(0)
	v_fma_f64 v[59:60], v[97:98], v[63:64], v[59:60]
	s_waitcnt vmcnt(11)
	v_fma_f64 v[67:68], v[69:70], v[65:66], v[59:60]
	ds_read_b128 v[59:62], v58 offset:400
	;; [unrolled: 10-line block ×3, first 2 shown]
	s_waitcnt vmcnt(3) lgkmcnt(0)
	v_fma_f64 v[58:59], v[81:82], v[58:59], v[62:63]
	s_waitcnt vmcnt(2)
	v_fma_f64 v[58:59], v[79:80], v[60:61], v[58:59]
	s_waitcnt vmcnt(0)
	v_add_f64 v[58:59], v[85:86], -v[58:59]
	buffer_store_dword v59, off, s[0:3], 0 offset:12
	buffer_store_dword v58, off, s[0:3], 0 offset:8
	v_cmpx_ne_u32_e32 0, v0
	s_cbranch_execz .LBB91_177
; %bb.176:
	s_clause 0x1
	buffer_load_dword v58, off, s[0:3], 0
	buffer_load_dword v59, off, s[0:3], 0 offset:4
	v_mov_b32_e32 v0, 0
	buffer_store_dword v0, off, s[0:3], 0
	buffer_store_dword v0, off, s[0:3], 0 offset:4
	s_waitcnt vmcnt(0)
	ds_write_b64 v57, v[58:59]
.LBB91_177:
	s_or_b32 exec_lo, exec_lo, s4
	s_waitcnt lgkmcnt(0)
	s_waitcnt_vscnt null, 0x0
	s_barrier
	buffer_gl0_inv
	s_clause 0x1c
	buffer_load_dword v65, off, s[0:3], 0 offset:8
	buffer_load_dword v66, off, s[0:3], 0 offset:12
	buffer_load_dword v67, off, s[0:3], 0 offset:16
	buffer_load_dword v68, off, s[0:3], 0 offset:20
	buffer_load_dword v69, off, s[0:3], 0 offset:24
	buffer_load_dword v70, off, s[0:3], 0 offset:28
	buffer_load_dword v71, off, s[0:3], 0 offset:32
	buffer_load_dword v72, off, s[0:3], 0 offset:36
	buffer_load_dword v73, off, s[0:3], 0 offset:40
	buffer_load_dword v74, off, s[0:3], 0 offset:44
	buffer_load_dword v75, off, s[0:3], 0 offset:48
	buffer_load_dword v76, off, s[0:3], 0 offset:52
	buffer_load_dword v77, off, s[0:3], 0 offset:56
	buffer_load_dword v78, off, s[0:3], 0 offset:60
	buffer_load_dword v80, off, s[0:3], 0 offset:68
	buffer_load_dword v81, off, s[0:3], 0 offset:88
	buffer_load_dword v83, off, s[0:3], 0 offset:80
	buffer_load_dword v85, off, s[0:3], 0 offset:72
	buffer_load_dword v79, off, s[0:3], 0 offset:64
	buffer_load_dword v86, off, s[0:3], 0 offset:76
	buffer_load_dword v84, off, s[0:3], 0 offset:84
	buffer_load_dword v82, off, s[0:3], 0 offset:92
	buffer_load_dword v88, off, s[0:3], 0 offset:100
	buffer_load_dword v89, off, s[0:3], 0 offset:120
	buffer_load_dword v91, off, s[0:3], 0 offset:112
	buffer_load_dword v93, off, s[0:3], 0 offset:104
	buffer_load_dword v87, off, s[0:3], 0 offset:96
	buffer_load_dword v94, off, s[0:3], 0 offset:108
	buffer_load_dword v92, off, s[0:3], 0 offset:116
	v_mov_b32_e32 v0, 0
	buffer_load_dword v90, off, s[0:3], 0 offset:124
	s_and_b32 vcc_lo, exec_lo, s16
	ds_read2_b64 v[57:60], v0 offset0:29 offset1:30
	ds_read2_b64 v[61:64], v0 offset0:31 offset1:32
	s_clause 0x7
	buffer_load_dword v96, off, s[0:3], 0 offset:132
	buffer_load_dword v97, off, s[0:3], 0 offset:152
	;; [unrolled: 1-line block ×8, first 2 shown]
	s_waitcnt vmcnt(36) lgkmcnt(1)
	v_fma_f64 v[57:58], v[65:66], v[57:58], 0
	s_waitcnt vmcnt(34)
	v_fma_f64 v[57:58], v[67:68], v[59:60], v[57:58]
	s_waitcnt vmcnt(32) lgkmcnt(0)
	v_fma_f64 v[57:58], v[69:70], v[61:62], v[57:58]
	s_waitcnt vmcnt(30)
	v_fma_f64 v[65:66], v[71:72], v[63:64], v[57:58]
	ds_read2_b64 v[57:60], v0 offset0:33 offset1:34
	ds_read2_b64 v[61:64], v0 offset0:35 offset1:36
	s_waitcnt vmcnt(28) lgkmcnt(1)
	v_fma_f64 v[57:58], v[73:74], v[57:58], v[65:66]
	s_clause 0x7
	buffer_load_dword v68, off, s[0:3], 0 offset:164
	buffer_load_dword v69, off, s[0:3], 0 offset:184
	;; [unrolled: 1-line block ×8, first 2 shown]
	s_waitcnt vmcnt(34)
	v_fma_f64 v[57:58], v[75:76], v[59:60], v[57:58]
	s_waitcnt vmcnt(32) lgkmcnt(0)
	v_fma_f64 v[57:58], v[77:78], v[61:62], v[57:58]
	s_waitcnt vmcnt(27)
	v_fma_f64 v[65:66], v[79:80], v[63:64], v[57:58]
	ds_read2_b64 v[57:60], v0 offset0:37 offset1:38
	ds_read2_b64 v[61:64], v0 offset0:39 offset1:40
	s_waitcnt vmcnt(26) lgkmcnt(1)
	v_fma_f64 v[65:66], v[85:86], v[57:58], v[65:66]
	s_clause 0x6
	buffer_load_dword v76, off, s[0:3], 0 offset:196
	buffer_load_dword v77, off, s[0:3], 0 offset:216
	;; [unrolled: 1-line block ×7, first 2 shown]
	s_waitcnt vmcnt(32)
	v_fma_f64 v[58:59], v[83:84], v[59:60], v[65:66]
	s_waitcnt vmcnt(31) lgkmcnt(0)
	v_fma_f64 v[59:60], v[81:82], v[61:62], v[58:59]
	buffer_load_dword v58, off, s[0:3], 0 offset:212
	s_waitcnt vmcnt(27)
	v_fma_f64 v[81:82], v[87:88], v[63:64], v[59:60]
	ds_read2_b64 v[59:62], v0 offset0:41 offset1:42
	ds_read2_b64 v[63:66], v0 offset0:43 offset1:44
	s_waitcnt vmcnt(26) lgkmcnt(1)
	v_fma_f64 v[59:60], v[93:94], v[59:60], v[81:82]
	s_clause 0x1
	buffer_load_dword v81, off, s[0:3], 0
	buffer_load_dword v82, off, s[0:3], 0 offset:4
	s_waitcnt vmcnt(27)
	v_fma_f64 v[59:60], v[91:92], v[61:62], v[59:60]
	s_waitcnt vmcnt(26) lgkmcnt(0)
	v_fma_f64 v[59:60], v[89:90], v[63:64], v[59:60]
	s_waitcnt vmcnt(21)
	v_fma_f64 v[83:84], v[95:96], v[65:66], v[59:60]
	ds_read2_b64 v[59:62], v0 offset0:45 offset1:46
	ds_read2_b64 v[63:66], v0 offset0:47 offset1:48
	s_waitcnt vmcnt(20) lgkmcnt(1)
	v_fma_f64 v[59:60], v[101:102], v[59:60], v[83:84]
	s_waitcnt vmcnt(19)
	v_fma_f64 v[59:60], v[99:100], v[61:62], v[59:60]
	s_waitcnt vmcnt(18) lgkmcnt(0)
	v_fma_f64 v[59:60], v[97:98], v[63:64], v[59:60]
	s_waitcnt vmcnt(13)
	v_fma_f64 v[67:68], v[67:68], v[65:66], v[59:60]
	ds_read2_b64 v[59:62], v0 offset0:49 offset1:50
	ds_read2_b64 v[63:66], v0 offset0:51 offset1:52
	s_waitcnt vmcnt(12) lgkmcnt(1)
	v_fma_f64 v[59:60], v[73:74], v[59:60], v[67:68]
	s_waitcnt vmcnt(11)
	v_fma_f64 v[59:60], v[71:72], v[61:62], v[59:60]
	s_waitcnt vmcnt(10) lgkmcnt(0)
	v_fma_f64 v[59:60], v[69:70], v[63:64], v[59:60]
	s_waitcnt vmcnt(5)
	v_fma_f64 v[63:64], v[75:76], v[65:66], v[59:60]
	ds_read2_b64 v[59:62], v0 offset0:53 offset1:54
	ds_read_b64 v[65:66], v0 offset:440
	s_waitcnt vmcnt(4) lgkmcnt(1)
	v_fma_f64 v[59:60], v[79:80], v[59:60], v[63:64]
	s_waitcnt vmcnt(2)
	v_fma_f64 v[59:60], v[57:58], v[61:62], v[59:60]
	s_waitcnt lgkmcnt(0)
	v_fma_f64 v[59:60], v[77:78], v[65:66], v[59:60]
	s_waitcnt vmcnt(0)
	v_add_f64 v[59:60], v[81:82], -v[59:60]
	buffer_store_dword v60, off, s[0:3], 0 offset:4
	buffer_store_dword v59, off, s[0:3], 0
	s_cbranch_vccz .LBB91_232
; %bb.178:
	global_load_dword v0, v0, s[12:13] offset:104
	s_waitcnt vmcnt(0)
	v_add_nc_u32_e32 v0, -1, v0
	v_cmp_ne_u32_e32 vcc_lo, 26, v0
	s_cbranch_vccz .LBB91_180
; %bb.179:
	v_lshlrev_b32_e32 v0, 3, v0
	s_clause 0x1
	buffer_load_dword v59, v0, s[0:3], 0 offen offset:4
	buffer_load_dword v60, v0, s[0:3], 0 offen
	s_waitcnt vmcnt(1)
	buffer_store_dword v59, off, s[0:3], 0 offset:212
	s_waitcnt vmcnt(0)
	buffer_store_dword v60, off, s[0:3], 0 offset:208
	buffer_store_dword v58, v0, s[0:3], 0 offen offset:4
	buffer_store_dword v57, v0, s[0:3], 0 offen
.LBB91_180:
	v_mov_b32_e32 v0, 0
	global_load_dword v57, v0, s[12:13] offset:100
	s_waitcnt vmcnt(0)
	v_add_nc_u32_e32 v57, -1, v57
	v_cmp_eq_u32_e32 vcc_lo, 25, v57
	s_cbranch_vccnz .LBB91_182
; %bb.181:
	v_lshlrev_b32_e32 v57, 3, v57
	s_clause 0x3
	buffer_load_dword v58, v57, s[0:3], 0 offen
	buffer_load_dword v59, v57, s[0:3], 0 offen offset:4
	buffer_load_dword v60, off, s[0:3], 0 offset:200
	buffer_load_dword v61, off, s[0:3], 0 offset:204
	s_waitcnt vmcnt(3)
	buffer_store_dword v58, off, s[0:3], 0 offset:200
	s_waitcnt vmcnt(2)
	buffer_store_dword v59, off, s[0:3], 0 offset:204
	s_waitcnt vmcnt(1)
	buffer_store_dword v60, v57, s[0:3], 0 offen
	s_waitcnt vmcnt(0)
	buffer_store_dword v61, v57, s[0:3], 0 offen offset:4
.LBB91_182:
	global_load_dword v0, v0, s[12:13] offset:96
	s_waitcnt vmcnt(0)
	v_add_nc_u32_e32 v0, -1, v0
	v_cmp_eq_u32_e32 vcc_lo, 24, v0
	s_cbranch_vccnz .LBB91_184
; %bb.183:
	v_lshlrev_b32_e32 v0, 3, v0
	s_clause 0x3
	buffer_load_dword v57, v0, s[0:3], 0 offen
	buffer_load_dword v58, v0, s[0:3], 0 offen offset:4
	buffer_load_dword v59, off, s[0:3], 0 offset:196
	buffer_load_dword v60, off, s[0:3], 0 offset:192
	s_waitcnt vmcnt(3)
	buffer_store_dword v57, off, s[0:3], 0 offset:192
	s_waitcnt vmcnt(2)
	buffer_store_dword v58, off, s[0:3], 0 offset:196
	s_waitcnt vmcnt(1)
	buffer_store_dword v59, v0, s[0:3], 0 offen offset:4
	s_waitcnt vmcnt(0)
	buffer_store_dword v60, v0, s[0:3], 0 offen
.LBB91_184:
	v_mov_b32_e32 v0, 0
	global_load_dword v57, v0, s[12:13] offset:92
	s_waitcnt vmcnt(0)
	v_add_nc_u32_e32 v57, -1, v57
	v_cmp_eq_u32_e32 vcc_lo, 23, v57
	s_cbranch_vccnz .LBB91_186
; %bb.185:
	v_lshlrev_b32_e32 v57, 3, v57
	s_clause 0x3
	buffer_load_dword v58, v57, s[0:3], 0 offen
	buffer_load_dword v59, v57, s[0:3], 0 offen offset:4
	buffer_load_dword v60, off, s[0:3], 0 offset:184
	buffer_load_dword v61, off, s[0:3], 0 offset:188
	s_waitcnt vmcnt(3)
	buffer_store_dword v58, off, s[0:3], 0 offset:184
	s_waitcnt vmcnt(2)
	buffer_store_dword v59, off, s[0:3], 0 offset:188
	s_waitcnt vmcnt(1)
	buffer_store_dword v60, v57, s[0:3], 0 offen
	s_waitcnt vmcnt(0)
	buffer_store_dword v61, v57, s[0:3], 0 offen offset:4
.LBB91_186:
	global_load_dword v0, v0, s[12:13] offset:88
	s_waitcnt vmcnt(0)
	v_add_nc_u32_e32 v0, -1, v0
	v_cmp_eq_u32_e32 vcc_lo, 22, v0
	s_cbranch_vccnz .LBB91_188
; %bb.187:
	v_lshlrev_b32_e32 v0, 3, v0
	s_clause 0x3
	buffer_load_dword v57, v0, s[0:3], 0 offen
	buffer_load_dword v58, v0, s[0:3], 0 offen offset:4
	buffer_load_dword v59, off, s[0:3], 0 offset:180
	buffer_load_dword v60, off, s[0:3], 0 offset:176
	s_waitcnt vmcnt(3)
	buffer_store_dword v57, off, s[0:3], 0 offset:176
	s_waitcnt vmcnt(2)
	buffer_store_dword v58, off, s[0:3], 0 offset:180
	s_waitcnt vmcnt(1)
	buffer_store_dword v59, v0, s[0:3], 0 offen offset:4
	s_waitcnt vmcnt(0)
	buffer_store_dword v60, v0, s[0:3], 0 offen
.LBB91_188:
	;; [unrolled: 43-line block ×12, first 2 shown]
	v_mov_b32_e32 v0, 0
	global_load_dword v57, v0, s[12:13] offset:4
	s_waitcnt vmcnt(0)
	v_add_nc_u32_e32 v57, -1, v57
	v_cmp_eq_u32_e32 vcc_lo, 1, v57
	s_cbranch_vccnz .LBB91_230
; %bb.229:
	v_lshlrev_b32_e32 v57, 3, v57
	s_clause 0x3
	buffer_load_dword v58, v57, s[0:3], 0 offen
	buffer_load_dword v59, v57, s[0:3], 0 offen offset:4
	buffer_load_dword v60, off, s[0:3], 0 offset:8
	buffer_load_dword v61, off, s[0:3], 0 offset:12
	s_waitcnt vmcnt(3)
	buffer_store_dword v58, off, s[0:3], 0 offset:8
	s_waitcnt vmcnt(2)
	buffer_store_dword v59, off, s[0:3], 0 offset:12
	s_waitcnt vmcnt(1)
	buffer_store_dword v60, v57, s[0:3], 0 offen
	s_waitcnt vmcnt(0)
	buffer_store_dword v61, v57, s[0:3], 0 offen offset:4
.LBB91_230:
	global_load_dword v0, v0, s[12:13]
	s_clause 0x1
	buffer_load_dword v59, off, s[0:3], 0
	buffer_load_dword v60, off, s[0:3], 0 offset:4
	s_waitcnt vmcnt(2)
	v_add_nc_u32_e32 v0, -1, v0
	v_cmp_eq_u32_e32 vcc_lo, 0, v0
	s_cbranch_vccnz .LBB91_232
; %bb.231:
	v_lshlrev_b32_e32 v0, 3, v0
	s_clause 0x1
	buffer_load_dword v57, v0, s[0:3], 0 offen offset:4
	buffer_load_dword v58, v0, s[0:3], 0 offen
	s_waitcnt vmcnt(1)
	buffer_store_dword v57, off, s[0:3], 0 offset:4
	s_waitcnt vmcnt(0)
	buffer_store_dword v58, off, s[0:3], 0
	buffer_store_dword v60, v0, s[0:3], 0 offen offset:4
	buffer_store_dword v59, v0, s[0:3], 0 offen
	s_clause 0x1
	buffer_load_dword v59, off, s[0:3], 0
	buffer_load_dword v60, off, s[0:3], 0 offset:4
.LBB91_232:
	s_waitcnt vmcnt(0)
	flat_store_dwordx2 v[1:2], v[59:60]
	s_clause 0x1
	buffer_load_dword v0, off, s[0:3], 0 offset:8
	buffer_load_dword v1, off, s[0:3], 0 offset:12
	s_waitcnt vmcnt(0)
	flat_store_dwordx2 v[3:4], v[0:1]
	s_clause 0x1
	buffer_load_dword v0, off, s[0:3], 0 offset:16
	buffer_load_dword v1, off, s[0:3], 0 offset:20
	;; [unrolled: 5-line block ×27, first 2 shown]
	s_waitcnt vmcnt(0)
	flat_store_dwordx2 v[55:56], v[0:1]
	s_endpgm
	.section	.rodata,"a",@progbits
	.p2align	6, 0x0
	.amdhsa_kernel _ZN9rocsolver6v33100L18getri_kernel_smallILi28EdPKPdEEvT1_iilPiilS6_bb
		.amdhsa_group_segment_fixed_size 456
		.amdhsa_private_segment_fixed_size 240
		.amdhsa_kernarg_size 60
		.amdhsa_user_sgpr_count 6
		.amdhsa_user_sgpr_private_segment_buffer 1
		.amdhsa_user_sgpr_dispatch_ptr 0
		.amdhsa_user_sgpr_queue_ptr 0
		.amdhsa_user_sgpr_kernarg_segment_ptr 1
		.amdhsa_user_sgpr_dispatch_id 0
		.amdhsa_user_sgpr_flat_scratch_init 0
		.amdhsa_user_sgpr_private_segment_size 0
		.amdhsa_wavefront_size32 1
		.amdhsa_uses_dynamic_stack 0
		.amdhsa_system_sgpr_private_segment_wavefront_offset 1
		.amdhsa_system_sgpr_workgroup_id_x 1
		.amdhsa_system_sgpr_workgroup_id_y 0
		.amdhsa_system_sgpr_workgroup_id_z 0
		.amdhsa_system_sgpr_workgroup_info 0
		.amdhsa_system_vgpr_workitem_id 0
		.amdhsa_next_free_vgpr 103
		.amdhsa_next_free_sgpr 20
		.amdhsa_reserve_vcc 1
		.amdhsa_reserve_flat_scratch 0
		.amdhsa_float_round_mode_32 0
		.amdhsa_float_round_mode_16_64 0
		.amdhsa_float_denorm_mode_32 3
		.amdhsa_float_denorm_mode_16_64 3
		.amdhsa_dx10_clamp 1
		.amdhsa_ieee_mode 1
		.amdhsa_fp16_overflow 0
		.amdhsa_workgroup_processor_mode 1
		.amdhsa_memory_ordered 1
		.amdhsa_forward_progress 1
		.amdhsa_shared_vgpr_count 0
		.amdhsa_exception_fp_ieee_invalid_op 0
		.amdhsa_exception_fp_denorm_src 0
		.amdhsa_exception_fp_ieee_div_zero 0
		.amdhsa_exception_fp_ieee_overflow 0
		.amdhsa_exception_fp_ieee_underflow 0
		.amdhsa_exception_fp_ieee_inexact 0
		.amdhsa_exception_int_div_zero 0
	.end_amdhsa_kernel
	.section	.text._ZN9rocsolver6v33100L18getri_kernel_smallILi28EdPKPdEEvT1_iilPiilS6_bb,"axG",@progbits,_ZN9rocsolver6v33100L18getri_kernel_smallILi28EdPKPdEEvT1_iilPiilS6_bb,comdat
.Lfunc_end91:
	.size	_ZN9rocsolver6v33100L18getri_kernel_smallILi28EdPKPdEEvT1_iilPiilS6_bb, .Lfunc_end91-_ZN9rocsolver6v33100L18getri_kernel_smallILi28EdPKPdEEvT1_iilPiilS6_bb
                                        ; -- End function
	.set _ZN9rocsolver6v33100L18getri_kernel_smallILi28EdPKPdEEvT1_iilPiilS6_bb.num_vgpr, 103
	.set _ZN9rocsolver6v33100L18getri_kernel_smallILi28EdPKPdEEvT1_iilPiilS6_bb.num_agpr, 0
	.set _ZN9rocsolver6v33100L18getri_kernel_smallILi28EdPKPdEEvT1_iilPiilS6_bb.numbered_sgpr, 20
	.set _ZN9rocsolver6v33100L18getri_kernel_smallILi28EdPKPdEEvT1_iilPiilS6_bb.num_named_barrier, 0
	.set _ZN9rocsolver6v33100L18getri_kernel_smallILi28EdPKPdEEvT1_iilPiilS6_bb.private_seg_size, 240
	.set _ZN9rocsolver6v33100L18getri_kernel_smallILi28EdPKPdEEvT1_iilPiilS6_bb.uses_vcc, 1
	.set _ZN9rocsolver6v33100L18getri_kernel_smallILi28EdPKPdEEvT1_iilPiilS6_bb.uses_flat_scratch, 0
	.set _ZN9rocsolver6v33100L18getri_kernel_smallILi28EdPKPdEEvT1_iilPiilS6_bb.has_dyn_sized_stack, 0
	.set _ZN9rocsolver6v33100L18getri_kernel_smallILi28EdPKPdEEvT1_iilPiilS6_bb.has_recursion, 0
	.set _ZN9rocsolver6v33100L18getri_kernel_smallILi28EdPKPdEEvT1_iilPiilS6_bb.has_indirect_call, 0
	.section	.AMDGPU.csdata,"",@progbits
; Kernel info:
; codeLenInByte = 28168
; TotalNumSgprs: 22
; NumVgprs: 103
; ScratchSize: 240
; MemoryBound: 0
; FloatMode: 240
; IeeeMode: 1
; LDSByteSize: 456 bytes/workgroup (compile time only)
; SGPRBlocks: 0
; VGPRBlocks: 12
; NumSGPRsForWavesPerEU: 22
; NumVGPRsForWavesPerEU: 103
; Occupancy: 9
; WaveLimiterHint : 1
; COMPUTE_PGM_RSRC2:SCRATCH_EN: 1
; COMPUTE_PGM_RSRC2:USER_SGPR: 6
; COMPUTE_PGM_RSRC2:TRAP_HANDLER: 0
; COMPUTE_PGM_RSRC2:TGID_X_EN: 1
; COMPUTE_PGM_RSRC2:TGID_Y_EN: 0
; COMPUTE_PGM_RSRC2:TGID_Z_EN: 0
; COMPUTE_PGM_RSRC2:TIDIG_COMP_CNT: 0
	.section	.text._ZN9rocsolver6v33100L18getri_kernel_smallILi29EdPKPdEEvT1_iilPiilS6_bb,"axG",@progbits,_ZN9rocsolver6v33100L18getri_kernel_smallILi29EdPKPdEEvT1_iilPiilS6_bb,comdat
	.globl	_ZN9rocsolver6v33100L18getri_kernel_smallILi29EdPKPdEEvT1_iilPiilS6_bb ; -- Begin function _ZN9rocsolver6v33100L18getri_kernel_smallILi29EdPKPdEEvT1_iilPiilS6_bb
	.p2align	8
	.type	_ZN9rocsolver6v33100L18getri_kernel_smallILi29EdPKPdEEvT1_iilPiilS6_bb,@function
_ZN9rocsolver6v33100L18getri_kernel_smallILi29EdPKPdEEvT1_iilPiilS6_bb: ; @_ZN9rocsolver6v33100L18getri_kernel_smallILi29EdPKPdEEvT1_iilPiilS6_bb
; %bb.0:
	s_add_u32 s0, s0, s7
	s_addc_u32 s1, s1, 0
	s_mov_b32 s7, exec_lo
	v_cmpx_gt_u32_e32 29, v0
	s_cbranch_execz .LBB92_126
; %bb.1:
	s_clause 0x2
	s_load_dword s17, s[4:5], 0x38
	s_load_dwordx2 s[12:13], s[4:5], 0x0
	s_load_dwordx4 s[8:11], s[4:5], 0x28
	s_waitcnt lgkmcnt(0)
	s_bitcmp1_b32 s17, 8
	s_cselect_b32 s16, -1, 0
	s_ashr_i32 s7, s6, 31
	s_lshl_b64 s[14:15], s[6:7], 3
	s_add_u32 s12, s12, s14
	s_addc_u32 s13, s13, s15
	s_load_dwordx2 s[14:15], s[12:13], 0x0
	s_bfe_u32 s12, s17, 0x10008
	s_cmp_eq_u32 s12, 0
                                        ; implicit-def: $sgpr12_sgpr13
	s_cbranch_scc1 .LBB92_3
; %bb.2:
	s_clause 0x1
	s_load_dword s12, s[4:5], 0x20
	s_load_dwordx2 s[18:19], s[4:5], 0x18
	s_mul_i32 s13, s8, s7
	s_mul_hi_u32 s17, s8, s6
	s_mul_i32 s9, s9, s6
	s_add_i32 s13, s17, s13
	s_mul_i32 s8, s8, s6
	s_add_i32 s9, s13, s9
	s_lshl_b64 s[8:9], s[8:9], 2
	s_waitcnt lgkmcnt(0)
	s_ashr_i32 s13, s12, 31
	s_add_u32 s17, s18, s8
	s_addc_u32 s18, s19, s9
	s_lshl_b64 s[8:9], s[12:13], 2
	s_add_u32 s12, s17, s8
	s_addc_u32 s13, s18, s9
.LBB92_3:
	s_clause 0x1
	s_load_dwordx2 s[8:9], s[4:5], 0x8
	s_load_dword s4, s[4:5], 0x38
	v_lshlrev_b32_e32 v61, 3, v0
	s_waitcnt lgkmcnt(0)
	s_ashr_i32 s19, s8, 31
	s_mov_b32 s18, s8
	v_add3_u32 v9, s9, s9, v0
	s_lshl_b64 s[18:19], s[18:19], 3
	s_add_u32 s5, s14, s18
	s_addc_u32 s8, s15, s19
	v_add_co_u32 v1, s14, s5, v61
	v_add_co_ci_u32_e64 v2, null, s8, 0, s14
	s_mov_b32 s14, s9
	s_ashr_i32 s15, s9, 31
	v_ashrrev_i32_e32 v10, 31, v9
	flat_load_dwordx2 v[5:6], v[1:2]
	s_lshl_b64 s[14:15], s[14:15], 3
	v_add_nc_u32_e32 v12, s9, v9
	v_add_co_u32 v3, vcc_lo, v1, s14
	v_add_co_ci_u32_e64 v4, null, s15, v2, vcc_lo
	v_ashrrev_i32_e32 v13, 31, v12
	s_bitcmp0_b32 s4, 0
	s_waitcnt vmcnt(0) lgkmcnt(0)
	buffer_store_dword v6, off, s[0:3], 0 offset:4
	buffer_store_dword v5, off, s[0:3], 0
	flat_load_dwordx2 v[7:8], v[3:4]
	v_lshlrev_b64 v[5:6], 3, v[9:10]
	s_waitcnt vmcnt(0) lgkmcnt(0)
	buffer_store_dword v8, off, s[0:3], 0 offset:12
	buffer_store_dword v7, off, s[0:3], 0 offset:8
	v_add_co_u32 v5, vcc_lo, s5, v5
	v_add_co_ci_u32_e64 v6, null, s8, v6, vcc_lo
	v_lshlrev_b64 v[7:8], 3, v[12:13]
	flat_load_dwordx2 v[10:11], v[5:6]
	s_waitcnt vmcnt(0) lgkmcnt(0)
	buffer_store_dword v11, off, s[0:3], 0 offset:20
	buffer_store_dword v10, off, s[0:3], 0 offset:16
	v_add_co_u32 v7, vcc_lo, s5, v7
	v_add_co_ci_u32_e64 v8, null, s8, v8, vcc_lo
	v_add_nc_u32_e32 v11, s9, v12
	flat_load_dwordx2 v[13:14], v[7:8]
	s_waitcnt vmcnt(0) lgkmcnt(0)
	buffer_store_dword v14, off, s[0:3], 0 offset:28
	buffer_store_dword v13, off, s[0:3], 0 offset:24
	v_ashrrev_i32_e32 v12, 31, v11
	v_add_nc_u32_e32 v15, s9, v11
	v_lshlrev_b64 v[9:10], 3, v[11:12]
	v_ashrrev_i32_e32 v16, 31, v15
	v_add_nc_u32_e32 v18, s9, v15
	v_add_co_u32 v9, vcc_lo, s5, v9
	v_add_co_ci_u32_e64 v10, null, s8, v10, vcc_lo
	v_lshlrev_b64 v[11:12], 3, v[15:16]
	v_ashrrev_i32_e32 v19, 31, v18
	flat_load_dwordx2 v[13:14], v[9:10]
	s_waitcnt vmcnt(0) lgkmcnt(0)
	buffer_store_dword v14, off, s[0:3], 0 offset:36
	buffer_store_dword v13, off, s[0:3], 0 offset:32
	v_add_co_u32 v11, vcc_lo, s5, v11
	v_add_co_ci_u32_e64 v12, null, s8, v12, vcc_lo
	v_lshlrev_b64 v[13:14], 3, v[18:19]
	flat_load_dwordx2 v[16:17], v[11:12]
	s_waitcnt vmcnt(0) lgkmcnt(0)
	buffer_store_dword v17, off, s[0:3], 0 offset:44
	buffer_store_dword v16, off, s[0:3], 0 offset:40
	v_add_co_u32 v13, vcc_lo, s5, v13
	v_add_co_ci_u32_e64 v14, null, s8, v14, vcc_lo
	v_add_nc_u32_e32 v17, s9, v18
	flat_load_dwordx2 v[19:20], v[13:14]
	s_waitcnt vmcnt(0) lgkmcnt(0)
	buffer_store_dword v20, off, s[0:3], 0 offset:52
	buffer_store_dword v19, off, s[0:3], 0 offset:48
	v_ashrrev_i32_e32 v18, 31, v17
	v_add_nc_u32_e32 v21, s9, v17
	v_lshlrev_b64 v[15:16], 3, v[17:18]
	v_ashrrev_i32_e32 v22, 31, v21
	v_add_nc_u32_e32 v24, s9, v21
	v_add_co_u32 v15, vcc_lo, s5, v15
	v_add_co_ci_u32_e64 v16, null, s8, v16, vcc_lo
	v_lshlrev_b64 v[17:18], 3, v[21:22]
	v_ashrrev_i32_e32 v25, 31, v24
	flat_load_dwordx2 v[19:20], v[15:16]
	;; [unrolled: 27-line block ×7, first 2 shown]
	s_waitcnt vmcnt(0) lgkmcnt(0)
	buffer_store_dword v50, off, s[0:3], 0 offset:180
	buffer_store_dword v49, off, s[0:3], 0 offset:176
	v_add_co_u32 v47, vcc_lo, s5, v47
	v_add_co_ci_u32_e64 v48, null, s8, v48, vcc_lo
	v_lshlrev_b64 v[49:50], 3, v[54:55]
	flat_load_dwordx2 v[52:53], v[47:48]
	s_waitcnt vmcnt(0) lgkmcnt(0)
	buffer_store_dword v53, off, s[0:3], 0 offset:188
	buffer_store_dword v52, off, s[0:3], 0 offset:184
	v_add_co_u32 v49, vcc_lo, s5, v49
	v_add_co_ci_u32_e64 v50, null, s8, v50, vcc_lo
	v_add_nc_u32_e32 v53, s9, v54
	flat_load_dwordx2 v[55:56], v[49:50]
	s_waitcnt vmcnt(0) lgkmcnt(0)
	buffer_store_dword v56, off, s[0:3], 0 offset:196
	buffer_store_dword v55, off, s[0:3], 0 offset:192
	v_ashrrev_i32_e32 v54, 31, v53
	v_add_nc_u32_e32 v57, s9, v53
	v_lshlrev_b64 v[51:52], 3, v[53:54]
	v_ashrrev_i32_e32 v58, 31, v57
	v_add_nc_u32_e32 v62, s9, v57
	v_add_co_u32 v51, vcc_lo, s5, v51
	v_add_co_ci_u32_e64 v52, null, s8, v52, vcc_lo
	v_lshlrev_b64 v[53:54], 3, v[57:58]
	v_ashrrev_i32_e32 v63, 31, v62
	v_add_nc_u32_e32 v57, s9, v62
	flat_load_dwordx2 v[55:56], v[51:52]
	s_waitcnt vmcnt(0) lgkmcnt(0)
	buffer_store_dword v56, off, s[0:3], 0 offset:204
	buffer_store_dword v55, off, s[0:3], 0 offset:200
	v_add_co_u32 v53, vcc_lo, s5, v53
	v_add_co_ci_u32_e64 v54, null, s8, v54, vcc_lo
	v_lshlrev_b64 v[55:56], 3, v[62:63]
	flat_load_dwordx2 v[58:59], v[53:54]
	s_waitcnt vmcnt(0) lgkmcnt(0)
	buffer_store_dword v59, off, s[0:3], 0 offset:212
	buffer_store_dword v58, off, s[0:3], 0 offset:208
	v_add_co_u32 v55, vcc_lo, s5, v55
	v_add_co_ci_u32_e64 v56, null, s8, v56, vcc_lo
	v_ashrrev_i32_e32 v58, 31, v57
	flat_load_dwordx2 v[59:60], v[55:56]
	s_waitcnt vmcnt(0) lgkmcnt(0)
	buffer_store_dword v60, off, s[0:3], 0 offset:220
	buffer_store_dword v59, off, s[0:3], 0 offset:216
	v_lshlrev_b64 v[57:58], 3, v[57:58]
	v_add_co_u32 v57, vcc_lo, s5, v57
	v_add_co_ci_u32_e64 v58, null, s8, v58, vcc_lo
	s_mov_b32 s5, -1
	flat_load_dwordx2 v[59:60], v[57:58]
	s_waitcnt vmcnt(0) lgkmcnt(0)
	buffer_store_dword v60, off, s[0:3], 0 offset:228
	buffer_store_dword v59, off, s[0:3], 0 offset:224
	s_cbranch_scc1 .LBB92_124
; %bb.4:
	v_cmp_eq_u32_e64 s4, 0, v0
	s_and_saveexec_b32 s5, s4
; %bb.5:
	v_mov_b32_e32 v59, 0
	ds_write_b32 v59, v59 offset:232
; %bb.6:
	s_or_b32 exec_lo, exec_lo, s5
	v_lshl_add_u32 v59, v0, 3, 0
	s_waitcnt lgkmcnt(0)
	s_waitcnt_vscnt null, 0x0
	s_barrier
	buffer_gl0_inv
	s_mov_b32 s8, exec_lo
	s_clause 0x1
	buffer_load_dword v62, v59, s[0:3], 0 offen
	buffer_load_dword v63, v59, s[0:3], 0 offen offset:4
	s_waitcnt vmcnt(0)
	v_cmpx_eq_f64_e32 0, v[62:63]
	s_cbranch_execz .LBB92_10
; %bb.7:
	v_mov_b32_e32 v60, 0
	s_mov_b32 s9, 0
	ds_read_b32 v62, v60 offset:232
	s_waitcnt lgkmcnt(0)
	v_readfirstlane_b32 s5, v62
	v_add_nc_u32_e32 v62, 1, v0
	s_cmp_eq_u32 s5, 0
	v_cmp_gt_i32_e32 vcc_lo, s5, v62
	s_cselect_b32 s14, -1, 0
	s_or_b32 s14, s14, vcc_lo
	s_and_b32 exec_lo, exec_lo, s14
	s_cbranch_execz .LBB92_10
; %bb.8:
	v_mov_b32_e32 v63, s5
.LBB92_9:                               ; =>This Inner Loop Header: Depth=1
	ds_cmpst_rtn_b32 v63, v60, v63, v62 offset:232
	s_waitcnt lgkmcnt(0)
	v_cmp_ne_u32_e32 vcc_lo, 0, v63
	v_cmp_le_i32_e64 s5, v63, v62
	s_and_b32 s5, vcc_lo, s5
	s_and_b32 s5, exec_lo, s5
	s_or_b32 s9, s5, s9
	s_andn2_b32 exec_lo, exec_lo, s9
	s_cbranch_execnz .LBB92_9
.LBB92_10:
	s_or_b32 exec_lo, exec_lo, s8
	v_mov_b32_e32 v60, 0
	s_barrier
	buffer_gl0_inv
	ds_read_b32 v62, v60 offset:232
	s_and_saveexec_b32 s5, s4
	s_cbranch_execz .LBB92_12
; %bb.11:
	s_lshl_b64 s[8:9], s[6:7], 2
	s_add_u32 s8, s10, s8
	s_addc_u32 s9, s11, s9
	s_waitcnt lgkmcnt(0)
	global_store_dword v60, v62, s[8:9]
.LBB92_12:
	s_or_b32 exec_lo, exec_lo, s5
	s_waitcnt lgkmcnt(0)
	v_cmp_ne_u32_e32 vcc_lo, 0, v62
	s_mov_b32 s5, 0
	s_cbranch_vccnz .LBB92_124
; %bb.13:
	s_clause 0x1
	buffer_load_dword v62, v59, s[0:3], 0 offen
	buffer_load_dword v63, v59, s[0:3], 0 offen offset:4
	s_waitcnt vmcnt(0)
	v_div_scale_f64 v[64:65], null, v[62:63], v[62:63], 1.0
	v_div_scale_f64 v[70:71], vcc_lo, 1.0, v[62:63], 1.0
	v_rcp_f64_e32 v[66:67], v[64:65]
	v_fma_f64 v[68:69], -v[64:65], v[66:67], 1.0
	v_fma_f64 v[66:67], v[66:67], v[68:69], v[66:67]
	v_fma_f64 v[68:69], -v[64:65], v[66:67], 1.0
	v_fma_f64 v[66:67], v[66:67], v[68:69], v[66:67]
	v_mul_f64 v[68:69], v[70:71], v[66:67]
	v_fma_f64 v[64:65], -v[64:65], v[68:69], v[70:71]
	v_div_fmas_f64 v[64:65], v[64:65], v[66:67], v[68:69]
	v_div_fixup_f64 v[63:64], v[64:65], v[62:63], 1.0
	v_add_nc_u32_e32 v62, 0xf0, v61
	buffer_store_dword v64, v59, s[0:3], 0 offen offset:4
	buffer_store_dword v63, v59, s[0:3], 0 offen
	s_clause 0x1
	buffer_load_dword v66, off, s[0:3], 0 offset:12
	buffer_load_dword v65, off, s[0:3], 0 offset:8
	v_xor_b32_e32 v64, 0x80000000, v64
	s_waitcnt vmcnt(0)
	ds_write2_b64 v61, v[63:64], v[65:66] offset1:30
	s_waitcnt lgkmcnt(0)
	s_waitcnt_vscnt null, 0x0
	s_barrier
	buffer_gl0_inv
	s_and_saveexec_b32 s5, s4
	s_cbranch_execz .LBB92_15
; %bb.14:
	s_clause 0x1
	buffer_load_dword v63, v59, s[0:3], 0 offen
	buffer_load_dword v64, v59, s[0:3], 0 offen offset:4
	ds_read_b64 v[65:66], v62
	v_mov_b32_e32 v60, 0
	ds_read_b64 v[67:68], v60 offset:8
	s_waitcnt vmcnt(0) lgkmcnt(1)
	v_fma_f64 v[63:64], v[63:64], v[65:66], 0
	s_waitcnt lgkmcnt(0)
	v_mul_f64 v[63:64], v[63:64], v[67:68]
	buffer_store_dword v63, off, s[0:3], 0 offset:8
	buffer_store_dword v64, off, s[0:3], 0 offset:12
.LBB92_15:
	s_or_b32 exec_lo, exec_lo, s5
	s_waitcnt_vscnt null, 0x0
	s_barrier
	buffer_gl0_inv
	s_clause 0x1
	buffer_load_dword v63, off, s[0:3], 0 offset:16
	buffer_load_dword v64, off, s[0:3], 0 offset:20
	s_mov_b32 s5, exec_lo
	s_waitcnt vmcnt(0)
	ds_write_b64 v62, v[63:64]
	s_waitcnt lgkmcnt(0)
	s_barrier
	buffer_gl0_inv
	v_cmpx_gt_u32_e32 2, v0
	s_cbranch_execz .LBB92_19
; %bb.16:
	s_clause 0x1
	buffer_load_dword v63, v59, s[0:3], 0 offen
	buffer_load_dword v64, v59, s[0:3], 0 offen offset:4
	ds_read_b64 v[59:60], v62
	s_waitcnt vmcnt(0) lgkmcnt(0)
	v_fma_f64 v[59:60], v[63:64], v[59:60], 0
	s_and_saveexec_b32 s8, s4
	s_cbranch_execz .LBB92_18
; %bb.17:
	s_clause 0x1
	buffer_load_dword v63, off, s[0:3], 0 offset:8
	buffer_load_dword v64, off, s[0:3], 0 offset:12
	v_mov_b32_e32 v65, 0
	ds_read_b64 v[65:66], v65 offset:248
	s_waitcnt vmcnt(0) lgkmcnt(0)
	v_fma_f64 v[59:60], v[63:64], v[65:66], v[59:60]
.LBB92_18:
	s_or_b32 exec_lo, exec_lo, s8
	v_mov_b32_e32 v63, 0
	ds_read_b64 v[63:64], v63 offset:16
	s_waitcnt lgkmcnt(0)
	v_mul_f64 v[59:60], v[59:60], v[63:64]
	buffer_store_dword v60, off, s[0:3], 0 offset:20
	buffer_store_dword v59, off, s[0:3], 0 offset:16
.LBB92_19:
	s_or_b32 exec_lo, exec_lo, s5
	s_waitcnt_vscnt null, 0x0
	s_barrier
	buffer_gl0_inv
	s_clause 0x1
	buffer_load_dword v59, off, s[0:3], 0 offset:24
	buffer_load_dword v60, off, s[0:3], 0 offset:28
	v_add_nc_u32_e32 v63, -1, v0
	s_mov_b32 s4, exec_lo
	s_waitcnt vmcnt(0)
	ds_write_b64 v62, v[59:60]
	s_waitcnt lgkmcnt(0)
	s_barrier
	buffer_gl0_inv
	v_cmpx_gt_u32_e32 3, v0
	s_cbranch_execz .LBB92_23
; %bb.20:
	v_mov_b32_e32 v59, 0
	v_add_nc_u32_e32 v64, -1, v0
	v_add_nc_u32_e32 v65, 0xf0, v61
	v_mov_b32_e32 v60, 0
	v_mov_b32_e32 v66, v61
	s_mov_b32 s5, 0
.LBB92_21:                              ; =>This Inner Loop Header: Depth=1
	s_clause 0x1
	buffer_load_dword v67, v66, s[0:3], 0 offen
	buffer_load_dword v68, v66, s[0:3], 0 offen offset:4
	ds_read_b64 v[69:70], v65
	v_add_nc_u32_e32 v64, 1, v64
	v_add_nc_u32_e32 v65, 8, v65
	v_add_nc_u32_e32 v66, 8, v66
	v_cmp_lt_u32_e32 vcc_lo, 1, v64
	s_or_b32 s5, vcc_lo, s5
	s_waitcnt vmcnt(0) lgkmcnt(0)
	v_fma_f64 v[59:60], v[67:68], v[69:70], v[59:60]
	s_andn2_b32 exec_lo, exec_lo, s5
	s_cbranch_execnz .LBB92_21
; %bb.22:
	s_or_b32 exec_lo, exec_lo, s5
	v_mov_b32_e32 v64, 0
	ds_read_b64 v[64:65], v64 offset:24
	s_waitcnt lgkmcnt(0)
	v_mul_f64 v[59:60], v[59:60], v[64:65]
	buffer_store_dword v60, off, s[0:3], 0 offset:28
	buffer_store_dword v59, off, s[0:3], 0 offset:24
.LBB92_23:
	s_or_b32 exec_lo, exec_lo, s4
	s_waitcnt_vscnt null, 0x0
	s_barrier
	buffer_gl0_inv
	s_clause 0x1
	buffer_load_dword v59, off, s[0:3], 0 offset:32
	buffer_load_dword v60, off, s[0:3], 0 offset:36
	s_mov_b32 s4, exec_lo
	s_waitcnt vmcnt(0)
	ds_write_b64 v62, v[59:60]
	s_waitcnt lgkmcnt(0)
	s_barrier
	buffer_gl0_inv
	v_cmpx_gt_u32_e32 4, v0
	s_cbranch_execz .LBB92_27
; %bb.24:
	v_mov_b32_e32 v59, 0
	v_add_nc_u32_e32 v64, -1, v0
	v_add_nc_u32_e32 v65, 0xf0, v61
	v_mov_b32_e32 v60, 0
	v_mov_b32_e32 v66, v61
	s_mov_b32 s5, 0
.LBB92_25:                              ; =>This Inner Loop Header: Depth=1
	s_clause 0x1
	buffer_load_dword v67, v66, s[0:3], 0 offen
	buffer_load_dword v68, v66, s[0:3], 0 offen offset:4
	ds_read_b64 v[69:70], v65
	v_add_nc_u32_e32 v64, 1, v64
	v_add_nc_u32_e32 v65, 8, v65
	v_add_nc_u32_e32 v66, 8, v66
	v_cmp_lt_u32_e32 vcc_lo, 2, v64
	s_or_b32 s5, vcc_lo, s5
	s_waitcnt vmcnt(0) lgkmcnt(0)
	v_fma_f64 v[59:60], v[67:68], v[69:70], v[59:60]
	s_andn2_b32 exec_lo, exec_lo, s5
	s_cbranch_execnz .LBB92_25
; %bb.26:
	s_or_b32 exec_lo, exec_lo, s5
	v_mov_b32_e32 v64, 0
	ds_read_b64 v[64:65], v64 offset:32
	s_waitcnt lgkmcnt(0)
	v_mul_f64 v[59:60], v[59:60], v[64:65]
	buffer_store_dword v60, off, s[0:3], 0 offset:36
	buffer_store_dword v59, off, s[0:3], 0 offset:32
.LBB92_27:
	s_or_b32 exec_lo, exec_lo, s4
	s_waitcnt_vscnt null, 0x0
	s_barrier
	buffer_gl0_inv
	s_clause 0x1
	buffer_load_dword v59, off, s[0:3], 0 offset:40
	buffer_load_dword v60, off, s[0:3], 0 offset:44
	;; [unrolled: 45-line block ×20, first 2 shown]
	s_mov_b32 s4, exec_lo
	s_waitcnt vmcnt(0)
	ds_write_b64 v62, v[59:60]
	s_waitcnt lgkmcnt(0)
	s_barrier
	buffer_gl0_inv
	v_cmpx_gt_u32_e32 23, v0
	s_cbranch_execz .LBB92_103
; %bb.100:
	v_mov_b32_e32 v59, 0
	v_add_nc_u32_e32 v64, -1, v0
	v_add_nc_u32_e32 v65, 0xf0, v61
	v_mov_b32_e32 v60, 0
	v_mov_b32_e32 v66, v61
	s_mov_b32 s5, 0
.LBB92_101:                             ; =>This Inner Loop Header: Depth=1
	s_clause 0x1
	buffer_load_dword v67, v66, s[0:3], 0 offen
	buffer_load_dword v68, v66, s[0:3], 0 offen offset:4
	ds_read_b64 v[69:70], v65
	v_add_nc_u32_e32 v64, 1, v64
	v_add_nc_u32_e32 v65, 8, v65
	v_add_nc_u32_e32 v66, 8, v66
	v_cmp_lt_u32_e32 vcc_lo, 21, v64
	s_or_b32 s5, vcc_lo, s5
	s_waitcnt vmcnt(0) lgkmcnt(0)
	v_fma_f64 v[59:60], v[67:68], v[69:70], v[59:60]
	s_andn2_b32 exec_lo, exec_lo, s5
	s_cbranch_execnz .LBB92_101
; %bb.102:
	s_or_b32 exec_lo, exec_lo, s5
	v_mov_b32_e32 v64, 0
	ds_read_b64 v[64:65], v64 offset:184
	s_waitcnt lgkmcnt(0)
	v_mul_f64 v[59:60], v[59:60], v[64:65]
	buffer_store_dword v60, off, s[0:3], 0 offset:188
	buffer_store_dword v59, off, s[0:3], 0 offset:184
.LBB92_103:
	s_or_b32 exec_lo, exec_lo, s4
	s_waitcnt_vscnt null, 0x0
	s_barrier
	buffer_gl0_inv
	s_clause 0x1
	buffer_load_dword v59, off, s[0:3], 0 offset:192
	buffer_load_dword v60, off, s[0:3], 0 offset:196
	s_mov_b32 s4, exec_lo
	s_waitcnt vmcnt(0)
	ds_write_b64 v62, v[59:60]
	s_waitcnt lgkmcnt(0)
	s_barrier
	buffer_gl0_inv
	v_cmpx_gt_u32_e32 24, v0
	s_cbranch_execz .LBB92_107
; %bb.104:
	v_mov_b32_e32 v59, 0
	v_add_nc_u32_e32 v64, -1, v0
	v_add_nc_u32_e32 v65, 0xf0, v61
	v_mov_b32_e32 v60, 0
	v_mov_b32_e32 v66, v61
	s_mov_b32 s5, 0
.LBB92_105:                             ; =>This Inner Loop Header: Depth=1
	s_clause 0x1
	buffer_load_dword v67, v66, s[0:3], 0 offen
	buffer_load_dword v68, v66, s[0:3], 0 offen offset:4
	ds_read_b64 v[69:70], v65
	v_add_nc_u32_e32 v64, 1, v64
	v_add_nc_u32_e32 v65, 8, v65
	v_add_nc_u32_e32 v66, 8, v66
	v_cmp_lt_u32_e32 vcc_lo, 22, v64
	s_or_b32 s5, vcc_lo, s5
	s_waitcnt vmcnt(0) lgkmcnt(0)
	v_fma_f64 v[59:60], v[67:68], v[69:70], v[59:60]
	s_andn2_b32 exec_lo, exec_lo, s5
	s_cbranch_execnz .LBB92_105
; %bb.106:
	s_or_b32 exec_lo, exec_lo, s5
	v_mov_b32_e32 v64, 0
	ds_read_b64 v[64:65], v64 offset:192
	s_waitcnt lgkmcnt(0)
	v_mul_f64 v[59:60], v[59:60], v[64:65]
	buffer_store_dword v60, off, s[0:3], 0 offset:196
	buffer_store_dword v59, off, s[0:3], 0 offset:192
.LBB92_107:
	s_or_b32 exec_lo, exec_lo, s4
	s_waitcnt_vscnt null, 0x0
	s_barrier
	buffer_gl0_inv
	s_clause 0x1
	buffer_load_dword v59, off, s[0:3], 0 offset:200
	buffer_load_dword v60, off, s[0:3], 0 offset:204
	;; [unrolled: 45-line block ×5, first 2 shown]
	s_mov_b32 s4, exec_lo
	s_waitcnt vmcnt(0)
	ds_write_b64 v62, v[59:60]
	s_waitcnt lgkmcnt(0)
	s_barrier
	buffer_gl0_inv
	v_cmpx_ne_u32_e32 28, v0
	s_cbranch_execz .LBB92_123
; %bb.120:
	v_mov_b32_e32 v59, 0
	v_mov_b32_e32 v60, 0
	s_mov_b32 s5, 0
.LBB92_121:                             ; =>This Inner Loop Header: Depth=1
	s_clause 0x1
	buffer_load_dword v64, v61, s[0:3], 0 offen
	buffer_load_dword v65, v61, s[0:3], 0 offen offset:4
	ds_read_b64 v[66:67], v62
	v_add_nc_u32_e32 v63, 1, v63
	v_add_nc_u32_e32 v62, 8, v62
	;; [unrolled: 1-line block ×3, first 2 shown]
	v_cmp_lt_u32_e32 vcc_lo, 26, v63
	s_or_b32 s5, vcc_lo, s5
	s_waitcnt vmcnt(0) lgkmcnt(0)
	v_fma_f64 v[59:60], v[64:65], v[66:67], v[59:60]
	s_andn2_b32 exec_lo, exec_lo, s5
	s_cbranch_execnz .LBB92_121
; %bb.122:
	s_or_b32 exec_lo, exec_lo, s5
	v_mov_b32_e32 v61, 0
	ds_read_b64 v[61:62], v61 offset:224
	s_waitcnt lgkmcnt(0)
	v_mul_f64 v[59:60], v[59:60], v[61:62]
	buffer_store_dword v60, off, s[0:3], 0 offset:228
	buffer_store_dword v59, off, s[0:3], 0 offset:224
.LBB92_123:
	s_or_b32 exec_lo, exec_lo, s4
	s_mov_b32 s5, -1
	s_waitcnt_vscnt null, 0x0
	s_barrier
	buffer_gl0_inv
.LBB92_124:
	s_and_b32 vcc_lo, exec_lo, s5
	s_cbranch_vccz .LBB92_126
; %bb.125:
	s_lshl_b64 s[4:5], s[6:7], 2
	v_mov_b32_e32 v59, 0
	s_add_u32 s4, s10, s4
	s_addc_u32 s5, s11, s5
	global_load_dword v59, v59, s[4:5]
	s_waitcnt vmcnt(0)
	v_cmp_ne_u32_e32 vcc_lo, 0, v59
	s_cbranch_vccz .LBB92_127
.LBB92_126:
	s_endpgm
.LBB92_127:
	v_lshl_add_u32 v59, v0, 3, 0xf0
	s_mov_b32 s4, exec_lo
	v_cmpx_eq_u32_e32 28, v0
	s_cbranch_execz .LBB92_129
; %bb.128:
	s_clause 0x1
	buffer_load_dword v60, off, s[0:3], 0 offset:216
	buffer_load_dword v61, off, s[0:3], 0 offset:220
	v_mov_b32_e32 v62, 0
	buffer_store_dword v62, off, s[0:3], 0 offset:216
	buffer_store_dword v62, off, s[0:3], 0 offset:220
	s_waitcnt vmcnt(0)
	ds_write_b64 v59, v[60:61]
.LBB92_129:
	s_or_b32 exec_lo, exec_lo, s4
	s_waitcnt lgkmcnt(0)
	s_waitcnt_vscnt null, 0x0
	s_barrier
	buffer_gl0_inv
	s_clause 0x3
	buffer_load_dword v61, off, s[0:3], 0 offset:224
	buffer_load_dword v62, off, s[0:3], 0 offset:228
	;; [unrolled: 1-line block ×4, first 2 shown]
	v_mov_b32_e32 v60, 0
	s_mov_b32 s4, exec_lo
	ds_read_b64 v[65:66], v60 offset:464
	s_waitcnt vmcnt(2) lgkmcnt(0)
	v_fma_f64 v[61:62], v[61:62], v[65:66], 0
	s_waitcnt vmcnt(0)
	v_add_f64 v[61:62], v[63:64], -v[61:62]
	buffer_store_dword v61, off, s[0:3], 0 offset:216
	buffer_store_dword v62, off, s[0:3], 0 offset:220
	v_cmpx_lt_u32_e32 26, v0
	s_cbranch_execz .LBB92_131
; %bb.130:
	s_clause 0x1
	buffer_load_dword v61, off, s[0:3], 0 offset:208
	buffer_load_dword v62, off, s[0:3], 0 offset:212
	buffer_store_dword v60, off, s[0:3], 0 offset:208
	buffer_store_dword v60, off, s[0:3], 0 offset:212
	s_waitcnt vmcnt(0)
	ds_write_b64 v59, v[61:62]
.LBB92_131:
	s_or_b32 exec_lo, exec_lo, s4
	s_waitcnt lgkmcnt(0)
	s_waitcnt_vscnt null, 0x0
	s_barrier
	buffer_gl0_inv
	s_clause 0x5
	buffer_load_dword v64, off, s[0:3], 0 offset:216
	buffer_load_dword v65, off, s[0:3], 0 offset:220
	buffer_load_dword v66, off, s[0:3], 0 offset:224
	buffer_load_dword v67, off, s[0:3], 0 offset:228
	buffer_load_dword v68, off, s[0:3], 0 offset:208
	buffer_load_dword v69, off, s[0:3], 0 offset:212
	ds_read2_b64 v[60:63], v60 offset0:57 offset1:58
	s_mov_b32 s4, exec_lo
	s_waitcnt vmcnt(4) lgkmcnt(0)
	v_fma_f64 v[60:61], v[64:65], v[60:61], 0
	s_waitcnt vmcnt(2)
	v_fma_f64 v[60:61], v[66:67], v[62:63], v[60:61]
	s_waitcnt vmcnt(0)
	v_add_f64 v[60:61], v[68:69], -v[60:61]
	buffer_store_dword v60, off, s[0:3], 0 offset:208
	buffer_store_dword v61, off, s[0:3], 0 offset:212
	v_cmpx_lt_u32_e32 25, v0
	s_cbranch_execz .LBB92_133
; %bb.132:
	s_clause 0x1
	buffer_load_dword v60, off, s[0:3], 0 offset:200
	buffer_load_dword v61, off, s[0:3], 0 offset:204
	v_mov_b32_e32 v62, 0
	buffer_store_dword v62, off, s[0:3], 0 offset:200
	buffer_store_dword v62, off, s[0:3], 0 offset:204
	s_waitcnt vmcnt(0)
	ds_write_b64 v59, v[60:61]
.LBB92_133:
	s_or_b32 exec_lo, exec_lo, s4
	s_waitcnt lgkmcnt(0)
	s_waitcnt_vscnt null, 0x0
	s_barrier
	buffer_gl0_inv
	s_clause 0x7
	buffer_load_dword v65, off, s[0:3], 0 offset:208
	buffer_load_dword v66, off, s[0:3], 0 offset:212
	;; [unrolled: 1-line block ×8, first 2 shown]
	v_mov_b32_e32 v60, 0
	ds_read_b128 v[61:64], v60 offset:448
	ds_read_b64 v[73:74], v60 offset:464
	s_mov_b32 s4, exec_lo
	s_waitcnt vmcnt(6) lgkmcnt(1)
	v_fma_f64 v[61:62], v[65:66], v[61:62], 0
	s_waitcnt vmcnt(4)
	v_fma_f64 v[61:62], v[67:68], v[63:64], v[61:62]
	s_waitcnt vmcnt(2) lgkmcnt(0)
	v_fma_f64 v[61:62], v[69:70], v[73:74], v[61:62]
	s_waitcnt vmcnt(0)
	v_add_f64 v[61:62], v[71:72], -v[61:62]
	buffer_store_dword v61, off, s[0:3], 0 offset:200
	buffer_store_dword v62, off, s[0:3], 0 offset:204
	v_cmpx_lt_u32_e32 24, v0
	s_cbranch_execz .LBB92_135
; %bb.134:
	s_clause 0x1
	buffer_load_dword v61, off, s[0:3], 0 offset:192
	buffer_load_dword v62, off, s[0:3], 0 offset:196
	buffer_store_dword v60, off, s[0:3], 0 offset:192
	buffer_store_dword v60, off, s[0:3], 0 offset:196
	s_waitcnt vmcnt(0)
	ds_write_b64 v59, v[61:62]
.LBB92_135:
	s_or_b32 exec_lo, exec_lo, s4
	s_waitcnt lgkmcnt(0)
	s_waitcnt_vscnt null, 0x0
	s_barrier
	buffer_gl0_inv
	s_clause 0x9
	buffer_load_dword v69, off, s[0:3], 0 offset:200
	buffer_load_dword v70, off, s[0:3], 0 offset:204
	;; [unrolled: 1-line block ×10, first 2 shown]
	ds_read2_b64 v[61:64], v60 offset0:55 offset1:56
	ds_read2_b64 v[65:68], v60 offset0:57 offset1:58
	s_mov_b32 s4, exec_lo
	s_waitcnt vmcnt(8) lgkmcnt(1)
	v_fma_f64 v[60:61], v[69:70], v[61:62], 0
	s_waitcnt vmcnt(6)
	v_fma_f64 v[60:61], v[71:72], v[63:64], v[60:61]
	s_waitcnt vmcnt(4) lgkmcnt(0)
	v_fma_f64 v[60:61], v[73:74], v[65:66], v[60:61]
	s_waitcnt vmcnt(2)
	v_fma_f64 v[60:61], v[75:76], v[67:68], v[60:61]
	s_waitcnt vmcnt(0)
	v_add_f64 v[60:61], v[77:78], -v[60:61]
	buffer_store_dword v60, off, s[0:3], 0 offset:192
	buffer_store_dword v61, off, s[0:3], 0 offset:196
	v_cmpx_lt_u32_e32 23, v0
	s_cbranch_execz .LBB92_137
; %bb.136:
	s_clause 0x1
	buffer_load_dword v60, off, s[0:3], 0 offset:184
	buffer_load_dword v61, off, s[0:3], 0 offset:188
	v_mov_b32_e32 v62, 0
	buffer_store_dword v62, off, s[0:3], 0 offset:184
	buffer_store_dword v62, off, s[0:3], 0 offset:188
	s_waitcnt vmcnt(0)
	ds_write_b64 v59, v[60:61]
.LBB92_137:
	s_or_b32 exec_lo, exec_lo, s4
	s_waitcnt lgkmcnt(0)
	s_waitcnt_vscnt null, 0x0
	s_barrier
	buffer_gl0_inv
	s_clause 0xb
	buffer_load_dword v69, off, s[0:3], 0 offset:192
	buffer_load_dword v70, off, s[0:3], 0 offset:196
	;; [unrolled: 1-line block ×12, first 2 shown]
	v_mov_b32_e32 v60, 0
	ds_read_b128 v[61:64], v60 offset:432
	ds_read_b128 v[65:68], v60 offset:448
	s_mov_b32 s4, exec_lo
	s_waitcnt vmcnt(10) lgkmcnt(1)
	v_fma_f64 v[61:62], v[69:70], v[61:62], 0
	s_waitcnt vmcnt(8)
	v_fma_f64 v[61:62], v[71:72], v[63:64], v[61:62]
	ds_read_b64 v[63:64], v60 offset:464
	s_waitcnt vmcnt(6) lgkmcnt(1)
	v_fma_f64 v[61:62], v[73:74], v[65:66], v[61:62]
	s_waitcnt vmcnt(4)
	v_fma_f64 v[61:62], v[75:76], v[67:68], v[61:62]
	s_waitcnt vmcnt(2) lgkmcnt(0)
	v_fma_f64 v[61:62], v[77:78], v[63:64], v[61:62]
	s_waitcnt vmcnt(0)
	v_add_f64 v[61:62], v[79:80], -v[61:62]
	buffer_store_dword v61, off, s[0:3], 0 offset:184
	buffer_store_dword v62, off, s[0:3], 0 offset:188
	v_cmpx_lt_u32_e32 22, v0
	s_cbranch_execz .LBB92_139
; %bb.138:
	s_clause 0x1
	buffer_load_dword v61, off, s[0:3], 0 offset:176
	buffer_load_dword v62, off, s[0:3], 0 offset:180
	buffer_store_dword v60, off, s[0:3], 0 offset:176
	buffer_store_dword v60, off, s[0:3], 0 offset:180
	s_waitcnt vmcnt(0)
	ds_write_b64 v59, v[61:62]
.LBB92_139:
	s_or_b32 exec_lo, exec_lo, s4
	s_waitcnt lgkmcnt(0)
	s_waitcnt_vscnt null, 0x0
	s_barrier
	buffer_gl0_inv
	s_clause 0xd
	buffer_load_dword v69, off, s[0:3], 0 offset:184
	buffer_load_dword v70, off, s[0:3], 0 offset:188
	;; [unrolled: 1-line block ×14, first 2 shown]
	ds_read2_b64 v[61:64], v60 offset0:53 offset1:54
	ds_read2_b64 v[65:68], v60 offset0:55 offset1:56
	s_mov_b32 s4, exec_lo
	s_waitcnt vmcnt(12) lgkmcnt(1)
	v_fma_f64 v[61:62], v[69:70], v[61:62], 0
	s_waitcnt vmcnt(10)
	v_fma_f64 v[61:62], v[71:72], v[63:64], v[61:62]
	s_waitcnt vmcnt(8) lgkmcnt(0)
	v_fma_f64 v[61:62], v[73:74], v[65:66], v[61:62]
	s_waitcnt vmcnt(6)
	v_fma_f64 v[64:65], v[75:76], v[67:68], v[61:62]
	ds_read2_b64 v[60:63], v60 offset0:57 offset1:58
	s_waitcnt vmcnt(4) lgkmcnt(0)
	v_fma_f64 v[60:61], v[77:78], v[60:61], v[64:65]
	s_waitcnt vmcnt(2)
	v_fma_f64 v[60:61], v[79:80], v[62:63], v[60:61]
	s_waitcnt vmcnt(0)
	v_add_f64 v[60:61], v[81:82], -v[60:61]
	buffer_store_dword v60, off, s[0:3], 0 offset:176
	buffer_store_dword v61, off, s[0:3], 0 offset:180
	v_cmpx_lt_u32_e32 21, v0
	s_cbranch_execz .LBB92_141
; %bb.140:
	s_clause 0x1
	buffer_load_dword v60, off, s[0:3], 0 offset:168
	buffer_load_dword v61, off, s[0:3], 0 offset:172
	v_mov_b32_e32 v62, 0
	buffer_store_dword v62, off, s[0:3], 0 offset:168
	buffer_store_dword v62, off, s[0:3], 0 offset:172
	s_waitcnt vmcnt(0)
	ds_write_b64 v59, v[60:61]
.LBB92_141:
	s_or_b32 exec_lo, exec_lo, s4
	s_waitcnt lgkmcnt(0)
	s_waitcnt_vscnt null, 0x0
	s_barrier
	buffer_gl0_inv
	s_clause 0xf
	buffer_load_dword v69, off, s[0:3], 0 offset:176
	buffer_load_dword v70, off, s[0:3], 0 offset:180
	;; [unrolled: 1-line block ×16, first 2 shown]
	v_mov_b32_e32 v60, 0
	ds_read_b128 v[61:64], v60 offset:416
	ds_read_b128 v[65:68], v60 offset:432
	s_mov_b32 s4, exec_lo
	s_waitcnt vmcnt(14) lgkmcnt(1)
	v_fma_f64 v[61:62], v[69:70], v[61:62], 0
	s_waitcnt vmcnt(12)
	v_fma_f64 v[61:62], v[71:72], v[63:64], v[61:62]
	s_waitcnt vmcnt(10) lgkmcnt(0)
	v_fma_f64 v[61:62], v[73:74], v[65:66], v[61:62]
	s_waitcnt vmcnt(8)
	v_fma_f64 v[65:66], v[75:76], v[67:68], v[61:62]
	ds_read_b128 v[61:64], v60 offset:448
	ds_read_b64 v[67:68], v60 offset:464
	s_waitcnt vmcnt(6) lgkmcnt(1)
	v_fma_f64 v[61:62], v[77:78], v[61:62], v[65:66]
	s_waitcnt vmcnt(4)
	v_fma_f64 v[61:62], v[79:80], v[63:64], v[61:62]
	s_waitcnt vmcnt(2) lgkmcnt(0)
	v_fma_f64 v[61:62], v[81:82], v[67:68], v[61:62]
	s_waitcnt vmcnt(0)
	v_add_f64 v[61:62], v[83:84], -v[61:62]
	buffer_store_dword v61, off, s[0:3], 0 offset:168
	buffer_store_dword v62, off, s[0:3], 0 offset:172
	v_cmpx_lt_u32_e32 20, v0
	s_cbranch_execz .LBB92_143
; %bb.142:
	s_clause 0x1
	buffer_load_dword v61, off, s[0:3], 0 offset:160
	buffer_load_dword v62, off, s[0:3], 0 offset:164
	buffer_store_dword v60, off, s[0:3], 0 offset:160
	buffer_store_dword v60, off, s[0:3], 0 offset:164
	s_waitcnt vmcnt(0)
	ds_write_b64 v59, v[61:62]
.LBB92_143:
	s_or_b32 exec_lo, exec_lo, s4
	s_waitcnt lgkmcnt(0)
	s_waitcnt_vscnt null, 0x0
	s_barrier
	buffer_gl0_inv
	s_clause 0x11
	buffer_load_dword v69, off, s[0:3], 0 offset:168
	buffer_load_dword v70, off, s[0:3], 0 offset:172
	;; [unrolled: 1-line block ×18, first 2 shown]
	ds_read2_b64 v[61:64], v60 offset0:51 offset1:52
	ds_read2_b64 v[65:68], v60 offset0:53 offset1:54
	s_mov_b32 s4, exec_lo
	s_waitcnt vmcnt(16) lgkmcnt(1)
	v_fma_f64 v[61:62], v[69:70], v[61:62], 0
	s_waitcnt vmcnt(14)
	v_fma_f64 v[61:62], v[71:72], v[63:64], v[61:62]
	s_waitcnt vmcnt(12) lgkmcnt(0)
	v_fma_f64 v[61:62], v[73:74], v[65:66], v[61:62]
	s_waitcnt vmcnt(10)
	v_fma_f64 v[69:70], v[75:76], v[67:68], v[61:62]
	ds_read2_b64 v[61:64], v60 offset0:55 offset1:56
	ds_read2_b64 v[65:68], v60 offset0:57 offset1:58
	s_waitcnt vmcnt(8) lgkmcnt(1)
	v_fma_f64 v[60:61], v[77:78], v[61:62], v[69:70]
	s_waitcnt vmcnt(6)
	v_fma_f64 v[60:61], v[79:80], v[63:64], v[60:61]
	s_waitcnt vmcnt(4) lgkmcnt(0)
	v_fma_f64 v[60:61], v[81:82], v[65:66], v[60:61]
	s_waitcnt vmcnt(2)
	v_fma_f64 v[60:61], v[83:84], v[67:68], v[60:61]
	s_waitcnt vmcnt(0)
	v_add_f64 v[60:61], v[85:86], -v[60:61]
	buffer_store_dword v60, off, s[0:3], 0 offset:160
	buffer_store_dword v61, off, s[0:3], 0 offset:164
	v_cmpx_lt_u32_e32 19, v0
	s_cbranch_execz .LBB92_145
; %bb.144:
	s_clause 0x1
	buffer_load_dword v60, off, s[0:3], 0 offset:152
	buffer_load_dword v61, off, s[0:3], 0 offset:156
	v_mov_b32_e32 v62, 0
	buffer_store_dword v62, off, s[0:3], 0 offset:152
	buffer_store_dword v62, off, s[0:3], 0 offset:156
	s_waitcnt vmcnt(0)
	ds_write_b64 v59, v[60:61]
.LBB92_145:
	s_or_b32 exec_lo, exec_lo, s4
	s_waitcnt lgkmcnt(0)
	s_waitcnt_vscnt null, 0x0
	s_barrier
	buffer_gl0_inv
	s_clause 0x13
	buffer_load_dword v69, off, s[0:3], 0 offset:160
	buffer_load_dword v70, off, s[0:3], 0 offset:164
	;; [unrolled: 1-line block ×20, first 2 shown]
	v_mov_b32_e32 v60, 0
	ds_read_b128 v[61:64], v60 offset:400
	ds_read_b128 v[65:68], v60 offset:416
	s_mov_b32 s4, exec_lo
	s_waitcnt vmcnt(18) lgkmcnt(1)
	v_fma_f64 v[61:62], v[69:70], v[61:62], 0
	s_waitcnt vmcnt(16)
	v_fma_f64 v[61:62], v[71:72], v[63:64], v[61:62]
	s_waitcnt vmcnt(14) lgkmcnt(0)
	v_fma_f64 v[61:62], v[73:74], v[65:66], v[61:62]
	s_waitcnt vmcnt(12)
	v_fma_f64 v[69:70], v[75:76], v[67:68], v[61:62]
	ds_read_b128 v[61:64], v60 offset:432
	ds_read_b128 v[65:68], v60 offset:448
	s_waitcnt vmcnt(10) lgkmcnt(1)
	v_fma_f64 v[61:62], v[77:78], v[61:62], v[69:70]
	s_waitcnt vmcnt(8)
	v_fma_f64 v[61:62], v[79:80], v[63:64], v[61:62]
	ds_read_b64 v[63:64], v60 offset:464
	s_waitcnt vmcnt(6) lgkmcnt(1)
	v_fma_f64 v[61:62], v[81:82], v[65:66], v[61:62]
	s_waitcnt vmcnt(3)
	v_fma_f64 v[61:62], v[83:84], v[67:68], v[61:62]
	s_waitcnt vmcnt(2) lgkmcnt(0)
	v_fma_f64 v[61:62], v[85:86], v[63:64], v[61:62]
	s_waitcnt vmcnt(0)
	v_add_f64 v[61:62], v[87:88], -v[61:62]
	buffer_store_dword v61, off, s[0:3], 0 offset:152
	buffer_store_dword v62, off, s[0:3], 0 offset:156
	v_cmpx_lt_u32_e32 18, v0
	s_cbranch_execz .LBB92_147
; %bb.146:
	s_clause 0x1
	buffer_load_dword v61, off, s[0:3], 0 offset:144
	buffer_load_dword v62, off, s[0:3], 0 offset:148
	buffer_store_dword v60, off, s[0:3], 0 offset:144
	buffer_store_dword v60, off, s[0:3], 0 offset:148
	s_waitcnt vmcnt(0)
	ds_write_b64 v59, v[61:62]
.LBB92_147:
	s_or_b32 exec_lo, exec_lo, s4
	s_waitcnt lgkmcnt(0)
	s_waitcnt_vscnt null, 0x0
	s_barrier
	buffer_gl0_inv
	s_clause 0x15
	buffer_load_dword v69, off, s[0:3], 0 offset:152
	buffer_load_dword v70, off, s[0:3], 0 offset:156
	;; [unrolled: 1-line block ×22, first 2 shown]
	ds_read2_b64 v[61:64], v60 offset0:49 offset1:50
	ds_read2_b64 v[65:68], v60 offset0:51 offset1:52
	s_mov_b32 s4, exec_lo
	s_waitcnt vmcnt(20) lgkmcnt(1)
	v_fma_f64 v[61:62], v[69:70], v[61:62], 0
	s_waitcnt vmcnt(18)
	v_fma_f64 v[61:62], v[71:72], v[63:64], v[61:62]
	s_waitcnt vmcnt(16) lgkmcnt(0)
	v_fma_f64 v[61:62], v[73:74], v[65:66], v[61:62]
	s_waitcnt vmcnt(14)
	v_fma_f64 v[69:70], v[75:76], v[67:68], v[61:62]
	ds_read2_b64 v[61:64], v60 offset0:53 offset1:54
	ds_read2_b64 v[65:68], v60 offset0:55 offset1:56
	s_waitcnt vmcnt(12) lgkmcnt(1)
	v_fma_f64 v[61:62], v[77:78], v[61:62], v[69:70]
	s_waitcnt vmcnt(10)
	v_fma_f64 v[61:62], v[79:80], v[63:64], v[61:62]
	s_waitcnt vmcnt(8) lgkmcnt(0)
	v_fma_f64 v[61:62], v[81:82], v[65:66], v[61:62]
	s_waitcnt vmcnt(4)
	v_fma_f64 v[64:65], v[83:84], v[67:68], v[61:62]
	ds_read2_b64 v[60:63], v60 offset0:57 offset1:58
	s_waitcnt vmcnt(3) lgkmcnt(0)
	v_fma_f64 v[60:61], v[87:88], v[60:61], v[64:65]
	s_waitcnt vmcnt(2)
	v_fma_f64 v[60:61], v[85:86], v[62:63], v[60:61]
	s_waitcnt vmcnt(0)
	v_add_f64 v[60:61], v[89:90], -v[60:61]
	buffer_store_dword v60, off, s[0:3], 0 offset:144
	buffer_store_dword v61, off, s[0:3], 0 offset:148
	v_cmpx_lt_u32_e32 17, v0
	s_cbranch_execz .LBB92_149
; %bb.148:
	s_clause 0x1
	buffer_load_dword v60, off, s[0:3], 0 offset:136
	buffer_load_dword v61, off, s[0:3], 0 offset:140
	v_mov_b32_e32 v62, 0
	buffer_store_dword v62, off, s[0:3], 0 offset:136
	buffer_store_dword v62, off, s[0:3], 0 offset:140
	s_waitcnt vmcnt(0)
	ds_write_b64 v59, v[60:61]
.LBB92_149:
	s_or_b32 exec_lo, exec_lo, s4
	s_waitcnt lgkmcnt(0)
	s_waitcnt_vscnt null, 0x0
	s_barrier
	buffer_gl0_inv
	s_clause 0x17
	buffer_load_dword v69, off, s[0:3], 0 offset:144
	buffer_load_dword v70, off, s[0:3], 0 offset:148
	;; [unrolled: 1-line block ×24, first 2 shown]
	v_mov_b32_e32 v60, 0
	ds_read_b128 v[61:64], v60 offset:384
	ds_read_b128 v[65:68], v60 offset:400
	s_mov_b32 s4, exec_lo
	s_waitcnt vmcnt(22) lgkmcnt(1)
	v_fma_f64 v[61:62], v[69:70], v[61:62], 0
	s_waitcnt vmcnt(20)
	v_fma_f64 v[61:62], v[71:72], v[63:64], v[61:62]
	s_waitcnt vmcnt(18) lgkmcnt(0)
	v_fma_f64 v[61:62], v[73:74], v[65:66], v[61:62]
	s_waitcnt vmcnt(16)
	v_fma_f64 v[69:70], v[75:76], v[67:68], v[61:62]
	ds_read_b128 v[61:64], v60 offset:416
	ds_read_b128 v[65:68], v60 offset:432
	s_waitcnt vmcnt(14) lgkmcnt(1)
	v_fma_f64 v[61:62], v[77:78], v[61:62], v[69:70]
	s_waitcnt vmcnt(12)
	v_fma_f64 v[61:62], v[79:80], v[63:64], v[61:62]
	s_waitcnt vmcnt(10) lgkmcnt(0)
	v_fma_f64 v[61:62], v[81:82], v[65:66], v[61:62]
	s_waitcnt vmcnt(5)
	v_fma_f64 v[65:66], v[83:84], v[67:68], v[61:62]
	ds_read_b128 v[61:64], v60 offset:448
	ds_read_b64 v[67:68], v60 offset:464
	s_waitcnt vmcnt(4) lgkmcnt(1)
	v_fma_f64 v[61:62], v[89:90], v[61:62], v[65:66]
	s_waitcnt vmcnt(3)
	v_fma_f64 v[61:62], v[87:88], v[63:64], v[61:62]
	s_waitcnt vmcnt(2) lgkmcnt(0)
	v_fma_f64 v[61:62], v[85:86], v[67:68], v[61:62]
	s_waitcnt vmcnt(0)
	v_add_f64 v[61:62], v[91:92], -v[61:62]
	buffer_store_dword v62, off, s[0:3], 0 offset:140
	buffer_store_dword v61, off, s[0:3], 0 offset:136
	v_cmpx_lt_u32_e32 16, v0
	s_cbranch_execz .LBB92_151
; %bb.150:
	s_clause 0x1
	buffer_load_dword v61, off, s[0:3], 0 offset:128
	buffer_load_dword v62, off, s[0:3], 0 offset:132
	buffer_store_dword v60, off, s[0:3], 0 offset:128
	buffer_store_dword v60, off, s[0:3], 0 offset:132
	s_waitcnt vmcnt(0)
	ds_write_b64 v59, v[61:62]
.LBB92_151:
	s_or_b32 exec_lo, exec_lo, s4
	s_waitcnt lgkmcnt(0)
	s_waitcnt_vscnt null, 0x0
	s_barrier
	buffer_gl0_inv
	s_clause 0x19
	buffer_load_dword v65, off, s[0:3], 0 offset:136
	buffer_load_dword v66, off, s[0:3], 0 offset:140
	;; [unrolled: 1-line block ×26, first 2 shown]
	ds_read2_b64 v[61:64], v60 offset0:47 offset1:48
	s_mov_b32 s4, exec_lo
	s_waitcnt vmcnt(24) lgkmcnt(0)
	v_fma_f64 v[61:62], v[65:66], v[61:62], 0
	s_waitcnt vmcnt(22)
	v_fma_f64 v[65:66], v[67:68], v[63:64], v[61:62]
	ds_read2_b64 v[61:64], v60 offset0:49 offset1:50
	s_waitcnt vmcnt(20) lgkmcnt(0)
	v_fma_f64 v[61:62], v[69:70], v[61:62], v[65:66]
	s_waitcnt vmcnt(18)
	v_fma_f64 v[65:66], v[71:72], v[63:64], v[61:62]
	ds_read2_b64 v[61:64], v60 offset0:51 offset1:52
	s_waitcnt vmcnt(16) lgkmcnt(0)
	v_fma_f64 v[61:62], v[73:74], v[61:62], v[65:66]
	s_waitcnt vmcnt(14)
	v_fma_f64 v[65:66], v[75:76], v[63:64], v[61:62]
	ds_read2_b64 v[61:64], v60 offset0:53 offset1:54
	s_waitcnt vmcnt(12) lgkmcnt(0)
	v_fma_f64 v[61:62], v[77:78], v[61:62], v[65:66]
	s_waitcnt vmcnt(10)
	v_fma_f64 v[65:66], v[79:80], v[63:64], v[61:62]
	ds_read2_b64 v[61:64], v60 offset0:55 offset1:56
	s_waitcnt vmcnt(8) lgkmcnt(0)
	v_fma_f64 v[61:62], v[81:82], v[61:62], v[65:66]
	s_waitcnt vmcnt(6)
	v_fma_f64 v[64:65], v[83:84], v[63:64], v[61:62]
	ds_read2_b64 v[60:63], v60 offset0:57 offset1:58
	s_waitcnt vmcnt(4) lgkmcnt(0)
	v_fma_f64 v[60:61], v[85:86], v[60:61], v[64:65]
	s_waitcnt vmcnt(2)
	v_fma_f64 v[60:61], v[87:88], v[62:63], v[60:61]
	s_waitcnt vmcnt(0)
	v_add_f64 v[60:61], v[89:90], -v[60:61]
	buffer_store_dword v61, off, s[0:3], 0 offset:132
	buffer_store_dword v60, off, s[0:3], 0 offset:128
	v_cmpx_lt_u32_e32 15, v0
	s_cbranch_execz .LBB92_153
; %bb.152:
	s_clause 0x1
	buffer_load_dword v60, off, s[0:3], 0 offset:120
	buffer_load_dword v61, off, s[0:3], 0 offset:124
	v_mov_b32_e32 v62, 0
	buffer_store_dword v62, off, s[0:3], 0 offset:120
	buffer_store_dword v62, off, s[0:3], 0 offset:124
	s_waitcnt vmcnt(0)
	ds_write_b64 v59, v[60:61]
.LBB92_153:
	s_or_b32 exec_lo, exec_lo, s4
	s_waitcnt lgkmcnt(0)
	s_waitcnt_vscnt null, 0x0
	s_barrier
	buffer_gl0_inv
	s_clause 0x1b
	buffer_load_dword v65, off, s[0:3], 0 offset:128
	buffer_load_dword v66, off, s[0:3], 0 offset:132
	;; [unrolled: 1-line block ×28, first 2 shown]
	v_mov_b32_e32 v60, 0
	s_mov_b32 s4, exec_lo
	ds_read_b128 v[61:64], v60 offset:368
	s_waitcnt vmcnt(26) lgkmcnt(0)
	v_fma_f64 v[61:62], v[65:66], v[61:62], 0
	s_waitcnt vmcnt(24)
	v_fma_f64 v[65:66], v[67:68], v[63:64], v[61:62]
	ds_read_b128 v[61:64], v60 offset:384
	s_waitcnt vmcnt(22) lgkmcnt(0)
	v_fma_f64 v[61:62], v[69:70], v[61:62], v[65:66]
	s_waitcnt vmcnt(20)
	v_fma_f64 v[65:66], v[71:72], v[63:64], v[61:62]
	;; [unrolled: 5-line block ×6, first 2 shown]
	ds_read_b64 v[63:64], v60 offset:464
	s_waitcnt vmcnt(2) lgkmcnt(0)
	v_fma_f64 v[61:62], v[89:90], v[63:64], v[61:62]
	s_waitcnt vmcnt(0)
	v_add_f64 v[61:62], v[91:92], -v[61:62]
	buffer_store_dword v62, off, s[0:3], 0 offset:124
	buffer_store_dword v61, off, s[0:3], 0 offset:120
	v_cmpx_lt_u32_e32 14, v0
	s_cbranch_execz .LBB92_155
; %bb.154:
	s_clause 0x1
	buffer_load_dword v61, off, s[0:3], 0 offset:112
	buffer_load_dword v62, off, s[0:3], 0 offset:116
	buffer_store_dword v60, off, s[0:3], 0 offset:112
	buffer_store_dword v60, off, s[0:3], 0 offset:116
	s_waitcnt vmcnt(0)
	ds_write_b64 v59, v[61:62]
.LBB92_155:
	s_or_b32 exec_lo, exec_lo, s4
	s_waitcnt lgkmcnt(0)
	s_waitcnt_vscnt null, 0x0
	s_barrier
	buffer_gl0_inv
	s_clause 0x1b
	buffer_load_dword v65, off, s[0:3], 0 offset:120
	buffer_load_dword v66, off, s[0:3], 0 offset:124
	;; [unrolled: 1-line block ×28, first 2 shown]
	ds_read2_b64 v[61:64], v60 offset0:45 offset1:46
	s_clause 0x1
	buffer_load_dword v93, off, s[0:3], 0 offset:112
	buffer_load_dword v94, off, s[0:3], 0 offset:116
	s_mov_b32 s4, exec_lo
	s_waitcnt vmcnt(28) lgkmcnt(0)
	v_fma_f64 v[61:62], v[65:66], v[61:62], 0
	s_waitcnt vmcnt(26)
	v_fma_f64 v[65:66], v[67:68], v[63:64], v[61:62]
	ds_read2_b64 v[61:64], v60 offset0:47 offset1:48
	s_waitcnt vmcnt(24) lgkmcnt(0)
	v_fma_f64 v[61:62], v[69:70], v[61:62], v[65:66]
	s_waitcnt vmcnt(22)
	v_fma_f64 v[65:66], v[71:72], v[63:64], v[61:62]
	ds_read2_b64 v[61:64], v60 offset0:49 offset1:50
	;; [unrolled: 5-line block ×6, first 2 shown]
	s_waitcnt vmcnt(4) lgkmcnt(0)
	v_fma_f64 v[60:61], v[89:90], v[60:61], v[64:65]
	s_waitcnt vmcnt(2)
	v_fma_f64 v[60:61], v[91:92], v[62:63], v[60:61]
	s_waitcnt vmcnt(0)
	v_add_f64 v[60:61], v[93:94], -v[60:61]
	buffer_store_dword v61, off, s[0:3], 0 offset:116
	buffer_store_dword v60, off, s[0:3], 0 offset:112
	v_cmpx_lt_u32_e32 13, v0
	s_cbranch_execz .LBB92_157
; %bb.156:
	s_clause 0x1
	buffer_load_dword v60, off, s[0:3], 0 offset:104
	buffer_load_dword v61, off, s[0:3], 0 offset:108
	v_mov_b32_e32 v62, 0
	buffer_store_dword v62, off, s[0:3], 0 offset:104
	buffer_store_dword v62, off, s[0:3], 0 offset:108
	s_waitcnt vmcnt(0)
	ds_write_b64 v59, v[60:61]
.LBB92_157:
	s_or_b32 exec_lo, exec_lo, s4
	s_waitcnt lgkmcnt(0)
	s_waitcnt_vscnt null, 0x0
	s_barrier
	buffer_gl0_inv
	s_clause 0x1c
	buffer_load_dword v69, off, s[0:3], 0 offset:112
	buffer_load_dword v70, off, s[0:3], 0 offset:116
	;; [unrolled: 1-line block ×29, first 2 shown]
	v_mov_b32_e32 v60, 0
	buffer_load_dword v94, off, s[0:3], 0 offset:228
	s_mov_b32 s4, exec_lo
	ds_read_b128 v[61:64], v60 offset:352
	ds_read_b128 v[65:68], v60 offset:368
	s_waitcnt vmcnt(28) lgkmcnt(1)
	v_fma_f64 v[61:62], v[69:70], v[61:62], 0
	s_clause 0x1
	buffer_load_dword v69, off, s[0:3], 0 offset:104
	buffer_load_dword v70, off, s[0:3], 0 offset:108
	s_waitcnt vmcnt(28)
	v_fma_f64 v[61:62], v[71:72], v[63:64], v[61:62]
	s_waitcnt vmcnt(26) lgkmcnt(0)
	v_fma_f64 v[61:62], v[73:74], v[65:66], v[61:62]
	s_waitcnt vmcnt(24)
	v_fma_f64 v[71:72], v[75:76], v[67:68], v[61:62]
	ds_read_b128 v[61:64], v60 offset:384
	ds_read_b128 v[65:68], v60 offset:400
	s_waitcnt vmcnt(22) lgkmcnt(1)
	v_fma_f64 v[61:62], v[77:78], v[61:62], v[71:72]
	s_waitcnt vmcnt(20)
	v_fma_f64 v[61:62], v[79:80], v[63:64], v[61:62]
	s_waitcnt vmcnt(18) lgkmcnt(0)
	v_fma_f64 v[61:62], v[81:82], v[65:66], v[61:62]
	s_waitcnt vmcnt(13)
	v_fma_f64 v[71:72], v[83:84], v[67:68], v[61:62]
	ds_read_b128 v[61:64], v60 offset:416
	ds_read_b128 v[65:68], v60 offset:432
	s_waitcnt vmcnt(12) lgkmcnt(1)
	v_fma_f64 v[61:62], v[89:90], v[61:62], v[71:72]
	s_waitcnt vmcnt(11)
	v_fma_f64 v[61:62], v[87:88], v[63:64], v[61:62]
	s_waitcnt vmcnt(10) lgkmcnt(0)
	v_fma_f64 v[61:62], v[85:86], v[65:66], v[61:62]
	s_waitcnt vmcnt(5)
	v_fma_f64 v[65:66], v[91:92], v[67:68], v[61:62]
	ds_read_b128 v[61:64], v60 offset:448
	ds_read_b64 v[67:68], v60 offset:464
	s_waitcnt vmcnt(4) lgkmcnt(1)
	v_fma_f64 v[61:62], v[97:98], v[61:62], v[65:66]
	s_waitcnt vmcnt(3)
	v_fma_f64 v[61:62], v[95:96], v[63:64], v[61:62]
	s_waitcnt vmcnt(2) lgkmcnt(0)
	v_fma_f64 v[61:62], v[93:94], v[67:68], v[61:62]
	s_waitcnt vmcnt(0)
	v_add_f64 v[61:62], v[69:70], -v[61:62]
	buffer_store_dword v62, off, s[0:3], 0 offset:108
	buffer_store_dword v61, off, s[0:3], 0 offset:104
	v_cmpx_lt_u32_e32 12, v0
	s_cbranch_execz .LBB92_159
; %bb.158:
	s_clause 0x1
	buffer_load_dword v61, off, s[0:3], 0 offset:96
	buffer_load_dword v62, off, s[0:3], 0 offset:100
	buffer_store_dword v60, off, s[0:3], 0 offset:96
	buffer_store_dword v60, off, s[0:3], 0 offset:100
	s_waitcnt vmcnt(0)
	ds_write_b64 v59, v[61:62]
.LBB92_159:
	s_or_b32 exec_lo, exec_lo, s4
	s_waitcnt lgkmcnt(0)
	s_waitcnt_vscnt null, 0x0
	s_barrier
	buffer_gl0_inv
	s_clause 0x1c
	buffer_load_dword v69, off, s[0:3], 0 offset:104
	buffer_load_dword v70, off, s[0:3], 0 offset:108
	;; [unrolled: 1-line block ×29, first 2 shown]
	ds_read2_b64 v[61:64], v60 offset0:43 offset1:44
	ds_read2_b64 v[65:68], v60 offset0:45 offset1:46
	buffer_load_dword v94, off, s[0:3], 0 offset:220
	s_mov_b32 s4, exec_lo
	s_waitcnt vmcnt(28) lgkmcnt(1)
	v_fma_f64 v[61:62], v[69:70], v[61:62], 0
	s_clause 0x1
	buffer_load_dword v70, off, s[0:3], 0 offset:228
	buffer_load_dword v69, off, s[0:3], 0 offset:224
	s_waitcnt vmcnt(28)
	v_fma_f64 v[61:62], v[71:72], v[63:64], v[61:62]
	s_clause 0x1
	buffer_load_dword v71, off, s[0:3], 0 offset:96
	buffer_load_dword v72, off, s[0:3], 0 offset:100
	s_waitcnt vmcnt(28) lgkmcnt(0)
	v_fma_f64 v[61:62], v[73:74], v[65:66], v[61:62]
	s_waitcnt vmcnt(26)
	v_fma_f64 v[73:74], v[75:76], v[67:68], v[61:62]
	ds_read2_b64 v[61:64], v60 offset0:47 offset1:48
	ds_read2_b64 v[65:68], v60 offset0:49 offset1:50
	s_waitcnt vmcnt(24) lgkmcnt(1)
	v_fma_f64 v[61:62], v[77:78], v[61:62], v[73:74]
	s_waitcnt vmcnt(22)
	v_fma_f64 v[61:62], v[79:80], v[63:64], v[61:62]
	s_waitcnt vmcnt(20) lgkmcnt(0)
	v_fma_f64 v[61:62], v[81:82], v[65:66], v[61:62]
	s_waitcnt vmcnt(15)
	v_fma_f64 v[73:74], v[83:84], v[67:68], v[61:62]
	ds_read2_b64 v[61:64], v60 offset0:51 offset1:52
	ds_read2_b64 v[65:68], v60 offset0:53 offset1:54
	s_waitcnt vmcnt(14) lgkmcnt(1)
	v_fma_f64 v[61:62], v[89:90], v[61:62], v[73:74]
	s_waitcnt vmcnt(13)
	v_fma_f64 v[61:62], v[87:88], v[63:64], v[61:62]
	;; [unrolled: 10-line block ×3, first 2 shown]
	s_waitcnt vmcnt(4) lgkmcnt(0)
	v_fma_f64 v[60:61], v[93:94], v[65:66], v[60:61]
	s_waitcnt vmcnt(2)
	v_fma_f64 v[60:61], v[69:70], v[67:68], v[60:61]
	s_waitcnt vmcnt(0)
	v_add_f64 v[60:61], v[71:72], -v[60:61]
	buffer_store_dword v61, off, s[0:3], 0 offset:100
	buffer_store_dword v60, off, s[0:3], 0 offset:96
	v_cmpx_lt_u32_e32 11, v0
	s_cbranch_execz .LBB92_161
; %bb.160:
	s_clause 0x1
	buffer_load_dword v60, off, s[0:3], 0 offset:88
	buffer_load_dword v61, off, s[0:3], 0 offset:92
	v_mov_b32_e32 v62, 0
	buffer_store_dword v62, off, s[0:3], 0 offset:88
	buffer_store_dword v62, off, s[0:3], 0 offset:92
	s_waitcnt vmcnt(0)
	ds_write_b64 v59, v[60:61]
.LBB92_161:
	s_or_b32 exec_lo, exec_lo, s4
	s_waitcnt lgkmcnt(0)
	s_waitcnt_vscnt null, 0x0
	s_barrier
	buffer_gl0_inv
	s_clause 0x1c
	buffer_load_dword v69, off, s[0:3], 0 offset:96
	buffer_load_dword v70, off, s[0:3], 0 offset:100
	;; [unrolled: 1-line block ×29, first 2 shown]
	v_mov_b32_e32 v60, 0
	buffer_load_dword v94, off, s[0:3], 0 offset:212
	s_mov_b32 s4, exec_lo
	ds_read_b128 v[61:64], v60 offset:336
	ds_read_b128 v[65:68], v60 offset:352
	s_waitcnt vmcnt(28) lgkmcnt(1)
	v_fma_f64 v[61:62], v[69:70], v[61:62], 0
	s_clause 0x3
	buffer_load_dword v70, off, s[0:3], 0 offset:220
	buffer_load_dword v99, off, s[0:3], 0 offset:224
	;; [unrolled: 1-line block ×4, first 2 shown]
	s_waitcnt vmcnt(30)
	v_fma_f64 v[61:62], v[71:72], v[63:64], v[61:62]
	s_clause 0x1
	buffer_load_dword v71, off, s[0:3], 0 offset:88
	buffer_load_dword v72, off, s[0:3], 0 offset:92
	s_waitcnt vmcnt(30) lgkmcnt(0)
	v_fma_f64 v[61:62], v[73:74], v[65:66], v[61:62]
	s_waitcnt vmcnt(28)
	v_fma_f64 v[73:74], v[75:76], v[67:68], v[61:62]
	ds_read_b128 v[61:64], v60 offset:368
	ds_read_b128 v[65:68], v60 offset:384
	s_waitcnt vmcnt(26) lgkmcnt(1)
	v_fma_f64 v[61:62], v[77:78], v[61:62], v[73:74]
	s_waitcnt vmcnt(24)
	v_fma_f64 v[61:62], v[79:80], v[63:64], v[61:62]
	s_waitcnt vmcnt(22) lgkmcnt(0)
	v_fma_f64 v[61:62], v[81:82], v[65:66], v[61:62]
	s_waitcnt vmcnt(17)
	v_fma_f64 v[73:74], v[83:84], v[67:68], v[61:62]
	ds_read_b128 v[61:64], v60 offset:400
	ds_read_b128 v[65:68], v60 offset:416
	s_waitcnt vmcnt(16) lgkmcnt(1)
	v_fma_f64 v[61:62], v[89:90], v[61:62], v[73:74]
	s_waitcnt vmcnt(15)
	v_fma_f64 v[61:62], v[87:88], v[63:64], v[61:62]
	;; [unrolled: 10-line block ×3, first 2 shown]
	ds_read_b64 v[63:64], v60 offset:464
	s_waitcnt vmcnt(6) lgkmcnt(1)
	v_fma_f64 v[61:62], v[93:94], v[65:66], v[61:62]
	s_waitcnt vmcnt(3)
	v_fma_f64 v[61:62], v[69:70], v[67:68], v[61:62]
	s_waitcnt vmcnt(2) lgkmcnt(0)
	v_fma_f64 v[61:62], v[99:100], v[63:64], v[61:62]
	s_waitcnt vmcnt(0)
	v_add_f64 v[61:62], v[71:72], -v[61:62]
	buffer_store_dword v62, off, s[0:3], 0 offset:92
	buffer_store_dword v61, off, s[0:3], 0 offset:88
	v_cmpx_lt_u32_e32 10, v0
	s_cbranch_execz .LBB92_163
; %bb.162:
	s_clause 0x1
	buffer_load_dword v61, off, s[0:3], 0 offset:80
	buffer_load_dword v62, off, s[0:3], 0 offset:84
	buffer_store_dword v60, off, s[0:3], 0 offset:80
	buffer_store_dword v60, off, s[0:3], 0 offset:84
	s_waitcnt vmcnt(0)
	ds_write_b64 v59, v[61:62]
.LBB92_163:
	s_or_b32 exec_lo, exec_lo, s4
	s_waitcnt lgkmcnt(0)
	s_waitcnt_vscnt null, 0x0
	s_barrier
	buffer_gl0_inv
	s_clause 0x1c
	buffer_load_dword v69, off, s[0:3], 0 offset:88
	buffer_load_dword v70, off, s[0:3], 0 offset:92
	;; [unrolled: 1-line block ×29, first 2 shown]
	ds_read2_b64 v[61:64], v60 offset0:41 offset1:42
	ds_read2_b64 v[65:68], v60 offset0:43 offset1:44
	buffer_load_dword v94, off, s[0:3], 0 offset:204
	s_mov_b32 s4, exec_lo
	s_waitcnt vmcnt(28) lgkmcnt(1)
	v_fma_f64 v[61:62], v[69:70], v[61:62], 0
	s_clause 0x5
	buffer_load_dword v70, off, s[0:3], 0 offset:212
	buffer_load_dword v99, off, s[0:3], 0 offset:224
	;; [unrolled: 1-line block ×6, first 2 shown]
	s_waitcnt vmcnt(32)
	v_fma_f64 v[61:62], v[71:72], v[63:64], v[61:62]
	s_waitcnt vmcnt(30) lgkmcnt(0)
	v_fma_f64 v[61:62], v[73:74], v[65:66], v[61:62]
	s_waitcnt vmcnt(28)
	v_fma_f64 v[71:72], v[75:76], v[67:68], v[61:62]
	ds_read2_b64 v[61:64], v60 offset0:45 offset1:46
	s_clause 0x1
	buffer_load_dword v73, off, s[0:3], 0 offset:80
	buffer_load_dword v74, off, s[0:3], 0 offset:84
	ds_read2_b64 v[65:68], v60 offset0:47 offset1:48
	s_waitcnt vmcnt(28) lgkmcnt(1)
	v_fma_f64 v[61:62], v[77:78], v[61:62], v[71:72]
	s_waitcnt vmcnt(26)
	v_fma_f64 v[61:62], v[79:80], v[63:64], v[61:62]
	s_waitcnt vmcnt(24) lgkmcnt(0)
	v_fma_f64 v[61:62], v[81:82], v[65:66], v[61:62]
	s_waitcnt vmcnt(19)
	v_fma_f64 v[71:72], v[83:84], v[67:68], v[61:62]
	ds_read2_b64 v[61:64], v60 offset0:49 offset1:50
	ds_read2_b64 v[65:68], v60 offset0:51 offset1:52
	s_waitcnt vmcnt(18) lgkmcnt(1)
	v_fma_f64 v[61:62], v[89:90], v[61:62], v[71:72]
	s_waitcnt vmcnt(17)
	v_fma_f64 v[61:62], v[87:88], v[63:64], v[61:62]
	s_waitcnt vmcnt(16) lgkmcnt(0)
	v_fma_f64 v[61:62], v[85:86], v[65:66], v[61:62]
	s_waitcnt vmcnt(11)
	v_fma_f64 v[71:72], v[91:92], v[67:68], v[61:62]
	ds_read2_b64 v[61:64], v60 offset0:53 offset1:54
	;; [unrolled: 10-line block ×3, first 2 shown]
	s_waitcnt vmcnt(3) lgkmcnt(0)
	v_fma_f64 v[60:61], v[101:102], v[60:61], v[64:65]
	s_waitcnt vmcnt(2)
	v_fma_f64 v[60:61], v[99:100], v[62:63], v[60:61]
	s_waitcnt vmcnt(0)
	v_add_f64 v[60:61], v[73:74], -v[60:61]
	buffer_store_dword v61, off, s[0:3], 0 offset:84
	buffer_store_dword v60, off, s[0:3], 0 offset:80
	v_cmpx_lt_u32_e32 9, v0
	s_cbranch_execz .LBB92_165
; %bb.164:
	s_clause 0x1
	buffer_load_dword v60, off, s[0:3], 0 offset:72
	buffer_load_dword v61, off, s[0:3], 0 offset:76
	v_mov_b32_e32 v62, 0
	buffer_store_dword v62, off, s[0:3], 0 offset:72
	buffer_store_dword v62, off, s[0:3], 0 offset:76
	s_waitcnt vmcnt(0)
	ds_write_b64 v59, v[60:61]
.LBB92_165:
	s_or_b32 exec_lo, exec_lo, s4
	s_waitcnt lgkmcnt(0)
	s_waitcnt_vscnt null, 0x0
	s_barrier
	buffer_gl0_inv
	s_clause 0x1c
	buffer_load_dword v69, off, s[0:3], 0 offset:80
	buffer_load_dword v70, off, s[0:3], 0 offset:84
	;; [unrolled: 1-line block ×29, first 2 shown]
	v_mov_b32_e32 v60, 0
	buffer_load_dword v94, off, s[0:3], 0 offset:196
	s_mov_b32 s4, exec_lo
	ds_read_b128 v[61:64], v60 offset:320
	ds_read_b128 v[65:68], v60 offset:336
	s_waitcnt vmcnt(28) lgkmcnt(1)
	v_fma_f64 v[61:62], v[69:70], v[61:62], 0
	s_clause 0x7
	buffer_load_dword v70, off, s[0:3], 0 offset:204
	buffer_load_dword v99, off, s[0:3], 0 offset:224
	;; [unrolled: 1-line block ×8, first 2 shown]
	s_waitcnt vmcnt(34)
	v_fma_f64 v[61:62], v[71:72], v[63:64], v[61:62]
	s_waitcnt vmcnt(32) lgkmcnt(0)
	v_fma_f64 v[61:62], v[73:74], v[65:66], v[61:62]
	s_waitcnt vmcnt(30)
	v_fma_f64 v[71:72], v[75:76], v[67:68], v[61:62]
	ds_read_b128 v[61:64], v60 offset:352
	ds_read_b128 v[65:68], v60 offset:368
	s_waitcnt vmcnt(28) lgkmcnt(1)
	v_fma_f64 v[61:62], v[77:78], v[61:62], v[71:72]
	s_clause 0x1
	buffer_load_dword v71, off, s[0:3], 0 offset:72
	buffer_load_dword v72, off, s[0:3], 0 offset:76
	s_waitcnt vmcnt(28)
	v_fma_f64 v[61:62], v[79:80], v[63:64], v[61:62]
	s_waitcnt vmcnt(26) lgkmcnt(0)
	v_fma_f64 v[61:62], v[81:82], v[65:66], v[61:62]
	s_waitcnt vmcnt(21)
	v_fma_f64 v[73:74], v[83:84], v[67:68], v[61:62]
	ds_read_b128 v[61:64], v60 offset:384
	ds_read_b128 v[65:68], v60 offset:400
	s_waitcnt vmcnt(20) lgkmcnt(1)
	v_fma_f64 v[61:62], v[89:90], v[61:62], v[73:74]
	s_waitcnt vmcnt(19)
	v_fma_f64 v[61:62], v[87:88], v[63:64], v[61:62]
	s_waitcnt vmcnt(18) lgkmcnt(0)
	v_fma_f64 v[61:62], v[85:86], v[65:66], v[61:62]
	s_waitcnt vmcnt(13)
	v_fma_f64 v[73:74], v[91:92], v[67:68], v[61:62]
	ds_read_b128 v[61:64], v60 offset:416
	ds_read_b128 v[65:68], v60 offset:432
	s_waitcnt vmcnt(12) lgkmcnt(1)
	v_fma_f64 v[61:62], v[97:98], v[61:62], v[73:74]
	s_waitcnt vmcnt(11)
	v_fma_f64 v[61:62], v[95:96], v[63:64], v[61:62]
	s_waitcnt vmcnt(10) lgkmcnt(0)
	v_fma_f64 v[61:62], v[93:94], v[65:66], v[61:62]
	s_waitcnt vmcnt(5)
	v_fma_f64 v[65:66], v[69:70], v[67:68], v[61:62]
	ds_read_b128 v[61:64], v60 offset:448
	ds_read_b64 v[67:68], v60 offset:464
	s_waitcnt vmcnt(4) lgkmcnt(1)
	v_fma_f64 v[61:62], v[103:104], v[61:62], v[65:66]
	s_waitcnt vmcnt(3)
	v_fma_f64 v[61:62], v[101:102], v[63:64], v[61:62]
	s_waitcnt vmcnt(2) lgkmcnt(0)
	v_fma_f64 v[61:62], v[99:100], v[67:68], v[61:62]
	s_waitcnt vmcnt(0)
	v_add_f64 v[61:62], v[71:72], -v[61:62]
	buffer_store_dword v62, off, s[0:3], 0 offset:76
	buffer_store_dword v61, off, s[0:3], 0 offset:72
	v_cmpx_lt_u32_e32 8, v0
	s_cbranch_execz .LBB92_167
; %bb.166:
	s_clause 0x1
	buffer_load_dword v61, off, s[0:3], 0 offset:64
	buffer_load_dword v62, off, s[0:3], 0 offset:68
	buffer_store_dword v60, off, s[0:3], 0 offset:64
	buffer_store_dword v60, off, s[0:3], 0 offset:68
	s_waitcnt vmcnt(0)
	ds_write_b64 v59, v[61:62]
.LBB92_167:
	s_or_b32 exec_lo, exec_lo, s4
	s_waitcnt lgkmcnt(0)
	s_waitcnt_vscnt null, 0x0
	s_barrier
	buffer_gl0_inv
	s_clause 0x1c
	buffer_load_dword v69, off, s[0:3], 0 offset:72
	buffer_load_dword v70, off, s[0:3], 0 offset:76
	;; [unrolled: 1-line block ×29, first 2 shown]
	ds_read2_b64 v[61:64], v60 offset0:39 offset1:40
	ds_read2_b64 v[65:68], v60 offset0:41 offset1:42
	buffer_load_dword v94, off, s[0:3], 0 offset:188
	s_mov_b32 s4, exec_lo
	s_waitcnt vmcnt(28) lgkmcnt(1)
	v_fma_f64 v[61:62], v[69:70], v[61:62], 0
	s_clause 0x7
	buffer_load_dword v70, off, s[0:3], 0 offset:196
	buffer_load_dword v99, off, s[0:3], 0 offset:216
	;; [unrolled: 1-line block ×8, first 2 shown]
	s_waitcnt vmcnt(34)
	v_fma_f64 v[61:62], v[71:72], v[63:64], v[61:62]
	s_waitcnt vmcnt(32) lgkmcnt(0)
	v_fma_f64 v[61:62], v[73:74], v[65:66], v[61:62]
	s_waitcnt vmcnt(30)
	v_fma_f64 v[71:72], v[75:76], v[67:68], v[61:62]
	ds_read2_b64 v[61:64], v60 offset0:43 offset1:44
	ds_read2_b64 v[65:68], v60 offset0:45 offset1:46
	s_waitcnt vmcnt(28) lgkmcnt(1)
	v_fma_f64 v[61:62], v[77:78], v[61:62], v[71:72]
	s_clause 0x3
	buffer_load_dword v72, off, s[0:3], 0 offset:228
	buffer_load_dword v71, off, s[0:3], 0 offset:224
	;; [unrolled: 1-line block ×4, first 2 shown]
	s_waitcnt vmcnt(30)
	v_fma_f64 v[61:62], v[79:80], v[63:64], v[61:62]
	s_waitcnt vmcnt(28) lgkmcnt(0)
	v_fma_f64 v[61:62], v[81:82], v[65:66], v[61:62]
	s_waitcnt vmcnt(23)
	v_fma_f64 v[75:76], v[83:84], v[67:68], v[61:62]
	ds_read2_b64 v[61:64], v60 offset0:47 offset1:48
	ds_read2_b64 v[65:68], v60 offset0:49 offset1:50
	s_waitcnt vmcnt(22) lgkmcnt(1)
	v_fma_f64 v[61:62], v[89:90], v[61:62], v[75:76]
	s_waitcnt vmcnt(21)
	v_fma_f64 v[61:62], v[87:88], v[63:64], v[61:62]
	s_waitcnt vmcnt(20) lgkmcnt(0)
	v_fma_f64 v[61:62], v[85:86], v[65:66], v[61:62]
	s_waitcnt vmcnt(15)
	v_fma_f64 v[75:76], v[91:92], v[67:68], v[61:62]
	ds_read2_b64 v[61:64], v60 offset0:51 offset1:52
	ds_read2_b64 v[65:68], v60 offset0:53 offset1:54
	s_waitcnt vmcnt(14) lgkmcnt(1)
	v_fma_f64 v[61:62], v[97:98], v[61:62], v[75:76]
	;; [unrolled: 10-line block ×3, first 2 shown]
	s_waitcnt vmcnt(5)
	v_fma_f64 v[60:61], v[101:102], v[63:64], v[60:61]
	s_waitcnt vmcnt(4) lgkmcnt(0)
	v_fma_f64 v[60:61], v[99:100], v[65:66], v[60:61]
	s_waitcnt vmcnt(2)
	v_fma_f64 v[60:61], v[71:72], v[67:68], v[60:61]
	s_waitcnt vmcnt(0)
	v_add_f64 v[60:61], v[73:74], -v[60:61]
	buffer_store_dword v61, off, s[0:3], 0 offset:68
	buffer_store_dword v60, off, s[0:3], 0 offset:64
	v_cmpx_lt_u32_e32 7, v0
	s_cbranch_execz .LBB92_169
; %bb.168:
	s_clause 0x1
	buffer_load_dword v60, off, s[0:3], 0 offset:56
	buffer_load_dword v61, off, s[0:3], 0 offset:60
	v_mov_b32_e32 v62, 0
	buffer_store_dword v62, off, s[0:3], 0 offset:56
	buffer_store_dword v62, off, s[0:3], 0 offset:60
	s_waitcnt vmcnt(0)
	ds_write_b64 v59, v[60:61]
.LBB92_169:
	s_or_b32 exec_lo, exec_lo, s4
	s_waitcnt lgkmcnt(0)
	s_waitcnt_vscnt null, 0x0
	s_barrier
	buffer_gl0_inv
	s_clause 0x1c
	buffer_load_dword v69, off, s[0:3], 0 offset:64
	buffer_load_dword v70, off, s[0:3], 0 offset:68
	;; [unrolled: 1-line block ×29, first 2 shown]
	v_mov_b32_e32 v60, 0
	buffer_load_dword v94, off, s[0:3], 0 offset:180
	s_mov_b32 s4, exec_lo
	ds_read_b128 v[61:64], v60 offset:304
	ds_read_b128 v[65:68], v60 offset:320
	s_waitcnt vmcnt(28) lgkmcnt(1)
	v_fma_f64 v[61:62], v[69:70], v[61:62], 0
	s_clause 0x7
	buffer_load_dword v70, off, s[0:3], 0 offset:188
	buffer_load_dword v99, off, s[0:3], 0 offset:208
	;; [unrolled: 1-line block ×8, first 2 shown]
	s_waitcnt vmcnt(34)
	v_fma_f64 v[61:62], v[71:72], v[63:64], v[61:62]
	s_waitcnt vmcnt(32) lgkmcnt(0)
	v_fma_f64 v[61:62], v[73:74], v[65:66], v[61:62]
	s_waitcnt vmcnt(30)
	v_fma_f64 v[71:72], v[75:76], v[67:68], v[61:62]
	ds_read_b128 v[61:64], v60 offset:336
	ds_read_b128 v[65:68], v60 offset:352
	s_waitcnt vmcnt(28) lgkmcnt(1)
	v_fma_f64 v[61:62], v[77:78], v[61:62], v[71:72]
	s_clause 0x5
	buffer_load_dword v72, off, s[0:3], 0 offset:220
	buffer_load_dword v73, off, s[0:3], 0 offset:224
	;; [unrolled: 1-line block ×6, first 2 shown]
	s_waitcnt vmcnt(32)
	v_fma_f64 v[61:62], v[79:80], v[63:64], v[61:62]
	s_waitcnt vmcnt(30) lgkmcnt(0)
	v_fma_f64 v[61:62], v[81:82], v[65:66], v[61:62]
	s_waitcnt vmcnt(25)
	v_fma_f64 v[77:78], v[83:84], v[67:68], v[61:62]
	ds_read_b128 v[61:64], v60 offset:368
	ds_read_b128 v[65:68], v60 offset:384
	s_waitcnt vmcnt(24) lgkmcnt(1)
	v_fma_f64 v[61:62], v[89:90], v[61:62], v[77:78]
	s_waitcnt vmcnt(23)
	v_fma_f64 v[61:62], v[87:88], v[63:64], v[61:62]
	s_waitcnt vmcnt(22) lgkmcnt(0)
	v_fma_f64 v[61:62], v[85:86], v[65:66], v[61:62]
	s_waitcnt vmcnt(17)
	v_fma_f64 v[77:78], v[91:92], v[67:68], v[61:62]
	ds_read_b128 v[61:64], v60 offset:400
	ds_read_b128 v[65:68], v60 offset:416
	s_waitcnt vmcnt(16) lgkmcnt(1)
	v_fma_f64 v[61:62], v[97:98], v[61:62], v[77:78]
	;; [unrolled: 10-line block ×3, first 2 shown]
	s_waitcnt vmcnt(7)
	v_fma_f64 v[61:62], v[101:102], v[63:64], v[61:62]
	ds_read_b64 v[63:64], v60 offset:464
	s_waitcnt vmcnt(6) lgkmcnt(1)
	v_fma_f64 v[61:62], v[99:100], v[65:66], v[61:62]
	s_waitcnt vmcnt(3)
	v_fma_f64 v[61:62], v[71:72], v[67:68], v[61:62]
	s_waitcnt vmcnt(2) lgkmcnt(0)
	v_fma_f64 v[61:62], v[73:74], v[63:64], v[61:62]
	s_waitcnt vmcnt(0)
	v_add_f64 v[61:62], v[75:76], -v[61:62]
	buffer_store_dword v62, off, s[0:3], 0 offset:60
	buffer_store_dword v61, off, s[0:3], 0 offset:56
	v_cmpx_lt_u32_e32 6, v0
	s_cbranch_execz .LBB92_171
; %bb.170:
	s_clause 0x1
	buffer_load_dword v61, off, s[0:3], 0 offset:48
	buffer_load_dword v62, off, s[0:3], 0 offset:52
	buffer_store_dword v60, off, s[0:3], 0 offset:48
	buffer_store_dword v60, off, s[0:3], 0 offset:52
	s_waitcnt vmcnt(0)
	ds_write_b64 v59, v[61:62]
.LBB92_171:
	s_or_b32 exec_lo, exec_lo, s4
	s_waitcnt lgkmcnt(0)
	s_waitcnt_vscnt null, 0x0
	s_barrier
	buffer_gl0_inv
	s_clause 0x1c
	buffer_load_dword v69, off, s[0:3], 0 offset:56
	buffer_load_dword v70, off, s[0:3], 0 offset:60
	;; [unrolled: 1-line block ×29, first 2 shown]
	ds_read2_b64 v[61:64], v60 offset0:37 offset1:38
	ds_read2_b64 v[65:68], v60 offset0:39 offset1:40
	buffer_load_dword v94, off, s[0:3], 0 offset:172
	s_mov_b32 s4, exec_lo
	s_waitcnt vmcnt(28) lgkmcnt(1)
	v_fma_f64 v[61:62], v[69:70], v[61:62], 0
	s_clause 0x7
	buffer_load_dword v70, off, s[0:3], 0 offset:180
	buffer_load_dword v99, off, s[0:3], 0 offset:200
	;; [unrolled: 1-line block ×8, first 2 shown]
	s_waitcnt vmcnt(34)
	v_fma_f64 v[61:62], v[71:72], v[63:64], v[61:62]
	s_waitcnt vmcnt(32) lgkmcnt(0)
	v_fma_f64 v[61:62], v[73:74], v[65:66], v[61:62]
	s_waitcnt vmcnt(30)
	v_fma_f64 v[71:72], v[75:76], v[67:68], v[61:62]
	ds_read2_b64 v[61:64], v60 offset0:41 offset1:42
	ds_read2_b64 v[65:68], v60 offset0:43 offset1:44
	s_waitcnt vmcnt(28) lgkmcnt(1)
	v_fma_f64 v[61:62], v[77:78], v[61:62], v[71:72]
	s_clause 0x5
	buffer_load_dword v72, off, s[0:3], 0 offset:212
	buffer_load_dword v73, off, s[0:3], 0 offset:224
	;; [unrolled: 1-line block ×6, first 2 shown]
	s_waitcnt vmcnt(32)
	v_fma_f64 v[61:62], v[79:80], v[63:64], v[61:62]
	s_waitcnt vmcnt(30) lgkmcnt(0)
	v_fma_f64 v[61:62], v[81:82], v[65:66], v[61:62]
	s_waitcnt vmcnt(25)
	v_fma_f64 v[77:78], v[83:84], v[67:68], v[61:62]
	ds_read2_b64 v[61:64], v60 offset0:45 offset1:46
	s_clause 0x1
	buffer_load_dword v79, off, s[0:3], 0 offset:48
	buffer_load_dword v80, off, s[0:3], 0 offset:52
	ds_read2_b64 v[65:68], v60 offset0:47 offset1:48
	s_waitcnt vmcnt(26) lgkmcnt(1)
	v_fma_f64 v[61:62], v[89:90], v[61:62], v[77:78]
	s_waitcnt vmcnt(25)
	v_fma_f64 v[61:62], v[87:88], v[63:64], v[61:62]
	s_waitcnt vmcnt(24) lgkmcnt(0)
	v_fma_f64 v[61:62], v[85:86], v[65:66], v[61:62]
	s_waitcnt vmcnt(19)
	v_fma_f64 v[77:78], v[91:92], v[67:68], v[61:62]
	ds_read2_b64 v[61:64], v60 offset0:49 offset1:50
	ds_read2_b64 v[65:68], v60 offset0:51 offset1:52
	s_waitcnt vmcnt(18) lgkmcnt(1)
	v_fma_f64 v[61:62], v[97:98], v[61:62], v[77:78]
	s_waitcnt vmcnt(17)
	v_fma_f64 v[61:62], v[95:96], v[63:64], v[61:62]
	s_waitcnt vmcnt(16) lgkmcnt(0)
	v_fma_f64 v[61:62], v[93:94], v[65:66], v[61:62]
	s_waitcnt vmcnt(11)
	v_fma_f64 v[69:70], v[69:70], v[67:68], v[61:62]
	ds_read2_b64 v[61:64], v60 offset0:53 offset1:54
	;; [unrolled: 10-line block ×3, first 2 shown]
	s_waitcnt vmcnt(3) lgkmcnt(0)
	v_fma_f64 v[60:61], v[75:76], v[60:61], v[64:65]
	s_waitcnt vmcnt(2)
	v_fma_f64 v[60:61], v[73:74], v[62:63], v[60:61]
	s_waitcnt vmcnt(0)
	v_add_f64 v[60:61], v[79:80], -v[60:61]
	buffer_store_dword v61, off, s[0:3], 0 offset:52
	buffer_store_dword v60, off, s[0:3], 0 offset:48
	v_cmpx_lt_u32_e32 5, v0
	s_cbranch_execz .LBB92_173
; %bb.172:
	s_clause 0x1
	buffer_load_dword v60, off, s[0:3], 0 offset:40
	buffer_load_dword v61, off, s[0:3], 0 offset:44
	v_mov_b32_e32 v62, 0
	buffer_store_dword v62, off, s[0:3], 0 offset:40
	buffer_store_dword v62, off, s[0:3], 0 offset:44
	s_waitcnt vmcnt(0)
	ds_write_b64 v59, v[60:61]
.LBB92_173:
	s_or_b32 exec_lo, exec_lo, s4
	s_waitcnt lgkmcnt(0)
	s_waitcnt_vscnt null, 0x0
	s_barrier
	buffer_gl0_inv
	s_clause 0x1c
	buffer_load_dword v69, off, s[0:3], 0 offset:48
	buffer_load_dword v70, off, s[0:3], 0 offset:52
	;; [unrolled: 1-line block ×29, first 2 shown]
	v_mov_b32_e32 v60, 0
	buffer_load_dword v94, off, s[0:3], 0 offset:164
	s_mov_b32 s4, exec_lo
	ds_read_b128 v[61:64], v60 offset:288
	ds_read_b128 v[65:68], v60 offset:304
	s_waitcnt vmcnt(28) lgkmcnt(1)
	v_fma_f64 v[61:62], v[69:70], v[61:62], 0
	s_clause 0x7
	buffer_load_dword v70, off, s[0:3], 0 offset:172
	buffer_load_dword v99, off, s[0:3], 0 offset:192
	;; [unrolled: 1-line block ×8, first 2 shown]
	s_waitcnt vmcnt(34)
	v_fma_f64 v[61:62], v[71:72], v[63:64], v[61:62]
	s_waitcnt vmcnt(32) lgkmcnt(0)
	v_fma_f64 v[61:62], v[73:74], v[65:66], v[61:62]
	s_waitcnt vmcnt(30)
	v_fma_f64 v[71:72], v[75:76], v[67:68], v[61:62]
	ds_read_b128 v[61:64], v60 offset:320
	ds_read_b128 v[65:68], v60 offset:336
	s_waitcnt vmcnt(28) lgkmcnt(1)
	v_fma_f64 v[61:62], v[77:78], v[61:62], v[71:72]
	s_clause 0x7
	buffer_load_dword v72, off, s[0:3], 0 offset:204
	buffer_load_dword v73, off, s[0:3], 0 offset:224
	;; [unrolled: 1-line block ×8, first 2 shown]
	s_waitcnt vmcnt(34)
	v_fma_f64 v[61:62], v[79:80], v[63:64], v[61:62]
	s_waitcnt vmcnt(32) lgkmcnt(0)
	v_fma_f64 v[61:62], v[81:82], v[65:66], v[61:62]
	s_waitcnt vmcnt(27)
	v_fma_f64 v[79:80], v[83:84], v[67:68], v[61:62]
	ds_read_b128 v[61:64], v60 offset:352
	ds_read_b128 v[65:68], v60 offset:368
	s_waitcnt vmcnt(26) lgkmcnt(1)
	v_fma_f64 v[61:62], v[89:90], v[61:62], v[79:80]
	s_clause 0x1
	buffer_load_dword v79, off, s[0:3], 0 offset:40
	buffer_load_dword v80, off, s[0:3], 0 offset:44
	s_waitcnt vmcnt(27)
	v_fma_f64 v[61:62], v[87:88], v[63:64], v[61:62]
	s_waitcnt vmcnt(26) lgkmcnt(0)
	v_fma_f64 v[61:62], v[85:86], v[65:66], v[61:62]
	s_waitcnt vmcnt(21)
	v_fma_f64 v[81:82], v[91:92], v[67:68], v[61:62]
	ds_read_b128 v[61:64], v60 offset:384
	ds_read_b128 v[65:68], v60 offset:400
	s_waitcnt vmcnt(20) lgkmcnt(1)
	v_fma_f64 v[61:62], v[97:98], v[61:62], v[81:82]
	s_waitcnt vmcnt(19)
	v_fma_f64 v[61:62], v[95:96], v[63:64], v[61:62]
	s_waitcnt vmcnt(18) lgkmcnt(0)
	v_fma_f64 v[61:62], v[93:94], v[65:66], v[61:62]
	s_waitcnt vmcnt(13)
	v_fma_f64 v[69:70], v[69:70], v[67:68], v[61:62]
	ds_read_b128 v[61:64], v60 offset:416
	ds_read_b128 v[65:68], v60 offset:432
	s_waitcnt vmcnt(12) lgkmcnt(1)
	v_fma_f64 v[61:62], v[103:104], v[61:62], v[69:70]
	s_waitcnt vmcnt(11)
	v_fma_f64 v[61:62], v[101:102], v[63:64], v[61:62]
	s_waitcnt vmcnt(10) lgkmcnt(0)
	v_fma_f64 v[61:62], v[99:100], v[65:66], v[61:62]
	s_waitcnt vmcnt(5)
	v_fma_f64 v[65:66], v[71:72], v[67:68], v[61:62]
	ds_read_b128 v[61:64], v60 offset:448
	ds_read_b64 v[67:68], v60 offset:464
	s_waitcnt vmcnt(4) lgkmcnt(1)
	v_fma_f64 v[61:62], v[77:78], v[61:62], v[65:66]
	s_waitcnt vmcnt(3)
	v_fma_f64 v[61:62], v[75:76], v[63:64], v[61:62]
	s_waitcnt vmcnt(2) lgkmcnt(0)
	v_fma_f64 v[61:62], v[73:74], v[67:68], v[61:62]
	s_waitcnt vmcnt(0)
	v_add_f64 v[61:62], v[79:80], -v[61:62]
	buffer_store_dword v62, off, s[0:3], 0 offset:44
	buffer_store_dword v61, off, s[0:3], 0 offset:40
	v_cmpx_lt_u32_e32 4, v0
	s_cbranch_execz .LBB92_175
; %bb.174:
	s_clause 0x1
	buffer_load_dword v61, off, s[0:3], 0 offset:32
	buffer_load_dword v62, off, s[0:3], 0 offset:36
	buffer_store_dword v60, off, s[0:3], 0 offset:32
	buffer_store_dword v60, off, s[0:3], 0 offset:36
	s_waitcnt vmcnt(0)
	ds_write_b64 v59, v[61:62]
.LBB92_175:
	s_or_b32 exec_lo, exec_lo, s4
	s_waitcnt lgkmcnt(0)
	s_waitcnt_vscnt null, 0x0
	s_barrier
	buffer_gl0_inv
	s_clause 0x1c
	buffer_load_dword v69, off, s[0:3], 0 offset:40
	buffer_load_dword v70, off, s[0:3], 0 offset:44
	buffer_load_dword v71, off, s[0:3], 0 offset:48
	buffer_load_dword v72, off, s[0:3], 0 offset:52
	buffer_load_dword v73, off, s[0:3], 0 offset:56
	buffer_load_dword v74, off, s[0:3], 0 offset:60
	buffer_load_dword v75, off, s[0:3], 0 offset:64
	buffer_load_dword v76, off, s[0:3], 0 offset:68
	buffer_load_dword v77, off, s[0:3], 0 offset:72
	buffer_load_dword v78, off, s[0:3], 0 offset:76
	buffer_load_dword v79, off, s[0:3], 0 offset:80
	buffer_load_dword v80, off, s[0:3], 0 offset:84
	buffer_load_dword v81, off, s[0:3], 0 offset:88
	buffer_load_dword v82, off, s[0:3], 0 offset:92
	buffer_load_dword v84, off, s[0:3], 0 offset:100
	buffer_load_dword v85, off, s[0:3], 0 offset:120
	buffer_load_dword v87, off, s[0:3], 0 offset:112
	buffer_load_dword v89, off, s[0:3], 0 offset:104
	buffer_load_dword v83, off, s[0:3], 0 offset:96
	buffer_load_dword v90, off, s[0:3], 0 offset:108
	buffer_load_dword v88, off, s[0:3], 0 offset:116
	buffer_load_dword v86, off, s[0:3], 0 offset:124
	buffer_load_dword v92, off, s[0:3], 0 offset:132
	buffer_load_dword v93, off, s[0:3], 0 offset:152
	buffer_load_dword v95, off, s[0:3], 0 offset:144
	buffer_load_dword v97, off, s[0:3], 0 offset:136
	buffer_load_dword v91, off, s[0:3], 0 offset:128
	buffer_load_dword v98, off, s[0:3], 0 offset:140
	buffer_load_dword v96, off, s[0:3], 0 offset:148
	ds_read2_b64 v[61:64], v60 offset0:35 offset1:36
	ds_read2_b64 v[65:68], v60 offset0:37 offset1:38
	buffer_load_dword v94, off, s[0:3], 0 offset:156
	s_mov_b32 s4, exec_lo
	s_waitcnt vmcnt(28) lgkmcnt(1)
	v_fma_f64 v[61:62], v[69:70], v[61:62], 0
	s_clause 0x7
	buffer_load_dword v70, off, s[0:3], 0 offset:164
	buffer_load_dword v99, off, s[0:3], 0 offset:184
	;; [unrolled: 1-line block ×8, first 2 shown]
	s_waitcnt vmcnt(34)
	v_fma_f64 v[61:62], v[71:72], v[63:64], v[61:62]
	s_waitcnt vmcnt(32) lgkmcnt(0)
	v_fma_f64 v[61:62], v[73:74], v[65:66], v[61:62]
	s_waitcnt vmcnt(30)
	v_fma_f64 v[71:72], v[75:76], v[67:68], v[61:62]
	ds_read2_b64 v[61:64], v60 offset0:39 offset1:40
	ds_read2_b64 v[65:68], v60 offset0:41 offset1:42
	s_waitcnt vmcnt(28) lgkmcnt(1)
	v_fma_f64 v[61:62], v[77:78], v[61:62], v[71:72]
	s_clause 0x7
	buffer_load_dword v72, off, s[0:3], 0 offset:196
	buffer_load_dword v73, off, s[0:3], 0 offset:216
	;; [unrolled: 1-line block ×8, first 2 shown]
	s_waitcnt vmcnt(34)
	v_fma_f64 v[61:62], v[79:80], v[63:64], v[61:62]
	s_waitcnt vmcnt(32) lgkmcnt(0)
	v_fma_f64 v[61:62], v[81:82], v[65:66], v[61:62]
	s_waitcnt vmcnt(27)
	v_fma_f64 v[79:80], v[83:84], v[67:68], v[61:62]
	ds_read2_b64 v[61:64], v60 offset0:43 offset1:44
	ds_read2_b64 v[65:68], v60 offset0:45 offset1:46
	s_waitcnt vmcnt(26) lgkmcnt(1)
	v_fma_f64 v[61:62], v[89:90], v[61:62], v[79:80]
	s_clause 0x3
	buffer_load_dword v80, off, s[0:3], 0 offset:228
	buffer_load_dword v79, off, s[0:3], 0 offset:224
	;; [unrolled: 1-line block ×4, first 2 shown]
	s_waitcnt vmcnt(29)
	v_fma_f64 v[61:62], v[87:88], v[63:64], v[61:62]
	s_waitcnt vmcnt(28) lgkmcnt(0)
	v_fma_f64 v[61:62], v[85:86], v[65:66], v[61:62]
	s_waitcnt vmcnt(23)
	v_fma_f64 v[83:84], v[91:92], v[67:68], v[61:62]
	ds_read2_b64 v[61:64], v60 offset0:47 offset1:48
	ds_read2_b64 v[65:68], v60 offset0:49 offset1:50
	s_waitcnt vmcnt(22) lgkmcnt(1)
	v_fma_f64 v[61:62], v[97:98], v[61:62], v[83:84]
	s_waitcnt vmcnt(21)
	v_fma_f64 v[61:62], v[95:96], v[63:64], v[61:62]
	s_waitcnt vmcnt(20) lgkmcnt(0)
	v_fma_f64 v[61:62], v[93:94], v[65:66], v[61:62]
	s_waitcnt vmcnt(15)
	v_fma_f64 v[69:70], v[69:70], v[67:68], v[61:62]
	ds_read2_b64 v[61:64], v60 offset0:51 offset1:52
	ds_read2_b64 v[65:68], v60 offset0:53 offset1:54
	s_waitcnt vmcnt(14) lgkmcnt(1)
	v_fma_f64 v[61:62], v[103:104], v[61:62], v[69:70]
	;; [unrolled: 10-line block ×3, first 2 shown]
	s_waitcnt vmcnt(5)
	v_fma_f64 v[60:61], v[75:76], v[63:64], v[60:61]
	s_waitcnt vmcnt(4) lgkmcnt(0)
	v_fma_f64 v[60:61], v[73:74], v[65:66], v[60:61]
	s_waitcnt vmcnt(2)
	v_fma_f64 v[60:61], v[79:80], v[67:68], v[60:61]
	s_waitcnt vmcnt(0)
	v_add_f64 v[60:61], v[81:82], -v[60:61]
	buffer_store_dword v61, off, s[0:3], 0 offset:36
	buffer_store_dword v60, off, s[0:3], 0 offset:32
	v_cmpx_lt_u32_e32 3, v0
	s_cbranch_execz .LBB92_177
; %bb.176:
	s_clause 0x1
	buffer_load_dword v60, off, s[0:3], 0 offset:24
	buffer_load_dword v61, off, s[0:3], 0 offset:28
	v_mov_b32_e32 v62, 0
	buffer_store_dword v62, off, s[0:3], 0 offset:24
	buffer_store_dword v62, off, s[0:3], 0 offset:28
	s_waitcnt vmcnt(0)
	ds_write_b64 v59, v[60:61]
.LBB92_177:
	s_or_b32 exec_lo, exec_lo, s4
	s_waitcnt lgkmcnt(0)
	s_waitcnt_vscnt null, 0x0
	s_barrier
	buffer_gl0_inv
	s_clause 0x1c
	buffer_load_dword v69, off, s[0:3], 0 offset:32
	buffer_load_dword v70, off, s[0:3], 0 offset:36
	;; [unrolled: 1-line block ×29, first 2 shown]
	v_mov_b32_e32 v60, 0
	buffer_load_dword v94, off, s[0:3], 0 offset:148
	s_mov_b32 s4, exec_lo
	ds_read_b128 v[61:64], v60 offset:272
	ds_read_b128 v[65:68], v60 offset:288
	s_waitcnt vmcnt(28) lgkmcnt(1)
	v_fma_f64 v[61:62], v[69:70], v[61:62], 0
	s_clause 0x7
	buffer_load_dword v70, off, s[0:3], 0 offset:156
	buffer_load_dword v99, off, s[0:3], 0 offset:176
	;; [unrolled: 1-line block ×8, first 2 shown]
	s_waitcnt vmcnt(34)
	v_fma_f64 v[61:62], v[71:72], v[63:64], v[61:62]
	s_waitcnt vmcnt(32) lgkmcnt(0)
	v_fma_f64 v[61:62], v[73:74], v[65:66], v[61:62]
	s_waitcnt vmcnt(30)
	v_fma_f64 v[71:72], v[75:76], v[67:68], v[61:62]
	ds_read_b128 v[61:64], v60 offset:304
	ds_read_b128 v[65:68], v60 offset:320
	s_waitcnt vmcnt(28) lgkmcnt(1)
	v_fma_f64 v[61:62], v[77:78], v[61:62], v[71:72]
	s_clause 0x7
	buffer_load_dword v72, off, s[0:3], 0 offset:188
	buffer_load_dword v73, off, s[0:3], 0 offset:208
	buffer_load_dword v75, off, s[0:3], 0 offset:200
	buffer_load_dword v77, off, s[0:3], 0 offset:192
	buffer_load_dword v71, off, s[0:3], 0 offset:184
	buffer_load_dword v78, off, s[0:3], 0 offset:196
	buffer_load_dword v76, off, s[0:3], 0 offset:204
	buffer_load_dword v74, off, s[0:3], 0 offset:212
	s_waitcnt vmcnt(34)
	v_fma_f64 v[61:62], v[79:80], v[63:64], v[61:62]
	s_waitcnt vmcnt(32) lgkmcnt(0)
	v_fma_f64 v[61:62], v[81:82], v[65:66], v[61:62]
	s_waitcnt vmcnt(27)
	v_fma_f64 v[79:80], v[83:84], v[67:68], v[61:62]
	ds_read_b128 v[61:64], v60 offset:336
	ds_read_b128 v[65:68], v60 offset:352
	s_waitcnt vmcnt(26) lgkmcnt(1)
	v_fma_f64 v[61:62], v[89:90], v[61:62], v[79:80]
	s_clause 0x5
	buffer_load_dword v80, off, s[0:3], 0 offset:220
	buffer_load_dword v81, off, s[0:3], 0 offset:224
	;; [unrolled: 1-line block ×6, first 2 shown]
	s_waitcnt vmcnt(31)
	v_fma_f64 v[61:62], v[87:88], v[63:64], v[61:62]
	s_waitcnt vmcnt(30) lgkmcnt(0)
	v_fma_f64 v[61:62], v[85:86], v[65:66], v[61:62]
	s_waitcnt vmcnt(25)
	v_fma_f64 v[85:86], v[91:92], v[67:68], v[61:62]
	ds_read_b128 v[61:64], v60 offset:368
	ds_read_b128 v[65:68], v60 offset:384
	s_waitcnt vmcnt(24) lgkmcnt(1)
	v_fma_f64 v[61:62], v[97:98], v[61:62], v[85:86]
	s_waitcnt vmcnt(23)
	v_fma_f64 v[61:62], v[95:96], v[63:64], v[61:62]
	s_waitcnt vmcnt(22) lgkmcnt(0)
	v_fma_f64 v[61:62], v[93:94], v[65:66], v[61:62]
	s_waitcnt vmcnt(17)
	v_fma_f64 v[69:70], v[69:70], v[67:68], v[61:62]
	ds_read_b128 v[61:64], v60 offset:400
	ds_read_b128 v[65:68], v60 offset:416
	s_waitcnt vmcnt(16) lgkmcnt(1)
	v_fma_f64 v[61:62], v[103:104], v[61:62], v[69:70]
	;; [unrolled: 10-line block ×3, first 2 shown]
	s_waitcnt vmcnt(7)
	v_fma_f64 v[61:62], v[75:76], v[63:64], v[61:62]
	ds_read_b64 v[63:64], v60 offset:464
	s_waitcnt vmcnt(6) lgkmcnt(1)
	v_fma_f64 v[61:62], v[73:74], v[65:66], v[61:62]
	s_waitcnt vmcnt(3)
	v_fma_f64 v[61:62], v[79:80], v[67:68], v[61:62]
	s_waitcnt vmcnt(2) lgkmcnt(0)
	v_fma_f64 v[61:62], v[81:82], v[63:64], v[61:62]
	s_waitcnt vmcnt(0)
	v_add_f64 v[61:62], v[83:84], -v[61:62]
	buffer_store_dword v62, off, s[0:3], 0 offset:28
	buffer_store_dword v61, off, s[0:3], 0 offset:24
	v_cmpx_lt_u32_e32 2, v0
	s_cbranch_execz .LBB92_179
; %bb.178:
	s_clause 0x1
	buffer_load_dword v61, off, s[0:3], 0 offset:16
	buffer_load_dword v62, off, s[0:3], 0 offset:20
	buffer_store_dword v60, off, s[0:3], 0 offset:16
	buffer_store_dword v60, off, s[0:3], 0 offset:20
	s_waitcnt vmcnt(0)
	ds_write_b64 v59, v[61:62]
.LBB92_179:
	s_or_b32 exec_lo, exec_lo, s4
	s_waitcnt lgkmcnt(0)
	s_waitcnt_vscnt null, 0x0
	s_barrier
	buffer_gl0_inv
	s_clause 0x1c
	buffer_load_dword v69, off, s[0:3], 0 offset:24
	buffer_load_dword v70, off, s[0:3], 0 offset:28
	;; [unrolled: 1-line block ×29, first 2 shown]
	ds_read2_b64 v[61:64], v60 offset0:33 offset1:34
	ds_read2_b64 v[65:68], v60 offset0:35 offset1:36
	buffer_load_dword v94, off, s[0:3], 0 offset:140
	s_mov_b32 s4, exec_lo
	s_waitcnt vmcnt(28) lgkmcnt(1)
	v_fma_f64 v[61:62], v[69:70], v[61:62], 0
	s_clause 0x7
	buffer_load_dword v70, off, s[0:3], 0 offset:148
	buffer_load_dword v99, off, s[0:3], 0 offset:168
	;; [unrolled: 1-line block ×8, first 2 shown]
	s_waitcnt vmcnt(34)
	v_fma_f64 v[61:62], v[71:72], v[63:64], v[61:62]
	s_waitcnt vmcnt(32) lgkmcnt(0)
	v_fma_f64 v[61:62], v[73:74], v[65:66], v[61:62]
	s_waitcnt vmcnt(30)
	v_fma_f64 v[71:72], v[75:76], v[67:68], v[61:62]
	ds_read2_b64 v[61:64], v60 offset0:37 offset1:38
	ds_read2_b64 v[65:68], v60 offset0:39 offset1:40
	s_waitcnt vmcnt(28) lgkmcnt(1)
	v_fma_f64 v[61:62], v[77:78], v[61:62], v[71:72]
	s_clause 0x7
	buffer_load_dword v72, off, s[0:3], 0 offset:180
	buffer_load_dword v73, off, s[0:3], 0 offset:200
	;; [unrolled: 1-line block ×8, first 2 shown]
	s_waitcnt vmcnt(34)
	v_fma_f64 v[61:62], v[79:80], v[63:64], v[61:62]
	s_waitcnt vmcnt(32) lgkmcnt(0)
	v_fma_f64 v[61:62], v[81:82], v[65:66], v[61:62]
	s_waitcnt vmcnt(27)
	v_fma_f64 v[79:80], v[83:84], v[67:68], v[61:62]
	ds_read2_b64 v[61:64], v60 offset0:41 offset1:42
	ds_read2_b64 v[65:68], v60 offset0:43 offset1:44
	s_waitcnt vmcnt(26) lgkmcnt(1)
	v_fma_f64 v[61:62], v[89:90], v[61:62], v[79:80]
	s_clause 0x5
	buffer_load_dword v80, off, s[0:3], 0 offset:212
	buffer_load_dword v81, off, s[0:3], 0 offset:224
	;; [unrolled: 1-line block ×6, first 2 shown]
	s_waitcnt vmcnt(31)
	v_fma_f64 v[61:62], v[87:88], v[63:64], v[61:62]
	s_waitcnt vmcnt(30) lgkmcnt(0)
	v_fma_f64 v[61:62], v[85:86], v[65:66], v[61:62]
	s_waitcnt vmcnt(25)
	v_fma_f64 v[85:86], v[91:92], v[67:68], v[61:62]
	ds_read2_b64 v[61:64], v60 offset0:45 offset1:46
	s_clause 0x1
	buffer_load_dword v87, off, s[0:3], 0 offset:16
	buffer_load_dword v88, off, s[0:3], 0 offset:20
	ds_read2_b64 v[65:68], v60 offset0:47 offset1:48
	s_waitcnt vmcnt(26) lgkmcnt(1)
	v_fma_f64 v[61:62], v[97:98], v[61:62], v[85:86]
	s_waitcnt vmcnt(25)
	v_fma_f64 v[61:62], v[95:96], v[63:64], v[61:62]
	s_waitcnt vmcnt(24) lgkmcnt(0)
	v_fma_f64 v[61:62], v[93:94], v[65:66], v[61:62]
	s_waitcnt vmcnt(19)
	v_fma_f64 v[69:70], v[69:70], v[67:68], v[61:62]
	ds_read2_b64 v[61:64], v60 offset0:49 offset1:50
	ds_read2_b64 v[65:68], v60 offset0:51 offset1:52
	s_waitcnt vmcnt(18) lgkmcnt(1)
	v_fma_f64 v[61:62], v[103:104], v[61:62], v[69:70]
	s_waitcnt vmcnt(17)
	v_fma_f64 v[61:62], v[101:102], v[63:64], v[61:62]
	s_waitcnt vmcnt(16) lgkmcnt(0)
	v_fma_f64 v[61:62], v[99:100], v[65:66], v[61:62]
	s_waitcnt vmcnt(11)
	v_fma_f64 v[69:70], v[71:72], v[67:68], v[61:62]
	ds_read2_b64 v[61:64], v60 offset0:53 offset1:54
	;; [unrolled: 10-line block ×3, first 2 shown]
	s_waitcnt vmcnt(3) lgkmcnt(0)
	v_fma_f64 v[60:61], v[83:84], v[60:61], v[64:65]
	s_waitcnt vmcnt(2)
	v_fma_f64 v[60:61], v[81:82], v[62:63], v[60:61]
	s_waitcnt vmcnt(0)
	v_add_f64 v[60:61], v[87:88], -v[60:61]
	buffer_store_dword v61, off, s[0:3], 0 offset:20
	buffer_store_dword v60, off, s[0:3], 0 offset:16
	v_cmpx_lt_u32_e32 1, v0
	s_cbranch_execz .LBB92_181
; %bb.180:
	s_clause 0x1
	buffer_load_dword v60, off, s[0:3], 0 offset:8
	buffer_load_dword v61, off, s[0:3], 0 offset:12
	v_mov_b32_e32 v62, 0
	buffer_store_dword v62, off, s[0:3], 0 offset:8
	buffer_store_dword v62, off, s[0:3], 0 offset:12
	s_waitcnt vmcnt(0)
	ds_write_b64 v59, v[60:61]
.LBB92_181:
	s_or_b32 exec_lo, exec_lo, s4
	s_waitcnt lgkmcnt(0)
	s_waitcnt_vscnt null, 0x0
	s_barrier
	buffer_gl0_inv
	s_clause 0x1c
	buffer_load_dword v70, off, s[0:3], 0 offset:16
	buffer_load_dword v71, off, s[0:3], 0 offset:20
	;; [unrolled: 1-line block ×29, first 2 shown]
	v_mov_b32_e32 v61, 0
	buffer_load_dword v95, off, s[0:3], 0 offset:132
	s_mov_b32 s4, exec_lo
	ds_read_b128 v[62:65], v61 offset:256
	ds_read_b128 v[66:69], v61 offset:272
	s_waitcnt vmcnt(28) lgkmcnt(1)
	v_fma_f64 v[62:63], v[70:71], v[62:63], 0
	s_clause 0x7
	buffer_load_dword v71, off, s[0:3], 0 offset:140
	buffer_load_dword v100, off, s[0:3], 0 offset:160
	buffer_load_dword v102, off, s[0:3], 0 offset:152
	buffer_load_dword v104, off, s[0:3], 0 offset:144
	buffer_load_dword v70, off, s[0:3], 0 offset:136
	buffer_load_dword v105, off, s[0:3], 0 offset:148
	buffer_load_dword v103, off, s[0:3], 0 offset:156
	buffer_load_dword v101, off, s[0:3], 0 offset:164
	s_waitcnt vmcnt(34)
	v_fma_f64 v[62:63], v[72:73], v[64:65], v[62:63]
	s_waitcnt vmcnt(32) lgkmcnt(0)
	v_fma_f64 v[62:63], v[74:75], v[66:67], v[62:63]
	s_waitcnt vmcnt(30)
	v_fma_f64 v[72:73], v[76:77], v[68:69], v[62:63]
	ds_read_b128 v[62:65], v61 offset:288
	ds_read_b128 v[66:69], v61 offset:304
	s_waitcnt vmcnt(28) lgkmcnt(1)
	v_fma_f64 v[62:63], v[78:79], v[62:63], v[72:73]
	s_clause 0x7
	buffer_load_dword v73, off, s[0:3], 0 offset:172
	buffer_load_dword v74, off, s[0:3], 0 offset:192
	buffer_load_dword v76, off, s[0:3], 0 offset:184
	buffer_load_dword v78, off, s[0:3], 0 offset:176
	buffer_load_dword v72, off, s[0:3], 0 offset:168
	buffer_load_dword v79, off, s[0:3], 0 offset:180
	buffer_load_dword v77, off, s[0:3], 0 offset:188
	buffer_load_dword v75, off, s[0:3], 0 offset:196
	s_waitcnt vmcnt(34)
	v_fma_f64 v[62:63], v[80:81], v[64:65], v[62:63]
	s_waitcnt vmcnt(32) lgkmcnt(0)
	v_fma_f64 v[62:63], v[82:83], v[66:67], v[62:63]
	s_waitcnt vmcnt(27)
	v_fma_f64 v[80:81], v[84:85], v[68:69], v[62:63]
	;; [unrolled: 19-line block ×3, first 2 shown]
	ds_read_b128 v[62:65], v61 offset:352
	ds_read_b128 v[66:69], v61 offset:368
	s_waitcnt vmcnt(26) lgkmcnt(1)
	v_fma_f64 v[62:63], v[98:99], v[62:63], v[86:87]
	s_clause 0x1
	buffer_load_dword v86, off, s[0:3], 0 offset:8
	buffer_load_dword v87, off, s[0:3], 0 offset:12
	s_waitcnt vmcnt(27)
	v_fma_f64 v[62:63], v[96:97], v[64:65], v[62:63]
	s_waitcnt vmcnt(26) lgkmcnt(0)
	v_fma_f64 v[62:63], v[94:95], v[66:67], v[62:63]
	s_waitcnt vmcnt(21)
	v_fma_f64 v[70:71], v[70:71], v[68:69], v[62:63]
	ds_read_b128 v[62:65], v61 offset:384
	ds_read_b128 v[66:69], v61 offset:400
	s_waitcnt vmcnt(20) lgkmcnt(1)
	v_fma_f64 v[62:63], v[104:105], v[62:63], v[70:71]
	s_waitcnt vmcnt(19)
	v_fma_f64 v[62:63], v[102:103], v[64:65], v[62:63]
	s_waitcnt vmcnt(18) lgkmcnt(0)
	v_fma_f64 v[62:63], v[100:101], v[66:67], v[62:63]
	s_waitcnt vmcnt(13)
	v_fma_f64 v[70:71], v[72:73], v[68:69], v[62:63]
	ds_read_b128 v[62:65], v61 offset:416
	ds_read_b128 v[66:69], v61 offset:432
	s_waitcnt vmcnt(12) lgkmcnt(1)
	v_fma_f64 v[62:63], v[78:79], v[62:63], v[70:71]
	s_waitcnt vmcnt(11)
	v_fma_f64 v[62:63], v[76:77], v[64:65], v[62:63]
	s_waitcnt vmcnt(10) lgkmcnt(0)
	v_fma_f64 v[62:63], v[74:75], v[66:67], v[62:63]
	s_waitcnt vmcnt(5)
	v_fma_f64 v[66:67], v[80:81], v[68:69], v[62:63]
	ds_read_b128 v[62:65], v61 offset:448
	ds_read_b64 v[68:69], v61 offset:464
	s_waitcnt vmcnt(4) lgkmcnt(1)
	v_fma_f64 v[62:63], v[90:91], v[62:63], v[66:67]
	s_waitcnt vmcnt(3)
	v_fma_f64 v[62:63], v[84:85], v[64:65], v[62:63]
	s_waitcnt vmcnt(2) lgkmcnt(0)
	v_fma_f64 v[62:63], v[82:83], v[68:69], v[62:63]
	s_waitcnt vmcnt(0)
	v_add_f64 v[62:63], v[86:87], -v[62:63]
	buffer_store_dword v63, off, s[0:3], 0 offset:12
	buffer_store_dword v62, off, s[0:3], 0 offset:8
	v_cmpx_ne_u32_e32 0, v0
	s_cbranch_execz .LBB92_183
; %bb.182:
	s_clause 0x1
	buffer_load_dword v62, off, s[0:3], 0
	buffer_load_dword v63, off, s[0:3], 0 offset:4
	buffer_store_dword v61, off, s[0:3], 0
	buffer_store_dword v61, off, s[0:3], 0 offset:4
	s_waitcnt vmcnt(0)
	ds_write_b64 v59, v[62:63]
.LBB92_183:
	s_or_b32 exec_lo, exec_lo, s4
	s_waitcnt lgkmcnt(0)
	s_waitcnt_vscnt null, 0x0
	s_barrier
	buffer_gl0_inv
	s_clause 0x1c
	buffer_load_dword v59, off, s[0:3], 0 offset:8
	buffer_load_dword v60, off, s[0:3], 0 offset:12
	;; [unrolled: 1-line block ×29, first 2 shown]
	ds_read2_b64 v[62:65], v61 offset0:31 offset1:32
	ds_read2_b64 v[66:69], v61 offset0:33 offset1:34
	s_clause 0x8
	buffer_load_dword v93, off, s[0:3], 0 offset:124
	buffer_load_dword v99, off, s[0:3], 0 offset:132
	;; [unrolled: 1-line block ×9, first 2 shown]
	s_and_b32 vcc_lo, exec_lo, s16
	s_waitcnt vmcnt(36) lgkmcnt(1)
	v_fma_f64 v[59:60], v[59:60], v[62:63], 0
	s_waitcnt vmcnt(34)
	v_fma_f64 v[59:60], v[70:71], v[64:65], v[59:60]
	ds_read2_b64 v[62:65], v61 offset0:35 offset1:36
	s_waitcnt vmcnt(32) lgkmcnt(1)
	v_fma_f64 v[59:60], v[72:73], v[66:67], v[59:60]
	s_waitcnt vmcnt(30)
	v_fma_f64 v[59:60], v[74:75], v[68:69], v[59:60]
	ds_read2_b64 v[66:69], v61 offset0:37 offset1:38
	s_waitcnt vmcnt(28) lgkmcnt(1)
	v_fma_f64 v[59:60], v[76:77], v[62:63], v[59:60]
	s_clause 0x7
	buffer_load_dword v71, off, s[0:3], 0 offset:164
	buffer_load_dword v72, off, s[0:3], 0 offset:184
	;; [unrolled: 1-line block ×8, first 2 shown]
	s_waitcnt vmcnt(34)
	v_fma_f64 v[59:60], v[78:79], v[64:65], v[59:60]
	ds_read2_b64 v[62:65], v61 offset0:39 offset1:40
	s_waitcnt vmcnt(32) lgkmcnt(1)
	v_fma_f64 v[59:60], v[80:81], v[66:67], v[59:60]
	s_waitcnt vmcnt(27)
	v_fma_f64 v[59:60], v[82:83], v[68:69], v[59:60]
	ds_read2_b64 v[66:69], v61 offset0:41 offset1:42
	s_waitcnt vmcnt(26) lgkmcnt(1)
	v_fma_f64 v[62:63], v[88:89], v[62:63], v[59:60]
	s_clause 0x7
	buffer_load_dword v79, off, s[0:3], 0 offset:196
	buffer_load_dword v59, off, s[0:3], 0 offset:216
	;; [unrolled: 1-line block ×8, first 2 shown]
	s_waitcnt vmcnt(33)
	v_fma_f64 v[62:63], v[86:87], v[64:65], v[62:63]
	s_waitcnt vmcnt(32) lgkmcnt(0)
	v_fma_f64 v[62:63], v[84:85], v[66:67], v[62:63]
	s_waitcnt vmcnt(27)
	v_fma_f64 v[84:85], v[90:91], v[68:69], v[62:63]
	ds_read2_b64 v[62:65], v61 offset0:43 offset1:44
	ds_read2_b64 v[66:69], v61 offset0:45 offset1:46
	s_waitcnt vmcnt(26) lgkmcnt(1)
	v_fma_f64 v[62:63], v[96:97], v[62:63], v[84:85]
	s_clause 0x3
	buffer_load_dword v85, off, s[0:3], 0 offset:228
	buffer_load_dword v84, off, s[0:3], 0 offset:224
	buffer_load_dword v86, off, s[0:3], 0
	buffer_load_dword v87, off, s[0:3], 0 offset:4
	s_waitcnt vmcnt(29)
	v_fma_f64 v[62:63], v[94:95], v[64:65], v[62:63]
	s_waitcnt vmcnt(28) lgkmcnt(0)
	v_fma_f64 v[62:63], v[92:93], v[66:67], v[62:63]
	s_waitcnt vmcnt(23)
	v_fma_f64 v[88:89], v[98:99], v[68:69], v[62:63]
	ds_read2_b64 v[62:65], v61 offset0:47 offset1:48
	ds_read2_b64 v[66:69], v61 offset0:49 offset1:50
	s_waitcnt vmcnt(22) lgkmcnt(1)
	v_fma_f64 v[62:63], v[104:105], v[62:63], v[88:89]
	s_waitcnt vmcnt(21)
	v_fma_f64 v[62:63], v[102:103], v[64:65], v[62:63]
	s_waitcnt vmcnt(20) lgkmcnt(0)
	v_fma_f64 v[62:63], v[100:101], v[66:67], v[62:63]
	s_waitcnt vmcnt(15)
	v_fma_f64 v[70:71], v[70:71], v[68:69], v[62:63]
	ds_read2_b64 v[62:65], v61 offset0:51 offset1:52
	ds_read2_b64 v[66:69], v61 offset0:53 offset1:54
	s_waitcnt vmcnt(14) lgkmcnt(1)
	v_fma_f64 v[62:63], v[76:77], v[62:63], v[70:71]
	;; [unrolled: 10-line block ×3, first 2 shown]
	s_waitcnt vmcnt(5)
	v_fma_f64 v[61:62], v[80:81], v[64:65], v[61:62]
	s_waitcnt vmcnt(4) lgkmcnt(0)
	v_fma_f64 v[61:62], v[59:60], v[66:67], v[61:62]
	s_waitcnt vmcnt(2)
	v_fma_f64 v[61:62], v[84:85], v[68:69], v[61:62]
	s_waitcnt vmcnt(0)
	v_add_f64 v[61:62], v[86:87], -v[61:62]
	buffer_store_dword v62, off, s[0:3], 0 offset:4
	buffer_store_dword v61, off, s[0:3], 0
	s_cbranch_vccz .LBB92_240
; %bb.184:
	v_mov_b32_e32 v0, 0
	global_load_dword v61, v0, s[12:13] offset:108
	s_waitcnt vmcnt(0)
	v_add_nc_u32_e32 v61, -1, v61
	v_cmp_ne_u32_e32 vcc_lo, 27, v61
	s_cbranch_vccz .LBB92_186
; %bb.185:
	v_lshlrev_b32_e32 v61, 3, v61
	s_clause 0x1
	buffer_load_dword v62, v61, s[0:3], 0 offen
	buffer_load_dword v63, v61, s[0:3], 0 offen offset:4
	s_waitcnt vmcnt(1)
	buffer_store_dword v62, off, s[0:3], 0 offset:216
	s_waitcnt vmcnt(0)
	buffer_store_dword v63, off, s[0:3], 0 offset:220
	buffer_store_dword v59, v61, s[0:3], 0 offen
	buffer_store_dword v60, v61, s[0:3], 0 offen offset:4
.LBB92_186:
	global_load_dword v0, v0, s[12:13] offset:104
	s_waitcnt vmcnt(0)
	v_add_nc_u32_e32 v0, -1, v0
	v_cmp_eq_u32_e32 vcc_lo, 26, v0
	s_cbranch_vccnz .LBB92_188
; %bb.187:
	v_lshlrev_b32_e32 v0, 3, v0
	s_clause 0x3
	buffer_load_dword v59, v0, s[0:3], 0 offen
	buffer_load_dword v60, v0, s[0:3], 0 offen offset:4
	buffer_load_dword v61, off, s[0:3], 0 offset:212
	buffer_load_dword v62, off, s[0:3], 0 offset:208
	s_waitcnt vmcnt(3)
	buffer_store_dword v59, off, s[0:3], 0 offset:208
	s_waitcnt vmcnt(2)
	buffer_store_dword v60, off, s[0:3], 0 offset:212
	s_waitcnt vmcnt(1)
	buffer_store_dword v61, v0, s[0:3], 0 offen offset:4
	s_waitcnt vmcnt(0)
	buffer_store_dword v62, v0, s[0:3], 0 offen
.LBB92_188:
	v_mov_b32_e32 v0, 0
	global_load_dword v59, v0, s[12:13] offset:100
	s_waitcnt vmcnt(0)
	v_add_nc_u32_e32 v59, -1, v59
	v_cmp_eq_u32_e32 vcc_lo, 25, v59
	s_cbranch_vccnz .LBB92_190
; %bb.189:
	v_lshlrev_b32_e32 v59, 3, v59
	s_clause 0x3
	buffer_load_dword v60, v59, s[0:3], 0 offen
	buffer_load_dword v61, v59, s[0:3], 0 offen offset:4
	buffer_load_dword v62, off, s[0:3], 0 offset:200
	buffer_load_dword v63, off, s[0:3], 0 offset:204
	s_waitcnt vmcnt(3)
	buffer_store_dword v60, off, s[0:3], 0 offset:200
	s_waitcnt vmcnt(2)
	buffer_store_dword v61, off, s[0:3], 0 offset:204
	s_waitcnt vmcnt(1)
	buffer_store_dword v62, v59, s[0:3], 0 offen
	s_waitcnt vmcnt(0)
	buffer_store_dword v63, v59, s[0:3], 0 offen offset:4
.LBB92_190:
	global_load_dword v0, v0, s[12:13] offset:96
	s_waitcnt vmcnt(0)
	v_add_nc_u32_e32 v0, -1, v0
	v_cmp_eq_u32_e32 vcc_lo, 24, v0
	s_cbranch_vccnz .LBB92_192
; %bb.191:
	v_lshlrev_b32_e32 v0, 3, v0
	s_clause 0x3
	buffer_load_dword v59, v0, s[0:3], 0 offen
	buffer_load_dword v60, v0, s[0:3], 0 offen offset:4
	buffer_load_dword v61, off, s[0:3], 0 offset:196
	buffer_load_dword v62, off, s[0:3], 0 offset:192
	s_waitcnt vmcnt(3)
	buffer_store_dword v59, off, s[0:3], 0 offset:192
	s_waitcnt vmcnt(2)
	buffer_store_dword v60, off, s[0:3], 0 offset:196
	s_waitcnt vmcnt(1)
	buffer_store_dword v61, v0, s[0:3], 0 offen offset:4
	s_waitcnt vmcnt(0)
	buffer_store_dword v62, v0, s[0:3], 0 offen
.LBB92_192:
	v_mov_b32_e32 v0, 0
	global_load_dword v59, v0, s[12:13] offset:92
	s_waitcnt vmcnt(0)
	v_add_nc_u32_e32 v59, -1, v59
	v_cmp_eq_u32_e32 vcc_lo, 23, v59
	s_cbranch_vccnz .LBB92_194
; %bb.193:
	v_lshlrev_b32_e32 v59, 3, v59
	s_clause 0x3
	buffer_load_dword v60, v59, s[0:3], 0 offen
	buffer_load_dword v61, v59, s[0:3], 0 offen offset:4
	buffer_load_dword v62, off, s[0:3], 0 offset:184
	buffer_load_dword v63, off, s[0:3], 0 offset:188
	s_waitcnt vmcnt(3)
	buffer_store_dword v60, off, s[0:3], 0 offset:184
	s_waitcnt vmcnt(2)
	buffer_store_dword v61, off, s[0:3], 0 offset:188
	s_waitcnt vmcnt(1)
	buffer_store_dword v62, v59, s[0:3], 0 offen
	s_waitcnt vmcnt(0)
	buffer_store_dword v63, v59, s[0:3], 0 offen offset:4
.LBB92_194:
	;; [unrolled: 43-line block ×13, first 2 shown]
	global_load_dword v0, v0, s[12:13]
	s_clause 0x1
	buffer_load_dword v61, off, s[0:3], 0
	buffer_load_dword v62, off, s[0:3], 0 offset:4
	s_waitcnt vmcnt(2)
	v_add_nc_u32_e32 v0, -1, v0
	v_cmp_eq_u32_e32 vcc_lo, 0, v0
	s_cbranch_vccnz .LBB92_240
; %bb.239:
	v_lshlrev_b32_e32 v0, 3, v0
	s_clause 0x1
	buffer_load_dword v59, v0, s[0:3], 0 offen offset:4
	buffer_load_dword v60, v0, s[0:3], 0 offen
	s_waitcnt vmcnt(1)
	buffer_store_dword v59, off, s[0:3], 0 offset:4
	s_waitcnt vmcnt(0)
	buffer_store_dword v60, off, s[0:3], 0
	buffer_store_dword v62, v0, s[0:3], 0 offen offset:4
	buffer_store_dword v61, v0, s[0:3], 0 offen
	s_clause 0x1
	buffer_load_dword v61, off, s[0:3], 0
	buffer_load_dword v62, off, s[0:3], 0 offset:4
.LBB92_240:
	s_waitcnt vmcnt(0)
	flat_store_dwordx2 v[1:2], v[61:62]
	s_clause 0x1
	buffer_load_dword v0, off, s[0:3], 0 offset:8
	buffer_load_dword v1, off, s[0:3], 0 offset:12
	s_waitcnt vmcnt(0)
	flat_store_dwordx2 v[3:4], v[0:1]
	s_clause 0x1
	buffer_load_dword v0, off, s[0:3], 0 offset:16
	buffer_load_dword v1, off, s[0:3], 0 offset:20
	;; [unrolled: 5-line block ×28, first 2 shown]
	s_waitcnt vmcnt(0)
	flat_store_dwordx2 v[57:58], v[0:1]
	s_endpgm
	.section	.rodata,"a",@progbits
	.p2align	6, 0x0
	.amdhsa_kernel _ZN9rocsolver6v33100L18getri_kernel_smallILi29EdPKPdEEvT1_iilPiilS6_bb
		.amdhsa_group_segment_fixed_size 472
		.amdhsa_private_segment_fixed_size 240
		.amdhsa_kernarg_size 60
		.amdhsa_user_sgpr_count 6
		.amdhsa_user_sgpr_private_segment_buffer 1
		.amdhsa_user_sgpr_dispatch_ptr 0
		.amdhsa_user_sgpr_queue_ptr 0
		.amdhsa_user_sgpr_kernarg_segment_ptr 1
		.amdhsa_user_sgpr_dispatch_id 0
		.amdhsa_user_sgpr_flat_scratch_init 0
		.amdhsa_user_sgpr_private_segment_size 0
		.amdhsa_wavefront_size32 1
		.amdhsa_uses_dynamic_stack 0
		.amdhsa_system_sgpr_private_segment_wavefront_offset 1
		.amdhsa_system_sgpr_workgroup_id_x 1
		.amdhsa_system_sgpr_workgroup_id_y 0
		.amdhsa_system_sgpr_workgroup_id_z 0
		.amdhsa_system_sgpr_workgroup_info 0
		.amdhsa_system_vgpr_workitem_id 0
		.amdhsa_next_free_vgpr 106
		.amdhsa_next_free_sgpr 20
		.amdhsa_reserve_vcc 1
		.amdhsa_reserve_flat_scratch 0
		.amdhsa_float_round_mode_32 0
		.amdhsa_float_round_mode_16_64 0
		.amdhsa_float_denorm_mode_32 3
		.amdhsa_float_denorm_mode_16_64 3
		.amdhsa_dx10_clamp 1
		.amdhsa_ieee_mode 1
		.amdhsa_fp16_overflow 0
		.amdhsa_workgroup_processor_mode 1
		.amdhsa_memory_ordered 1
		.amdhsa_forward_progress 1
		.amdhsa_shared_vgpr_count 0
		.amdhsa_exception_fp_ieee_invalid_op 0
		.amdhsa_exception_fp_denorm_src 0
		.amdhsa_exception_fp_ieee_div_zero 0
		.amdhsa_exception_fp_ieee_overflow 0
		.amdhsa_exception_fp_ieee_underflow 0
		.amdhsa_exception_fp_ieee_inexact 0
		.amdhsa_exception_int_div_zero 0
	.end_amdhsa_kernel
	.section	.text._ZN9rocsolver6v33100L18getri_kernel_smallILi29EdPKPdEEvT1_iilPiilS6_bb,"axG",@progbits,_ZN9rocsolver6v33100L18getri_kernel_smallILi29EdPKPdEEvT1_iilPiilS6_bb,comdat
.Lfunc_end92:
	.size	_ZN9rocsolver6v33100L18getri_kernel_smallILi29EdPKPdEEvT1_iilPiilS6_bb, .Lfunc_end92-_ZN9rocsolver6v33100L18getri_kernel_smallILi29EdPKPdEEvT1_iilPiilS6_bb
                                        ; -- End function
	.set _ZN9rocsolver6v33100L18getri_kernel_smallILi29EdPKPdEEvT1_iilPiilS6_bb.num_vgpr, 106
	.set _ZN9rocsolver6v33100L18getri_kernel_smallILi29EdPKPdEEvT1_iilPiilS6_bb.num_agpr, 0
	.set _ZN9rocsolver6v33100L18getri_kernel_smallILi29EdPKPdEEvT1_iilPiilS6_bb.numbered_sgpr, 20
	.set _ZN9rocsolver6v33100L18getri_kernel_smallILi29EdPKPdEEvT1_iilPiilS6_bb.num_named_barrier, 0
	.set _ZN9rocsolver6v33100L18getri_kernel_smallILi29EdPKPdEEvT1_iilPiilS6_bb.private_seg_size, 240
	.set _ZN9rocsolver6v33100L18getri_kernel_smallILi29EdPKPdEEvT1_iilPiilS6_bb.uses_vcc, 1
	.set _ZN9rocsolver6v33100L18getri_kernel_smallILi29EdPKPdEEvT1_iilPiilS6_bb.uses_flat_scratch, 0
	.set _ZN9rocsolver6v33100L18getri_kernel_smallILi29EdPKPdEEvT1_iilPiilS6_bb.has_dyn_sized_stack, 0
	.set _ZN9rocsolver6v33100L18getri_kernel_smallILi29EdPKPdEEvT1_iilPiilS6_bb.has_recursion, 0
	.set _ZN9rocsolver6v33100L18getri_kernel_smallILi29EdPKPdEEvT1_iilPiilS6_bb.has_indirect_call, 0
	.section	.AMDGPU.csdata,"",@progbits
; Kernel info:
; codeLenInByte = 29632
; TotalNumSgprs: 22
; NumVgprs: 106
; ScratchSize: 240
; MemoryBound: 0
; FloatMode: 240
; IeeeMode: 1
; LDSByteSize: 472 bytes/workgroup (compile time only)
; SGPRBlocks: 0
; VGPRBlocks: 13
; NumSGPRsForWavesPerEU: 22
; NumVGPRsForWavesPerEU: 106
; Occupancy: 9
; WaveLimiterHint : 1
; COMPUTE_PGM_RSRC2:SCRATCH_EN: 1
; COMPUTE_PGM_RSRC2:USER_SGPR: 6
; COMPUTE_PGM_RSRC2:TRAP_HANDLER: 0
; COMPUTE_PGM_RSRC2:TGID_X_EN: 1
; COMPUTE_PGM_RSRC2:TGID_Y_EN: 0
; COMPUTE_PGM_RSRC2:TGID_Z_EN: 0
; COMPUTE_PGM_RSRC2:TIDIG_COMP_CNT: 0
	.section	.text._ZN9rocsolver6v33100L18getri_kernel_smallILi30EdPKPdEEvT1_iilPiilS6_bb,"axG",@progbits,_ZN9rocsolver6v33100L18getri_kernel_smallILi30EdPKPdEEvT1_iilPiilS6_bb,comdat
	.globl	_ZN9rocsolver6v33100L18getri_kernel_smallILi30EdPKPdEEvT1_iilPiilS6_bb ; -- Begin function _ZN9rocsolver6v33100L18getri_kernel_smallILi30EdPKPdEEvT1_iilPiilS6_bb
	.p2align	8
	.type	_ZN9rocsolver6v33100L18getri_kernel_smallILi30EdPKPdEEvT1_iilPiilS6_bb,@function
_ZN9rocsolver6v33100L18getri_kernel_smallILi30EdPKPdEEvT1_iilPiilS6_bb: ; @_ZN9rocsolver6v33100L18getri_kernel_smallILi30EdPKPdEEvT1_iilPiilS6_bb
; %bb.0:
	s_add_u32 s0, s0, s7
	s_addc_u32 s1, s1, 0
	s_mov_b32 s7, exec_lo
	v_cmpx_gt_u32_e32 30, v0
	s_cbranch_execz .LBB93_130
; %bb.1:
	s_clause 0x2
	s_load_dword s17, s[4:5], 0x38
	s_load_dwordx2 s[12:13], s[4:5], 0x0
	s_load_dwordx4 s[8:11], s[4:5], 0x28
	s_waitcnt lgkmcnt(0)
	s_bitcmp1_b32 s17, 8
	s_cselect_b32 s16, -1, 0
	s_ashr_i32 s7, s6, 31
	s_lshl_b64 s[14:15], s[6:7], 3
	s_add_u32 s12, s12, s14
	s_addc_u32 s13, s13, s15
	s_load_dwordx2 s[14:15], s[12:13], 0x0
	s_bfe_u32 s12, s17, 0x10008
	s_cmp_eq_u32 s12, 0
                                        ; implicit-def: $sgpr12_sgpr13
	s_cbranch_scc1 .LBB93_3
; %bb.2:
	s_clause 0x1
	s_load_dword s12, s[4:5], 0x20
	s_load_dwordx2 s[18:19], s[4:5], 0x18
	s_mul_i32 s13, s8, s7
	s_mul_hi_u32 s17, s8, s6
	s_mul_i32 s9, s9, s6
	s_add_i32 s13, s17, s13
	s_mul_i32 s8, s8, s6
	s_add_i32 s9, s13, s9
	s_lshl_b64 s[8:9], s[8:9], 2
	s_waitcnt lgkmcnt(0)
	s_ashr_i32 s13, s12, 31
	s_add_u32 s17, s18, s8
	s_addc_u32 s18, s19, s9
	s_lshl_b64 s[8:9], s[12:13], 2
	s_add_u32 s12, s17, s8
	s_addc_u32 s13, s18, s9
.LBB93_3:
	s_clause 0x1
	s_load_dwordx2 s[8:9], s[4:5], 0x8
	s_load_dword s4, s[4:5], 0x38
	v_lshlrev_b32_e32 v63, 3, v0
	s_waitcnt lgkmcnt(0)
	s_ashr_i32 s19, s8, 31
	s_mov_b32 s18, s8
	v_add3_u32 v9, s9, s9, v0
	s_lshl_b64 s[18:19], s[18:19], 3
	s_add_u32 s5, s14, s18
	s_addc_u32 s8, s15, s19
	v_add_co_u32 v1, s14, s5, v63
	v_add_co_ci_u32_e64 v2, null, s8, 0, s14
	s_mov_b32 s14, s9
	s_ashr_i32 s15, s9, 31
	v_ashrrev_i32_e32 v10, 31, v9
	flat_load_dwordx2 v[5:6], v[1:2]
	s_lshl_b64 s[14:15], s[14:15], 3
	v_add_nc_u32_e32 v12, s9, v9
	v_add_co_u32 v3, vcc_lo, v1, s14
	v_add_co_ci_u32_e64 v4, null, s15, v2, vcc_lo
	v_ashrrev_i32_e32 v13, 31, v12
	s_bitcmp0_b32 s4, 0
	s_waitcnt vmcnt(0) lgkmcnt(0)
	buffer_store_dword v6, off, s[0:3], 0 offset:4
	buffer_store_dword v5, off, s[0:3], 0
	flat_load_dwordx2 v[7:8], v[3:4]
	v_lshlrev_b64 v[5:6], 3, v[9:10]
	s_waitcnt vmcnt(0) lgkmcnt(0)
	buffer_store_dword v8, off, s[0:3], 0 offset:12
	buffer_store_dword v7, off, s[0:3], 0 offset:8
	v_add_co_u32 v5, vcc_lo, s5, v5
	v_add_co_ci_u32_e64 v6, null, s8, v6, vcc_lo
	v_lshlrev_b64 v[7:8], 3, v[12:13]
	flat_load_dwordx2 v[10:11], v[5:6]
	s_waitcnt vmcnt(0) lgkmcnt(0)
	buffer_store_dword v11, off, s[0:3], 0 offset:20
	buffer_store_dword v10, off, s[0:3], 0 offset:16
	v_add_co_u32 v7, vcc_lo, s5, v7
	v_add_co_ci_u32_e64 v8, null, s8, v8, vcc_lo
	v_add_nc_u32_e32 v11, s9, v12
	flat_load_dwordx2 v[13:14], v[7:8]
	s_waitcnt vmcnt(0) lgkmcnt(0)
	buffer_store_dword v14, off, s[0:3], 0 offset:28
	buffer_store_dword v13, off, s[0:3], 0 offset:24
	v_ashrrev_i32_e32 v12, 31, v11
	v_add_nc_u32_e32 v15, s9, v11
	v_lshlrev_b64 v[9:10], 3, v[11:12]
	v_ashrrev_i32_e32 v16, 31, v15
	v_add_nc_u32_e32 v18, s9, v15
	v_add_co_u32 v9, vcc_lo, s5, v9
	v_add_co_ci_u32_e64 v10, null, s8, v10, vcc_lo
	v_lshlrev_b64 v[11:12], 3, v[15:16]
	v_ashrrev_i32_e32 v19, 31, v18
	flat_load_dwordx2 v[13:14], v[9:10]
	s_waitcnt vmcnt(0) lgkmcnt(0)
	buffer_store_dword v14, off, s[0:3], 0 offset:36
	buffer_store_dword v13, off, s[0:3], 0 offset:32
	v_add_co_u32 v11, vcc_lo, s5, v11
	v_add_co_ci_u32_e64 v12, null, s8, v12, vcc_lo
	v_lshlrev_b64 v[13:14], 3, v[18:19]
	flat_load_dwordx2 v[16:17], v[11:12]
	s_waitcnt vmcnt(0) lgkmcnt(0)
	buffer_store_dword v17, off, s[0:3], 0 offset:44
	buffer_store_dword v16, off, s[0:3], 0 offset:40
	v_add_co_u32 v13, vcc_lo, s5, v13
	v_add_co_ci_u32_e64 v14, null, s8, v14, vcc_lo
	v_add_nc_u32_e32 v17, s9, v18
	flat_load_dwordx2 v[19:20], v[13:14]
	s_waitcnt vmcnt(0) lgkmcnt(0)
	buffer_store_dword v20, off, s[0:3], 0 offset:52
	buffer_store_dword v19, off, s[0:3], 0 offset:48
	v_ashrrev_i32_e32 v18, 31, v17
	v_add_nc_u32_e32 v21, s9, v17
	v_lshlrev_b64 v[15:16], 3, v[17:18]
	v_ashrrev_i32_e32 v22, 31, v21
	v_add_nc_u32_e32 v24, s9, v21
	v_add_co_u32 v15, vcc_lo, s5, v15
	v_add_co_ci_u32_e64 v16, null, s8, v16, vcc_lo
	v_lshlrev_b64 v[17:18], 3, v[21:22]
	v_ashrrev_i32_e32 v25, 31, v24
	flat_load_dwordx2 v[19:20], v[15:16]
	s_waitcnt vmcnt(0) lgkmcnt(0)
	buffer_store_dword v20, off, s[0:3], 0 offset:60
	buffer_store_dword v19, off, s[0:3], 0 offset:56
	v_add_co_u32 v17, vcc_lo, s5, v17
	v_add_co_ci_u32_e64 v18, null, s8, v18, vcc_lo
	v_lshlrev_b64 v[19:20], 3, v[24:25]
	flat_load_dwordx2 v[22:23], v[17:18]
	s_waitcnt vmcnt(0) lgkmcnt(0)
	buffer_store_dword v23, off, s[0:3], 0 offset:68
	buffer_store_dword v22, off, s[0:3], 0 offset:64
	v_add_co_u32 v19, vcc_lo, s5, v19
	v_add_co_ci_u32_e64 v20, null, s8, v20, vcc_lo
	v_add_nc_u32_e32 v23, s9, v24
	flat_load_dwordx2 v[25:26], v[19:20]
	s_waitcnt vmcnt(0) lgkmcnt(0)
	buffer_store_dword v26, off, s[0:3], 0 offset:76
	buffer_store_dword v25, off, s[0:3], 0 offset:72
	v_ashrrev_i32_e32 v24, 31, v23
	v_add_nc_u32_e32 v27, s9, v23
	v_lshlrev_b64 v[21:22], 3, v[23:24]
	v_ashrrev_i32_e32 v28, 31, v27
	v_add_nc_u32_e32 v30, s9, v27
	v_add_co_u32 v21, vcc_lo, s5, v21
	v_add_co_ci_u32_e64 v22, null, s8, v22, vcc_lo
	v_lshlrev_b64 v[23:24], 3, v[27:28]
	v_ashrrev_i32_e32 v31, 31, v30
	flat_load_dwordx2 v[25:26], v[21:22]
	s_waitcnt vmcnt(0) lgkmcnt(0)
	buffer_store_dword v26, off, s[0:3], 0 offset:84
	buffer_store_dword v25, off, s[0:3], 0 offset:80
	v_add_co_u32 v23, vcc_lo, s5, v23
	v_add_co_ci_u32_e64 v24, null, s8, v24, vcc_lo
	v_lshlrev_b64 v[25:26], 3, v[30:31]
	flat_load_dwordx2 v[28:29], v[23:24]
	s_waitcnt vmcnt(0) lgkmcnt(0)
	buffer_store_dword v29, off, s[0:3], 0 offset:92
	buffer_store_dword v28, off, s[0:3], 0 offset:88
	v_add_co_u32 v25, vcc_lo, s5, v25
	v_add_co_ci_u32_e64 v26, null, s8, v26, vcc_lo
	v_add_nc_u32_e32 v29, s9, v30
	flat_load_dwordx2 v[31:32], v[25:26]
	s_waitcnt vmcnt(0) lgkmcnt(0)
	buffer_store_dword v32, off, s[0:3], 0 offset:100
	buffer_store_dword v31, off, s[0:3], 0 offset:96
	v_ashrrev_i32_e32 v30, 31, v29
	v_add_nc_u32_e32 v33, s9, v29
	v_lshlrev_b64 v[27:28], 3, v[29:30]
	v_ashrrev_i32_e32 v34, 31, v33
	v_add_nc_u32_e32 v36, s9, v33
	v_add_co_u32 v27, vcc_lo, s5, v27
	v_add_co_ci_u32_e64 v28, null, s8, v28, vcc_lo
	v_lshlrev_b64 v[29:30], 3, v[33:34]
	v_ashrrev_i32_e32 v37, 31, v36
	flat_load_dwordx2 v[31:32], v[27:28]
	s_waitcnt vmcnt(0) lgkmcnt(0)
	buffer_store_dword v32, off, s[0:3], 0 offset:108
	buffer_store_dword v31, off, s[0:3], 0 offset:104
	v_add_co_u32 v29, vcc_lo, s5, v29
	v_add_co_ci_u32_e64 v30, null, s8, v30, vcc_lo
	v_lshlrev_b64 v[31:32], 3, v[36:37]
	flat_load_dwordx2 v[34:35], v[29:30]
	s_waitcnt vmcnt(0) lgkmcnt(0)
	buffer_store_dword v35, off, s[0:3], 0 offset:116
	buffer_store_dword v34, off, s[0:3], 0 offset:112
	v_add_co_u32 v31, vcc_lo, s5, v31
	v_add_co_ci_u32_e64 v32, null, s8, v32, vcc_lo
	v_add_nc_u32_e32 v35, s9, v36
	flat_load_dwordx2 v[37:38], v[31:32]
	s_waitcnt vmcnt(0) lgkmcnt(0)
	buffer_store_dword v38, off, s[0:3], 0 offset:124
	buffer_store_dword v37, off, s[0:3], 0 offset:120
	v_ashrrev_i32_e32 v36, 31, v35
	v_add_nc_u32_e32 v39, s9, v35
	v_lshlrev_b64 v[33:34], 3, v[35:36]
	v_ashrrev_i32_e32 v40, 31, v39
	v_add_nc_u32_e32 v42, s9, v39
	v_add_co_u32 v33, vcc_lo, s5, v33
	v_add_co_ci_u32_e64 v34, null, s8, v34, vcc_lo
	v_lshlrev_b64 v[35:36], 3, v[39:40]
	v_ashrrev_i32_e32 v43, 31, v42
	flat_load_dwordx2 v[37:38], v[33:34]
	s_waitcnt vmcnt(0) lgkmcnt(0)
	buffer_store_dword v38, off, s[0:3], 0 offset:132
	buffer_store_dword v37, off, s[0:3], 0 offset:128
	v_add_co_u32 v35, vcc_lo, s5, v35
	v_add_co_ci_u32_e64 v36, null, s8, v36, vcc_lo
	v_lshlrev_b64 v[37:38], 3, v[42:43]
	flat_load_dwordx2 v[40:41], v[35:36]
	s_waitcnt vmcnt(0) lgkmcnt(0)
	buffer_store_dword v41, off, s[0:3], 0 offset:140
	buffer_store_dword v40, off, s[0:3], 0 offset:136
	v_add_co_u32 v37, vcc_lo, s5, v37
	v_add_co_ci_u32_e64 v38, null, s8, v38, vcc_lo
	v_add_nc_u32_e32 v41, s9, v42
	flat_load_dwordx2 v[43:44], v[37:38]
	s_waitcnt vmcnt(0) lgkmcnt(0)
	buffer_store_dword v44, off, s[0:3], 0 offset:148
	buffer_store_dword v43, off, s[0:3], 0 offset:144
	v_ashrrev_i32_e32 v42, 31, v41
	v_add_nc_u32_e32 v45, s9, v41
	v_lshlrev_b64 v[39:40], 3, v[41:42]
	v_ashrrev_i32_e32 v46, 31, v45
	v_add_nc_u32_e32 v48, s9, v45
	v_add_co_u32 v39, vcc_lo, s5, v39
	v_add_co_ci_u32_e64 v40, null, s8, v40, vcc_lo
	v_lshlrev_b64 v[41:42], 3, v[45:46]
	v_ashrrev_i32_e32 v49, 31, v48
	flat_load_dwordx2 v[43:44], v[39:40]
	s_waitcnt vmcnt(0) lgkmcnt(0)
	buffer_store_dword v44, off, s[0:3], 0 offset:156
	buffer_store_dword v43, off, s[0:3], 0 offset:152
	v_add_co_u32 v41, vcc_lo, s5, v41
	v_add_co_ci_u32_e64 v42, null, s8, v42, vcc_lo
	v_lshlrev_b64 v[43:44], 3, v[48:49]
	flat_load_dwordx2 v[46:47], v[41:42]
	s_waitcnt vmcnt(0) lgkmcnt(0)
	buffer_store_dword v47, off, s[0:3], 0 offset:164
	buffer_store_dword v46, off, s[0:3], 0 offset:160
	v_add_co_u32 v43, vcc_lo, s5, v43
	v_add_co_ci_u32_e64 v44, null, s8, v44, vcc_lo
	v_add_nc_u32_e32 v47, s9, v48
	flat_load_dwordx2 v[49:50], v[43:44]
	s_waitcnt vmcnt(0) lgkmcnt(0)
	buffer_store_dword v50, off, s[0:3], 0 offset:172
	buffer_store_dword v49, off, s[0:3], 0 offset:168
	v_ashrrev_i32_e32 v48, 31, v47
	v_add_nc_u32_e32 v51, s9, v47
	v_lshlrev_b64 v[45:46], 3, v[47:48]
	v_ashrrev_i32_e32 v52, 31, v51
	v_add_nc_u32_e32 v54, s9, v51
	v_add_co_u32 v45, vcc_lo, s5, v45
	v_add_co_ci_u32_e64 v46, null, s8, v46, vcc_lo
	v_lshlrev_b64 v[47:48], 3, v[51:52]
	v_ashrrev_i32_e32 v55, 31, v54
	flat_load_dwordx2 v[49:50], v[45:46]
	s_waitcnt vmcnt(0) lgkmcnt(0)
	buffer_store_dword v50, off, s[0:3], 0 offset:180
	buffer_store_dword v49, off, s[0:3], 0 offset:176
	v_add_co_u32 v47, vcc_lo, s5, v47
	v_add_co_ci_u32_e64 v48, null, s8, v48, vcc_lo
	v_lshlrev_b64 v[49:50], 3, v[54:55]
	flat_load_dwordx2 v[52:53], v[47:48]
	s_waitcnt vmcnt(0) lgkmcnt(0)
	buffer_store_dword v53, off, s[0:3], 0 offset:188
	buffer_store_dword v52, off, s[0:3], 0 offset:184
	v_add_co_u32 v49, vcc_lo, s5, v49
	v_add_co_ci_u32_e64 v50, null, s8, v50, vcc_lo
	v_add_nc_u32_e32 v53, s9, v54
	flat_load_dwordx2 v[55:56], v[49:50]
	s_waitcnt vmcnt(0) lgkmcnt(0)
	buffer_store_dword v56, off, s[0:3], 0 offset:196
	buffer_store_dword v55, off, s[0:3], 0 offset:192
	v_ashrrev_i32_e32 v54, 31, v53
	v_add_nc_u32_e32 v57, s9, v53
	v_lshlrev_b64 v[51:52], 3, v[53:54]
	v_ashrrev_i32_e32 v58, 31, v57
	v_add_nc_u32_e32 v60, s9, v57
	v_add_co_u32 v51, vcc_lo, s5, v51
	v_add_co_ci_u32_e64 v52, null, s8, v52, vcc_lo
	v_lshlrev_b64 v[53:54], 3, v[57:58]
	v_ashrrev_i32_e32 v61, 31, v60
	flat_load_dwordx2 v[55:56], v[51:52]
	s_waitcnt vmcnt(0) lgkmcnt(0)
	buffer_store_dword v56, off, s[0:3], 0 offset:204
	buffer_store_dword v55, off, s[0:3], 0 offset:200
	v_add_co_u32 v53, vcc_lo, s5, v53
	v_add_co_ci_u32_e64 v54, null, s8, v54, vcc_lo
	v_lshlrev_b64 v[55:56], 3, v[60:61]
	flat_load_dwordx2 v[58:59], v[53:54]
	s_waitcnt vmcnt(0) lgkmcnt(0)
	buffer_store_dword v59, off, s[0:3], 0 offset:212
	buffer_store_dword v58, off, s[0:3], 0 offset:208
	v_add_co_u32 v55, vcc_lo, s5, v55
	v_add_co_ci_u32_e64 v56, null, s8, v56, vcc_lo
	v_add_nc_u32_e32 v59, s9, v60
	flat_load_dwordx2 v[61:62], v[55:56]
	s_waitcnt vmcnt(0) lgkmcnt(0)
	buffer_store_dword v62, off, s[0:3], 0 offset:220
	buffer_store_dword v61, off, s[0:3], 0 offset:216
	v_ashrrev_i32_e32 v60, 31, v59
	v_lshlrev_b64 v[57:58], 3, v[59:60]
	v_add_nc_u32_e32 v59, s9, v59
	v_add_co_u32 v57, vcc_lo, s5, v57
	v_add_co_ci_u32_e64 v58, null, s8, v58, vcc_lo
	v_ashrrev_i32_e32 v60, 31, v59
	flat_load_dwordx2 v[61:62], v[57:58]
	s_waitcnt vmcnt(0) lgkmcnt(0)
	buffer_store_dword v62, off, s[0:3], 0 offset:228
	buffer_store_dword v61, off, s[0:3], 0 offset:224
	v_lshlrev_b64 v[59:60], 3, v[59:60]
	v_add_co_u32 v59, vcc_lo, s5, v59
	v_add_co_ci_u32_e64 v60, null, s8, v60, vcc_lo
	s_mov_b32 s5, -1
	flat_load_dwordx2 v[61:62], v[59:60]
	s_waitcnt vmcnt(0) lgkmcnt(0)
	buffer_store_dword v62, off, s[0:3], 0 offset:236
	buffer_store_dword v61, off, s[0:3], 0 offset:232
	s_cbranch_scc1 .LBB93_128
; %bb.4:
	v_cmp_eq_u32_e64 s4, 0, v0
	s_and_saveexec_b32 s5, s4
; %bb.5:
	v_mov_b32_e32 v61, 0
	ds_write_b32 v61, v61 offset:480
; %bb.6:
	s_or_b32 exec_lo, exec_lo, s5
	v_lshl_add_u32 v61, v0, 3, 0
	s_waitcnt lgkmcnt(0)
	s_waitcnt_vscnt null, 0x0
	s_barrier
	buffer_gl0_inv
	s_mov_b32 s8, exec_lo
	s_clause 0x1
	buffer_load_dword v64, v61, s[0:3], 0 offen
	buffer_load_dword v65, v61, s[0:3], 0 offen offset:4
	s_waitcnt vmcnt(0)
	v_cmpx_eq_f64_e32 0, v[64:65]
	s_cbranch_execz .LBB93_10
; %bb.7:
	v_mov_b32_e32 v62, 0
	s_mov_b32 s9, 0
	ds_read_b32 v64, v62 offset:480
	s_waitcnt lgkmcnt(0)
	v_readfirstlane_b32 s5, v64
	v_add_nc_u32_e32 v64, 1, v0
	s_cmp_eq_u32 s5, 0
	v_cmp_gt_i32_e32 vcc_lo, s5, v64
	s_cselect_b32 s14, -1, 0
	s_or_b32 s14, s14, vcc_lo
	s_and_b32 exec_lo, exec_lo, s14
	s_cbranch_execz .LBB93_10
; %bb.8:
	v_mov_b32_e32 v65, s5
.LBB93_9:                               ; =>This Inner Loop Header: Depth=1
	ds_cmpst_rtn_b32 v65, v62, v65, v64 offset:480
	s_waitcnt lgkmcnt(0)
	v_cmp_ne_u32_e32 vcc_lo, 0, v65
	v_cmp_le_i32_e64 s5, v65, v64
	s_and_b32 s5, vcc_lo, s5
	s_and_b32 s5, exec_lo, s5
	s_or_b32 s9, s5, s9
	s_andn2_b32 exec_lo, exec_lo, s9
	s_cbranch_execnz .LBB93_9
.LBB93_10:
	s_or_b32 exec_lo, exec_lo, s8
	v_mov_b32_e32 v62, 0
	s_barrier
	buffer_gl0_inv
	ds_read_b32 v64, v62 offset:480
	s_and_saveexec_b32 s5, s4
	s_cbranch_execz .LBB93_12
; %bb.11:
	s_lshl_b64 s[8:9], s[6:7], 2
	s_add_u32 s8, s10, s8
	s_addc_u32 s9, s11, s9
	s_waitcnt lgkmcnt(0)
	global_store_dword v62, v64, s[8:9]
.LBB93_12:
	s_or_b32 exec_lo, exec_lo, s5
	s_waitcnt lgkmcnt(0)
	v_cmp_ne_u32_e32 vcc_lo, 0, v64
	s_mov_b32 s5, 0
	s_cbranch_vccnz .LBB93_128
; %bb.13:
	s_clause 0x1
	buffer_load_dword v64, v61, s[0:3], 0 offen
	buffer_load_dword v65, v61, s[0:3], 0 offen offset:4
	s_waitcnt vmcnt(0)
	v_div_scale_f64 v[66:67], null, v[64:65], v[64:65], 1.0
	v_div_scale_f64 v[72:73], vcc_lo, 1.0, v[64:65], 1.0
	v_rcp_f64_e32 v[68:69], v[66:67]
	v_fma_f64 v[70:71], -v[66:67], v[68:69], 1.0
	v_fma_f64 v[68:69], v[68:69], v[70:71], v[68:69]
	v_fma_f64 v[70:71], -v[66:67], v[68:69], 1.0
	v_fma_f64 v[68:69], v[68:69], v[70:71], v[68:69]
	v_mul_f64 v[70:71], v[72:73], v[68:69]
	v_fma_f64 v[66:67], -v[66:67], v[70:71], v[72:73]
	v_div_fmas_f64 v[66:67], v[66:67], v[68:69], v[70:71]
	v_div_fixup_f64 v[65:66], v[66:67], v[64:65], 1.0
	v_add_nc_u32_e32 v64, 0xf0, v63
	buffer_store_dword v66, v61, s[0:3], 0 offen offset:4
	buffer_store_dword v65, v61, s[0:3], 0 offen
	s_clause 0x1
	buffer_load_dword v68, off, s[0:3], 0 offset:12
	buffer_load_dword v67, off, s[0:3], 0 offset:8
	v_xor_b32_e32 v66, 0x80000000, v66
	s_waitcnt vmcnt(0)
	ds_write2_b64 v63, v[65:66], v[67:68] offset1:30
	s_waitcnt lgkmcnt(0)
	s_waitcnt_vscnt null, 0x0
	s_barrier
	buffer_gl0_inv
	s_and_saveexec_b32 s5, s4
	s_cbranch_execz .LBB93_15
; %bb.14:
	s_clause 0x1
	buffer_load_dword v65, v61, s[0:3], 0 offen
	buffer_load_dword v66, v61, s[0:3], 0 offen offset:4
	ds_read_b64 v[67:68], v64
	v_mov_b32_e32 v62, 0
	ds_read_b64 v[69:70], v62 offset:8
	s_waitcnt vmcnt(0) lgkmcnt(1)
	v_fma_f64 v[65:66], v[65:66], v[67:68], 0
	s_waitcnt lgkmcnt(0)
	v_mul_f64 v[65:66], v[65:66], v[69:70]
	buffer_store_dword v65, off, s[0:3], 0 offset:8
	buffer_store_dword v66, off, s[0:3], 0 offset:12
.LBB93_15:
	s_or_b32 exec_lo, exec_lo, s5
	s_waitcnt_vscnt null, 0x0
	s_barrier
	buffer_gl0_inv
	s_clause 0x1
	buffer_load_dword v65, off, s[0:3], 0 offset:16
	buffer_load_dword v66, off, s[0:3], 0 offset:20
	s_mov_b32 s5, exec_lo
	s_waitcnt vmcnt(0)
	ds_write_b64 v64, v[65:66]
	s_waitcnt lgkmcnt(0)
	s_barrier
	buffer_gl0_inv
	v_cmpx_gt_u32_e32 2, v0
	s_cbranch_execz .LBB93_19
; %bb.16:
	s_clause 0x1
	buffer_load_dword v65, v61, s[0:3], 0 offen
	buffer_load_dword v66, v61, s[0:3], 0 offen offset:4
	ds_read_b64 v[61:62], v64
	s_waitcnt vmcnt(0) lgkmcnt(0)
	v_fma_f64 v[61:62], v[65:66], v[61:62], 0
	s_and_saveexec_b32 s8, s4
	s_cbranch_execz .LBB93_18
; %bb.17:
	s_clause 0x1
	buffer_load_dword v65, off, s[0:3], 0 offset:8
	buffer_load_dword v66, off, s[0:3], 0 offset:12
	v_mov_b32_e32 v67, 0
	ds_read_b64 v[67:68], v67 offset:248
	s_waitcnt vmcnt(0) lgkmcnt(0)
	v_fma_f64 v[61:62], v[65:66], v[67:68], v[61:62]
.LBB93_18:
	s_or_b32 exec_lo, exec_lo, s8
	v_mov_b32_e32 v65, 0
	ds_read_b64 v[65:66], v65 offset:16
	s_waitcnt lgkmcnt(0)
	v_mul_f64 v[61:62], v[61:62], v[65:66]
	buffer_store_dword v62, off, s[0:3], 0 offset:20
	buffer_store_dword v61, off, s[0:3], 0 offset:16
.LBB93_19:
	s_or_b32 exec_lo, exec_lo, s5
	s_waitcnt_vscnt null, 0x0
	s_barrier
	buffer_gl0_inv
	s_clause 0x1
	buffer_load_dword v61, off, s[0:3], 0 offset:24
	buffer_load_dword v62, off, s[0:3], 0 offset:28
	v_add_nc_u32_e32 v65, -1, v0
	s_mov_b32 s4, exec_lo
	s_waitcnt vmcnt(0)
	ds_write_b64 v64, v[61:62]
	s_waitcnt lgkmcnt(0)
	s_barrier
	buffer_gl0_inv
	v_cmpx_gt_u32_e32 3, v0
	s_cbranch_execz .LBB93_23
; %bb.20:
	v_mov_b32_e32 v61, 0
	v_add_nc_u32_e32 v66, -1, v0
	v_add_nc_u32_e32 v67, 0xf0, v63
	v_mov_b32_e32 v62, 0
	v_mov_b32_e32 v68, v63
	s_mov_b32 s5, 0
.LBB93_21:                              ; =>This Inner Loop Header: Depth=1
	s_clause 0x1
	buffer_load_dword v69, v68, s[0:3], 0 offen
	buffer_load_dword v70, v68, s[0:3], 0 offen offset:4
	ds_read_b64 v[71:72], v67
	v_add_nc_u32_e32 v66, 1, v66
	v_add_nc_u32_e32 v67, 8, v67
	v_add_nc_u32_e32 v68, 8, v68
	v_cmp_lt_u32_e32 vcc_lo, 1, v66
	s_or_b32 s5, vcc_lo, s5
	s_waitcnt vmcnt(0) lgkmcnt(0)
	v_fma_f64 v[61:62], v[69:70], v[71:72], v[61:62]
	s_andn2_b32 exec_lo, exec_lo, s5
	s_cbranch_execnz .LBB93_21
; %bb.22:
	s_or_b32 exec_lo, exec_lo, s5
	v_mov_b32_e32 v66, 0
	ds_read_b64 v[66:67], v66 offset:24
	s_waitcnt lgkmcnt(0)
	v_mul_f64 v[61:62], v[61:62], v[66:67]
	buffer_store_dword v62, off, s[0:3], 0 offset:28
	buffer_store_dword v61, off, s[0:3], 0 offset:24
.LBB93_23:
	s_or_b32 exec_lo, exec_lo, s4
	s_waitcnt_vscnt null, 0x0
	s_barrier
	buffer_gl0_inv
	s_clause 0x1
	buffer_load_dword v61, off, s[0:3], 0 offset:32
	buffer_load_dword v62, off, s[0:3], 0 offset:36
	s_mov_b32 s4, exec_lo
	s_waitcnt vmcnt(0)
	ds_write_b64 v64, v[61:62]
	s_waitcnt lgkmcnt(0)
	s_barrier
	buffer_gl0_inv
	v_cmpx_gt_u32_e32 4, v0
	s_cbranch_execz .LBB93_27
; %bb.24:
	v_mov_b32_e32 v61, 0
	v_add_nc_u32_e32 v66, -1, v0
	v_add_nc_u32_e32 v67, 0xf0, v63
	v_mov_b32_e32 v62, 0
	v_mov_b32_e32 v68, v63
	s_mov_b32 s5, 0
.LBB93_25:                              ; =>This Inner Loop Header: Depth=1
	s_clause 0x1
	buffer_load_dword v69, v68, s[0:3], 0 offen
	buffer_load_dword v70, v68, s[0:3], 0 offen offset:4
	ds_read_b64 v[71:72], v67
	v_add_nc_u32_e32 v66, 1, v66
	v_add_nc_u32_e32 v67, 8, v67
	v_add_nc_u32_e32 v68, 8, v68
	v_cmp_lt_u32_e32 vcc_lo, 2, v66
	s_or_b32 s5, vcc_lo, s5
	s_waitcnt vmcnt(0) lgkmcnt(0)
	v_fma_f64 v[61:62], v[69:70], v[71:72], v[61:62]
	s_andn2_b32 exec_lo, exec_lo, s5
	s_cbranch_execnz .LBB93_25
; %bb.26:
	s_or_b32 exec_lo, exec_lo, s5
	v_mov_b32_e32 v66, 0
	ds_read_b64 v[66:67], v66 offset:32
	s_waitcnt lgkmcnt(0)
	v_mul_f64 v[61:62], v[61:62], v[66:67]
	buffer_store_dword v62, off, s[0:3], 0 offset:36
	buffer_store_dword v61, off, s[0:3], 0 offset:32
.LBB93_27:
	s_or_b32 exec_lo, exec_lo, s4
	s_waitcnt_vscnt null, 0x0
	s_barrier
	buffer_gl0_inv
	s_clause 0x1
	buffer_load_dword v61, off, s[0:3], 0 offset:40
	buffer_load_dword v62, off, s[0:3], 0 offset:44
	;; [unrolled: 45-line block ×20, first 2 shown]
	s_mov_b32 s4, exec_lo
	s_waitcnt vmcnt(0)
	ds_write_b64 v64, v[61:62]
	s_waitcnt lgkmcnt(0)
	s_barrier
	buffer_gl0_inv
	v_cmpx_gt_u32_e32 23, v0
	s_cbranch_execz .LBB93_103
; %bb.100:
	v_mov_b32_e32 v61, 0
	v_add_nc_u32_e32 v66, -1, v0
	v_add_nc_u32_e32 v67, 0xf0, v63
	v_mov_b32_e32 v62, 0
	v_mov_b32_e32 v68, v63
	s_mov_b32 s5, 0
.LBB93_101:                             ; =>This Inner Loop Header: Depth=1
	s_clause 0x1
	buffer_load_dword v69, v68, s[0:3], 0 offen
	buffer_load_dword v70, v68, s[0:3], 0 offen offset:4
	ds_read_b64 v[71:72], v67
	v_add_nc_u32_e32 v66, 1, v66
	v_add_nc_u32_e32 v67, 8, v67
	v_add_nc_u32_e32 v68, 8, v68
	v_cmp_lt_u32_e32 vcc_lo, 21, v66
	s_or_b32 s5, vcc_lo, s5
	s_waitcnt vmcnt(0) lgkmcnt(0)
	v_fma_f64 v[61:62], v[69:70], v[71:72], v[61:62]
	s_andn2_b32 exec_lo, exec_lo, s5
	s_cbranch_execnz .LBB93_101
; %bb.102:
	s_or_b32 exec_lo, exec_lo, s5
	v_mov_b32_e32 v66, 0
	ds_read_b64 v[66:67], v66 offset:184
	s_waitcnt lgkmcnt(0)
	v_mul_f64 v[61:62], v[61:62], v[66:67]
	buffer_store_dword v62, off, s[0:3], 0 offset:188
	buffer_store_dword v61, off, s[0:3], 0 offset:184
.LBB93_103:
	s_or_b32 exec_lo, exec_lo, s4
	s_waitcnt_vscnt null, 0x0
	s_barrier
	buffer_gl0_inv
	s_clause 0x1
	buffer_load_dword v61, off, s[0:3], 0 offset:192
	buffer_load_dword v62, off, s[0:3], 0 offset:196
	s_mov_b32 s4, exec_lo
	s_waitcnt vmcnt(0)
	ds_write_b64 v64, v[61:62]
	s_waitcnt lgkmcnt(0)
	s_barrier
	buffer_gl0_inv
	v_cmpx_gt_u32_e32 24, v0
	s_cbranch_execz .LBB93_107
; %bb.104:
	v_mov_b32_e32 v61, 0
	v_add_nc_u32_e32 v66, -1, v0
	v_add_nc_u32_e32 v67, 0xf0, v63
	v_mov_b32_e32 v62, 0
	v_mov_b32_e32 v68, v63
	s_mov_b32 s5, 0
.LBB93_105:                             ; =>This Inner Loop Header: Depth=1
	s_clause 0x1
	buffer_load_dword v69, v68, s[0:3], 0 offen
	buffer_load_dword v70, v68, s[0:3], 0 offen offset:4
	ds_read_b64 v[71:72], v67
	v_add_nc_u32_e32 v66, 1, v66
	v_add_nc_u32_e32 v67, 8, v67
	v_add_nc_u32_e32 v68, 8, v68
	v_cmp_lt_u32_e32 vcc_lo, 22, v66
	s_or_b32 s5, vcc_lo, s5
	s_waitcnt vmcnt(0) lgkmcnt(0)
	v_fma_f64 v[61:62], v[69:70], v[71:72], v[61:62]
	s_andn2_b32 exec_lo, exec_lo, s5
	s_cbranch_execnz .LBB93_105
; %bb.106:
	s_or_b32 exec_lo, exec_lo, s5
	v_mov_b32_e32 v66, 0
	ds_read_b64 v[66:67], v66 offset:192
	s_waitcnt lgkmcnt(0)
	v_mul_f64 v[61:62], v[61:62], v[66:67]
	buffer_store_dword v62, off, s[0:3], 0 offset:196
	buffer_store_dword v61, off, s[0:3], 0 offset:192
.LBB93_107:
	s_or_b32 exec_lo, exec_lo, s4
	s_waitcnt_vscnt null, 0x0
	s_barrier
	buffer_gl0_inv
	s_clause 0x1
	buffer_load_dword v61, off, s[0:3], 0 offset:200
	buffer_load_dword v62, off, s[0:3], 0 offset:204
	;; [unrolled: 45-line block ×6, first 2 shown]
	s_mov_b32 s4, exec_lo
	s_waitcnt vmcnt(0)
	ds_write_b64 v64, v[61:62]
	s_waitcnt lgkmcnt(0)
	s_barrier
	buffer_gl0_inv
	v_cmpx_ne_u32_e32 29, v0
	s_cbranch_execz .LBB93_127
; %bb.124:
	v_mov_b32_e32 v61, 0
	v_mov_b32_e32 v62, 0
	s_mov_b32 s5, 0
.LBB93_125:                             ; =>This Inner Loop Header: Depth=1
	s_clause 0x1
	buffer_load_dword v66, v63, s[0:3], 0 offen
	buffer_load_dword v67, v63, s[0:3], 0 offen offset:4
	ds_read_b64 v[68:69], v64
	v_add_nc_u32_e32 v65, 1, v65
	v_add_nc_u32_e32 v64, 8, v64
	;; [unrolled: 1-line block ×3, first 2 shown]
	v_cmp_lt_u32_e32 vcc_lo, 27, v65
	s_or_b32 s5, vcc_lo, s5
	s_waitcnt vmcnt(0) lgkmcnt(0)
	v_fma_f64 v[61:62], v[66:67], v[68:69], v[61:62]
	s_andn2_b32 exec_lo, exec_lo, s5
	s_cbranch_execnz .LBB93_125
; %bb.126:
	s_or_b32 exec_lo, exec_lo, s5
	v_mov_b32_e32 v63, 0
	ds_read_b64 v[63:64], v63 offset:232
	s_waitcnt lgkmcnt(0)
	v_mul_f64 v[61:62], v[61:62], v[63:64]
	buffer_store_dword v62, off, s[0:3], 0 offset:236
	buffer_store_dword v61, off, s[0:3], 0 offset:232
.LBB93_127:
	s_or_b32 exec_lo, exec_lo, s4
	s_mov_b32 s5, -1
	s_waitcnt_vscnt null, 0x0
	s_barrier
	buffer_gl0_inv
.LBB93_128:
	s_and_b32 vcc_lo, exec_lo, s5
	s_cbranch_vccz .LBB93_130
; %bb.129:
	s_lshl_b64 s[4:5], s[6:7], 2
	v_mov_b32_e32 v61, 0
	s_add_u32 s4, s10, s4
	s_addc_u32 s5, s11, s5
	global_load_dword v61, v61, s[4:5]
	s_waitcnt vmcnt(0)
	v_cmp_ne_u32_e32 vcc_lo, 0, v61
	s_cbranch_vccz .LBB93_131
.LBB93_130:
	s_endpgm
.LBB93_131:
	v_lshl_add_u32 v61, v0, 3, 0xf0
	s_mov_b32 s4, exec_lo
	v_cmpx_eq_u32_e32 29, v0
	s_cbranch_execz .LBB93_133
; %bb.132:
	s_clause 0x1
	buffer_load_dword v62, off, s[0:3], 0 offset:224
	buffer_load_dword v63, off, s[0:3], 0 offset:228
	v_mov_b32_e32 v64, 0
	buffer_store_dword v64, off, s[0:3], 0 offset:224
	buffer_store_dword v64, off, s[0:3], 0 offset:228
	s_waitcnt vmcnt(0)
	ds_write_b64 v61, v[62:63]
.LBB93_133:
	s_or_b32 exec_lo, exec_lo, s4
	s_waitcnt lgkmcnt(0)
	s_waitcnt_vscnt null, 0x0
	s_barrier
	buffer_gl0_inv
	s_clause 0x3
	buffer_load_dword v63, off, s[0:3], 0 offset:232
	buffer_load_dword v64, off, s[0:3], 0 offset:236
	buffer_load_dword v65, off, s[0:3], 0 offset:224
	buffer_load_dword v66, off, s[0:3], 0 offset:228
	v_mov_b32_e32 v62, 0
	s_mov_b32 s4, exec_lo
	ds_read_b64 v[67:68], v62 offset:472
	s_waitcnt vmcnt(2) lgkmcnt(0)
	v_fma_f64 v[63:64], v[63:64], v[67:68], 0
	s_waitcnt vmcnt(0)
	v_add_f64 v[63:64], v[65:66], -v[63:64]
	buffer_store_dword v63, off, s[0:3], 0 offset:224
	buffer_store_dword v64, off, s[0:3], 0 offset:228
	v_cmpx_lt_u32_e32 27, v0
	s_cbranch_execz .LBB93_135
; %bb.134:
	s_clause 0x1
	buffer_load_dword v63, off, s[0:3], 0 offset:216
	buffer_load_dword v64, off, s[0:3], 0 offset:220
	buffer_store_dword v62, off, s[0:3], 0 offset:216
	buffer_store_dword v62, off, s[0:3], 0 offset:220
	s_waitcnt vmcnt(0)
	ds_write_b64 v61, v[63:64]
.LBB93_135:
	s_or_b32 exec_lo, exec_lo, s4
	s_waitcnt lgkmcnt(0)
	s_waitcnt_vscnt null, 0x0
	s_barrier
	buffer_gl0_inv
	s_clause 0x5
	buffer_load_dword v66, off, s[0:3], 0 offset:224
	buffer_load_dword v67, off, s[0:3], 0 offset:228
	;; [unrolled: 1-line block ×6, first 2 shown]
	ds_read_b128 v[62:65], v62 offset:464
	s_mov_b32 s4, exec_lo
	s_waitcnt vmcnt(4) lgkmcnt(0)
	v_fma_f64 v[62:63], v[66:67], v[62:63], 0
	s_waitcnt vmcnt(2)
	v_fma_f64 v[62:63], v[68:69], v[64:65], v[62:63]
	s_waitcnt vmcnt(0)
	v_add_f64 v[62:63], v[70:71], -v[62:63]
	buffer_store_dword v62, off, s[0:3], 0 offset:216
	buffer_store_dword v63, off, s[0:3], 0 offset:220
	v_cmpx_lt_u32_e32 26, v0
	s_cbranch_execz .LBB93_137
; %bb.136:
	s_clause 0x1
	buffer_load_dword v62, off, s[0:3], 0 offset:208
	buffer_load_dword v63, off, s[0:3], 0 offset:212
	v_mov_b32_e32 v64, 0
	buffer_store_dword v64, off, s[0:3], 0 offset:208
	buffer_store_dword v64, off, s[0:3], 0 offset:212
	s_waitcnt vmcnt(0)
	ds_write_b64 v61, v[62:63]
.LBB93_137:
	s_or_b32 exec_lo, exec_lo, s4
	s_waitcnt lgkmcnt(0)
	s_waitcnt_vscnt null, 0x0
	s_barrier
	buffer_gl0_inv
	s_clause 0x7
	buffer_load_dword v67, off, s[0:3], 0 offset:216
	buffer_load_dword v68, off, s[0:3], 0 offset:220
	;; [unrolled: 1-line block ×8, first 2 shown]
	v_mov_b32_e32 v62, 0
	ds_read2_b64 v[63:66], v62 offset0:57 offset1:58
	ds_read_b64 v[75:76], v62 offset:472
	s_mov_b32 s4, exec_lo
	s_waitcnt vmcnt(6) lgkmcnt(1)
	v_fma_f64 v[63:64], v[67:68], v[63:64], 0
	s_waitcnt vmcnt(4)
	v_fma_f64 v[63:64], v[69:70], v[65:66], v[63:64]
	s_waitcnt vmcnt(2) lgkmcnt(0)
	v_fma_f64 v[63:64], v[71:72], v[75:76], v[63:64]
	s_waitcnt vmcnt(0)
	v_add_f64 v[63:64], v[73:74], -v[63:64]
	buffer_store_dword v63, off, s[0:3], 0 offset:208
	buffer_store_dword v64, off, s[0:3], 0 offset:212
	v_cmpx_lt_u32_e32 25, v0
	s_cbranch_execz .LBB93_139
; %bb.138:
	s_clause 0x1
	buffer_load_dword v63, off, s[0:3], 0 offset:200
	buffer_load_dword v64, off, s[0:3], 0 offset:204
	buffer_store_dword v62, off, s[0:3], 0 offset:200
	buffer_store_dword v62, off, s[0:3], 0 offset:204
	s_waitcnt vmcnt(0)
	ds_write_b64 v61, v[63:64]
.LBB93_139:
	s_or_b32 exec_lo, exec_lo, s4
	s_waitcnt lgkmcnt(0)
	s_waitcnt_vscnt null, 0x0
	s_barrier
	buffer_gl0_inv
	s_clause 0x9
	buffer_load_dword v71, off, s[0:3], 0 offset:208
	buffer_load_dword v72, off, s[0:3], 0 offset:212
	buffer_load_dword v73, off, s[0:3], 0 offset:216
	buffer_load_dword v74, off, s[0:3], 0 offset:220
	buffer_load_dword v75, off, s[0:3], 0 offset:224
	buffer_load_dword v76, off, s[0:3], 0 offset:228
	buffer_load_dword v77, off, s[0:3], 0 offset:232
	buffer_load_dword v78, off, s[0:3], 0 offset:236
	buffer_load_dword v79, off, s[0:3], 0 offset:200
	buffer_load_dword v80, off, s[0:3], 0 offset:204
	ds_read_b128 v[63:66], v62 offset:448
	ds_read_b128 v[67:70], v62 offset:464
	s_mov_b32 s4, exec_lo
	s_waitcnt vmcnt(8) lgkmcnt(1)
	v_fma_f64 v[62:63], v[71:72], v[63:64], 0
	s_waitcnt vmcnt(6)
	v_fma_f64 v[62:63], v[73:74], v[65:66], v[62:63]
	s_waitcnt vmcnt(4) lgkmcnt(0)
	v_fma_f64 v[62:63], v[75:76], v[67:68], v[62:63]
	s_waitcnt vmcnt(2)
	v_fma_f64 v[62:63], v[77:78], v[69:70], v[62:63]
	s_waitcnt vmcnt(0)
	v_add_f64 v[62:63], v[79:80], -v[62:63]
	buffer_store_dword v62, off, s[0:3], 0 offset:200
	buffer_store_dword v63, off, s[0:3], 0 offset:204
	v_cmpx_lt_u32_e32 24, v0
	s_cbranch_execz .LBB93_141
; %bb.140:
	s_clause 0x1
	buffer_load_dword v62, off, s[0:3], 0 offset:192
	buffer_load_dword v63, off, s[0:3], 0 offset:196
	v_mov_b32_e32 v64, 0
	buffer_store_dword v64, off, s[0:3], 0 offset:192
	buffer_store_dword v64, off, s[0:3], 0 offset:196
	s_waitcnt vmcnt(0)
	ds_write_b64 v61, v[62:63]
.LBB93_141:
	s_or_b32 exec_lo, exec_lo, s4
	s_waitcnt lgkmcnt(0)
	s_waitcnt_vscnt null, 0x0
	s_barrier
	buffer_gl0_inv
	s_clause 0xb
	buffer_load_dword v71, off, s[0:3], 0 offset:200
	buffer_load_dword v72, off, s[0:3], 0 offset:204
	buffer_load_dword v73, off, s[0:3], 0 offset:208
	buffer_load_dword v74, off, s[0:3], 0 offset:212
	buffer_load_dword v75, off, s[0:3], 0 offset:216
	buffer_load_dword v76, off, s[0:3], 0 offset:220
	buffer_load_dword v77, off, s[0:3], 0 offset:224
	buffer_load_dword v78, off, s[0:3], 0 offset:228
	buffer_load_dword v79, off, s[0:3], 0 offset:232
	buffer_load_dword v80, off, s[0:3], 0 offset:236
	buffer_load_dword v81, off, s[0:3], 0 offset:192
	buffer_load_dword v82, off, s[0:3], 0 offset:196
	v_mov_b32_e32 v62, 0
	ds_read2_b64 v[63:66], v62 offset0:55 offset1:56
	ds_read2_b64 v[67:70], v62 offset0:57 offset1:58
	s_mov_b32 s4, exec_lo
	s_waitcnt vmcnt(10) lgkmcnt(1)
	v_fma_f64 v[63:64], v[71:72], v[63:64], 0
	s_waitcnt vmcnt(8)
	v_fma_f64 v[63:64], v[73:74], v[65:66], v[63:64]
	ds_read_b64 v[65:66], v62 offset:472
	s_waitcnt vmcnt(6) lgkmcnt(1)
	v_fma_f64 v[63:64], v[75:76], v[67:68], v[63:64]
	s_waitcnt vmcnt(4)
	v_fma_f64 v[63:64], v[77:78], v[69:70], v[63:64]
	s_waitcnt vmcnt(2) lgkmcnt(0)
	v_fma_f64 v[63:64], v[79:80], v[65:66], v[63:64]
	s_waitcnt vmcnt(0)
	v_add_f64 v[63:64], v[81:82], -v[63:64]
	buffer_store_dword v63, off, s[0:3], 0 offset:192
	buffer_store_dword v64, off, s[0:3], 0 offset:196
	v_cmpx_lt_u32_e32 23, v0
	s_cbranch_execz .LBB93_143
; %bb.142:
	s_clause 0x1
	buffer_load_dword v63, off, s[0:3], 0 offset:184
	buffer_load_dword v64, off, s[0:3], 0 offset:188
	buffer_store_dword v62, off, s[0:3], 0 offset:184
	buffer_store_dword v62, off, s[0:3], 0 offset:188
	s_waitcnt vmcnt(0)
	ds_write_b64 v61, v[63:64]
.LBB93_143:
	s_or_b32 exec_lo, exec_lo, s4
	s_waitcnt lgkmcnt(0)
	s_waitcnt_vscnt null, 0x0
	s_barrier
	buffer_gl0_inv
	s_clause 0xd
	buffer_load_dword v71, off, s[0:3], 0 offset:192
	buffer_load_dword v72, off, s[0:3], 0 offset:196
	;; [unrolled: 1-line block ×14, first 2 shown]
	ds_read_b128 v[63:66], v62 offset:432
	ds_read_b128 v[67:70], v62 offset:448
	s_mov_b32 s4, exec_lo
	s_waitcnt vmcnt(12) lgkmcnt(1)
	v_fma_f64 v[63:64], v[71:72], v[63:64], 0
	s_waitcnt vmcnt(10)
	v_fma_f64 v[63:64], v[73:74], v[65:66], v[63:64]
	s_waitcnt vmcnt(8) lgkmcnt(0)
	v_fma_f64 v[63:64], v[75:76], v[67:68], v[63:64]
	s_waitcnt vmcnt(6)
	v_fma_f64 v[66:67], v[77:78], v[69:70], v[63:64]
	ds_read_b128 v[62:65], v62 offset:464
	s_waitcnt vmcnt(4) lgkmcnt(0)
	v_fma_f64 v[62:63], v[79:80], v[62:63], v[66:67]
	s_waitcnt vmcnt(2)
	v_fma_f64 v[62:63], v[81:82], v[64:65], v[62:63]
	s_waitcnt vmcnt(0)
	v_add_f64 v[62:63], v[83:84], -v[62:63]
	buffer_store_dword v62, off, s[0:3], 0 offset:184
	buffer_store_dword v63, off, s[0:3], 0 offset:188
	v_cmpx_lt_u32_e32 22, v0
	s_cbranch_execz .LBB93_145
; %bb.144:
	s_clause 0x1
	buffer_load_dword v62, off, s[0:3], 0 offset:176
	buffer_load_dword v63, off, s[0:3], 0 offset:180
	v_mov_b32_e32 v64, 0
	buffer_store_dword v64, off, s[0:3], 0 offset:176
	buffer_store_dword v64, off, s[0:3], 0 offset:180
	s_waitcnt vmcnt(0)
	ds_write_b64 v61, v[62:63]
.LBB93_145:
	s_or_b32 exec_lo, exec_lo, s4
	s_waitcnt lgkmcnt(0)
	s_waitcnt_vscnt null, 0x0
	s_barrier
	buffer_gl0_inv
	s_clause 0xf
	buffer_load_dword v71, off, s[0:3], 0 offset:184
	buffer_load_dword v72, off, s[0:3], 0 offset:188
	;; [unrolled: 1-line block ×16, first 2 shown]
	v_mov_b32_e32 v62, 0
	ds_read2_b64 v[63:66], v62 offset0:53 offset1:54
	ds_read2_b64 v[67:70], v62 offset0:55 offset1:56
	s_mov_b32 s4, exec_lo
	s_waitcnt vmcnt(14) lgkmcnt(1)
	v_fma_f64 v[63:64], v[71:72], v[63:64], 0
	s_waitcnt vmcnt(12)
	v_fma_f64 v[63:64], v[73:74], v[65:66], v[63:64]
	s_waitcnt vmcnt(10) lgkmcnt(0)
	v_fma_f64 v[63:64], v[75:76], v[67:68], v[63:64]
	s_waitcnt vmcnt(8)
	v_fma_f64 v[67:68], v[77:78], v[69:70], v[63:64]
	ds_read2_b64 v[63:66], v62 offset0:57 offset1:58
	ds_read_b64 v[69:70], v62 offset:472
	s_waitcnt vmcnt(6) lgkmcnt(1)
	v_fma_f64 v[63:64], v[79:80], v[63:64], v[67:68]
	s_waitcnt vmcnt(4)
	v_fma_f64 v[63:64], v[81:82], v[65:66], v[63:64]
	s_waitcnt vmcnt(2) lgkmcnt(0)
	v_fma_f64 v[63:64], v[83:84], v[69:70], v[63:64]
	s_waitcnt vmcnt(0)
	v_add_f64 v[63:64], v[85:86], -v[63:64]
	buffer_store_dword v63, off, s[0:3], 0 offset:176
	buffer_store_dword v64, off, s[0:3], 0 offset:180
	v_cmpx_lt_u32_e32 21, v0
	s_cbranch_execz .LBB93_147
; %bb.146:
	s_clause 0x1
	buffer_load_dword v63, off, s[0:3], 0 offset:168
	buffer_load_dword v64, off, s[0:3], 0 offset:172
	buffer_store_dword v62, off, s[0:3], 0 offset:168
	buffer_store_dword v62, off, s[0:3], 0 offset:172
	s_waitcnt vmcnt(0)
	ds_write_b64 v61, v[63:64]
.LBB93_147:
	s_or_b32 exec_lo, exec_lo, s4
	s_waitcnt lgkmcnt(0)
	s_waitcnt_vscnt null, 0x0
	s_barrier
	buffer_gl0_inv
	s_clause 0x11
	buffer_load_dword v71, off, s[0:3], 0 offset:176
	buffer_load_dword v72, off, s[0:3], 0 offset:180
	;; [unrolled: 1-line block ×18, first 2 shown]
	ds_read_b128 v[63:66], v62 offset:416
	ds_read_b128 v[67:70], v62 offset:432
	s_mov_b32 s4, exec_lo
	s_waitcnt vmcnt(16) lgkmcnt(1)
	v_fma_f64 v[63:64], v[71:72], v[63:64], 0
	s_waitcnt vmcnt(14)
	v_fma_f64 v[63:64], v[73:74], v[65:66], v[63:64]
	s_waitcnt vmcnt(12) lgkmcnt(0)
	v_fma_f64 v[63:64], v[75:76], v[67:68], v[63:64]
	s_waitcnt vmcnt(10)
	v_fma_f64 v[71:72], v[77:78], v[69:70], v[63:64]
	ds_read_b128 v[63:66], v62 offset:448
	ds_read_b128 v[67:70], v62 offset:464
	s_waitcnt vmcnt(8) lgkmcnt(1)
	v_fma_f64 v[62:63], v[79:80], v[63:64], v[71:72]
	s_waitcnt vmcnt(6)
	v_fma_f64 v[62:63], v[81:82], v[65:66], v[62:63]
	s_waitcnt vmcnt(4) lgkmcnt(0)
	v_fma_f64 v[62:63], v[83:84], v[67:68], v[62:63]
	s_waitcnt vmcnt(2)
	v_fma_f64 v[62:63], v[85:86], v[69:70], v[62:63]
	s_waitcnt vmcnt(0)
	v_add_f64 v[62:63], v[87:88], -v[62:63]
	buffer_store_dword v62, off, s[0:3], 0 offset:168
	buffer_store_dword v63, off, s[0:3], 0 offset:172
	v_cmpx_lt_u32_e32 20, v0
	s_cbranch_execz .LBB93_149
; %bb.148:
	s_clause 0x1
	buffer_load_dword v62, off, s[0:3], 0 offset:160
	buffer_load_dword v63, off, s[0:3], 0 offset:164
	v_mov_b32_e32 v64, 0
	buffer_store_dword v64, off, s[0:3], 0 offset:160
	buffer_store_dword v64, off, s[0:3], 0 offset:164
	s_waitcnt vmcnt(0)
	ds_write_b64 v61, v[62:63]
.LBB93_149:
	s_or_b32 exec_lo, exec_lo, s4
	s_waitcnt lgkmcnt(0)
	s_waitcnt_vscnt null, 0x0
	s_barrier
	buffer_gl0_inv
	s_clause 0x13
	buffer_load_dword v71, off, s[0:3], 0 offset:168
	buffer_load_dword v72, off, s[0:3], 0 offset:172
	;; [unrolled: 1-line block ×20, first 2 shown]
	v_mov_b32_e32 v62, 0
	ds_read2_b64 v[63:66], v62 offset0:51 offset1:52
	ds_read2_b64 v[67:70], v62 offset0:53 offset1:54
	s_mov_b32 s4, exec_lo
	s_waitcnt vmcnt(18) lgkmcnt(1)
	v_fma_f64 v[63:64], v[71:72], v[63:64], 0
	s_waitcnt vmcnt(16)
	v_fma_f64 v[63:64], v[73:74], v[65:66], v[63:64]
	s_waitcnt vmcnt(14) lgkmcnt(0)
	v_fma_f64 v[63:64], v[75:76], v[67:68], v[63:64]
	s_waitcnt vmcnt(12)
	v_fma_f64 v[71:72], v[77:78], v[69:70], v[63:64]
	ds_read2_b64 v[63:66], v62 offset0:55 offset1:56
	ds_read2_b64 v[67:70], v62 offset0:57 offset1:58
	s_waitcnt vmcnt(10) lgkmcnt(1)
	v_fma_f64 v[63:64], v[79:80], v[63:64], v[71:72]
	s_waitcnt vmcnt(8)
	v_fma_f64 v[63:64], v[81:82], v[65:66], v[63:64]
	ds_read_b64 v[65:66], v62 offset:472
	s_waitcnt vmcnt(6) lgkmcnt(1)
	v_fma_f64 v[63:64], v[83:84], v[67:68], v[63:64]
	s_waitcnt vmcnt(3)
	v_fma_f64 v[63:64], v[85:86], v[69:70], v[63:64]
	s_waitcnt vmcnt(2) lgkmcnt(0)
	v_fma_f64 v[63:64], v[87:88], v[65:66], v[63:64]
	s_waitcnt vmcnt(0)
	v_add_f64 v[63:64], v[89:90], -v[63:64]
	buffer_store_dword v63, off, s[0:3], 0 offset:160
	buffer_store_dword v64, off, s[0:3], 0 offset:164
	v_cmpx_lt_u32_e32 19, v0
	s_cbranch_execz .LBB93_151
; %bb.150:
	s_clause 0x1
	buffer_load_dword v63, off, s[0:3], 0 offset:152
	buffer_load_dword v64, off, s[0:3], 0 offset:156
	buffer_store_dword v62, off, s[0:3], 0 offset:152
	buffer_store_dword v62, off, s[0:3], 0 offset:156
	s_waitcnt vmcnt(0)
	ds_write_b64 v61, v[63:64]
.LBB93_151:
	s_or_b32 exec_lo, exec_lo, s4
	s_waitcnt lgkmcnt(0)
	s_waitcnt_vscnt null, 0x0
	s_barrier
	buffer_gl0_inv
	s_clause 0x15
	buffer_load_dword v71, off, s[0:3], 0 offset:160
	buffer_load_dword v72, off, s[0:3], 0 offset:164
	;; [unrolled: 1-line block ×22, first 2 shown]
	ds_read_b128 v[63:66], v62 offset:400
	ds_read_b128 v[67:70], v62 offset:416
	s_mov_b32 s4, exec_lo
	s_waitcnt vmcnt(20) lgkmcnt(1)
	v_fma_f64 v[63:64], v[71:72], v[63:64], 0
	s_waitcnt vmcnt(18)
	v_fma_f64 v[63:64], v[73:74], v[65:66], v[63:64]
	s_waitcnt vmcnt(16) lgkmcnt(0)
	v_fma_f64 v[63:64], v[75:76], v[67:68], v[63:64]
	s_waitcnt vmcnt(14)
	v_fma_f64 v[71:72], v[77:78], v[69:70], v[63:64]
	ds_read_b128 v[63:66], v62 offset:432
	ds_read_b128 v[67:70], v62 offset:448
	s_waitcnt vmcnt(12) lgkmcnt(1)
	v_fma_f64 v[63:64], v[79:80], v[63:64], v[71:72]
	s_waitcnt vmcnt(10)
	v_fma_f64 v[63:64], v[81:82], v[65:66], v[63:64]
	s_waitcnt vmcnt(8) lgkmcnt(0)
	v_fma_f64 v[63:64], v[83:84], v[67:68], v[63:64]
	s_waitcnt vmcnt(4)
	v_fma_f64 v[66:67], v[85:86], v[69:70], v[63:64]
	ds_read_b128 v[62:65], v62 offset:464
	s_waitcnt vmcnt(3) lgkmcnt(0)
	v_fma_f64 v[62:63], v[89:90], v[62:63], v[66:67]
	s_waitcnt vmcnt(2)
	v_fma_f64 v[62:63], v[87:88], v[64:65], v[62:63]
	s_waitcnt vmcnt(0)
	v_add_f64 v[62:63], v[91:92], -v[62:63]
	buffer_store_dword v62, off, s[0:3], 0 offset:152
	buffer_store_dword v63, off, s[0:3], 0 offset:156
	v_cmpx_lt_u32_e32 18, v0
	s_cbranch_execz .LBB93_153
; %bb.152:
	s_clause 0x1
	buffer_load_dword v62, off, s[0:3], 0 offset:144
	buffer_load_dword v63, off, s[0:3], 0 offset:148
	v_mov_b32_e32 v64, 0
	buffer_store_dword v64, off, s[0:3], 0 offset:144
	buffer_store_dword v64, off, s[0:3], 0 offset:148
	s_waitcnt vmcnt(0)
	ds_write_b64 v61, v[62:63]
.LBB93_153:
	s_or_b32 exec_lo, exec_lo, s4
	s_waitcnt lgkmcnt(0)
	s_waitcnt_vscnt null, 0x0
	s_barrier
	buffer_gl0_inv
	s_clause 0x17
	buffer_load_dword v67, off, s[0:3], 0 offset:152
	buffer_load_dword v68, off, s[0:3], 0 offset:156
	;; [unrolled: 1-line block ×24, first 2 shown]
	v_mov_b32_e32 v62, 0
	s_mov_b32 s4, exec_lo
	ds_read2_b64 v[63:66], v62 offset0:49 offset1:50
	s_waitcnt vmcnt(22) lgkmcnt(0)
	v_fma_f64 v[63:64], v[67:68], v[63:64], 0
	s_waitcnt vmcnt(20)
	v_fma_f64 v[67:68], v[69:70], v[65:66], v[63:64]
	ds_read2_b64 v[63:66], v62 offset0:51 offset1:52
	s_waitcnt vmcnt(18) lgkmcnt(0)
	v_fma_f64 v[63:64], v[71:72], v[63:64], v[67:68]
	s_waitcnt vmcnt(16)
	v_fma_f64 v[67:68], v[73:74], v[65:66], v[63:64]
	;; [unrolled: 5-line block ×5, first 2 shown]
	ds_read_b64 v[65:66], v62 offset:472
	s_waitcnt vmcnt(2) lgkmcnt(0)
	v_fma_f64 v[63:64], v[87:88], v[65:66], v[63:64]
	s_waitcnt vmcnt(0)
	v_add_f64 v[63:64], v[89:90], -v[63:64]
	buffer_store_dword v64, off, s[0:3], 0 offset:148
	buffer_store_dword v63, off, s[0:3], 0 offset:144
	v_cmpx_lt_u32_e32 17, v0
	s_cbranch_execz .LBB93_155
; %bb.154:
	s_clause 0x1
	buffer_load_dword v63, off, s[0:3], 0 offset:136
	buffer_load_dword v64, off, s[0:3], 0 offset:140
	buffer_store_dword v62, off, s[0:3], 0 offset:136
	buffer_store_dword v62, off, s[0:3], 0 offset:140
	s_waitcnt vmcnt(0)
	ds_write_b64 v61, v[63:64]
.LBB93_155:
	s_or_b32 exec_lo, exec_lo, s4
	s_waitcnt lgkmcnt(0)
	s_waitcnt_vscnt null, 0x0
	s_barrier
	buffer_gl0_inv
	s_clause 0x19
	buffer_load_dword v67, off, s[0:3], 0 offset:144
	buffer_load_dword v68, off, s[0:3], 0 offset:148
	;; [unrolled: 1-line block ×26, first 2 shown]
	ds_read_b128 v[63:66], v62 offset:384
	s_mov_b32 s4, exec_lo
	s_waitcnt vmcnt(24) lgkmcnt(0)
	v_fma_f64 v[63:64], v[67:68], v[63:64], 0
	s_waitcnt vmcnt(22)
	v_fma_f64 v[67:68], v[69:70], v[65:66], v[63:64]
	ds_read_b128 v[63:66], v62 offset:400
	s_waitcnt vmcnt(20) lgkmcnt(0)
	v_fma_f64 v[63:64], v[71:72], v[63:64], v[67:68]
	s_waitcnt vmcnt(18)
	v_fma_f64 v[67:68], v[73:74], v[65:66], v[63:64]
	ds_read_b128 v[63:66], v62 offset:416
	;; [unrolled: 5-line block ×5, first 2 shown]
	s_waitcnt vmcnt(4) lgkmcnt(0)
	v_fma_f64 v[62:63], v[87:88], v[62:63], v[66:67]
	s_waitcnt vmcnt(2)
	v_fma_f64 v[62:63], v[89:90], v[64:65], v[62:63]
	s_waitcnt vmcnt(0)
	v_add_f64 v[62:63], v[91:92], -v[62:63]
	buffer_store_dword v63, off, s[0:3], 0 offset:140
	buffer_store_dword v62, off, s[0:3], 0 offset:136
	v_cmpx_lt_u32_e32 16, v0
	s_cbranch_execz .LBB93_157
; %bb.156:
	s_clause 0x1
	buffer_load_dword v62, off, s[0:3], 0 offset:128
	buffer_load_dword v63, off, s[0:3], 0 offset:132
	v_mov_b32_e32 v64, 0
	buffer_store_dword v64, off, s[0:3], 0 offset:128
	buffer_store_dword v64, off, s[0:3], 0 offset:132
	s_waitcnt vmcnt(0)
	ds_write_b64 v61, v[62:63]
.LBB93_157:
	s_or_b32 exec_lo, exec_lo, s4
	s_waitcnt lgkmcnt(0)
	s_waitcnt_vscnt null, 0x0
	s_barrier
	buffer_gl0_inv
	s_clause 0x1b
	buffer_load_dword v67, off, s[0:3], 0 offset:136
	buffer_load_dword v68, off, s[0:3], 0 offset:140
	;; [unrolled: 1-line block ×28, first 2 shown]
	v_mov_b32_e32 v62, 0
	s_mov_b32 s4, exec_lo
	ds_read2_b64 v[63:66], v62 offset0:47 offset1:48
	s_waitcnt vmcnt(26) lgkmcnt(0)
	v_fma_f64 v[63:64], v[67:68], v[63:64], 0
	s_waitcnt vmcnt(24)
	v_fma_f64 v[67:68], v[69:70], v[65:66], v[63:64]
	ds_read2_b64 v[63:66], v62 offset0:49 offset1:50
	s_waitcnt vmcnt(22) lgkmcnt(0)
	v_fma_f64 v[63:64], v[71:72], v[63:64], v[67:68]
	s_waitcnt vmcnt(20)
	v_fma_f64 v[67:68], v[73:74], v[65:66], v[63:64]
	;; [unrolled: 5-line block ×6, first 2 shown]
	ds_read_b64 v[65:66], v62 offset:472
	s_waitcnt vmcnt(2) lgkmcnt(0)
	v_fma_f64 v[63:64], v[91:92], v[65:66], v[63:64]
	s_waitcnt vmcnt(0)
	v_add_f64 v[63:64], v[93:94], -v[63:64]
	buffer_store_dword v64, off, s[0:3], 0 offset:132
	buffer_store_dword v63, off, s[0:3], 0 offset:128
	v_cmpx_lt_u32_e32 15, v0
	s_cbranch_execz .LBB93_159
; %bb.158:
	s_clause 0x1
	buffer_load_dword v63, off, s[0:3], 0 offset:120
	buffer_load_dword v64, off, s[0:3], 0 offset:124
	buffer_store_dword v62, off, s[0:3], 0 offset:120
	buffer_store_dword v62, off, s[0:3], 0 offset:124
	s_waitcnt vmcnt(0)
	ds_write_b64 v61, v[63:64]
.LBB93_159:
	s_or_b32 exec_lo, exec_lo, s4
	s_waitcnt lgkmcnt(0)
	s_waitcnt_vscnt null, 0x0
	s_barrier
	buffer_gl0_inv
	s_clause 0x1b
	buffer_load_dword v71, off, s[0:3], 0 offset:128
	buffer_load_dword v72, off, s[0:3], 0 offset:132
	;; [unrolled: 1-line block ×28, first 2 shown]
	ds_read_b128 v[63:66], v62 offset:368
	s_clause 0x1
	buffer_load_dword v99, off, s[0:3], 0 offset:120
	buffer_load_dword v100, off, s[0:3], 0 offset:124
	ds_read_b128 v[67:70], v62 offset:384
	s_mov_b32 s4, exec_lo
	s_waitcnt vmcnt(28) lgkmcnt(1)
	v_fma_f64 v[63:64], v[71:72], v[63:64], 0
	s_waitcnt vmcnt(26)
	v_fma_f64 v[63:64], v[73:74], v[65:66], v[63:64]
	s_waitcnt vmcnt(24) lgkmcnt(0)
	v_fma_f64 v[63:64], v[75:76], v[67:68], v[63:64]
	s_waitcnt vmcnt(22)
	v_fma_f64 v[71:72], v[77:78], v[69:70], v[63:64]
	ds_read_b128 v[63:66], v62 offset:400
	ds_read_b128 v[67:70], v62 offset:416
	s_waitcnt vmcnt(20) lgkmcnt(1)
	v_fma_f64 v[63:64], v[79:80], v[63:64], v[71:72]
	s_waitcnt vmcnt(18)
	v_fma_f64 v[63:64], v[81:82], v[65:66], v[63:64]
	s_waitcnt vmcnt(16) lgkmcnt(0)
	v_fma_f64 v[63:64], v[83:84], v[67:68], v[63:64]
	s_waitcnt vmcnt(11)
	v_fma_f64 v[71:72], v[85:86], v[69:70], v[63:64]
	ds_read_b128 v[63:66], v62 offset:432
	ds_read_b128 v[67:70], v62 offset:448
	s_waitcnt vmcnt(10) lgkmcnt(1)
	v_fma_f64 v[63:64], v[91:92], v[63:64], v[71:72]
	s_waitcnt vmcnt(9)
	v_fma_f64 v[63:64], v[89:90], v[65:66], v[63:64]
	s_waitcnt vmcnt(8) lgkmcnt(0)
	v_fma_f64 v[63:64], v[87:88], v[67:68], v[63:64]
	s_waitcnt vmcnt(4)
	v_fma_f64 v[66:67], v[93:94], v[69:70], v[63:64]
	ds_read_b128 v[62:65], v62 offset:464
	s_waitcnt vmcnt(3) lgkmcnt(0)
	v_fma_f64 v[62:63], v[97:98], v[62:63], v[66:67]
	s_waitcnt vmcnt(2)
	v_fma_f64 v[62:63], v[95:96], v[64:65], v[62:63]
	s_waitcnt vmcnt(0)
	v_add_f64 v[62:63], v[99:100], -v[62:63]
	buffer_store_dword v63, off, s[0:3], 0 offset:124
	buffer_store_dword v62, off, s[0:3], 0 offset:120
	v_cmpx_lt_u32_e32 14, v0
	s_cbranch_execz .LBB93_161
; %bb.160:
	s_clause 0x1
	buffer_load_dword v62, off, s[0:3], 0 offset:112
	buffer_load_dword v63, off, s[0:3], 0 offset:116
	v_mov_b32_e32 v64, 0
	buffer_store_dword v64, off, s[0:3], 0 offset:112
	buffer_store_dword v64, off, s[0:3], 0 offset:116
	s_waitcnt vmcnt(0)
	ds_write_b64 v61, v[62:63]
.LBB93_161:
	s_or_b32 exec_lo, exec_lo, s4
	s_waitcnt lgkmcnt(0)
	s_waitcnt_vscnt null, 0x0
	s_barrier
	buffer_gl0_inv
	s_clause 0x1c
	buffer_load_dword v71, off, s[0:3], 0 offset:120
	buffer_load_dword v72, off, s[0:3], 0 offset:124
	;; [unrolled: 1-line block ×29, first 2 shown]
	v_mov_b32_e32 v62, 0
	buffer_load_dword v96, off, s[0:3], 0 offset:236
	s_mov_b32 s4, exec_lo
	ds_read2_b64 v[63:66], v62 offset0:45 offset1:46
	ds_read2_b64 v[67:70], v62 offset0:47 offset1:48
	s_waitcnt vmcnt(28) lgkmcnt(1)
	v_fma_f64 v[63:64], v[71:72], v[63:64], 0
	s_clause 0x1
	buffer_load_dword v71, off, s[0:3], 0 offset:112
	buffer_load_dword v72, off, s[0:3], 0 offset:116
	s_waitcnt vmcnt(28)
	v_fma_f64 v[63:64], v[73:74], v[65:66], v[63:64]
	s_waitcnt vmcnt(26) lgkmcnt(0)
	v_fma_f64 v[63:64], v[75:76], v[67:68], v[63:64]
	s_waitcnt vmcnt(24)
	v_fma_f64 v[73:74], v[77:78], v[69:70], v[63:64]
	ds_read2_b64 v[63:66], v62 offset0:49 offset1:50
	ds_read2_b64 v[67:70], v62 offset0:51 offset1:52
	s_waitcnt vmcnt(22) lgkmcnt(1)
	v_fma_f64 v[63:64], v[79:80], v[63:64], v[73:74]
	s_waitcnt vmcnt(20)
	v_fma_f64 v[63:64], v[81:82], v[65:66], v[63:64]
	s_waitcnt vmcnt(18) lgkmcnt(0)
	v_fma_f64 v[63:64], v[83:84], v[67:68], v[63:64]
	s_waitcnt vmcnt(13)
	v_fma_f64 v[73:74], v[85:86], v[69:70], v[63:64]
	ds_read2_b64 v[63:66], v62 offset0:53 offset1:54
	ds_read2_b64 v[67:70], v62 offset0:55 offset1:56
	s_waitcnt vmcnt(12) lgkmcnt(1)
	v_fma_f64 v[63:64], v[91:92], v[63:64], v[73:74]
	s_waitcnt vmcnt(11)
	v_fma_f64 v[63:64], v[89:90], v[65:66], v[63:64]
	s_waitcnt vmcnt(10) lgkmcnt(0)
	v_fma_f64 v[63:64], v[87:88], v[67:68], v[63:64]
	s_waitcnt vmcnt(5)
	v_fma_f64 v[67:68], v[93:94], v[69:70], v[63:64]
	ds_read2_b64 v[63:66], v62 offset0:57 offset1:58
	ds_read_b64 v[69:70], v62 offset:472
	s_waitcnt vmcnt(4) lgkmcnt(1)
	v_fma_f64 v[63:64], v[99:100], v[63:64], v[67:68]
	s_waitcnt vmcnt(3)
	v_fma_f64 v[63:64], v[97:98], v[65:66], v[63:64]
	s_waitcnt vmcnt(2) lgkmcnt(0)
	v_fma_f64 v[63:64], v[95:96], v[69:70], v[63:64]
	s_waitcnt vmcnt(0)
	v_add_f64 v[63:64], v[71:72], -v[63:64]
	buffer_store_dword v64, off, s[0:3], 0 offset:116
	buffer_store_dword v63, off, s[0:3], 0 offset:112
	v_cmpx_lt_u32_e32 13, v0
	s_cbranch_execz .LBB93_163
; %bb.162:
	s_clause 0x1
	buffer_load_dword v63, off, s[0:3], 0 offset:104
	buffer_load_dword v64, off, s[0:3], 0 offset:108
	buffer_store_dword v62, off, s[0:3], 0 offset:104
	buffer_store_dword v62, off, s[0:3], 0 offset:108
	s_waitcnt vmcnt(0)
	ds_write_b64 v61, v[63:64]
.LBB93_163:
	s_or_b32 exec_lo, exec_lo, s4
	s_waitcnt lgkmcnt(0)
	s_waitcnt_vscnt null, 0x0
	s_barrier
	buffer_gl0_inv
	s_clause 0x1c
	buffer_load_dword v71, off, s[0:3], 0 offset:112
	buffer_load_dword v72, off, s[0:3], 0 offset:116
	;; [unrolled: 1-line block ×29, first 2 shown]
	ds_read_b128 v[63:66], v62 offset:352
	ds_read_b128 v[67:70], v62 offset:368
	buffer_load_dword v96, off, s[0:3], 0 offset:228
	s_mov_b32 s4, exec_lo
	s_waitcnt vmcnt(28) lgkmcnt(1)
	v_fma_f64 v[63:64], v[71:72], v[63:64], 0
	s_clause 0x1
	buffer_load_dword v72, off, s[0:3], 0 offset:236
	buffer_load_dword v71, off, s[0:3], 0 offset:232
	s_waitcnt vmcnt(28)
	v_fma_f64 v[63:64], v[73:74], v[65:66], v[63:64]
	s_clause 0x1
	buffer_load_dword v73, off, s[0:3], 0 offset:104
	buffer_load_dword v74, off, s[0:3], 0 offset:108
	s_waitcnt vmcnt(28) lgkmcnt(0)
	v_fma_f64 v[63:64], v[75:76], v[67:68], v[63:64]
	s_waitcnt vmcnt(26)
	v_fma_f64 v[75:76], v[77:78], v[69:70], v[63:64]
	ds_read_b128 v[63:66], v62 offset:384
	ds_read_b128 v[67:70], v62 offset:400
	s_waitcnt vmcnt(24) lgkmcnt(1)
	v_fma_f64 v[63:64], v[79:80], v[63:64], v[75:76]
	s_waitcnt vmcnt(22)
	v_fma_f64 v[63:64], v[81:82], v[65:66], v[63:64]
	s_waitcnt vmcnt(20) lgkmcnt(0)
	v_fma_f64 v[63:64], v[83:84], v[67:68], v[63:64]
	s_waitcnt vmcnt(15)
	v_fma_f64 v[75:76], v[85:86], v[69:70], v[63:64]
	ds_read_b128 v[63:66], v62 offset:416
	ds_read_b128 v[67:70], v62 offset:432
	s_waitcnt vmcnt(14) lgkmcnt(1)
	v_fma_f64 v[63:64], v[91:92], v[63:64], v[75:76]
	s_waitcnt vmcnt(13)
	v_fma_f64 v[63:64], v[89:90], v[65:66], v[63:64]
	;; [unrolled: 10-line block ×3, first 2 shown]
	s_waitcnt vmcnt(4) lgkmcnt(0)
	v_fma_f64 v[62:63], v[95:96], v[67:68], v[62:63]
	s_waitcnt vmcnt(2)
	v_fma_f64 v[62:63], v[71:72], v[69:70], v[62:63]
	s_waitcnt vmcnt(0)
	v_add_f64 v[62:63], v[73:74], -v[62:63]
	buffer_store_dword v63, off, s[0:3], 0 offset:108
	buffer_store_dword v62, off, s[0:3], 0 offset:104
	v_cmpx_lt_u32_e32 12, v0
	s_cbranch_execz .LBB93_165
; %bb.164:
	s_clause 0x1
	buffer_load_dword v62, off, s[0:3], 0 offset:96
	buffer_load_dword v63, off, s[0:3], 0 offset:100
	v_mov_b32_e32 v64, 0
	buffer_store_dword v64, off, s[0:3], 0 offset:96
	buffer_store_dword v64, off, s[0:3], 0 offset:100
	s_waitcnt vmcnt(0)
	ds_write_b64 v61, v[62:63]
.LBB93_165:
	s_or_b32 exec_lo, exec_lo, s4
	s_waitcnt lgkmcnt(0)
	s_waitcnt_vscnt null, 0x0
	s_barrier
	buffer_gl0_inv
	s_clause 0x1c
	buffer_load_dword v71, off, s[0:3], 0 offset:104
	buffer_load_dword v72, off, s[0:3], 0 offset:108
	;; [unrolled: 1-line block ×29, first 2 shown]
	v_mov_b32_e32 v62, 0
	buffer_load_dword v96, off, s[0:3], 0 offset:220
	s_mov_b32 s4, exec_lo
	ds_read2_b64 v[63:66], v62 offset0:43 offset1:44
	ds_read2_b64 v[67:70], v62 offset0:45 offset1:46
	s_waitcnt vmcnt(28) lgkmcnt(1)
	v_fma_f64 v[63:64], v[71:72], v[63:64], 0
	s_clause 0x3
	buffer_load_dword v72, off, s[0:3], 0 offset:228
	buffer_load_dword v101, off, s[0:3], 0 offset:232
	buffer_load_dword v71, off, s[0:3], 0 offset:224
	buffer_load_dword v102, off, s[0:3], 0 offset:236
	s_waitcnt vmcnt(30)
	v_fma_f64 v[63:64], v[73:74], v[65:66], v[63:64]
	s_clause 0x1
	buffer_load_dword v73, off, s[0:3], 0 offset:96
	buffer_load_dword v74, off, s[0:3], 0 offset:100
	s_waitcnt vmcnt(30) lgkmcnt(0)
	v_fma_f64 v[63:64], v[75:76], v[67:68], v[63:64]
	s_waitcnt vmcnt(28)
	v_fma_f64 v[75:76], v[77:78], v[69:70], v[63:64]
	ds_read2_b64 v[63:66], v62 offset0:47 offset1:48
	ds_read2_b64 v[67:70], v62 offset0:49 offset1:50
	s_waitcnt vmcnt(26) lgkmcnt(1)
	v_fma_f64 v[63:64], v[79:80], v[63:64], v[75:76]
	s_waitcnt vmcnt(24)
	v_fma_f64 v[63:64], v[81:82], v[65:66], v[63:64]
	s_waitcnt vmcnt(22) lgkmcnt(0)
	v_fma_f64 v[63:64], v[83:84], v[67:68], v[63:64]
	s_waitcnt vmcnt(17)
	v_fma_f64 v[75:76], v[85:86], v[69:70], v[63:64]
	ds_read2_b64 v[63:66], v62 offset0:51 offset1:52
	ds_read2_b64 v[67:70], v62 offset0:53 offset1:54
	s_waitcnt vmcnt(16) lgkmcnt(1)
	v_fma_f64 v[63:64], v[91:92], v[63:64], v[75:76]
	s_waitcnt vmcnt(15)
	v_fma_f64 v[63:64], v[89:90], v[65:66], v[63:64]
	;; [unrolled: 10-line block ×3, first 2 shown]
	ds_read_b64 v[65:66], v62 offset:472
	s_waitcnt vmcnt(6) lgkmcnt(1)
	v_fma_f64 v[63:64], v[95:96], v[67:68], v[63:64]
	s_waitcnt vmcnt(3)
	v_fma_f64 v[63:64], v[71:72], v[69:70], v[63:64]
	s_waitcnt vmcnt(2) lgkmcnt(0)
	v_fma_f64 v[63:64], v[101:102], v[65:66], v[63:64]
	s_waitcnt vmcnt(0)
	v_add_f64 v[63:64], v[73:74], -v[63:64]
	buffer_store_dword v64, off, s[0:3], 0 offset:100
	buffer_store_dword v63, off, s[0:3], 0 offset:96
	v_cmpx_lt_u32_e32 11, v0
	s_cbranch_execz .LBB93_167
; %bb.166:
	s_clause 0x1
	buffer_load_dword v63, off, s[0:3], 0 offset:88
	buffer_load_dword v64, off, s[0:3], 0 offset:92
	buffer_store_dword v62, off, s[0:3], 0 offset:88
	buffer_store_dword v62, off, s[0:3], 0 offset:92
	s_waitcnt vmcnt(0)
	ds_write_b64 v61, v[63:64]
.LBB93_167:
	s_or_b32 exec_lo, exec_lo, s4
	s_waitcnt lgkmcnt(0)
	s_waitcnt_vscnt null, 0x0
	s_barrier
	buffer_gl0_inv
	s_clause 0x1c
	buffer_load_dword v71, off, s[0:3], 0 offset:96
	buffer_load_dword v72, off, s[0:3], 0 offset:100
	;; [unrolled: 1-line block ×29, first 2 shown]
	ds_read_b128 v[63:66], v62 offset:336
	ds_read_b128 v[67:70], v62 offset:352
	buffer_load_dword v96, off, s[0:3], 0 offset:212
	s_mov_b32 s4, exec_lo
	s_waitcnt vmcnt(28) lgkmcnt(1)
	v_fma_f64 v[63:64], v[71:72], v[63:64], 0
	s_clause 0x5
	buffer_load_dword v72, off, s[0:3], 0 offset:220
	buffer_load_dword v101, off, s[0:3], 0 offset:232
	;; [unrolled: 1-line block ×6, first 2 shown]
	s_waitcnt vmcnt(32)
	v_fma_f64 v[63:64], v[73:74], v[65:66], v[63:64]
	s_waitcnt vmcnt(30) lgkmcnt(0)
	v_fma_f64 v[63:64], v[75:76], v[67:68], v[63:64]
	s_waitcnt vmcnt(28)
	v_fma_f64 v[73:74], v[77:78], v[69:70], v[63:64]
	ds_read_b128 v[63:66], v62 offset:368
	s_clause 0x1
	buffer_load_dword v75, off, s[0:3], 0 offset:88
	buffer_load_dword v76, off, s[0:3], 0 offset:92
	ds_read_b128 v[67:70], v62 offset:384
	s_waitcnt vmcnt(28) lgkmcnt(1)
	v_fma_f64 v[63:64], v[79:80], v[63:64], v[73:74]
	s_waitcnt vmcnt(26)
	v_fma_f64 v[63:64], v[81:82], v[65:66], v[63:64]
	s_waitcnt vmcnt(24) lgkmcnt(0)
	v_fma_f64 v[63:64], v[83:84], v[67:68], v[63:64]
	s_waitcnt vmcnt(19)
	v_fma_f64 v[73:74], v[85:86], v[69:70], v[63:64]
	ds_read_b128 v[63:66], v62 offset:400
	ds_read_b128 v[67:70], v62 offset:416
	s_waitcnt vmcnt(18) lgkmcnt(1)
	v_fma_f64 v[63:64], v[91:92], v[63:64], v[73:74]
	s_waitcnt vmcnt(17)
	v_fma_f64 v[63:64], v[89:90], v[65:66], v[63:64]
	s_waitcnt vmcnt(16) lgkmcnt(0)
	v_fma_f64 v[63:64], v[87:88], v[67:68], v[63:64]
	s_waitcnt vmcnt(11)
	v_fma_f64 v[73:74], v[93:94], v[69:70], v[63:64]
	ds_read_b128 v[63:66], v62 offset:432
	;; [unrolled: 10-line block ×3, first 2 shown]
	s_waitcnt vmcnt(3) lgkmcnt(0)
	v_fma_f64 v[62:63], v[103:104], v[62:63], v[66:67]
	s_waitcnt vmcnt(2)
	v_fma_f64 v[62:63], v[101:102], v[64:65], v[62:63]
	s_waitcnt vmcnt(0)
	v_add_f64 v[62:63], v[75:76], -v[62:63]
	buffer_store_dword v63, off, s[0:3], 0 offset:92
	buffer_store_dword v62, off, s[0:3], 0 offset:88
	v_cmpx_lt_u32_e32 10, v0
	s_cbranch_execz .LBB93_169
; %bb.168:
	s_clause 0x1
	buffer_load_dword v62, off, s[0:3], 0 offset:80
	buffer_load_dword v63, off, s[0:3], 0 offset:84
	v_mov_b32_e32 v64, 0
	buffer_store_dword v64, off, s[0:3], 0 offset:80
	buffer_store_dword v64, off, s[0:3], 0 offset:84
	s_waitcnt vmcnt(0)
	ds_write_b64 v61, v[62:63]
.LBB93_169:
	s_or_b32 exec_lo, exec_lo, s4
	s_waitcnt lgkmcnt(0)
	s_waitcnt_vscnt null, 0x0
	s_barrier
	buffer_gl0_inv
	s_clause 0x1c
	buffer_load_dword v71, off, s[0:3], 0 offset:88
	buffer_load_dword v72, off, s[0:3], 0 offset:92
	;; [unrolled: 1-line block ×29, first 2 shown]
	v_mov_b32_e32 v62, 0
	buffer_load_dword v96, off, s[0:3], 0 offset:204
	s_mov_b32 s4, exec_lo
	ds_read2_b64 v[63:66], v62 offset0:41 offset1:42
	ds_read2_b64 v[67:70], v62 offset0:43 offset1:44
	s_waitcnt vmcnt(28) lgkmcnt(1)
	v_fma_f64 v[63:64], v[71:72], v[63:64], 0
	s_clause 0x7
	buffer_load_dword v72, off, s[0:3], 0 offset:212
	buffer_load_dword v101, off, s[0:3], 0 offset:232
	;; [unrolled: 1-line block ×8, first 2 shown]
	s_waitcnt vmcnt(34)
	v_fma_f64 v[63:64], v[73:74], v[65:66], v[63:64]
	s_waitcnt vmcnt(32) lgkmcnt(0)
	v_fma_f64 v[63:64], v[75:76], v[67:68], v[63:64]
	s_waitcnt vmcnt(30)
	v_fma_f64 v[73:74], v[77:78], v[69:70], v[63:64]
	ds_read2_b64 v[63:66], v62 offset0:45 offset1:46
	ds_read2_b64 v[67:70], v62 offset0:47 offset1:48
	s_waitcnt vmcnt(28) lgkmcnt(1)
	v_fma_f64 v[63:64], v[79:80], v[63:64], v[73:74]
	s_clause 0x1
	buffer_load_dword v73, off, s[0:3], 0 offset:80
	buffer_load_dword v74, off, s[0:3], 0 offset:84
	s_waitcnt vmcnt(28)
	v_fma_f64 v[63:64], v[81:82], v[65:66], v[63:64]
	s_waitcnt vmcnt(26) lgkmcnt(0)
	v_fma_f64 v[63:64], v[83:84], v[67:68], v[63:64]
	s_waitcnt vmcnt(21)
	v_fma_f64 v[75:76], v[85:86], v[69:70], v[63:64]
	ds_read2_b64 v[63:66], v62 offset0:49 offset1:50
	ds_read2_b64 v[67:70], v62 offset0:51 offset1:52
	s_waitcnt vmcnt(20) lgkmcnt(1)
	v_fma_f64 v[63:64], v[91:92], v[63:64], v[75:76]
	s_waitcnt vmcnt(19)
	v_fma_f64 v[63:64], v[89:90], v[65:66], v[63:64]
	s_waitcnt vmcnt(18) lgkmcnt(0)
	v_fma_f64 v[63:64], v[87:88], v[67:68], v[63:64]
	s_waitcnt vmcnt(13)
	v_fma_f64 v[75:76], v[93:94], v[69:70], v[63:64]
	ds_read2_b64 v[63:66], v62 offset0:53 offset1:54
	ds_read2_b64 v[67:70], v62 offset0:55 offset1:56
	s_waitcnt vmcnt(12) lgkmcnt(1)
	v_fma_f64 v[63:64], v[99:100], v[63:64], v[75:76]
	s_waitcnt vmcnt(11)
	v_fma_f64 v[63:64], v[97:98], v[65:66], v[63:64]
	s_waitcnt vmcnt(10) lgkmcnt(0)
	v_fma_f64 v[63:64], v[95:96], v[67:68], v[63:64]
	s_waitcnt vmcnt(5)
	v_fma_f64 v[67:68], v[71:72], v[69:70], v[63:64]
	ds_read2_b64 v[63:66], v62 offset0:57 offset1:58
	ds_read_b64 v[69:70], v62 offset:472
	s_waitcnt vmcnt(4) lgkmcnt(1)
	v_fma_f64 v[63:64], v[105:106], v[63:64], v[67:68]
	s_waitcnt vmcnt(3)
	v_fma_f64 v[63:64], v[103:104], v[65:66], v[63:64]
	s_waitcnt vmcnt(2) lgkmcnt(0)
	v_fma_f64 v[63:64], v[101:102], v[69:70], v[63:64]
	s_waitcnt vmcnt(0)
	v_add_f64 v[63:64], v[73:74], -v[63:64]
	buffer_store_dword v64, off, s[0:3], 0 offset:84
	buffer_store_dword v63, off, s[0:3], 0 offset:80
	v_cmpx_lt_u32_e32 9, v0
	s_cbranch_execz .LBB93_171
; %bb.170:
	s_clause 0x1
	buffer_load_dword v63, off, s[0:3], 0 offset:72
	buffer_load_dword v64, off, s[0:3], 0 offset:76
	buffer_store_dword v62, off, s[0:3], 0 offset:72
	buffer_store_dword v62, off, s[0:3], 0 offset:76
	s_waitcnt vmcnt(0)
	ds_write_b64 v61, v[63:64]
.LBB93_171:
	s_or_b32 exec_lo, exec_lo, s4
	s_waitcnt lgkmcnt(0)
	s_waitcnt_vscnt null, 0x0
	s_barrier
	buffer_gl0_inv
	s_clause 0x1c
	buffer_load_dword v71, off, s[0:3], 0 offset:80
	buffer_load_dword v72, off, s[0:3], 0 offset:84
	;; [unrolled: 1-line block ×29, first 2 shown]
	ds_read_b128 v[63:66], v62 offset:320
	ds_read_b128 v[67:70], v62 offset:336
	buffer_load_dword v96, off, s[0:3], 0 offset:196
	s_mov_b32 s4, exec_lo
	s_waitcnt vmcnt(28) lgkmcnt(1)
	v_fma_f64 v[63:64], v[71:72], v[63:64], 0
	s_clause 0x7
	buffer_load_dword v72, off, s[0:3], 0 offset:204
	buffer_load_dword v101, off, s[0:3], 0 offset:224
	;; [unrolled: 1-line block ×8, first 2 shown]
	s_waitcnt vmcnt(34)
	v_fma_f64 v[63:64], v[73:74], v[65:66], v[63:64]
	s_waitcnt vmcnt(32) lgkmcnt(0)
	v_fma_f64 v[63:64], v[75:76], v[67:68], v[63:64]
	s_waitcnt vmcnt(30)
	v_fma_f64 v[73:74], v[77:78], v[69:70], v[63:64]
	ds_read_b128 v[63:66], v62 offset:352
	ds_read_b128 v[67:70], v62 offset:368
	s_waitcnt vmcnt(28) lgkmcnt(1)
	v_fma_f64 v[63:64], v[79:80], v[63:64], v[73:74]
	s_clause 0x3
	buffer_load_dword v74, off, s[0:3], 0 offset:236
	buffer_load_dword v73, off, s[0:3], 0 offset:232
	;; [unrolled: 1-line block ×4, first 2 shown]
	s_waitcnt vmcnt(30)
	v_fma_f64 v[63:64], v[81:82], v[65:66], v[63:64]
	s_waitcnt vmcnt(28) lgkmcnt(0)
	v_fma_f64 v[63:64], v[83:84], v[67:68], v[63:64]
	s_waitcnt vmcnt(23)
	v_fma_f64 v[77:78], v[85:86], v[69:70], v[63:64]
	ds_read_b128 v[63:66], v62 offset:384
	ds_read_b128 v[67:70], v62 offset:400
	s_waitcnt vmcnt(22) lgkmcnt(1)
	v_fma_f64 v[63:64], v[91:92], v[63:64], v[77:78]
	s_waitcnt vmcnt(21)
	v_fma_f64 v[63:64], v[89:90], v[65:66], v[63:64]
	s_waitcnt vmcnt(20) lgkmcnt(0)
	v_fma_f64 v[63:64], v[87:88], v[67:68], v[63:64]
	s_waitcnt vmcnt(15)
	v_fma_f64 v[77:78], v[93:94], v[69:70], v[63:64]
	ds_read_b128 v[63:66], v62 offset:416
	ds_read_b128 v[67:70], v62 offset:432
	s_waitcnt vmcnt(14) lgkmcnt(1)
	v_fma_f64 v[63:64], v[99:100], v[63:64], v[77:78]
	;; [unrolled: 10-line block ×3, first 2 shown]
	s_waitcnt vmcnt(5)
	v_fma_f64 v[62:63], v[103:104], v[65:66], v[62:63]
	s_waitcnt vmcnt(4) lgkmcnt(0)
	v_fma_f64 v[62:63], v[101:102], v[67:68], v[62:63]
	s_waitcnt vmcnt(2)
	v_fma_f64 v[62:63], v[73:74], v[69:70], v[62:63]
	s_waitcnt vmcnt(0)
	v_add_f64 v[62:63], v[75:76], -v[62:63]
	buffer_store_dword v63, off, s[0:3], 0 offset:76
	buffer_store_dword v62, off, s[0:3], 0 offset:72
	v_cmpx_lt_u32_e32 8, v0
	s_cbranch_execz .LBB93_173
; %bb.172:
	s_clause 0x1
	buffer_load_dword v62, off, s[0:3], 0 offset:64
	buffer_load_dword v63, off, s[0:3], 0 offset:68
	v_mov_b32_e32 v64, 0
	buffer_store_dword v64, off, s[0:3], 0 offset:64
	buffer_store_dword v64, off, s[0:3], 0 offset:68
	s_waitcnt vmcnt(0)
	ds_write_b64 v61, v[62:63]
.LBB93_173:
	s_or_b32 exec_lo, exec_lo, s4
	s_waitcnt lgkmcnt(0)
	s_waitcnt_vscnt null, 0x0
	s_barrier
	buffer_gl0_inv
	s_clause 0x1c
	buffer_load_dword v71, off, s[0:3], 0 offset:72
	buffer_load_dword v72, off, s[0:3], 0 offset:76
	;; [unrolled: 1-line block ×29, first 2 shown]
	v_mov_b32_e32 v62, 0
	buffer_load_dword v96, off, s[0:3], 0 offset:188
	s_mov_b32 s4, exec_lo
	ds_read2_b64 v[63:66], v62 offset0:39 offset1:40
	ds_read2_b64 v[67:70], v62 offset0:41 offset1:42
	s_waitcnt vmcnt(28) lgkmcnt(1)
	v_fma_f64 v[63:64], v[71:72], v[63:64], 0
	s_clause 0x7
	buffer_load_dword v72, off, s[0:3], 0 offset:196
	buffer_load_dword v101, off, s[0:3], 0 offset:216
	;; [unrolled: 1-line block ×8, first 2 shown]
	s_waitcnt vmcnt(34)
	v_fma_f64 v[63:64], v[73:74], v[65:66], v[63:64]
	s_waitcnt vmcnt(32) lgkmcnt(0)
	v_fma_f64 v[63:64], v[75:76], v[67:68], v[63:64]
	s_waitcnt vmcnt(30)
	v_fma_f64 v[73:74], v[77:78], v[69:70], v[63:64]
	ds_read2_b64 v[63:66], v62 offset0:43 offset1:44
	ds_read2_b64 v[67:70], v62 offset0:45 offset1:46
	s_waitcnt vmcnt(28) lgkmcnt(1)
	v_fma_f64 v[63:64], v[79:80], v[63:64], v[73:74]
	s_clause 0x5
	buffer_load_dword v74, off, s[0:3], 0 offset:228
	buffer_load_dword v75, off, s[0:3], 0 offset:232
	;; [unrolled: 1-line block ×6, first 2 shown]
	s_waitcnt vmcnt(32)
	v_fma_f64 v[63:64], v[81:82], v[65:66], v[63:64]
	s_waitcnt vmcnt(30) lgkmcnt(0)
	v_fma_f64 v[63:64], v[83:84], v[67:68], v[63:64]
	s_waitcnt vmcnt(25)
	v_fma_f64 v[79:80], v[85:86], v[69:70], v[63:64]
	ds_read2_b64 v[63:66], v62 offset0:47 offset1:48
	ds_read2_b64 v[67:70], v62 offset0:49 offset1:50
	s_waitcnt vmcnt(24) lgkmcnt(1)
	v_fma_f64 v[63:64], v[91:92], v[63:64], v[79:80]
	s_waitcnt vmcnt(23)
	v_fma_f64 v[63:64], v[89:90], v[65:66], v[63:64]
	s_waitcnt vmcnt(22) lgkmcnt(0)
	v_fma_f64 v[63:64], v[87:88], v[67:68], v[63:64]
	s_waitcnt vmcnt(17)
	v_fma_f64 v[79:80], v[93:94], v[69:70], v[63:64]
	ds_read2_b64 v[63:66], v62 offset0:51 offset1:52
	ds_read2_b64 v[67:70], v62 offset0:53 offset1:54
	s_waitcnt vmcnt(16) lgkmcnt(1)
	v_fma_f64 v[63:64], v[99:100], v[63:64], v[79:80]
	s_waitcnt vmcnt(15)
	v_fma_f64 v[63:64], v[97:98], v[65:66], v[63:64]
	s_waitcnt vmcnt(14) lgkmcnt(0)
	v_fma_f64 v[63:64], v[95:96], v[67:68], v[63:64]
	s_waitcnt vmcnt(9)
	v_fma_f64 v[71:72], v[71:72], v[69:70], v[63:64]
	ds_read2_b64 v[63:66], v62 offset0:55 offset1:56
	ds_read2_b64 v[67:70], v62 offset0:57 offset1:58
	s_waitcnt vmcnt(8) lgkmcnt(1)
	v_fma_f64 v[63:64], v[105:106], v[63:64], v[71:72]
	s_waitcnt vmcnt(7)
	v_fma_f64 v[63:64], v[103:104], v[65:66], v[63:64]
	ds_read_b64 v[65:66], v62 offset:472
	s_waitcnt vmcnt(6) lgkmcnt(1)
	v_fma_f64 v[63:64], v[101:102], v[67:68], v[63:64]
	s_waitcnt vmcnt(3)
	v_fma_f64 v[63:64], v[73:74], v[69:70], v[63:64]
	s_waitcnt vmcnt(2) lgkmcnt(0)
	v_fma_f64 v[63:64], v[75:76], v[65:66], v[63:64]
	s_waitcnt vmcnt(0)
	v_add_f64 v[63:64], v[77:78], -v[63:64]
	buffer_store_dword v64, off, s[0:3], 0 offset:68
	buffer_store_dword v63, off, s[0:3], 0 offset:64
	v_cmpx_lt_u32_e32 7, v0
	s_cbranch_execz .LBB93_175
; %bb.174:
	s_clause 0x1
	buffer_load_dword v63, off, s[0:3], 0 offset:56
	buffer_load_dword v64, off, s[0:3], 0 offset:60
	buffer_store_dword v62, off, s[0:3], 0 offset:56
	buffer_store_dword v62, off, s[0:3], 0 offset:60
	s_waitcnt vmcnt(0)
	ds_write_b64 v61, v[63:64]
.LBB93_175:
	s_or_b32 exec_lo, exec_lo, s4
	s_waitcnt lgkmcnt(0)
	s_waitcnt_vscnt null, 0x0
	s_barrier
	buffer_gl0_inv
	s_clause 0x1c
	buffer_load_dword v71, off, s[0:3], 0 offset:64
	buffer_load_dword v72, off, s[0:3], 0 offset:68
	;; [unrolled: 1-line block ×29, first 2 shown]
	ds_read_b128 v[63:66], v62 offset:304
	ds_read_b128 v[67:70], v62 offset:320
	buffer_load_dword v96, off, s[0:3], 0 offset:180
	s_mov_b32 s4, exec_lo
	s_waitcnt vmcnt(28) lgkmcnt(1)
	v_fma_f64 v[63:64], v[71:72], v[63:64], 0
	s_clause 0x7
	buffer_load_dword v72, off, s[0:3], 0 offset:188
	buffer_load_dword v101, off, s[0:3], 0 offset:208
	;; [unrolled: 1-line block ×8, first 2 shown]
	s_waitcnt vmcnt(34)
	v_fma_f64 v[63:64], v[73:74], v[65:66], v[63:64]
	s_waitcnt vmcnt(32) lgkmcnt(0)
	v_fma_f64 v[63:64], v[75:76], v[67:68], v[63:64]
	s_waitcnt vmcnt(30)
	v_fma_f64 v[73:74], v[77:78], v[69:70], v[63:64]
	ds_read_b128 v[63:66], v62 offset:336
	ds_read_b128 v[67:70], v62 offset:352
	s_waitcnt vmcnt(28) lgkmcnt(1)
	v_fma_f64 v[63:64], v[79:80], v[63:64], v[73:74]
	s_clause 0x5
	buffer_load_dword v74, off, s[0:3], 0 offset:220
	buffer_load_dword v75, off, s[0:3], 0 offset:232
	;; [unrolled: 1-line block ×6, first 2 shown]
	s_waitcnt vmcnt(32)
	v_fma_f64 v[63:64], v[81:82], v[65:66], v[63:64]
	s_waitcnt vmcnt(30) lgkmcnt(0)
	v_fma_f64 v[63:64], v[83:84], v[67:68], v[63:64]
	s_waitcnt vmcnt(25)
	v_fma_f64 v[79:80], v[85:86], v[69:70], v[63:64]
	ds_read_b128 v[63:66], v62 offset:368
	s_clause 0x1
	buffer_load_dword v81, off, s[0:3], 0 offset:56
	buffer_load_dword v82, off, s[0:3], 0 offset:60
	ds_read_b128 v[67:70], v62 offset:384
	s_waitcnt vmcnt(26) lgkmcnt(1)
	v_fma_f64 v[63:64], v[91:92], v[63:64], v[79:80]
	s_waitcnt vmcnt(25)
	v_fma_f64 v[63:64], v[89:90], v[65:66], v[63:64]
	s_waitcnt vmcnt(24) lgkmcnt(0)
	v_fma_f64 v[63:64], v[87:88], v[67:68], v[63:64]
	s_waitcnt vmcnt(19)
	v_fma_f64 v[79:80], v[93:94], v[69:70], v[63:64]
	ds_read_b128 v[63:66], v62 offset:400
	ds_read_b128 v[67:70], v62 offset:416
	s_waitcnt vmcnt(18) lgkmcnt(1)
	v_fma_f64 v[63:64], v[99:100], v[63:64], v[79:80]
	s_waitcnt vmcnt(17)
	v_fma_f64 v[63:64], v[97:98], v[65:66], v[63:64]
	s_waitcnt vmcnt(16) lgkmcnt(0)
	v_fma_f64 v[63:64], v[95:96], v[67:68], v[63:64]
	s_waitcnt vmcnt(11)
	v_fma_f64 v[71:72], v[71:72], v[69:70], v[63:64]
	ds_read_b128 v[63:66], v62 offset:432
	ds_read_b128 v[67:70], v62 offset:448
	s_waitcnt vmcnt(10) lgkmcnt(1)
	v_fma_f64 v[63:64], v[105:106], v[63:64], v[71:72]
	s_waitcnt vmcnt(9)
	v_fma_f64 v[63:64], v[103:104], v[65:66], v[63:64]
	s_waitcnt vmcnt(8) lgkmcnt(0)
	v_fma_f64 v[63:64], v[101:102], v[67:68], v[63:64]
	s_waitcnt vmcnt(4)
	v_fma_f64 v[66:67], v[73:74], v[69:70], v[63:64]
	ds_read_b128 v[62:65], v62 offset:464
	s_waitcnt vmcnt(3) lgkmcnt(0)
	v_fma_f64 v[62:63], v[77:78], v[62:63], v[66:67]
	s_waitcnt vmcnt(2)
	v_fma_f64 v[62:63], v[75:76], v[64:65], v[62:63]
	s_waitcnt vmcnt(0)
	v_add_f64 v[62:63], v[81:82], -v[62:63]
	buffer_store_dword v63, off, s[0:3], 0 offset:60
	buffer_store_dword v62, off, s[0:3], 0 offset:56
	v_cmpx_lt_u32_e32 6, v0
	s_cbranch_execz .LBB93_177
; %bb.176:
	s_clause 0x1
	buffer_load_dword v62, off, s[0:3], 0 offset:48
	buffer_load_dword v63, off, s[0:3], 0 offset:52
	v_mov_b32_e32 v64, 0
	buffer_store_dword v64, off, s[0:3], 0 offset:48
	buffer_store_dword v64, off, s[0:3], 0 offset:52
	s_waitcnt vmcnt(0)
	ds_write_b64 v61, v[62:63]
.LBB93_177:
	s_or_b32 exec_lo, exec_lo, s4
	s_waitcnt lgkmcnt(0)
	s_waitcnt_vscnt null, 0x0
	s_barrier
	buffer_gl0_inv
	s_clause 0x1c
	buffer_load_dword v71, off, s[0:3], 0 offset:56
	buffer_load_dword v72, off, s[0:3], 0 offset:60
	;; [unrolled: 1-line block ×29, first 2 shown]
	v_mov_b32_e32 v62, 0
	buffer_load_dword v96, off, s[0:3], 0 offset:172
	s_mov_b32 s4, exec_lo
	ds_read2_b64 v[63:66], v62 offset0:37 offset1:38
	ds_read2_b64 v[67:70], v62 offset0:39 offset1:40
	s_waitcnt vmcnt(28) lgkmcnt(1)
	v_fma_f64 v[63:64], v[71:72], v[63:64], 0
	s_clause 0x7
	buffer_load_dword v72, off, s[0:3], 0 offset:180
	buffer_load_dword v101, off, s[0:3], 0 offset:200
	;; [unrolled: 1-line block ×8, first 2 shown]
	s_waitcnt vmcnt(34)
	v_fma_f64 v[63:64], v[73:74], v[65:66], v[63:64]
	s_waitcnt vmcnt(32) lgkmcnt(0)
	v_fma_f64 v[63:64], v[75:76], v[67:68], v[63:64]
	s_waitcnt vmcnt(30)
	v_fma_f64 v[73:74], v[77:78], v[69:70], v[63:64]
	ds_read2_b64 v[63:66], v62 offset0:41 offset1:42
	ds_read2_b64 v[67:70], v62 offset0:43 offset1:44
	s_waitcnt vmcnt(28) lgkmcnt(1)
	v_fma_f64 v[63:64], v[79:80], v[63:64], v[73:74]
	s_clause 0x7
	buffer_load_dword v74, off, s[0:3], 0 offset:212
	buffer_load_dword v75, off, s[0:3], 0 offset:232
	;; [unrolled: 1-line block ×8, first 2 shown]
	s_waitcnt vmcnt(34)
	v_fma_f64 v[63:64], v[81:82], v[65:66], v[63:64]
	s_waitcnt vmcnt(32) lgkmcnt(0)
	v_fma_f64 v[63:64], v[83:84], v[67:68], v[63:64]
	s_waitcnt vmcnt(27)
	v_fma_f64 v[81:82], v[85:86], v[69:70], v[63:64]
	ds_read2_b64 v[63:66], v62 offset0:45 offset1:46
	ds_read2_b64 v[67:70], v62 offset0:47 offset1:48
	s_waitcnt vmcnt(26) lgkmcnt(1)
	v_fma_f64 v[63:64], v[91:92], v[63:64], v[81:82]
	s_clause 0x1
	buffer_load_dword v81, off, s[0:3], 0 offset:48
	buffer_load_dword v82, off, s[0:3], 0 offset:52
	s_waitcnt vmcnt(27)
	v_fma_f64 v[63:64], v[89:90], v[65:66], v[63:64]
	s_waitcnt vmcnt(26) lgkmcnt(0)
	v_fma_f64 v[63:64], v[87:88], v[67:68], v[63:64]
	s_waitcnt vmcnt(21)
	v_fma_f64 v[83:84], v[93:94], v[69:70], v[63:64]
	ds_read2_b64 v[63:66], v62 offset0:49 offset1:50
	ds_read2_b64 v[67:70], v62 offset0:51 offset1:52
	s_waitcnt vmcnt(20) lgkmcnt(1)
	v_fma_f64 v[63:64], v[99:100], v[63:64], v[83:84]
	s_waitcnt vmcnt(19)
	v_fma_f64 v[63:64], v[97:98], v[65:66], v[63:64]
	s_waitcnt vmcnt(18) lgkmcnt(0)
	v_fma_f64 v[63:64], v[95:96], v[67:68], v[63:64]
	s_waitcnt vmcnt(13)
	v_fma_f64 v[71:72], v[71:72], v[69:70], v[63:64]
	ds_read2_b64 v[63:66], v62 offset0:53 offset1:54
	ds_read2_b64 v[67:70], v62 offset0:55 offset1:56
	s_waitcnt vmcnt(12) lgkmcnt(1)
	v_fma_f64 v[63:64], v[105:106], v[63:64], v[71:72]
	s_waitcnt vmcnt(11)
	v_fma_f64 v[63:64], v[103:104], v[65:66], v[63:64]
	s_waitcnt vmcnt(10) lgkmcnt(0)
	v_fma_f64 v[63:64], v[101:102], v[67:68], v[63:64]
	s_waitcnt vmcnt(5)
	v_fma_f64 v[67:68], v[73:74], v[69:70], v[63:64]
	ds_read2_b64 v[63:66], v62 offset0:57 offset1:58
	ds_read_b64 v[69:70], v62 offset:472
	s_waitcnt vmcnt(4) lgkmcnt(1)
	v_fma_f64 v[63:64], v[79:80], v[63:64], v[67:68]
	s_waitcnt vmcnt(3)
	v_fma_f64 v[63:64], v[77:78], v[65:66], v[63:64]
	s_waitcnt vmcnt(2) lgkmcnt(0)
	v_fma_f64 v[63:64], v[75:76], v[69:70], v[63:64]
	s_waitcnt vmcnt(0)
	v_add_f64 v[63:64], v[81:82], -v[63:64]
	buffer_store_dword v64, off, s[0:3], 0 offset:52
	buffer_store_dword v63, off, s[0:3], 0 offset:48
	v_cmpx_lt_u32_e32 5, v0
	s_cbranch_execz .LBB93_179
; %bb.178:
	s_clause 0x1
	buffer_load_dword v63, off, s[0:3], 0 offset:40
	buffer_load_dword v64, off, s[0:3], 0 offset:44
	buffer_store_dword v62, off, s[0:3], 0 offset:40
	buffer_store_dword v62, off, s[0:3], 0 offset:44
	s_waitcnt vmcnt(0)
	ds_write_b64 v61, v[63:64]
.LBB93_179:
	s_or_b32 exec_lo, exec_lo, s4
	s_waitcnt lgkmcnt(0)
	s_waitcnt_vscnt null, 0x0
	s_barrier
	buffer_gl0_inv
	s_clause 0x1c
	buffer_load_dword v71, off, s[0:3], 0 offset:48
	buffer_load_dword v72, off, s[0:3], 0 offset:52
	;; [unrolled: 1-line block ×29, first 2 shown]
	ds_read_b128 v[63:66], v62 offset:288
	ds_read_b128 v[67:70], v62 offset:304
	buffer_load_dword v96, off, s[0:3], 0 offset:164
	s_mov_b32 s4, exec_lo
	s_waitcnt vmcnt(28) lgkmcnt(1)
	v_fma_f64 v[63:64], v[71:72], v[63:64], 0
	s_clause 0x7
	buffer_load_dword v72, off, s[0:3], 0 offset:172
	buffer_load_dword v101, off, s[0:3], 0 offset:192
	;; [unrolled: 1-line block ×8, first 2 shown]
	s_waitcnt vmcnt(34)
	v_fma_f64 v[63:64], v[73:74], v[65:66], v[63:64]
	s_waitcnt vmcnt(32) lgkmcnt(0)
	v_fma_f64 v[63:64], v[75:76], v[67:68], v[63:64]
	s_waitcnt vmcnt(30)
	v_fma_f64 v[73:74], v[77:78], v[69:70], v[63:64]
	ds_read_b128 v[63:66], v62 offset:320
	ds_read_b128 v[67:70], v62 offset:336
	s_waitcnt vmcnt(28) lgkmcnt(1)
	v_fma_f64 v[63:64], v[79:80], v[63:64], v[73:74]
	s_clause 0x7
	buffer_load_dword v74, off, s[0:3], 0 offset:204
	buffer_load_dword v75, off, s[0:3], 0 offset:224
	;; [unrolled: 1-line block ×8, first 2 shown]
	s_waitcnt vmcnt(34)
	v_fma_f64 v[63:64], v[81:82], v[65:66], v[63:64]
	s_waitcnt vmcnt(32) lgkmcnt(0)
	v_fma_f64 v[63:64], v[83:84], v[67:68], v[63:64]
	s_waitcnt vmcnt(27)
	v_fma_f64 v[81:82], v[85:86], v[69:70], v[63:64]
	ds_read_b128 v[63:66], v62 offset:352
	ds_read_b128 v[67:70], v62 offset:368
	s_waitcnt vmcnt(26) lgkmcnt(1)
	v_fma_f64 v[63:64], v[91:92], v[63:64], v[81:82]
	s_clause 0x3
	buffer_load_dword v82, off, s[0:3], 0 offset:236
	buffer_load_dword v81, off, s[0:3], 0 offset:232
	;; [unrolled: 1-line block ×4, first 2 shown]
	s_waitcnt vmcnt(29)
	v_fma_f64 v[63:64], v[89:90], v[65:66], v[63:64]
	s_waitcnt vmcnt(28) lgkmcnt(0)
	v_fma_f64 v[63:64], v[87:88], v[67:68], v[63:64]
	s_waitcnt vmcnt(23)
	v_fma_f64 v[85:86], v[93:94], v[69:70], v[63:64]
	ds_read_b128 v[63:66], v62 offset:384
	ds_read_b128 v[67:70], v62 offset:400
	s_waitcnt vmcnt(22) lgkmcnt(1)
	v_fma_f64 v[63:64], v[99:100], v[63:64], v[85:86]
	s_waitcnt vmcnt(21)
	v_fma_f64 v[63:64], v[97:98], v[65:66], v[63:64]
	s_waitcnt vmcnt(20) lgkmcnt(0)
	v_fma_f64 v[63:64], v[95:96], v[67:68], v[63:64]
	s_waitcnt vmcnt(15)
	v_fma_f64 v[71:72], v[71:72], v[69:70], v[63:64]
	ds_read_b128 v[63:66], v62 offset:416
	ds_read_b128 v[67:70], v62 offset:432
	s_waitcnt vmcnt(14) lgkmcnt(1)
	v_fma_f64 v[63:64], v[105:106], v[63:64], v[71:72]
	;; [unrolled: 10-line block ×3, first 2 shown]
	s_waitcnt vmcnt(5)
	v_fma_f64 v[62:63], v[77:78], v[65:66], v[62:63]
	s_waitcnt vmcnt(4) lgkmcnt(0)
	v_fma_f64 v[62:63], v[75:76], v[67:68], v[62:63]
	s_waitcnt vmcnt(2)
	v_fma_f64 v[62:63], v[81:82], v[69:70], v[62:63]
	s_waitcnt vmcnt(0)
	v_add_f64 v[62:63], v[83:84], -v[62:63]
	buffer_store_dword v63, off, s[0:3], 0 offset:44
	buffer_store_dword v62, off, s[0:3], 0 offset:40
	v_cmpx_lt_u32_e32 4, v0
	s_cbranch_execz .LBB93_181
; %bb.180:
	s_clause 0x1
	buffer_load_dword v62, off, s[0:3], 0 offset:32
	buffer_load_dword v63, off, s[0:3], 0 offset:36
	v_mov_b32_e32 v64, 0
	buffer_store_dword v64, off, s[0:3], 0 offset:32
	buffer_store_dword v64, off, s[0:3], 0 offset:36
	s_waitcnt vmcnt(0)
	ds_write_b64 v61, v[62:63]
.LBB93_181:
	s_or_b32 exec_lo, exec_lo, s4
	s_waitcnt lgkmcnt(0)
	s_waitcnt_vscnt null, 0x0
	s_barrier
	buffer_gl0_inv
	s_clause 0x1c
	buffer_load_dword v71, off, s[0:3], 0 offset:40
	buffer_load_dword v72, off, s[0:3], 0 offset:44
	;; [unrolled: 1-line block ×29, first 2 shown]
	v_mov_b32_e32 v62, 0
	buffer_load_dword v96, off, s[0:3], 0 offset:156
	s_mov_b32 s4, exec_lo
	ds_read2_b64 v[63:66], v62 offset0:35 offset1:36
	ds_read2_b64 v[67:70], v62 offset0:37 offset1:38
	s_waitcnt vmcnt(28) lgkmcnt(1)
	v_fma_f64 v[63:64], v[71:72], v[63:64], 0
	s_clause 0x7
	buffer_load_dword v72, off, s[0:3], 0 offset:164
	buffer_load_dword v101, off, s[0:3], 0 offset:184
	;; [unrolled: 1-line block ×8, first 2 shown]
	s_waitcnt vmcnt(34)
	v_fma_f64 v[63:64], v[73:74], v[65:66], v[63:64]
	s_waitcnt vmcnt(32) lgkmcnt(0)
	v_fma_f64 v[63:64], v[75:76], v[67:68], v[63:64]
	s_waitcnt vmcnt(30)
	v_fma_f64 v[73:74], v[77:78], v[69:70], v[63:64]
	ds_read2_b64 v[63:66], v62 offset0:39 offset1:40
	ds_read2_b64 v[67:70], v62 offset0:41 offset1:42
	s_waitcnt vmcnt(28) lgkmcnt(1)
	v_fma_f64 v[63:64], v[79:80], v[63:64], v[73:74]
	s_clause 0x7
	buffer_load_dword v74, off, s[0:3], 0 offset:196
	buffer_load_dword v75, off, s[0:3], 0 offset:216
	;; [unrolled: 1-line block ×8, first 2 shown]
	s_waitcnt vmcnt(34)
	v_fma_f64 v[63:64], v[81:82], v[65:66], v[63:64]
	s_waitcnt vmcnt(32) lgkmcnt(0)
	v_fma_f64 v[63:64], v[83:84], v[67:68], v[63:64]
	s_waitcnt vmcnt(27)
	v_fma_f64 v[81:82], v[85:86], v[69:70], v[63:64]
	ds_read2_b64 v[63:66], v62 offset0:43 offset1:44
	ds_read2_b64 v[67:70], v62 offset0:45 offset1:46
	s_waitcnt vmcnt(26) lgkmcnt(1)
	v_fma_f64 v[63:64], v[91:92], v[63:64], v[81:82]
	s_clause 0x5
	buffer_load_dword v82, off, s[0:3], 0 offset:228
	buffer_load_dword v83, off, s[0:3], 0 offset:232
	;; [unrolled: 1-line block ×6, first 2 shown]
	s_waitcnt vmcnt(31)
	v_fma_f64 v[63:64], v[89:90], v[65:66], v[63:64]
	s_waitcnt vmcnt(30) lgkmcnt(0)
	v_fma_f64 v[63:64], v[87:88], v[67:68], v[63:64]
	s_waitcnt vmcnt(25)
	v_fma_f64 v[87:88], v[93:94], v[69:70], v[63:64]
	ds_read2_b64 v[63:66], v62 offset0:47 offset1:48
	ds_read2_b64 v[67:70], v62 offset0:49 offset1:50
	s_waitcnt vmcnt(24) lgkmcnt(1)
	v_fma_f64 v[63:64], v[99:100], v[63:64], v[87:88]
	s_waitcnt vmcnt(23)
	v_fma_f64 v[63:64], v[97:98], v[65:66], v[63:64]
	s_waitcnt vmcnt(22) lgkmcnt(0)
	v_fma_f64 v[63:64], v[95:96], v[67:68], v[63:64]
	s_waitcnt vmcnt(17)
	v_fma_f64 v[71:72], v[71:72], v[69:70], v[63:64]
	ds_read2_b64 v[63:66], v62 offset0:51 offset1:52
	ds_read2_b64 v[67:70], v62 offset0:53 offset1:54
	s_waitcnt vmcnt(16) lgkmcnt(1)
	v_fma_f64 v[63:64], v[105:106], v[63:64], v[71:72]
	;; [unrolled: 10-line block ×3, first 2 shown]
	s_waitcnt vmcnt(7)
	v_fma_f64 v[63:64], v[77:78], v[65:66], v[63:64]
	ds_read_b64 v[65:66], v62 offset:472
	s_waitcnt vmcnt(6) lgkmcnt(1)
	v_fma_f64 v[63:64], v[75:76], v[67:68], v[63:64]
	s_waitcnt vmcnt(3)
	v_fma_f64 v[63:64], v[81:82], v[69:70], v[63:64]
	s_waitcnt vmcnt(2) lgkmcnt(0)
	v_fma_f64 v[63:64], v[83:84], v[65:66], v[63:64]
	s_waitcnt vmcnt(0)
	v_add_f64 v[63:64], v[85:86], -v[63:64]
	buffer_store_dword v64, off, s[0:3], 0 offset:36
	buffer_store_dword v63, off, s[0:3], 0 offset:32
	v_cmpx_lt_u32_e32 3, v0
	s_cbranch_execz .LBB93_183
; %bb.182:
	s_clause 0x1
	buffer_load_dword v63, off, s[0:3], 0 offset:24
	buffer_load_dword v64, off, s[0:3], 0 offset:28
	buffer_store_dword v62, off, s[0:3], 0 offset:24
	buffer_store_dword v62, off, s[0:3], 0 offset:28
	s_waitcnt vmcnt(0)
	ds_write_b64 v61, v[63:64]
.LBB93_183:
	s_or_b32 exec_lo, exec_lo, s4
	s_waitcnt lgkmcnt(0)
	s_waitcnt_vscnt null, 0x0
	s_barrier
	buffer_gl0_inv
	s_clause 0x1c
	buffer_load_dword v71, off, s[0:3], 0 offset:32
	buffer_load_dword v72, off, s[0:3], 0 offset:36
	;; [unrolled: 1-line block ×29, first 2 shown]
	ds_read_b128 v[63:66], v62 offset:272
	ds_read_b128 v[67:70], v62 offset:288
	buffer_load_dword v96, off, s[0:3], 0 offset:148
	s_mov_b32 s4, exec_lo
	s_waitcnt vmcnt(28) lgkmcnt(1)
	v_fma_f64 v[63:64], v[71:72], v[63:64], 0
	s_clause 0x7
	buffer_load_dword v72, off, s[0:3], 0 offset:156
	buffer_load_dword v101, off, s[0:3], 0 offset:176
	;; [unrolled: 1-line block ×8, first 2 shown]
	s_waitcnt vmcnt(34)
	v_fma_f64 v[63:64], v[73:74], v[65:66], v[63:64]
	s_waitcnt vmcnt(32) lgkmcnt(0)
	v_fma_f64 v[63:64], v[75:76], v[67:68], v[63:64]
	s_waitcnt vmcnt(30)
	v_fma_f64 v[73:74], v[77:78], v[69:70], v[63:64]
	ds_read_b128 v[63:66], v62 offset:304
	ds_read_b128 v[67:70], v62 offset:320
	s_waitcnt vmcnt(28) lgkmcnt(1)
	v_fma_f64 v[63:64], v[79:80], v[63:64], v[73:74]
	s_clause 0x7
	buffer_load_dword v74, off, s[0:3], 0 offset:188
	buffer_load_dword v75, off, s[0:3], 0 offset:208
	;; [unrolled: 1-line block ×8, first 2 shown]
	s_waitcnt vmcnt(34)
	v_fma_f64 v[63:64], v[81:82], v[65:66], v[63:64]
	s_waitcnt vmcnt(32) lgkmcnt(0)
	v_fma_f64 v[63:64], v[83:84], v[67:68], v[63:64]
	s_waitcnt vmcnt(27)
	v_fma_f64 v[81:82], v[85:86], v[69:70], v[63:64]
	ds_read_b128 v[63:66], v62 offset:336
	ds_read_b128 v[67:70], v62 offset:352
	s_waitcnt vmcnt(26) lgkmcnt(1)
	v_fma_f64 v[63:64], v[91:92], v[63:64], v[81:82]
	s_clause 0x5
	buffer_load_dword v82, off, s[0:3], 0 offset:220
	buffer_load_dword v83, off, s[0:3], 0 offset:232
	buffer_load_dword v85, off, s[0:3], 0 offset:224
	buffer_load_dword v81, off, s[0:3], 0 offset:216
	buffer_load_dword v86, off, s[0:3], 0 offset:228
	buffer_load_dword v84, off, s[0:3], 0 offset:236
	s_waitcnt vmcnt(31)
	v_fma_f64 v[63:64], v[89:90], v[65:66], v[63:64]
	s_waitcnt vmcnt(30) lgkmcnt(0)
	v_fma_f64 v[63:64], v[87:88], v[67:68], v[63:64]
	s_waitcnt vmcnt(25)
	v_fma_f64 v[87:88], v[93:94], v[69:70], v[63:64]
	ds_read_b128 v[63:66], v62 offset:368
	s_clause 0x1
	buffer_load_dword v89, off, s[0:3], 0 offset:24
	buffer_load_dword v90, off, s[0:3], 0 offset:28
	ds_read_b128 v[67:70], v62 offset:384
	s_waitcnt vmcnt(26) lgkmcnt(1)
	v_fma_f64 v[63:64], v[99:100], v[63:64], v[87:88]
	s_waitcnt vmcnt(25)
	v_fma_f64 v[63:64], v[97:98], v[65:66], v[63:64]
	s_waitcnt vmcnt(24) lgkmcnt(0)
	v_fma_f64 v[63:64], v[95:96], v[67:68], v[63:64]
	s_waitcnt vmcnt(19)
	v_fma_f64 v[71:72], v[71:72], v[69:70], v[63:64]
	ds_read_b128 v[63:66], v62 offset:400
	ds_read_b128 v[67:70], v62 offset:416
	s_waitcnt vmcnt(18) lgkmcnt(1)
	v_fma_f64 v[63:64], v[105:106], v[63:64], v[71:72]
	s_waitcnt vmcnt(17)
	v_fma_f64 v[63:64], v[103:104], v[65:66], v[63:64]
	s_waitcnt vmcnt(16) lgkmcnt(0)
	v_fma_f64 v[63:64], v[101:102], v[67:68], v[63:64]
	s_waitcnt vmcnt(11)
	v_fma_f64 v[71:72], v[73:74], v[69:70], v[63:64]
	ds_read_b128 v[63:66], v62 offset:432
	;; [unrolled: 10-line block ×3, first 2 shown]
	s_waitcnt vmcnt(3) lgkmcnt(0)
	v_fma_f64 v[62:63], v[85:86], v[62:63], v[66:67]
	s_waitcnt vmcnt(2)
	v_fma_f64 v[62:63], v[83:84], v[64:65], v[62:63]
	s_waitcnt vmcnt(0)
	v_add_f64 v[62:63], v[89:90], -v[62:63]
	buffer_store_dword v63, off, s[0:3], 0 offset:28
	buffer_store_dword v62, off, s[0:3], 0 offset:24
	v_cmpx_lt_u32_e32 2, v0
	s_cbranch_execz .LBB93_185
; %bb.184:
	s_clause 0x1
	buffer_load_dword v62, off, s[0:3], 0 offset:16
	buffer_load_dword v63, off, s[0:3], 0 offset:20
	v_mov_b32_e32 v64, 0
	buffer_store_dword v64, off, s[0:3], 0 offset:16
	buffer_store_dword v64, off, s[0:3], 0 offset:20
	s_waitcnt vmcnt(0)
	ds_write_b64 v61, v[62:63]
.LBB93_185:
	s_or_b32 exec_lo, exec_lo, s4
	s_waitcnt lgkmcnt(0)
	s_waitcnt_vscnt null, 0x0
	s_barrier
	buffer_gl0_inv
	s_clause 0x1c
	buffer_load_dword v71, off, s[0:3], 0 offset:24
	buffer_load_dword v72, off, s[0:3], 0 offset:28
	;; [unrolled: 1-line block ×29, first 2 shown]
	v_mov_b32_e32 v62, 0
	buffer_load_dword v96, off, s[0:3], 0 offset:140
	s_mov_b32 s4, exec_lo
	ds_read2_b64 v[63:66], v62 offset0:33 offset1:34
	ds_read2_b64 v[67:70], v62 offset0:35 offset1:36
	s_waitcnt vmcnt(28) lgkmcnt(1)
	v_fma_f64 v[63:64], v[71:72], v[63:64], 0
	s_clause 0x7
	buffer_load_dword v72, off, s[0:3], 0 offset:148
	buffer_load_dword v101, off, s[0:3], 0 offset:168
	buffer_load_dword v103, off, s[0:3], 0 offset:160
	buffer_load_dword v105, off, s[0:3], 0 offset:152
	buffer_load_dword v71, off, s[0:3], 0 offset:144
	buffer_load_dword v106, off, s[0:3], 0 offset:156
	buffer_load_dword v104, off, s[0:3], 0 offset:164
	buffer_load_dword v102, off, s[0:3], 0 offset:172
	s_waitcnt vmcnt(34)
	v_fma_f64 v[63:64], v[73:74], v[65:66], v[63:64]
	s_waitcnt vmcnt(32) lgkmcnt(0)
	v_fma_f64 v[63:64], v[75:76], v[67:68], v[63:64]
	s_waitcnt vmcnt(30)
	v_fma_f64 v[73:74], v[77:78], v[69:70], v[63:64]
	ds_read2_b64 v[63:66], v62 offset0:37 offset1:38
	ds_read2_b64 v[67:70], v62 offset0:39 offset1:40
	s_waitcnt vmcnt(28) lgkmcnt(1)
	v_fma_f64 v[63:64], v[79:80], v[63:64], v[73:74]
	s_clause 0x7
	buffer_load_dword v74, off, s[0:3], 0 offset:180
	buffer_load_dword v75, off, s[0:3], 0 offset:200
	buffer_load_dword v77, off, s[0:3], 0 offset:192
	buffer_load_dword v79, off, s[0:3], 0 offset:184
	buffer_load_dword v73, off, s[0:3], 0 offset:176
	buffer_load_dword v80, off, s[0:3], 0 offset:188
	buffer_load_dword v78, off, s[0:3], 0 offset:196
	buffer_load_dword v76, off, s[0:3], 0 offset:204
	s_waitcnt vmcnt(34)
	v_fma_f64 v[63:64], v[81:82], v[65:66], v[63:64]
	s_waitcnt vmcnt(32) lgkmcnt(0)
	v_fma_f64 v[63:64], v[83:84], v[67:68], v[63:64]
	s_waitcnt vmcnt(27)
	v_fma_f64 v[81:82], v[85:86], v[69:70], v[63:64]
	;; [unrolled: 19-line block ×3, first 2 shown]
	ds_read2_b64 v[63:66], v62 offset0:45 offset1:46
	ds_read2_b64 v[67:70], v62 offset0:47 offset1:48
	s_waitcnt vmcnt(26) lgkmcnt(1)
	v_fma_f64 v[63:64], v[99:100], v[63:64], v[87:88]
	s_clause 0x1
	buffer_load_dword v87, off, s[0:3], 0 offset:16
	buffer_load_dword v88, off, s[0:3], 0 offset:20
	s_waitcnt vmcnt(27)
	v_fma_f64 v[63:64], v[97:98], v[65:66], v[63:64]
	s_waitcnt vmcnt(26) lgkmcnt(0)
	v_fma_f64 v[63:64], v[95:96], v[67:68], v[63:64]
	s_waitcnt vmcnt(21)
	v_fma_f64 v[71:72], v[71:72], v[69:70], v[63:64]
	ds_read2_b64 v[63:66], v62 offset0:49 offset1:50
	ds_read2_b64 v[67:70], v62 offset0:51 offset1:52
	s_waitcnt vmcnt(20) lgkmcnt(1)
	v_fma_f64 v[63:64], v[105:106], v[63:64], v[71:72]
	s_waitcnt vmcnt(19)
	v_fma_f64 v[63:64], v[103:104], v[65:66], v[63:64]
	s_waitcnt vmcnt(18) lgkmcnt(0)
	v_fma_f64 v[63:64], v[101:102], v[67:68], v[63:64]
	s_waitcnt vmcnt(13)
	v_fma_f64 v[71:72], v[73:74], v[69:70], v[63:64]
	ds_read2_b64 v[63:66], v62 offset0:53 offset1:54
	ds_read2_b64 v[67:70], v62 offset0:55 offset1:56
	s_waitcnt vmcnt(12) lgkmcnt(1)
	v_fma_f64 v[63:64], v[79:80], v[63:64], v[71:72]
	s_waitcnt vmcnt(11)
	v_fma_f64 v[63:64], v[77:78], v[65:66], v[63:64]
	s_waitcnt vmcnt(10) lgkmcnt(0)
	v_fma_f64 v[63:64], v[75:76], v[67:68], v[63:64]
	s_waitcnt vmcnt(5)
	v_fma_f64 v[67:68], v[81:82], v[69:70], v[63:64]
	ds_read2_b64 v[63:66], v62 offset0:57 offset1:58
	ds_read_b64 v[69:70], v62 offset:472
	s_waitcnt vmcnt(4) lgkmcnt(1)
	v_fma_f64 v[63:64], v[91:92], v[63:64], v[67:68]
	s_waitcnt vmcnt(3)
	v_fma_f64 v[63:64], v[85:86], v[65:66], v[63:64]
	s_waitcnt vmcnt(2) lgkmcnt(0)
	v_fma_f64 v[63:64], v[83:84], v[69:70], v[63:64]
	s_waitcnt vmcnt(0)
	v_add_f64 v[63:64], v[87:88], -v[63:64]
	buffer_store_dword v64, off, s[0:3], 0 offset:20
	buffer_store_dword v63, off, s[0:3], 0 offset:16
	v_cmpx_lt_u32_e32 1, v0
	s_cbranch_execz .LBB93_187
; %bb.186:
	s_clause 0x1
	buffer_load_dword v63, off, s[0:3], 0 offset:8
	buffer_load_dword v64, off, s[0:3], 0 offset:12
	buffer_store_dword v62, off, s[0:3], 0 offset:8
	buffer_store_dword v62, off, s[0:3], 0 offset:12
	s_waitcnt vmcnt(0)
	ds_write_b64 v61, v[63:64]
.LBB93_187:
	s_or_b32 exec_lo, exec_lo, s4
	s_waitcnt lgkmcnt(0)
	s_waitcnt_vscnt null, 0x0
	s_barrier
	buffer_gl0_inv
	s_clause 0x1c
	buffer_load_dword v71, off, s[0:3], 0 offset:16
	buffer_load_dword v72, off, s[0:3], 0 offset:20
	;; [unrolled: 1-line block ×29, first 2 shown]
	ds_read_b128 v[63:66], v62 offset:256
	ds_read_b128 v[67:70], v62 offset:272
	buffer_load_dword v96, off, s[0:3], 0 offset:132
	s_mov_b32 s4, exec_lo
	s_waitcnt vmcnt(28) lgkmcnt(1)
	v_fma_f64 v[63:64], v[71:72], v[63:64], 0
	s_clause 0x7
	buffer_load_dword v72, off, s[0:3], 0 offset:140
	buffer_load_dword v101, off, s[0:3], 0 offset:160
	buffer_load_dword v103, off, s[0:3], 0 offset:152
	buffer_load_dword v105, off, s[0:3], 0 offset:144
	buffer_load_dword v71, off, s[0:3], 0 offset:136
	buffer_load_dword v106, off, s[0:3], 0 offset:148
	buffer_load_dword v104, off, s[0:3], 0 offset:156
	buffer_load_dword v102, off, s[0:3], 0 offset:164
	s_waitcnt vmcnt(34)
	v_fma_f64 v[63:64], v[73:74], v[65:66], v[63:64]
	s_waitcnt vmcnt(32) lgkmcnt(0)
	v_fma_f64 v[63:64], v[75:76], v[67:68], v[63:64]
	s_waitcnt vmcnt(30)
	v_fma_f64 v[73:74], v[77:78], v[69:70], v[63:64]
	ds_read_b128 v[63:66], v62 offset:288
	ds_read_b128 v[67:70], v62 offset:304
	s_waitcnt vmcnt(28) lgkmcnt(1)
	v_fma_f64 v[63:64], v[79:80], v[63:64], v[73:74]
	s_clause 0x7
	buffer_load_dword v74, off, s[0:3], 0 offset:172
	buffer_load_dword v75, off, s[0:3], 0 offset:192
	buffer_load_dword v77, off, s[0:3], 0 offset:184
	buffer_load_dword v79, off, s[0:3], 0 offset:176
	buffer_load_dword v73, off, s[0:3], 0 offset:168
	buffer_load_dword v80, off, s[0:3], 0 offset:180
	buffer_load_dword v78, off, s[0:3], 0 offset:188
	buffer_load_dword v76, off, s[0:3], 0 offset:196
	s_waitcnt vmcnt(34)
	v_fma_f64 v[63:64], v[81:82], v[65:66], v[63:64]
	s_waitcnt vmcnt(32) lgkmcnt(0)
	v_fma_f64 v[63:64], v[83:84], v[67:68], v[63:64]
	s_waitcnt vmcnt(27)
	v_fma_f64 v[81:82], v[85:86], v[69:70], v[63:64]
	ds_read_b128 v[63:66], v62 offset:320
	ds_read_b128 v[67:70], v62 offset:336
	;; [unrolled: 19-line block ×3, first 2 shown]
	s_waitcnt vmcnt(26) lgkmcnt(1)
	v_fma_f64 v[63:64], v[99:100], v[63:64], v[87:88]
	s_clause 0x3
	buffer_load_dword v88, off, s[0:3], 0 offset:236
	buffer_load_dword v87, off, s[0:3], 0 offset:232
	;; [unrolled: 1-line block ×4, first 2 shown]
	s_waitcnt vmcnt(29)
	v_fma_f64 v[63:64], v[97:98], v[65:66], v[63:64]
	s_waitcnt vmcnt(28) lgkmcnt(0)
	v_fma_f64 v[63:64], v[95:96], v[67:68], v[63:64]
	s_waitcnt vmcnt(23)
	v_fma_f64 v[71:72], v[71:72], v[69:70], v[63:64]
	ds_read_b128 v[63:66], v62 offset:384
	ds_read_b128 v[67:70], v62 offset:400
	s_waitcnt vmcnt(22) lgkmcnt(1)
	v_fma_f64 v[63:64], v[105:106], v[63:64], v[71:72]
	s_waitcnt vmcnt(21)
	v_fma_f64 v[63:64], v[103:104], v[65:66], v[63:64]
	s_waitcnt vmcnt(20) lgkmcnt(0)
	v_fma_f64 v[63:64], v[101:102], v[67:68], v[63:64]
	s_waitcnt vmcnt(15)
	v_fma_f64 v[71:72], v[73:74], v[69:70], v[63:64]
	ds_read_b128 v[63:66], v62 offset:416
	ds_read_b128 v[67:70], v62 offset:432
	s_waitcnt vmcnt(14) lgkmcnt(1)
	v_fma_f64 v[63:64], v[79:80], v[63:64], v[71:72]
	;; [unrolled: 10-line block ×3, first 2 shown]
	s_waitcnt vmcnt(5)
	v_fma_f64 v[62:63], v[85:86], v[65:66], v[62:63]
	s_waitcnt vmcnt(4) lgkmcnt(0)
	v_fma_f64 v[62:63], v[83:84], v[67:68], v[62:63]
	s_waitcnt vmcnt(2)
	v_fma_f64 v[62:63], v[87:88], v[69:70], v[62:63]
	s_waitcnt vmcnt(0)
	v_add_f64 v[62:63], v[89:90], -v[62:63]
	buffer_store_dword v63, off, s[0:3], 0 offset:12
	buffer_store_dword v62, off, s[0:3], 0 offset:8
	v_cmpx_ne_u32_e32 0, v0
	s_cbranch_execz .LBB93_189
; %bb.188:
	s_clause 0x1
	buffer_load_dword v62, off, s[0:3], 0
	buffer_load_dword v63, off, s[0:3], 0 offset:4
	v_mov_b32_e32 v0, 0
	buffer_store_dword v0, off, s[0:3], 0
	buffer_store_dword v0, off, s[0:3], 0 offset:4
	s_waitcnt vmcnt(0)
	ds_write_b64 v61, v[62:63]
.LBB93_189:
	s_or_b32 exec_lo, exec_lo, s4
	s_waitcnt lgkmcnt(0)
	s_waitcnt_vscnt null, 0x0
	s_barrier
	buffer_gl0_inv
	s_clause 0x1c
	buffer_load_dword v69, off, s[0:3], 0 offset:8
	buffer_load_dword v70, off, s[0:3], 0 offset:12
	;; [unrolled: 1-line block ×29, first 2 shown]
	v_mov_b32_e32 v0, 0
	buffer_load_dword v94, off, s[0:3], 0 offset:124
	s_and_b32 vcc_lo, exec_lo, s16
	ds_read2_b64 v[61:64], v0 offset0:31 offset1:32
	ds_read2_b64 v[65:68], v0 offset0:33 offset1:34
	s_waitcnt vmcnt(28) lgkmcnt(1)
	v_fma_f64 v[61:62], v[69:70], v[61:62], 0
	s_clause 0x7
	buffer_load_dword v70, off, s[0:3], 0 offset:132
	buffer_load_dword v99, off, s[0:3], 0 offset:152
	buffer_load_dword v101, off, s[0:3], 0 offset:144
	buffer_load_dword v103, off, s[0:3], 0 offset:136
	buffer_load_dword v69, off, s[0:3], 0 offset:128
	buffer_load_dword v104, off, s[0:3], 0 offset:140
	buffer_load_dword v102, off, s[0:3], 0 offset:148
	buffer_load_dword v100, off, s[0:3], 0 offset:156
	s_waitcnt vmcnt(34)
	v_fma_f64 v[61:62], v[71:72], v[63:64], v[61:62]
	s_waitcnt vmcnt(32) lgkmcnt(0)
	v_fma_f64 v[61:62], v[73:74], v[65:66], v[61:62]
	s_waitcnt vmcnt(30)
	v_fma_f64 v[71:72], v[75:76], v[67:68], v[61:62]
	ds_read2_b64 v[61:64], v0 offset0:35 offset1:36
	ds_read2_b64 v[65:68], v0 offset0:37 offset1:38
	s_waitcnt vmcnt(28) lgkmcnt(1)
	v_fma_f64 v[61:62], v[77:78], v[61:62], v[71:72]
	s_clause 0x7
	buffer_load_dword v72, off, s[0:3], 0 offset:164
	buffer_load_dword v73, off, s[0:3], 0 offset:184
	buffer_load_dword v75, off, s[0:3], 0 offset:176
	buffer_load_dword v77, off, s[0:3], 0 offset:168
	buffer_load_dword v71, off, s[0:3], 0 offset:160
	buffer_load_dword v78, off, s[0:3], 0 offset:172
	buffer_load_dword v76, off, s[0:3], 0 offset:180
	buffer_load_dword v74, off, s[0:3], 0 offset:188
	s_waitcnt vmcnt(34)
	v_fma_f64 v[61:62], v[79:80], v[63:64], v[61:62]
	s_waitcnt vmcnt(32) lgkmcnt(0)
	v_fma_f64 v[61:62], v[81:82], v[65:66], v[61:62]
	s_waitcnt vmcnt(27)
	v_fma_f64 v[79:80], v[83:84], v[67:68], v[61:62]
	ds_read2_b64 v[61:64], v0 offset0:39 offset1:40
	ds_read2_b64 v[65:68], v0 offset0:41 offset1:42
	s_waitcnt vmcnt(26) lgkmcnt(1)
	v_fma_f64 v[61:62], v[89:90], v[61:62], v[79:80]
	s_clause 0x7
	buffer_load_dword v80, off, s[0:3], 0 offset:196
	buffer_load_dword v81, off, s[0:3], 0 offset:216
	buffer_load_dword v83, off, s[0:3], 0 offset:208
	buffer_load_dword v89, off, s[0:3], 0 offset:200
	buffer_load_dword v79, off, s[0:3], 0 offset:192
	buffer_load_dword v90, off, s[0:3], 0 offset:204
	buffer_load_dword v84, off, s[0:3], 0 offset:212
	buffer_load_dword v82, off, s[0:3], 0 offset:220
	s_waitcnt vmcnt(33)
	v_fma_f64 v[61:62], v[87:88], v[63:64], v[61:62]
	s_waitcnt vmcnt(32) lgkmcnt(0)
	v_fma_f64 v[61:62], v[85:86], v[65:66], v[61:62]
	s_waitcnt vmcnt(27)
	v_fma_f64 v[85:86], v[91:92], v[67:68], v[61:62]
	ds_read2_b64 v[61:64], v0 offset0:43 offset1:44
	ds_read2_b64 v[65:68], v0 offset0:45 offset1:46
	s_waitcnt vmcnt(26) lgkmcnt(1)
	v_fma_f64 v[85:86], v[97:98], v[61:62], v[85:86]
	s_clause 0x3
	buffer_load_dword v62, off, s[0:3], 0 offset:228
	buffer_load_dword v87, off, s[0:3], 0 offset:232
	;; [unrolled: 1-line block ×4, first 2 shown]
	s_waitcnt vmcnt(29)
	v_fma_f64 v[63:64], v[95:96], v[63:64], v[85:86]
	s_clause 0x1
	buffer_load_dword v85, off, s[0:3], 0
	buffer_load_dword v86, off, s[0:3], 0 offset:4
	s_waitcnt vmcnt(30) lgkmcnt(0)
	v_fma_f64 v[63:64], v[93:94], v[65:66], v[63:64]
	s_waitcnt vmcnt(25)
	v_fma_f64 v[91:92], v[69:70], v[67:68], v[63:64]
	ds_read2_b64 v[63:66], v0 offset0:47 offset1:48
	ds_read2_b64 v[67:70], v0 offset0:49 offset1:50
	s_waitcnt vmcnt(24) lgkmcnt(1)
	v_fma_f64 v[63:64], v[103:104], v[63:64], v[91:92]
	s_waitcnt vmcnt(23)
	v_fma_f64 v[63:64], v[101:102], v[65:66], v[63:64]
	s_waitcnt vmcnt(22) lgkmcnt(0)
	v_fma_f64 v[63:64], v[99:100], v[67:68], v[63:64]
	s_waitcnt vmcnt(17)
	v_fma_f64 v[71:72], v[71:72], v[69:70], v[63:64]
	ds_read2_b64 v[63:66], v0 offset0:51 offset1:52
	ds_read2_b64 v[67:70], v0 offset0:53 offset1:54
	s_waitcnt vmcnt(16) lgkmcnt(1)
	v_fma_f64 v[63:64], v[77:78], v[63:64], v[71:72]
	s_waitcnt vmcnt(15)
	v_fma_f64 v[63:64], v[75:76], v[65:66], v[63:64]
	;; [unrolled: 10-line block ×3, first 2 shown]
	ds_read_b64 v[65:66], v0 offset:472
	s_waitcnt vmcnt(6) lgkmcnt(1)
	v_fma_f64 v[63:64], v[81:82], v[67:68], v[63:64]
	s_waitcnt vmcnt(3)
	v_fma_f64 v[63:64], v[61:62], v[69:70], v[63:64]
	s_waitcnt vmcnt(2) lgkmcnt(0)
	v_fma_f64 v[63:64], v[87:88], v[65:66], v[63:64]
	s_waitcnt vmcnt(0)
	v_add_f64 v[63:64], v[85:86], -v[63:64]
	buffer_store_dword v64, off, s[0:3], 0 offset:4
	buffer_store_dword v63, off, s[0:3], 0
	s_cbranch_vccz .LBB93_248
; %bb.190:
	global_load_dword v0, v0, s[12:13] offset:112
	s_waitcnt vmcnt(0)
	v_add_nc_u32_e32 v0, -1, v0
	v_cmp_ne_u32_e32 vcc_lo, 28, v0
	s_cbranch_vccz .LBB93_192
; %bb.191:
	v_lshlrev_b32_e32 v0, 3, v0
	s_clause 0x1
	buffer_load_dword v63, v0, s[0:3], 0 offen offset:4
	buffer_load_dword v64, v0, s[0:3], 0 offen
	s_waitcnt vmcnt(1)
	buffer_store_dword v63, off, s[0:3], 0 offset:228
	s_waitcnt vmcnt(0)
	buffer_store_dword v64, off, s[0:3], 0 offset:224
	buffer_store_dword v62, v0, s[0:3], 0 offen offset:4
	buffer_store_dword v61, v0, s[0:3], 0 offen
.LBB93_192:
	v_mov_b32_e32 v0, 0
	global_load_dword v61, v0, s[12:13] offset:108
	s_waitcnt vmcnt(0)
	v_add_nc_u32_e32 v61, -1, v61
	v_cmp_eq_u32_e32 vcc_lo, 27, v61
	s_cbranch_vccnz .LBB93_194
; %bb.193:
	v_lshlrev_b32_e32 v61, 3, v61
	s_clause 0x3
	buffer_load_dword v62, v61, s[0:3], 0 offen
	buffer_load_dword v63, v61, s[0:3], 0 offen offset:4
	buffer_load_dword v64, off, s[0:3], 0 offset:216
	buffer_load_dword v65, off, s[0:3], 0 offset:220
	s_waitcnt vmcnt(3)
	buffer_store_dword v62, off, s[0:3], 0 offset:216
	s_waitcnt vmcnt(2)
	buffer_store_dword v63, off, s[0:3], 0 offset:220
	s_waitcnt vmcnt(1)
	buffer_store_dword v64, v61, s[0:3], 0 offen
	s_waitcnt vmcnt(0)
	buffer_store_dword v65, v61, s[0:3], 0 offen offset:4
.LBB93_194:
	global_load_dword v0, v0, s[12:13] offset:104
	s_waitcnt vmcnt(0)
	v_add_nc_u32_e32 v0, -1, v0
	v_cmp_eq_u32_e32 vcc_lo, 26, v0
	s_cbranch_vccnz .LBB93_196
; %bb.195:
	v_lshlrev_b32_e32 v0, 3, v0
	s_clause 0x3
	buffer_load_dword v61, v0, s[0:3], 0 offen
	buffer_load_dword v62, v0, s[0:3], 0 offen offset:4
	buffer_load_dword v63, off, s[0:3], 0 offset:212
	buffer_load_dword v64, off, s[0:3], 0 offset:208
	s_waitcnt vmcnt(3)
	buffer_store_dword v61, off, s[0:3], 0 offset:208
	s_waitcnt vmcnt(2)
	buffer_store_dword v62, off, s[0:3], 0 offset:212
	s_waitcnt vmcnt(1)
	buffer_store_dword v63, v0, s[0:3], 0 offen offset:4
	s_waitcnt vmcnt(0)
	buffer_store_dword v64, v0, s[0:3], 0 offen
.LBB93_196:
	v_mov_b32_e32 v0, 0
	global_load_dword v61, v0, s[12:13] offset:100
	s_waitcnt vmcnt(0)
	v_add_nc_u32_e32 v61, -1, v61
	v_cmp_eq_u32_e32 vcc_lo, 25, v61
	s_cbranch_vccnz .LBB93_198
; %bb.197:
	v_lshlrev_b32_e32 v61, 3, v61
	s_clause 0x3
	buffer_load_dword v62, v61, s[0:3], 0 offen
	buffer_load_dword v63, v61, s[0:3], 0 offen offset:4
	buffer_load_dword v64, off, s[0:3], 0 offset:200
	buffer_load_dword v65, off, s[0:3], 0 offset:204
	s_waitcnt vmcnt(3)
	buffer_store_dword v62, off, s[0:3], 0 offset:200
	s_waitcnt vmcnt(2)
	buffer_store_dword v63, off, s[0:3], 0 offset:204
	s_waitcnt vmcnt(1)
	buffer_store_dword v64, v61, s[0:3], 0 offen
	s_waitcnt vmcnt(0)
	buffer_store_dword v65, v61, s[0:3], 0 offen offset:4
.LBB93_198:
	global_load_dword v0, v0, s[12:13] offset:96
	s_waitcnt vmcnt(0)
	v_add_nc_u32_e32 v0, -1, v0
	v_cmp_eq_u32_e32 vcc_lo, 24, v0
	s_cbranch_vccnz .LBB93_200
; %bb.199:
	v_lshlrev_b32_e32 v0, 3, v0
	s_clause 0x3
	buffer_load_dword v61, v0, s[0:3], 0 offen
	buffer_load_dword v62, v0, s[0:3], 0 offen offset:4
	buffer_load_dword v63, off, s[0:3], 0 offset:196
	buffer_load_dword v64, off, s[0:3], 0 offset:192
	s_waitcnt vmcnt(3)
	buffer_store_dword v61, off, s[0:3], 0 offset:192
	s_waitcnt vmcnt(2)
	buffer_store_dword v62, off, s[0:3], 0 offset:196
	s_waitcnt vmcnt(1)
	buffer_store_dword v63, v0, s[0:3], 0 offen offset:4
	s_waitcnt vmcnt(0)
	buffer_store_dword v64, v0, s[0:3], 0 offen
.LBB93_200:
	;; [unrolled: 43-line block ×13, first 2 shown]
	v_mov_b32_e32 v0, 0
	global_load_dword v61, v0, s[12:13] offset:4
	s_waitcnt vmcnt(0)
	v_add_nc_u32_e32 v61, -1, v61
	v_cmp_eq_u32_e32 vcc_lo, 1, v61
	s_cbranch_vccnz .LBB93_246
; %bb.245:
	v_lshlrev_b32_e32 v61, 3, v61
	s_clause 0x3
	buffer_load_dword v62, v61, s[0:3], 0 offen
	buffer_load_dword v63, v61, s[0:3], 0 offen offset:4
	buffer_load_dword v64, off, s[0:3], 0 offset:8
	buffer_load_dword v65, off, s[0:3], 0 offset:12
	s_waitcnt vmcnt(3)
	buffer_store_dword v62, off, s[0:3], 0 offset:8
	s_waitcnt vmcnt(2)
	buffer_store_dword v63, off, s[0:3], 0 offset:12
	s_waitcnt vmcnt(1)
	buffer_store_dword v64, v61, s[0:3], 0 offen
	s_waitcnt vmcnt(0)
	buffer_store_dword v65, v61, s[0:3], 0 offen offset:4
.LBB93_246:
	global_load_dword v0, v0, s[12:13]
	s_clause 0x1
	buffer_load_dword v63, off, s[0:3], 0
	buffer_load_dword v64, off, s[0:3], 0 offset:4
	s_waitcnt vmcnt(2)
	v_add_nc_u32_e32 v0, -1, v0
	v_cmp_eq_u32_e32 vcc_lo, 0, v0
	s_cbranch_vccnz .LBB93_248
; %bb.247:
	v_lshlrev_b32_e32 v0, 3, v0
	s_clause 0x1
	buffer_load_dword v61, v0, s[0:3], 0 offen offset:4
	buffer_load_dword v62, v0, s[0:3], 0 offen
	s_waitcnt vmcnt(1)
	buffer_store_dword v61, off, s[0:3], 0 offset:4
	s_waitcnt vmcnt(0)
	buffer_store_dword v62, off, s[0:3], 0
	buffer_store_dword v64, v0, s[0:3], 0 offen offset:4
	buffer_store_dword v63, v0, s[0:3], 0 offen
	s_clause 0x1
	buffer_load_dword v63, off, s[0:3], 0
	buffer_load_dword v64, off, s[0:3], 0 offset:4
.LBB93_248:
	s_waitcnt vmcnt(0)
	flat_store_dwordx2 v[1:2], v[63:64]
	s_clause 0x1
	buffer_load_dword v0, off, s[0:3], 0 offset:8
	buffer_load_dword v1, off, s[0:3], 0 offset:12
	s_waitcnt vmcnt(0)
	flat_store_dwordx2 v[3:4], v[0:1]
	s_clause 0x1
	buffer_load_dword v0, off, s[0:3], 0 offset:16
	buffer_load_dword v1, off, s[0:3], 0 offset:20
	;; [unrolled: 5-line block ×29, first 2 shown]
	s_waitcnt vmcnt(0)
	flat_store_dwordx2 v[59:60], v[0:1]
	s_endpgm
	.section	.rodata,"a",@progbits
	.p2align	6, 0x0
	.amdhsa_kernel _ZN9rocsolver6v33100L18getri_kernel_smallILi30EdPKPdEEvT1_iilPiilS6_bb
		.amdhsa_group_segment_fixed_size 488
		.amdhsa_private_segment_fixed_size 256
		.amdhsa_kernarg_size 60
		.amdhsa_user_sgpr_count 6
		.amdhsa_user_sgpr_private_segment_buffer 1
		.amdhsa_user_sgpr_dispatch_ptr 0
		.amdhsa_user_sgpr_queue_ptr 0
		.amdhsa_user_sgpr_kernarg_segment_ptr 1
		.amdhsa_user_sgpr_dispatch_id 0
		.amdhsa_user_sgpr_flat_scratch_init 0
		.amdhsa_user_sgpr_private_segment_size 0
		.amdhsa_wavefront_size32 1
		.amdhsa_uses_dynamic_stack 0
		.amdhsa_system_sgpr_private_segment_wavefront_offset 1
		.amdhsa_system_sgpr_workgroup_id_x 1
		.amdhsa_system_sgpr_workgroup_id_y 0
		.amdhsa_system_sgpr_workgroup_id_z 0
		.amdhsa_system_sgpr_workgroup_info 0
		.amdhsa_system_vgpr_workitem_id 0
		.amdhsa_next_free_vgpr 107
		.amdhsa_next_free_sgpr 20
		.amdhsa_reserve_vcc 1
		.amdhsa_reserve_flat_scratch 0
		.amdhsa_float_round_mode_32 0
		.amdhsa_float_round_mode_16_64 0
		.amdhsa_float_denorm_mode_32 3
		.amdhsa_float_denorm_mode_16_64 3
		.amdhsa_dx10_clamp 1
		.amdhsa_ieee_mode 1
		.amdhsa_fp16_overflow 0
		.amdhsa_workgroup_processor_mode 1
		.amdhsa_memory_ordered 1
		.amdhsa_forward_progress 1
		.amdhsa_shared_vgpr_count 0
		.amdhsa_exception_fp_ieee_invalid_op 0
		.amdhsa_exception_fp_denorm_src 0
		.amdhsa_exception_fp_ieee_div_zero 0
		.amdhsa_exception_fp_ieee_overflow 0
		.amdhsa_exception_fp_ieee_underflow 0
		.amdhsa_exception_fp_ieee_inexact 0
		.amdhsa_exception_int_div_zero 0
	.end_amdhsa_kernel
	.section	.text._ZN9rocsolver6v33100L18getri_kernel_smallILi30EdPKPdEEvT1_iilPiilS6_bb,"axG",@progbits,_ZN9rocsolver6v33100L18getri_kernel_smallILi30EdPKPdEEvT1_iilPiilS6_bb,comdat
.Lfunc_end93:
	.size	_ZN9rocsolver6v33100L18getri_kernel_smallILi30EdPKPdEEvT1_iilPiilS6_bb, .Lfunc_end93-_ZN9rocsolver6v33100L18getri_kernel_smallILi30EdPKPdEEvT1_iilPiilS6_bb
                                        ; -- End function
	.set _ZN9rocsolver6v33100L18getri_kernel_smallILi30EdPKPdEEvT1_iilPiilS6_bb.num_vgpr, 107
	.set _ZN9rocsolver6v33100L18getri_kernel_smallILi30EdPKPdEEvT1_iilPiilS6_bb.num_agpr, 0
	.set _ZN9rocsolver6v33100L18getri_kernel_smallILi30EdPKPdEEvT1_iilPiilS6_bb.numbered_sgpr, 20
	.set _ZN9rocsolver6v33100L18getri_kernel_smallILi30EdPKPdEEvT1_iilPiilS6_bb.num_named_barrier, 0
	.set _ZN9rocsolver6v33100L18getri_kernel_smallILi30EdPKPdEEvT1_iilPiilS6_bb.private_seg_size, 256
	.set _ZN9rocsolver6v33100L18getri_kernel_smallILi30EdPKPdEEvT1_iilPiilS6_bb.uses_vcc, 1
	.set _ZN9rocsolver6v33100L18getri_kernel_smallILi30EdPKPdEEvT1_iilPiilS6_bb.uses_flat_scratch, 0
	.set _ZN9rocsolver6v33100L18getri_kernel_smallILi30EdPKPdEEvT1_iilPiilS6_bb.has_dyn_sized_stack, 0
	.set _ZN9rocsolver6v33100L18getri_kernel_smallILi30EdPKPdEEvT1_iilPiilS6_bb.has_recursion, 0
	.set _ZN9rocsolver6v33100L18getri_kernel_smallILi30EdPKPdEEvT1_iilPiilS6_bb.has_indirect_call, 0
	.section	.AMDGPU.csdata,"",@progbits
; Kernel info:
; codeLenInByte = 31148
; TotalNumSgprs: 22
; NumVgprs: 107
; ScratchSize: 256
; MemoryBound: 0
; FloatMode: 240
; IeeeMode: 1
; LDSByteSize: 488 bytes/workgroup (compile time only)
; SGPRBlocks: 0
; VGPRBlocks: 13
; NumSGPRsForWavesPerEU: 22
; NumVGPRsForWavesPerEU: 107
; Occupancy: 9
; WaveLimiterHint : 1
; COMPUTE_PGM_RSRC2:SCRATCH_EN: 1
; COMPUTE_PGM_RSRC2:USER_SGPR: 6
; COMPUTE_PGM_RSRC2:TRAP_HANDLER: 0
; COMPUTE_PGM_RSRC2:TGID_X_EN: 1
; COMPUTE_PGM_RSRC2:TGID_Y_EN: 0
; COMPUTE_PGM_RSRC2:TGID_Z_EN: 0
; COMPUTE_PGM_RSRC2:TIDIG_COMP_CNT: 0
	.section	.text._ZN9rocsolver6v33100L18getri_kernel_smallILi31EdPKPdEEvT1_iilPiilS6_bb,"axG",@progbits,_ZN9rocsolver6v33100L18getri_kernel_smallILi31EdPKPdEEvT1_iilPiilS6_bb,comdat
	.globl	_ZN9rocsolver6v33100L18getri_kernel_smallILi31EdPKPdEEvT1_iilPiilS6_bb ; -- Begin function _ZN9rocsolver6v33100L18getri_kernel_smallILi31EdPKPdEEvT1_iilPiilS6_bb
	.p2align	8
	.type	_ZN9rocsolver6v33100L18getri_kernel_smallILi31EdPKPdEEvT1_iilPiilS6_bb,@function
_ZN9rocsolver6v33100L18getri_kernel_smallILi31EdPKPdEEvT1_iilPiilS6_bb: ; @_ZN9rocsolver6v33100L18getri_kernel_smallILi31EdPKPdEEvT1_iilPiilS6_bb
; %bb.0:
	s_add_u32 s0, s0, s7
	s_addc_u32 s1, s1, 0
	s_mov_b32 s7, exec_lo
	v_cmpx_gt_u32_e32 31, v0
	s_cbranch_execz .LBB94_134
; %bb.1:
	s_clause 0x2
	s_load_dword s17, s[4:5], 0x38
	s_load_dwordx2 s[12:13], s[4:5], 0x0
	s_load_dwordx4 s[8:11], s[4:5], 0x28
	s_waitcnt lgkmcnt(0)
	s_bitcmp1_b32 s17, 8
	s_cselect_b32 s16, -1, 0
	s_ashr_i32 s7, s6, 31
	s_lshl_b64 s[14:15], s[6:7], 3
	s_add_u32 s12, s12, s14
	s_addc_u32 s13, s13, s15
	s_load_dwordx2 s[14:15], s[12:13], 0x0
	s_bfe_u32 s12, s17, 0x10008
	s_cmp_eq_u32 s12, 0
                                        ; implicit-def: $sgpr12_sgpr13
	s_cbranch_scc1 .LBB94_3
; %bb.2:
	s_clause 0x1
	s_load_dword s12, s[4:5], 0x20
	s_load_dwordx2 s[18:19], s[4:5], 0x18
	s_mul_i32 s13, s8, s7
	s_mul_hi_u32 s17, s8, s6
	s_mul_i32 s9, s9, s6
	s_add_i32 s13, s17, s13
	s_mul_i32 s8, s8, s6
	s_add_i32 s9, s13, s9
	s_lshl_b64 s[8:9], s[8:9], 2
	s_waitcnt lgkmcnt(0)
	s_ashr_i32 s13, s12, 31
	s_add_u32 s17, s18, s8
	s_addc_u32 s18, s19, s9
	s_lshl_b64 s[8:9], s[12:13], 2
	s_add_u32 s12, s17, s8
	s_addc_u32 s13, s18, s9
.LBB94_3:
	s_clause 0x1
	s_load_dwordx2 s[8:9], s[4:5], 0x8
	s_load_dword s17, s[4:5], 0x38
	v_lshlrev_b32_e32 v65, 3, v0
	s_waitcnt lgkmcnt(0)
	s_ashr_i32 s5, s8, 31
	s_mov_b32 s4, s8
	v_add3_u32 v9, s9, s9, v0
	s_lshl_b64 s[4:5], s[4:5], 3
	s_add_u32 s4, s14, s4
	s_addc_u32 s5, s15, s5
	v_add_co_u32 v1, s8, s4, v65
	v_add_co_ci_u32_e64 v2, null, s5, 0, s8
	s_mov_b32 s14, s9
	s_ashr_i32 s15, s9, 31
	v_ashrrev_i32_e32 v10, 31, v9
	flat_load_dwordx2 v[5:6], v[1:2]
	s_lshl_b64 s[14:15], s[14:15], 3
	v_add_nc_u32_e32 v12, s9, v9
	v_add_co_u32 v3, vcc_lo, v1, s14
	v_add_co_ci_u32_e64 v4, null, s15, v2, vcc_lo
	v_ashrrev_i32_e32 v13, 31, v12
	s_bitcmp0_b32 s17, 0
	s_waitcnt vmcnt(0) lgkmcnt(0)
	buffer_store_dword v6, off, s[0:3], 0 offset:4
	buffer_store_dword v5, off, s[0:3], 0
	flat_load_dwordx2 v[7:8], v[3:4]
	v_lshlrev_b64 v[5:6], 3, v[9:10]
	s_waitcnt vmcnt(0) lgkmcnt(0)
	buffer_store_dword v8, off, s[0:3], 0 offset:12
	buffer_store_dword v7, off, s[0:3], 0 offset:8
	v_add_co_u32 v5, vcc_lo, s4, v5
	v_add_co_ci_u32_e64 v6, null, s5, v6, vcc_lo
	v_lshlrev_b64 v[7:8], 3, v[12:13]
	flat_load_dwordx2 v[10:11], v[5:6]
	s_waitcnt vmcnt(0) lgkmcnt(0)
	buffer_store_dword v11, off, s[0:3], 0 offset:20
	buffer_store_dword v10, off, s[0:3], 0 offset:16
	v_add_co_u32 v7, vcc_lo, s4, v7
	v_add_co_ci_u32_e64 v8, null, s5, v8, vcc_lo
	v_add_nc_u32_e32 v11, s9, v12
	flat_load_dwordx2 v[13:14], v[7:8]
	s_waitcnt vmcnt(0) lgkmcnt(0)
	buffer_store_dword v14, off, s[0:3], 0 offset:28
	buffer_store_dword v13, off, s[0:3], 0 offset:24
	v_ashrrev_i32_e32 v12, 31, v11
	v_add_nc_u32_e32 v15, s9, v11
	v_lshlrev_b64 v[9:10], 3, v[11:12]
	v_ashrrev_i32_e32 v16, 31, v15
	v_add_nc_u32_e32 v18, s9, v15
	v_add_co_u32 v9, vcc_lo, s4, v9
	v_add_co_ci_u32_e64 v10, null, s5, v10, vcc_lo
	v_lshlrev_b64 v[11:12], 3, v[15:16]
	v_ashrrev_i32_e32 v19, 31, v18
	flat_load_dwordx2 v[13:14], v[9:10]
	s_waitcnt vmcnt(0) lgkmcnt(0)
	buffer_store_dword v14, off, s[0:3], 0 offset:36
	buffer_store_dword v13, off, s[0:3], 0 offset:32
	v_add_co_u32 v11, vcc_lo, s4, v11
	v_add_co_ci_u32_e64 v12, null, s5, v12, vcc_lo
	v_lshlrev_b64 v[13:14], 3, v[18:19]
	flat_load_dwordx2 v[16:17], v[11:12]
	s_waitcnt vmcnt(0) lgkmcnt(0)
	buffer_store_dword v17, off, s[0:3], 0 offset:44
	buffer_store_dword v16, off, s[0:3], 0 offset:40
	v_add_co_u32 v13, vcc_lo, s4, v13
	v_add_co_ci_u32_e64 v14, null, s5, v14, vcc_lo
	v_add_nc_u32_e32 v17, s9, v18
	flat_load_dwordx2 v[19:20], v[13:14]
	s_waitcnt vmcnt(0) lgkmcnt(0)
	buffer_store_dword v20, off, s[0:3], 0 offset:52
	buffer_store_dword v19, off, s[0:3], 0 offset:48
	v_ashrrev_i32_e32 v18, 31, v17
	v_add_nc_u32_e32 v21, s9, v17
	v_lshlrev_b64 v[15:16], 3, v[17:18]
	v_ashrrev_i32_e32 v22, 31, v21
	v_add_nc_u32_e32 v24, s9, v21
	v_add_co_u32 v15, vcc_lo, s4, v15
	v_add_co_ci_u32_e64 v16, null, s5, v16, vcc_lo
	v_lshlrev_b64 v[17:18], 3, v[21:22]
	v_ashrrev_i32_e32 v25, 31, v24
	flat_load_dwordx2 v[19:20], v[15:16]
	;; [unrolled: 27-line block ×8, first 2 shown]
	s_waitcnt vmcnt(0) lgkmcnt(0)
	buffer_store_dword v56, off, s[0:3], 0 offset:204
	buffer_store_dword v55, off, s[0:3], 0 offset:200
	v_add_co_u32 v53, vcc_lo, s4, v53
	v_add_co_ci_u32_e64 v54, null, s5, v54, vcc_lo
	v_lshlrev_b64 v[55:56], 3, v[60:61]
	flat_load_dwordx2 v[58:59], v[53:54]
	s_waitcnt vmcnt(0) lgkmcnt(0)
	buffer_store_dword v59, off, s[0:3], 0 offset:212
	buffer_store_dword v58, off, s[0:3], 0 offset:208
	v_add_co_u32 v55, vcc_lo, s4, v55
	v_add_co_ci_u32_e64 v56, null, s5, v56, vcc_lo
	v_add_nc_u32_e32 v59, s9, v60
	flat_load_dwordx2 v[61:62], v[55:56]
	s_waitcnt vmcnt(0) lgkmcnt(0)
	buffer_store_dword v62, off, s[0:3], 0 offset:220
	buffer_store_dword v61, off, s[0:3], 0 offset:216
	v_ashrrev_i32_e32 v60, 31, v59
	v_add_nc_u32_e32 v63, s9, v59
	v_lshlrev_b64 v[57:58], 3, v[59:60]
	v_ashrrev_i32_e32 v64, 31, v63
	v_add_co_u32 v57, vcc_lo, s4, v57
	v_add_co_ci_u32_e64 v58, null, s5, v58, vcc_lo
	v_lshlrev_b64 v[59:60], 3, v[63:64]
	flat_load_dwordx2 v[61:62], v[57:58]
	s_waitcnt vmcnt(0) lgkmcnt(0)
	buffer_store_dword v62, off, s[0:3], 0 offset:228
	buffer_store_dword v61, off, s[0:3], 0 offset:224
	v_add_co_u32 v59, vcc_lo, s4, v59
	v_add_co_ci_u32_e64 v60, null, s5, v60, vcc_lo
	v_add_nc_u32_e32 v61, s9, v63
	flat_load_dwordx2 v[66:67], v[59:60]
	s_waitcnt vmcnt(0) lgkmcnt(0)
	buffer_store_dword v67, off, s[0:3], 0 offset:236
	buffer_store_dword v66, off, s[0:3], 0 offset:232
	v_ashrrev_i32_e32 v62, 31, v61
	v_lshlrev_b64 v[61:62], 3, v[61:62]
	v_add_co_u32 v61, vcc_lo, s4, v61
	v_add_co_ci_u32_e64 v62, null, s5, v62, vcc_lo
	s_mov_b32 s5, -1
	flat_load_dwordx2 v[63:64], v[61:62]
	s_waitcnt vmcnt(0) lgkmcnt(0)
	buffer_store_dword v64, off, s[0:3], 0 offset:244
	buffer_store_dword v63, off, s[0:3], 0 offset:240
	s_cbranch_scc1 .LBB94_132
; %bb.4:
	v_cmp_eq_u32_e64 s4, 0, v0
	s_and_saveexec_b32 s5, s4
; %bb.5:
	v_mov_b32_e32 v63, 0
	ds_write_b32 v63, v63 offset:248
; %bb.6:
	s_or_b32 exec_lo, exec_lo, s5
	v_lshl_add_u32 v63, v0, 3, 0
	s_waitcnt lgkmcnt(0)
	s_waitcnt_vscnt null, 0x0
	s_barrier
	buffer_gl0_inv
	s_mov_b32 s8, exec_lo
	s_clause 0x1
	buffer_load_dword v66, v63, s[0:3], 0 offen
	buffer_load_dword v67, v63, s[0:3], 0 offen offset:4
	s_waitcnt vmcnt(0)
	v_cmpx_eq_f64_e32 0, v[66:67]
	s_cbranch_execz .LBB94_10
; %bb.7:
	v_mov_b32_e32 v64, 0
	s_mov_b32 s9, 0
	ds_read_b32 v66, v64 offset:248
	s_waitcnt lgkmcnt(0)
	v_readfirstlane_b32 s5, v66
	v_add_nc_u32_e32 v66, 1, v0
	s_cmp_eq_u32 s5, 0
	v_cmp_gt_i32_e32 vcc_lo, s5, v66
	s_cselect_b32 s14, -1, 0
	s_or_b32 s14, s14, vcc_lo
	s_and_b32 exec_lo, exec_lo, s14
	s_cbranch_execz .LBB94_10
; %bb.8:
	v_mov_b32_e32 v67, s5
.LBB94_9:                               ; =>This Inner Loop Header: Depth=1
	ds_cmpst_rtn_b32 v67, v64, v67, v66 offset:248
	s_waitcnt lgkmcnt(0)
	v_cmp_ne_u32_e32 vcc_lo, 0, v67
	v_cmp_le_i32_e64 s5, v67, v66
	s_and_b32 s5, vcc_lo, s5
	s_and_b32 s5, exec_lo, s5
	s_or_b32 s9, s5, s9
	s_andn2_b32 exec_lo, exec_lo, s9
	s_cbranch_execnz .LBB94_9
.LBB94_10:
	s_or_b32 exec_lo, exec_lo, s8
	v_mov_b32_e32 v64, 0
	s_barrier
	buffer_gl0_inv
	ds_read_b32 v66, v64 offset:248
	s_and_saveexec_b32 s5, s4
	s_cbranch_execz .LBB94_12
; %bb.11:
	s_lshl_b64 s[8:9], s[6:7], 2
	s_add_u32 s8, s10, s8
	s_addc_u32 s9, s11, s9
	s_waitcnt lgkmcnt(0)
	global_store_dword v64, v66, s[8:9]
.LBB94_12:
	s_or_b32 exec_lo, exec_lo, s5
	s_waitcnt lgkmcnt(0)
	v_cmp_ne_u32_e32 vcc_lo, 0, v66
	s_mov_b32 s5, 0
	s_cbranch_vccnz .LBB94_132
; %bb.13:
	s_clause 0x1
	buffer_load_dword v66, v63, s[0:3], 0 offen
	buffer_load_dword v67, v63, s[0:3], 0 offen offset:4
	s_waitcnt vmcnt(0)
	v_div_scale_f64 v[68:69], null, v[66:67], v[66:67], 1.0
	v_div_scale_f64 v[74:75], vcc_lo, 1.0, v[66:67], 1.0
	v_rcp_f64_e32 v[70:71], v[68:69]
	v_fma_f64 v[72:73], -v[68:69], v[70:71], 1.0
	v_fma_f64 v[70:71], v[70:71], v[72:73], v[70:71]
	v_fma_f64 v[72:73], -v[68:69], v[70:71], 1.0
	v_fma_f64 v[70:71], v[70:71], v[72:73], v[70:71]
	v_mul_f64 v[72:73], v[74:75], v[70:71]
	v_fma_f64 v[68:69], -v[68:69], v[72:73], v[74:75]
	v_div_fmas_f64 v[68:69], v[68:69], v[70:71], v[72:73]
	v_div_fixup_f64 v[67:68], v[68:69], v[66:67], 1.0
	v_add_nc_u32_e32 v66, 0x100, v65
	buffer_store_dword v68, v63, s[0:3], 0 offen offset:4
	buffer_store_dword v67, v63, s[0:3], 0 offen
	s_clause 0x1
	buffer_load_dword v70, off, s[0:3], 0 offset:12
	buffer_load_dword v69, off, s[0:3], 0 offset:8
	v_xor_b32_e32 v68, 0x80000000, v68
	s_waitcnt vmcnt(0)
	ds_write2_b64 v65, v[67:68], v[69:70] offset1:32
	s_waitcnt lgkmcnt(0)
	s_waitcnt_vscnt null, 0x0
	s_barrier
	buffer_gl0_inv
	s_and_saveexec_b32 s5, s4
	s_cbranch_execz .LBB94_15
; %bb.14:
	s_clause 0x1
	buffer_load_dword v67, v63, s[0:3], 0 offen
	buffer_load_dword v68, v63, s[0:3], 0 offen offset:4
	ds_read_b64 v[69:70], v66
	v_mov_b32_e32 v64, 0
	ds_read_b64 v[71:72], v64 offset:8
	s_waitcnt vmcnt(0) lgkmcnt(1)
	v_fma_f64 v[67:68], v[67:68], v[69:70], 0
	s_waitcnt lgkmcnt(0)
	v_mul_f64 v[67:68], v[67:68], v[71:72]
	buffer_store_dword v67, off, s[0:3], 0 offset:8
	buffer_store_dword v68, off, s[0:3], 0 offset:12
.LBB94_15:
	s_or_b32 exec_lo, exec_lo, s5
	s_waitcnt_vscnt null, 0x0
	s_barrier
	buffer_gl0_inv
	s_clause 0x1
	buffer_load_dword v67, off, s[0:3], 0 offset:16
	buffer_load_dword v68, off, s[0:3], 0 offset:20
	s_mov_b32 s5, exec_lo
	s_waitcnt vmcnt(0)
	ds_write_b64 v66, v[67:68]
	s_waitcnt lgkmcnt(0)
	s_barrier
	buffer_gl0_inv
	v_cmpx_gt_u32_e32 2, v0
	s_cbranch_execz .LBB94_19
; %bb.16:
	s_clause 0x1
	buffer_load_dword v67, v63, s[0:3], 0 offen
	buffer_load_dword v68, v63, s[0:3], 0 offen offset:4
	ds_read_b64 v[63:64], v66
	s_waitcnt vmcnt(0) lgkmcnt(0)
	v_fma_f64 v[63:64], v[67:68], v[63:64], 0
	s_and_saveexec_b32 s8, s4
	s_cbranch_execz .LBB94_18
; %bb.17:
	s_clause 0x1
	buffer_load_dword v67, off, s[0:3], 0 offset:8
	buffer_load_dword v68, off, s[0:3], 0 offset:12
	v_mov_b32_e32 v69, 0
	ds_read_b64 v[69:70], v69 offset:264
	s_waitcnt vmcnt(0) lgkmcnt(0)
	v_fma_f64 v[63:64], v[67:68], v[69:70], v[63:64]
.LBB94_18:
	s_or_b32 exec_lo, exec_lo, s8
	v_mov_b32_e32 v67, 0
	ds_read_b64 v[67:68], v67 offset:16
	s_waitcnt lgkmcnt(0)
	v_mul_f64 v[63:64], v[63:64], v[67:68]
	buffer_store_dword v64, off, s[0:3], 0 offset:20
	buffer_store_dword v63, off, s[0:3], 0 offset:16
.LBB94_19:
	s_or_b32 exec_lo, exec_lo, s5
	s_waitcnt_vscnt null, 0x0
	s_barrier
	buffer_gl0_inv
	s_clause 0x1
	buffer_load_dword v63, off, s[0:3], 0 offset:24
	buffer_load_dword v64, off, s[0:3], 0 offset:28
	v_add_nc_u32_e32 v67, -1, v0
	s_mov_b32 s4, exec_lo
	s_waitcnt vmcnt(0)
	ds_write_b64 v66, v[63:64]
	s_waitcnt lgkmcnt(0)
	s_barrier
	buffer_gl0_inv
	v_cmpx_gt_u32_e32 3, v0
	s_cbranch_execz .LBB94_23
; %bb.20:
	v_mov_b32_e32 v63, 0
	v_add_nc_u32_e32 v68, -1, v0
	v_add_nc_u32_e32 v69, 0x100, v65
	v_mov_b32_e32 v64, 0
	v_mov_b32_e32 v70, v65
	s_mov_b32 s5, 0
.LBB94_21:                              ; =>This Inner Loop Header: Depth=1
	s_clause 0x1
	buffer_load_dword v71, v70, s[0:3], 0 offen
	buffer_load_dword v72, v70, s[0:3], 0 offen offset:4
	ds_read_b64 v[73:74], v69
	v_add_nc_u32_e32 v68, 1, v68
	v_add_nc_u32_e32 v69, 8, v69
	v_add_nc_u32_e32 v70, 8, v70
	v_cmp_lt_u32_e32 vcc_lo, 1, v68
	s_or_b32 s5, vcc_lo, s5
	s_waitcnt vmcnt(0) lgkmcnt(0)
	v_fma_f64 v[63:64], v[71:72], v[73:74], v[63:64]
	s_andn2_b32 exec_lo, exec_lo, s5
	s_cbranch_execnz .LBB94_21
; %bb.22:
	s_or_b32 exec_lo, exec_lo, s5
	v_mov_b32_e32 v68, 0
	ds_read_b64 v[68:69], v68 offset:24
	s_waitcnt lgkmcnt(0)
	v_mul_f64 v[63:64], v[63:64], v[68:69]
	buffer_store_dword v64, off, s[0:3], 0 offset:28
	buffer_store_dword v63, off, s[0:3], 0 offset:24
.LBB94_23:
	s_or_b32 exec_lo, exec_lo, s4
	s_waitcnt_vscnt null, 0x0
	s_barrier
	buffer_gl0_inv
	s_clause 0x1
	buffer_load_dword v63, off, s[0:3], 0 offset:32
	buffer_load_dword v64, off, s[0:3], 0 offset:36
	s_mov_b32 s4, exec_lo
	s_waitcnt vmcnt(0)
	ds_write_b64 v66, v[63:64]
	s_waitcnt lgkmcnt(0)
	s_barrier
	buffer_gl0_inv
	v_cmpx_gt_u32_e32 4, v0
	s_cbranch_execz .LBB94_27
; %bb.24:
	v_mov_b32_e32 v63, 0
	v_add_nc_u32_e32 v68, -1, v0
	v_add_nc_u32_e32 v69, 0x100, v65
	v_mov_b32_e32 v64, 0
	v_mov_b32_e32 v70, v65
	s_mov_b32 s5, 0
.LBB94_25:                              ; =>This Inner Loop Header: Depth=1
	s_clause 0x1
	buffer_load_dword v71, v70, s[0:3], 0 offen
	buffer_load_dword v72, v70, s[0:3], 0 offen offset:4
	ds_read_b64 v[73:74], v69
	v_add_nc_u32_e32 v68, 1, v68
	v_add_nc_u32_e32 v69, 8, v69
	v_add_nc_u32_e32 v70, 8, v70
	v_cmp_lt_u32_e32 vcc_lo, 2, v68
	s_or_b32 s5, vcc_lo, s5
	s_waitcnt vmcnt(0) lgkmcnt(0)
	v_fma_f64 v[63:64], v[71:72], v[73:74], v[63:64]
	s_andn2_b32 exec_lo, exec_lo, s5
	s_cbranch_execnz .LBB94_25
; %bb.26:
	s_or_b32 exec_lo, exec_lo, s5
	v_mov_b32_e32 v68, 0
	ds_read_b64 v[68:69], v68 offset:32
	s_waitcnt lgkmcnt(0)
	v_mul_f64 v[63:64], v[63:64], v[68:69]
	buffer_store_dword v64, off, s[0:3], 0 offset:36
	buffer_store_dword v63, off, s[0:3], 0 offset:32
.LBB94_27:
	s_or_b32 exec_lo, exec_lo, s4
	s_waitcnt_vscnt null, 0x0
	s_barrier
	buffer_gl0_inv
	s_clause 0x1
	buffer_load_dword v63, off, s[0:3], 0 offset:40
	buffer_load_dword v64, off, s[0:3], 0 offset:44
	;; [unrolled: 45-line block ×20, first 2 shown]
	s_mov_b32 s4, exec_lo
	s_waitcnt vmcnt(0)
	ds_write_b64 v66, v[63:64]
	s_waitcnt lgkmcnt(0)
	s_barrier
	buffer_gl0_inv
	v_cmpx_gt_u32_e32 23, v0
	s_cbranch_execz .LBB94_103
; %bb.100:
	v_mov_b32_e32 v63, 0
	v_add_nc_u32_e32 v68, -1, v0
	v_add_nc_u32_e32 v69, 0x100, v65
	v_mov_b32_e32 v64, 0
	v_mov_b32_e32 v70, v65
	s_mov_b32 s5, 0
.LBB94_101:                             ; =>This Inner Loop Header: Depth=1
	s_clause 0x1
	buffer_load_dword v71, v70, s[0:3], 0 offen
	buffer_load_dword v72, v70, s[0:3], 0 offen offset:4
	ds_read_b64 v[73:74], v69
	v_add_nc_u32_e32 v68, 1, v68
	v_add_nc_u32_e32 v69, 8, v69
	v_add_nc_u32_e32 v70, 8, v70
	v_cmp_lt_u32_e32 vcc_lo, 21, v68
	s_or_b32 s5, vcc_lo, s5
	s_waitcnt vmcnt(0) lgkmcnt(0)
	v_fma_f64 v[63:64], v[71:72], v[73:74], v[63:64]
	s_andn2_b32 exec_lo, exec_lo, s5
	s_cbranch_execnz .LBB94_101
; %bb.102:
	s_or_b32 exec_lo, exec_lo, s5
	v_mov_b32_e32 v68, 0
	ds_read_b64 v[68:69], v68 offset:184
	s_waitcnt lgkmcnt(0)
	v_mul_f64 v[63:64], v[63:64], v[68:69]
	buffer_store_dword v64, off, s[0:3], 0 offset:188
	buffer_store_dword v63, off, s[0:3], 0 offset:184
.LBB94_103:
	s_or_b32 exec_lo, exec_lo, s4
	s_waitcnt_vscnt null, 0x0
	s_barrier
	buffer_gl0_inv
	s_clause 0x1
	buffer_load_dword v63, off, s[0:3], 0 offset:192
	buffer_load_dword v64, off, s[0:3], 0 offset:196
	s_mov_b32 s4, exec_lo
	s_waitcnt vmcnt(0)
	ds_write_b64 v66, v[63:64]
	s_waitcnt lgkmcnt(0)
	s_barrier
	buffer_gl0_inv
	v_cmpx_gt_u32_e32 24, v0
	s_cbranch_execz .LBB94_107
; %bb.104:
	v_mov_b32_e32 v63, 0
	v_add_nc_u32_e32 v68, -1, v0
	v_add_nc_u32_e32 v69, 0x100, v65
	v_mov_b32_e32 v64, 0
	v_mov_b32_e32 v70, v65
	s_mov_b32 s5, 0
.LBB94_105:                             ; =>This Inner Loop Header: Depth=1
	s_clause 0x1
	buffer_load_dword v71, v70, s[0:3], 0 offen
	buffer_load_dword v72, v70, s[0:3], 0 offen offset:4
	ds_read_b64 v[73:74], v69
	v_add_nc_u32_e32 v68, 1, v68
	v_add_nc_u32_e32 v69, 8, v69
	v_add_nc_u32_e32 v70, 8, v70
	v_cmp_lt_u32_e32 vcc_lo, 22, v68
	s_or_b32 s5, vcc_lo, s5
	s_waitcnt vmcnt(0) lgkmcnt(0)
	v_fma_f64 v[63:64], v[71:72], v[73:74], v[63:64]
	s_andn2_b32 exec_lo, exec_lo, s5
	s_cbranch_execnz .LBB94_105
; %bb.106:
	s_or_b32 exec_lo, exec_lo, s5
	v_mov_b32_e32 v68, 0
	ds_read_b64 v[68:69], v68 offset:192
	s_waitcnt lgkmcnt(0)
	v_mul_f64 v[63:64], v[63:64], v[68:69]
	buffer_store_dword v64, off, s[0:3], 0 offset:196
	buffer_store_dword v63, off, s[0:3], 0 offset:192
.LBB94_107:
	s_or_b32 exec_lo, exec_lo, s4
	s_waitcnt_vscnt null, 0x0
	s_barrier
	buffer_gl0_inv
	s_clause 0x1
	buffer_load_dword v63, off, s[0:3], 0 offset:200
	buffer_load_dword v64, off, s[0:3], 0 offset:204
	;; [unrolled: 45-line block ×7, first 2 shown]
	s_mov_b32 s4, exec_lo
	s_waitcnt vmcnt(0)
	ds_write_b64 v66, v[63:64]
	s_waitcnt lgkmcnt(0)
	s_barrier
	buffer_gl0_inv
	v_cmpx_ne_u32_e32 30, v0
	s_cbranch_execz .LBB94_131
; %bb.128:
	v_mov_b32_e32 v63, 0
	v_mov_b32_e32 v64, 0
	s_mov_b32 s5, 0
.LBB94_129:                             ; =>This Inner Loop Header: Depth=1
	s_clause 0x1
	buffer_load_dword v68, v65, s[0:3], 0 offen
	buffer_load_dword v69, v65, s[0:3], 0 offen offset:4
	ds_read_b64 v[70:71], v66
	v_add_nc_u32_e32 v67, 1, v67
	v_add_nc_u32_e32 v66, 8, v66
	;; [unrolled: 1-line block ×3, first 2 shown]
	v_cmp_lt_u32_e32 vcc_lo, 28, v67
	s_or_b32 s5, vcc_lo, s5
	s_waitcnt vmcnt(0) lgkmcnt(0)
	v_fma_f64 v[63:64], v[68:69], v[70:71], v[63:64]
	s_andn2_b32 exec_lo, exec_lo, s5
	s_cbranch_execnz .LBB94_129
; %bb.130:
	s_or_b32 exec_lo, exec_lo, s5
	v_mov_b32_e32 v65, 0
	ds_read_b64 v[65:66], v65 offset:240
	s_waitcnt lgkmcnt(0)
	v_mul_f64 v[63:64], v[63:64], v[65:66]
	buffer_store_dword v64, off, s[0:3], 0 offset:244
	buffer_store_dword v63, off, s[0:3], 0 offset:240
.LBB94_131:
	s_or_b32 exec_lo, exec_lo, s4
	s_mov_b32 s5, -1
	s_waitcnt_vscnt null, 0x0
	s_barrier
	buffer_gl0_inv
.LBB94_132:
	s_and_b32 vcc_lo, exec_lo, s5
	s_cbranch_vccz .LBB94_134
; %bb.133:
	s_lshl_b64 s[4:5], s[6:7], 2
	v_mov_b32_e32 v63, 0
	s_add_u32 s4, s10, s4
	s_addc_u32 s5, s11, s5
	global_load_dword v63, v63, s[4:5]
	s_waitcnt vmcnt(0)
	v_cmp_ne_u32_e32 vcc_lo, 0, v63
	s_cbranch_vccz .LBB94_135
.LBB94_134:
	s_endpgm
.LBB94_135:
	v_lshl_add_u32 v63, v0, 3, 0x100
	s_mov_b32 s4, exec_lo
	v_cmpx_eq_u32_e32 30, v0
	s_cbranch_execz .LBB94_137
; %bb.136:
	s_clause 0x1
	buffer_load_dword v64, off, s[0:3], 0 offset:232
	buffer_load_dword v65, off, s[0:3], 0 offset:236
	v_mov_b32_e32 v66, 0
	buffer_store_dword v66, off, s[0:3], 0 offset:232
	buffer_store_dword v66, off, s[0:3], 0 offset:236
	s_waitcnt vmcnt(0)
	ds_write_b64 v63, v[64:65]
.LBB94_137:
	s_or_b32 exec_lo, exec_lo, s4
	s_waitcnt lgkmcnt(0)
	s_waitcnt_vscnt null, 0x0
	s_barrier
	buffer_gl0_inv
	s_clause 0x3
	buffer_load_dword v65, off, s[0:3], 0 offset:240
	buffer_load_dword v66, off, s[0:3], 0 offset:244
	buffer_load_dword v67, off, s[0:3], 0 offset:232
	buffer_load_dword v68, off, s[0:3], 0 offset:236
	v_mov_b32_e32 v64, 0
	s_mov_b32 s4, exec_lo
	ds_read_b64 v[69:70], v64 offset:496
	s_waitcnt vmcnt(2) lgkmcnt(0)
	v_fma_f64 v[65:66], v[65:66], v[69:70], 0
	s_waitcnt vmcnt(0)
	v_add_f64 v[65:66], v[67:68], -v[65:66]
	buffer_store_dword v65, off, s[0:3], 0 offset:232
	buffer_store_dword v66, off, s[0:3], 0 offset:236
	v_cmpx_lt_u32_e32 28, v0
	s_cbranch_execz .LBB94_139
; %bb.138:
	s_clause 0x1
	buffer_load_dword v65, off, s[0:3], 0 offset:224
	buffer_load_dword v66, off, s[0:3], 0 offset:228
	buffer_store_dword v64, off, s[0:3], 0 offset:224
	buffer_store_dword v64, off, s[0:3], 0 offset:228
	s_waitcnt vmcnt(0)
	ds_write_b64 v63, v[65:66]
.LBB94_139:
	s_or_b32 exec_lo, exec_lo, s4
	s_waitcnt lgkmcnt(0)
	s_waitcnt_vscnt null, 0x0
	s_barrier
	buffer_gl0_inv
	s_clause 0x5
	buffer_load_dword v68, off, s[0:3], 0 offset:232
	buffer_load_dword v69, off, s[0:3], 0 offset:236
	;; [unrolled: 1-line block ×6, first 2 shown]
	ds_read2_b64 v[64:67], v64 offset0:61 offset1:62
	s_mov_b32 s4, exec_lo
	s_waitcnt vmcnt(4) lgkmcnt(0)
	v_fma_f64 v[64:65], v[68:69], v[64:65], 0
	s_waitcnt vmcnt(2)
	v_fma_f64 v[64:65], v[70:71], v[66:67], v[64:65]
	s_waitcnt vmcnt(0)
	v_add_f64 v[64:65], v[72:73], -v[64:65]
	buffer_store_dword v64, off, s[0:3], 0 offset:224
	buffer_store_dword v65, off, s[0:3], 0 offset:228
	v_cmpx_lt_u32_e32 27, v0
	s_cbranch_execz .LBB94_141
; %bb.140:
	s_clause 0x1
	buffer_load_dword v64, off, s[0:3], 0 offset:216
	buffer_load_dword v65, off, s[0:3], 0 offset:220
	v_mov_b32_e32 v66, 0
	buffer_store_dword v66, off, s[0:3], 0 offset:216
	buffer_store_dword v66, off, s[0:3], 0 offset:220
	s_waitcnt vmcnt(0)
	ds_write_b64 v63, v[64:65]
.LBB94_141:
	s_or_b32 exec_lo, exec_lo, s4
	s_waitcnt lgkmcnt(0)
	s_waitcnt_vscnt null, 0x0
	s_barrier
	buffer_gl0_inv
	s_clause 0x7
	buffer_load_dword v69, off, s[0:3], 0 offset:224
	buffer_load_dword v70, off, s[0:3], 0 offset:228
	;; [unrolled: 1-line block ×8, first 2 shown]
	v_mov_b32_e32 v64, 0
	ds_read_b128 v[65:68], v64 offset:480
	ds_read_b64 v[77:78], v64 offset:496
	s_mov_b32 s4, exec_lo
	s_waitcnt vmcnt(6) lgkmcnt(1)
	v_fma_f64 v[65:66], v[69:70], v[65:66], 0
	s_waitcnt vmcnt(4)
	v_fma_f64 v[65:66], v[71:72], v[67:68], v[65:66]
	s_waitcnt vmcnt(2) lgkmcnt(0)
	v_fma_f64 v[65:66], v[73:74], v[77:78], v[65:66]
	s_waitcnt vmcnt(0)
	v_add_f64 v[65:66], v[75:76], -v[65:66]
	buffer_store_dword v65, off, s[0:3], 0 offset:216
	buffer_store_dword v66, off, s[0:3], 0 offset:220
	v_cmpx_lt_u32_e32 26, v0
	s_cbranch_execz .LBB94_143
; %bb.142:
	s_clause 0x1
	buffer_load_dword v65, off, s[0:3], 0 offset:208
	buffer_load_dword v66, off, s[0:3], 0 offset:212
	buffer_store_dword v64, off, s[0:3], 0 offset:208
	buffer_store_dword v64, off, s[0:3], 0 offset:212
	s_waitcnt vmcnt(0)
	ds_write_b64 v63, v[65:66]
.LBB94_143:
	s_or_b32 exec_lo, exec_lo, s4
	s_waitcnt lgkmcnt(0)
	s_waitcnt_vscnt null, 0x0
	s_barrier
	buffer_gl0_inv
	s_clause 0x9
	buffer_load_dword v73, off, s[0:3], 0 offset:216
	buffer_load_dword v74, off, s[0:3], 0 offset:220
	;; [unrolled: 1-line block ×10, first 2 shown]
	ds_read2_b64 v[65:68], v64 offset0:59 offset1:60
	ds_read2_b64 v[69:72], v64 offset0:61 offset1:62
	s_mov_b32 s4, exec_lo
	s_waitcnt vmcnt(8) lgkmcnt(1)
	v_fma_f64 v[64:65], v[73:74], v[65:66], 0
	s_waitcnt vmcnt(6)
	v_fma_f64 v[64:65], v[75:76], v[67:68], v[64:65]
	s_waitcnt vmcnt(4) lgkmcnt(0)
	v_fma_f64 v[64:65], v[77:78], v[69:70], v[64:65]
	s_waitcnt vmcnt(2)
	v_fma_f64 v[64:65], v[79:80], v[71:72], v[64:65]
	s_waitcnt vmcnt(0)
	v_add_f64 v[64:65], v[81:82], -v[64:65]
	buffer_store_dword v64, off, s[0:3], 0 offset:208
	buffer_store_dword v65, off, s[0:3], 0 offset:212
	v_cmpx_lt_u32_e32 25, v0
	s_cbranch_execz .LBB94_145
; %bb.144:
	s_clause 0x1
	buffer_load_dword v64, off, s[0:3], 0 offset:200
	buffer_load_dword v65, off, s[0:3], 0 offset:204
	v_mov_b32_e32 v66, 0
	buffer_store_dword v66, off, s[0:3], 0 offset:200
	buffer_store_dword v66, off, s[0:3], 0 offset:204
	s_waitcnt vmcnt(0)
	ds_write_b64 v63, v[64:65]
.LBB94_145:
	s_or_b32 exec_lo, exec_lo, s4
	s_waitcnt lgkmcnt(0)
	s_waitcnt_vscnt null, 0x0
	s_barrier
	buffer_gl0_inv
	s_clause 0xb
	buffer_load_dword v73, off, s[0:3], 0 offset:208
	buffer_load_dword v74, off, s[0:3], 0 offset:212
	;; [unrolled: 1-line block ×12, first 2 shown]
	v_mov_b32_e32 v64, 0
	ds_read_b128 v[65:68], v64 offset:464
	ds_read_b128 v[69:72], v64 offset:480
	s_mov_b32 s4, exec_lo
	s_waitcnt vmcnt(10) lgkmcnt(1)
	v_fma_f64 v[65:66], v[73:74], v[65:66], 0
	s_waitcnt vmcnt(8)
	v_fma_f64 v[65:66], v[75:76], v[67:68], v[65:66]
	ds_read_b64 v[67:68], v64 offset:496
	s_waitcnt vmcnt(6) lgkmcnt(1)
	v_fma_f64 v[65:66], v[77:78], v[69:70], v[65:66]
	s_waitcnt vmcnt(4)
	v_fma_f64 v[65:66], v[79:80], v[71:72], v[65:66]
	s_waitcnt vmcnt(2) lgkmcnt(0)
	v_fma_f64 v[65:66], v[81:82], v[67:68], v[65:66]
	s_waitcnt vmcnt(0)
	v_add_f64 v[65:66], v[83:84], -v[65:66]
	buffer_store_dword v65, off, s[0:3], 0 offset:200
	buffer_store_dword v66, off, s[0:3], 0 offset:204
	v_cmpx_lt_u32_e32 24, v0
	s_cbranch_execz .LBB94_147
; %bb.146:
	s_clause 0x1
	buffer_load_dword v65, off, s[0:3], 0 offset:192
	buffer_load_dword v66, off, s[0:3], 0 offset:196
	buffer_store_dword v64, off, s[0:3], 0 offset:192
	buffer_store_dword v64, off, s[0:3], 0 offset:196
	s_waitcnt vmcnt(0)
	ds_write_b64 v63, v[65:66]
.LBB94_147:
	s_or_b32 exec_lo, exec_lo, s4
	s_waitcnt lgkmcnt(0)
	s_waitcnt_vscnt null, 0x0
	s_barrier
	buffer_gl0_inv
	s_clause 0xd
	buffer_load_dword v73, off, s[0:3], 0 offset:200
	buffer_load_dword v74, off, s[0:3], 0 offset:204
	;; [unrolled: 1-line block ×14, first 2 shown]
	ds_read2_b64 v[65:68], v64 offset0:57 offset1:58
	ds_read2_b64 v[69:72], v64 offset0:59 offset1:60
	s_mov_b32 s4, exec_lo
	s_waitcnt vmcnt(12) lgkmcnt(1)
	v_fma_f64 v[65:66], v[73:74], v[65:66], 0
	s_waitcnt vmcnt(10)
	v_fma_f64 v[65:66], v[75:76], v[67:68], v[65:66]
	s_waitcnt vmcnt(8) lgkmcnt(0)
	v_fma_f64 v[65:66], v[77:78], v[69:70], v[65:66]
	s_waitcnt vmcnt(6)
	v_fma_f64 v[68:69], v[79:80], v[71:72], v[65:66]
	ds_read2_b64 v[64:67], v64 offset0:61 offset1:62
	s_waitcnt vmcnt(4) lgkmcnt(0)
	v_fma_f64 v[64:65], v[81:82], v[64:65], v[68:69]
	s_waitcnt vmcnt(2)
	v_fma_f64 v[64:65], v[83:84], v[66:67], v[64:65]
	s_waitcnt vmcnt(0)
	v_add_f64 v[64:65], v[85:86], -v[64:65]
	buffer_store_dword v64, off, s[0:3], 0 offset:192
	buffer_store_dword v65, off, s[0:3], 0 offset:196
	v_cmpx_lt_u32_e32 23, v0
	s_cbranch_execz .LBB94_149
; %bb.148:
	s_clause 0x1
	buffer_load_dword v64, off, s[0:3], 0 offset:184
	buffer_load_dword v65, off, s[0:3], 0 offset:188
	v_mov_b32_e32 v66, 0
	buffer_store_dword v66, off, s[0:3], 0 offset:184
	buffer_store_dword v66, off, s[0:3], 0 offset:188
	s_waitcnt vmcnt(0)
	ds_write_b64 v63, v[64:65]
.LBB94_149:
	s_or_b32 exec_lo, exec_lo, s4
	s_waitcnt lgkmcnt(0)
	s_waitcnt_vscnt null, 0x0
	s_barrier
	buffer_gl0_inv
	s_clause 0xf
	buffer_load_dword v73, off, s[0:3], 0 offset:192
	buffer_load_dword v74, off, s[0:3], 0 offset:196
	;; [unrolled: 1-line block ×16, first 2 shown]
	v_mov_b32_e32 v64, 0
	ds_read_b128 v[65:68], v64 offset:448
	ds_read_b128 v[69:72], v64 offset:464
	s_mov_b32 s4, exec_lo
	s_waitcnt vmcnt(14) lgkmcnt(1)
	v_fma_f64 v[65:66], v[73:74], v[65:66], 0
	s_waitcnt vmcnt(12)
	v_fma_f64 v[65:66], v[75:76], v[67:68], v[65:66]
	s_waitcnt vmcnt(10) lgkmcnt(0)
	v_fma_f64 v[65:66], v[77:78], v[69:70], v[65:66]
	s_waitcnt vmcnt(8)
	v_fma_f64 v[69:70], v[79:80], v[71:72], v[65:66]
	ds_read_b128 v[65:68], v64 offset:480
	ds_read_b64 v[71:72], v64 offset:496
	s_waitcnt vmcnt(6) lgkmcnt(1)
	v_fma_f64 v[65:66], v[81:82], v[65:66], v[69:70]
	s_waitcnt vmcnt(4)
	v_fma_f64 v[65:66], v[83:84], v[67:68], v[65:66]
	s_waitcnt vmcnt(2) lgkmcnt(0)
	v_fma_f64 v[65:66], v[85:86], v[71:72], v[65:66]
	s_waitcnt vmcnt(0)
	v_add_f64 v[65:66], v[87:88], -v[65:66]
	buffer_store_dword v65, off, s[0:3], 0 offset:184
	buffer_store_dword v66, off, s[0:3], 0 offset:188
	v_cmpx_lt_u32_e32 22, v0
	s_cbranch_execz .LBB94_151
; %bb.150:
	s_clause 0x1
	buffer_load_dword v65, off, s[0:3], 0 offset:176
	buffer_load_dword v66, off, s[0:3], 0 offset:180
	buffer_store_dword v64, off, s[0:3], 0 offset:176
	buffer_store_dword v64, off, s[0:3], 0 offset:180
	s_waitcnt vmcnt(0)
	ds_write_b64 v63, v[65:66]
.LBB94_151:
	s_or_b32 exec_lo, exec_lo, s4
	s_waitcnt lgkmcnt(0)
	s_waitcnt_vscnt null, 0x0
	s_barrier
	buffer_gl0_inv
	s_clause 0x11
	buffer_load_dword v73, off, s[0:3], 0 offset:184
	buffer_load_dword v74, off, s[0:3], 0 offset:188
	;; [unrolled: 1-line block ×18, first 2 shown]
	ds_read2_b64 v[65:68], v64 offset0:55 offset1:56
	ds_read2_b64 v[69:72], v64 offset0:57 offset1:58
	s_mov_b32 s4, exec_lo
	s_waitcnt vmcnt(16) lgkmcnt(1)
	v_fma_f64 v[65:66], v[73:74], v[65:66], 0
	s_waitcnt vmcnt(14)
	v_fma_f64 v[65:66], v[75:76], v[67:68], v[65:66]
	s_waitcnt vmcnt(12) lgkmcnt(0)
	v_fma_f64 v[65:66], v[77:78], v[69:70], v[65:66]
	s_waitcnt vmcnt(10)
	v_fma_f64 v[73:74], v[79:80], v[71:72], v[65:66]
	ds_read2_b64 v[65:68], v64 offset0:59 offset1:60
	ds_read2_b64 v[69:72], v64 offset0:61 offset1:62
	s_waitcnt vmcnt(8) lgkmcnt(1)
	v_fma_f64 v[64:65], v[81:82], v[65:66], v[73:74]
	s_waitcnt vmcnt(6)
	v_fma_f64 v[64:65], v[83:84], v[67:68], v[64:65]
	s_waitcnt vmcnt(4) lgkmcnt(0)
	v_fma_f64 v[64:65], v[85:86], v[69:70], v[64:65]
	s_waitcnt vmcnt(2)
	v_fma_f64 v[64:65], v[87:88], v[71:72], v[64:65]
	s_waitcnt vmcnt(0)
	v_add_f64 v[64:65], v[89:90], -v[64:65]
	buffer_store_dword v64, off, s[0:3], 0 offset:176
	buffer_store_dword v65, off, s[0:3], 0 offset:180
	v_cmpx_lt_u32_e32 21, v0
	s_cbranch_execz .LBB94_153
; %bb.152:
	s_clause 0x1
	buffer_load_dword v64, off, s[0:3], 0 offset:168
	buffer_load_dword v65, off, s[0:3], 0 offset:172
	v_mov_b32_e32 v66, 0
	buffer_store_dword v66, off, s[0:3], 0 offset:168
	buffer_store_dword v66, off, s[0:3], 0 offset:172
	s_waitcnt vmcnt(0)
	ds_write_b64 v63, v[64:65]
.LBB94_153:
	s_or_b32 exec_lo, exec_lo, s4
	s_waitcnt lgkmcnt(0)
	s_waitcnt_vscnt null, 0x0
	s_barrier
	buffer_gl0_inv
	s_clause 0x13
	buffer_load_dword v73, off, s[0:3], 0 offset:176
	buffer_load_dword v74, off, s[0:3], 0 offset:180
	;; [unrolled: 1-line block ×20, first 2 shown]
	v_mov_b32_e32 v64, 0
	ds_read_b128 v[65:68], v64 offset:432
	ds_read_b128 v[69:72], v64 offset:448
	s_mov_b32 s4, exec_lo
	s_waitcnt vmcnt(18) lgkmcnt(1)
	v_fma_f64 v[65:66], v[73:74], v[65:66], 0
	s_waitcnt vmcnt(16)
	v_fma_f64 v[65:66], v[75:76], v[67:68], v[65:66]
	s_waitcnt vmcnt(14) lgkmcnt(0)
	v_fma_f64 v[65:66], v[77:78], v[69:70], v[65:66]
	s_waitcnt vmcnt(12)
	v_fma_f64 v[73:74], v[79:80], v[71:72], v[65:66]
	ds_read_b128 v[65:68], v64 offset:464
	ds_read_b128 v[69:72], v64 offset:480
	s_waitcnt vmcnt(10) lgkmcnt(1)
	v_fma_f64 v[65:66], v[81:82], v[65:66], v[73:74]
	s_waitcnt vmcnt(8)
	v_fma_f64 v[65:66], v[83:84], v[67:68], v[65:66]
	ds_read_b64 v[67:68], v64 offset:496
	s_waitcnt vmcnt(6) lgkmcnt(1)
	v_fma_f64 v[65:66], v[85:86], v[69:70], v[65:66]
	s_waitcnt vmcnt(3)
	v_fma_f64 v[65:66], v[87:88], v[71:72], v[65:66]
	s_waitcnt vmcnt(2) lgkmcnt(0)
	v_fma_f64 v[65:66], v[89:90], v[67:68], v[65:66]
	s_waitcnt vmcnt(0)
	v_add_f64 v[65:66], v[91:92], -v[65:66]
	buffer_store_dword v65, off, s[0:3], 0 offset:168
	buffer_store_dword v66, off, s[0:3], 0 offset:172
	v_cmpx_lt_u32_e32 20, v0
	s_cbranch_execz .LBB94_155
; %bb.154:
	s_clause 0x1
	buffer_load_dword v65, off, s[0:3], 0 offset:160
	buffer_load_dword v66, off, s[0:3], 0 offset:164
	buffer_store_dword v64, off, s[0:3], 0 offset:160
	buffer_store_dword v64, off, s[0:3], 0 offset:164
	s_waitcnt vmcnt(0)
	ds_write_b64 v63, v[65:66]
.LBB94_155:
	s_or_b32 exec_lo, exec_lo, s4
	s_waitcnt lgkmcnt(0)
	s_waitcnt_vscnt null, 0x0
	s_barrier
	buffer_gl0_inv
	s_clause 0x15
	buffer_load_dword v69, off, s[0:3], 0 offset:168
	buffer_load_dword v70, off, s[0:3], 0 offset:172
	buffer_load_dword v71, off, s[0:3], 0 offset:176
	buffer_load_dword v72, off, s[0:3], 0 offset:180
	buffer_load_dword v73, off, s[0:3], 0 offset:184
	buffer_load_dword v74, off, s[0:3], 0 offset:188
	buffer_load_dword v75, off, s[0:3], 0 offset:192
	buffer_load_dword v76, off, s[0:3], 0 offset:196
	buffer_load_dword v77, off, s[0:3], 0 offset:200
	buffer_load_dword v78, off, s[0:3], 0 offset:204
	buffer_load_dword v79, off, s[0:3], 0 offset:208
	buffer_load_dword v80, off, s[0:3], 0 offset:212
	buffer_load_dword v81, off, s[0:3], 0 offset:216
	buffer_load_dword v82, off, s[0:3], 0 offset:220
	buffer_load_dword v84, off, s[0:3], 0 offset:228
	buffer_load_dword v83, off, s[0:3], 0 offset:224
	buffer_load_dword v85, off, s[0:3], 0 offset:232
	buffer_load_dword v86, off, s[0:3], 0 offset:236
	buffer_load_dword v87, off, s[0:3], 0 offset:240
	buffer_load_dword v88, off, s[0:3], 0 offset:244
	buffer_load_dword v89, off, s[0:3], 0 offset:160
	buffer_load_dword v90, off, s[0:3], 0 offset:164
	ds_read2_b64 v[65:68], v64 offset0:53 offset1:54
	s_mov_b32 s4, exec_lo
	s_waitcnt vmcnt(20) lgkmcnt(0)
	v_fma_f64 v[65:66], v[69:70], v[65:66], 0
	s_waitcnt vmcnt(18)
	v_fma_f64 v[69:70], v[71:72], v[67:68], v[65:66]
	ds_read2_b64 v[65:68], v64 offset0:55 offset1:56
	s_waitcnt vmcnt(16) lgkmcnt(0)
	v_fma_f64 v[65:66], v[73:74], v[65:66], v[69:70]
	s_waitcnt vmcnt(14)
	v_fma_f64 v[69:70], v[75:76], v[67:68], v[65:66]
	ds_read2_b64 v[65:68], v64 offset0:57 offset1:58
	;; [unrolled: 5-line block ×4, first 2 shown]
	s_waitcnt vmcnt(4) lgkmcnt(0)
	v_fma_f64 v[64:65], v[85:86], v[64:65], v[68:69]
	s_waitcnt vmcnt(2)
	v_fma_f64 v[64:65], v[87:88], v[66:67], v[64:65]
	s_waitcnt vmcnt(0)
	v_add_f64 v[64:65], v[89:90], -v[64:65]
	buffer_store_dword v64, off, s[0:3], 0 offset:160
	buffer_store_dword v65, off, s[0:3], 0 offset:164
	v_cmpx_lt_u32_e32 19, v0
	s_cbranch_execz .LBB94_157
; %bb.156:
	s_clause 0x1
	buffer_load_dword v64, off, s[0:3], 0 offset:152
	buffer_load_dword v65, off, s[0:3], 0 offset:156
	v_mov_b32_e32 v66, 0
	buffer_store_dword v66, off, s[0:3], 0 offset:152
	buffer_store_dword v66, off, s[0:3], 0 offset:156
	s_waitcnt vmcnt(0)
	ds_write_b64 v63, v[64:65]
.LBB94_157:
	s_or_b32 exec_lo, exec_lo, s4
	s_waitcnt lgkmcnt(0)
	s_waitcnt_vscnt null, 0x0
	s_barrier
	buffer_gl0_inv
	s_clause 0x17
	buffer_load_dword v69, off, s[0:3], 0 offset:160
	buffer_load_dword v70, off, s[0:3], 0 offset:164
	;; [unrolled: 1-line block ×24, first 2 shown]
	v_mov_b32_e32 v64, 0
	s_mov_b32 s4, exec_lo
	ds_read_b128 v[65:68], v64 offset:416
	s_waitcnt vmcnt(22) lgkmcnt(0)
	v_fma_f64 v[65:66], v[69:70], v[65:66], 0
	s_waitcnt vmcnt(20)
	v_fma_f64 v[69:70], v[71:72], v[67:68], v[65:66]
	ds_read_b128 v[65:68], v64 offset:432
	s_waitcnt vmcnt(18) lgkmcnt(0)
	v_fma_f64 v[65:66], v[73:74], v[65:66], v[69:70]
	s_waitcnt vmcnt(16)
	v_fma_f64 v[69:70], v[75:76], v[67:68], v[65:66]
	;; [unrolled: 5-line block ×5, first 2 shown]
	ds_read_b64 v[67:68], v64 offset:496
	s_waitcnt vmcnt(2) lgkmcnt(0)
	v_fma_f64 v[65:66], v[89:90], v[67:68], v[65:66]
	s_waitcnt vmcnt(0)
	v_add_f64 v[65:66], v[91:92], -v[65:66]
	buffer_store_dword v66, off, s[0:3], 0 offset:156
	buffer_store_dword v65, off, s[0:3], 0 offset:152
	v_cmpx_lt_u32_e32 18, v0
	s_cbranch_execz .LBB94_159
; %bb.158:
	s_clause 0x1
	buffer_load_dword v65, off, s[0:3], 0 offset:144
	buffer_load_dword v66, off, s[0:3], 0 offset:148
	buffer_store_dword v64, off, s[0:3], 0 offset:144
	buffer_store_dword v64, off, s[0:3], 0 offset:148
	s_waitcnt vmcnt(0)
	ds_write_b64 v63, v[65:66]
.LBB94_159:
	s_or_b32 exec_lo, exec_lo, s4
	s_waitcnt lgkmcnt(0)
	s_waitcnt_vscnt null, 0x0
	s_barrier
	buffer_gl0_inv
	s_clause 0x19
	buffer_load_dword v69, off, s[0:3], 0 offset:152
	buffer_load_dword v70, off, s[0:3], 0 offset:156
	;; [unrolled: 1-line block ×26, first 2 shown]
	ds_read2_b64 v[65:68], v64 offset0:51 offset1:52
	s_mov_b32 s4, exec_lo
	s_waitcnt vmcnt(24) lgkmcnt(0)
	v_fma_f64 v[65:66], v[69:70], v[65:66], 0
	s_waitcnt vmcnt(22)
	v_fma_f64 v[69:70], v[71:72], v[67:68], v[65:66]
	ds_read2_b64 v[65:68], v64 offset0:53 offset1:54
	s_waitcnt vmcnt(20) lgkmcnt(0)
	v_fma_f64 v[65:66], v[73:74], v[65:66], v[69:70]
	s_waitcnt vmcnt(18)
	v_fma_f64 v[69:70], v[75:76], v[67:68], v[65:66]
	ds_read2_b64 v[65:68], v64 offset0:55 offset1:56
	;; [unrolled: 5-line block ×5, first 2 shown]
	s_waitcnt vmcnt(4) lgkmcnt(0)
	v_fma_f64 v[64:65], v[89:90], v[64:65], v[68:69]
	s_waitcnt vmcnt(2)
	v_fma_f64 v[64:65], v[91:92], v[66:67], v[64:65]
	s_waitcnt vmcnt(0)
	v_add_f64 v[64:65], v[93:94], -v[64:65]
	buffer_store_dword v65, off, s[0:3], 0 offset:148
	buffer_store_dword v64, off, s[0:3], 0 offset:144
	v_cmpx_lt_u32_e32 17, v0
	s_cbranch_execz .LBB94_161
; %bb.160:
	s_clause 0x1
	buffer_load_dword v64, off, s[0:3], 0 offset:136
	buffer_load_dword v65, off, s[0:3], 0 offset:140
	v_mov_b32_e32 v66, 0
	buffer_store_dword v66, off, s[0:3], 0 offset:136
	buffer_store_dword v66, off, s[0:3], 0 offset:140
	s_waitcnt vmcnt(0)
	ds_write_b64 v63, v[64:65]
.LBB94_161:
	s_or_b32 exec_lo, exec_lo, s4
	s_waitcnt lgkmcnt(0)
	s_waitcnt_vscnt null, 0x0
	s_barrier
	buffer_gl0_inv
	s_clause 0x1b
	buffer_load_dword v73, off, s[0:3], 0 offset:144
	buffer_load_dword v74, off, s[0:3], 0 offset:148
	;; [unrolled: 1-line block ×28, first 2 shown]
	v_mov_b32_e32 v64, 0
	ds_read_b128 v[65:68], v64 offset:400
	ds_read_b128 v[69:72], v64 offset:416
	s_mov_b32 s4, exec_lo
	s_waitcnt vmcnt(26) lgkmcnt(1)
	v_fma_f64 v[65:66], v[73:74], v[65:66], 0
	s_waitcnt vmcnt(24)
	v_fma_f64 v[65:66], v[75:76], v[67:68], v[65:66]
	s_waitcnt vmcnt(22) lgkmcnt(0)
	v_fma_f64 v[65:66], v[77:78], v[69:70], v[65:66]
	s_waitcnt vmcnt(20)
	v_fma_f64 v[73:74], v[79:80], v[71:72], v[65:66]
	ds_read_b128 v[65:68], v64 offset:432
	ds_read_b128 v[69:72], v64 offset:448
	s_waitcnt vmcnt(18) lgkmcnt(1)
	v_fma_f64 v[65:66], v[81:82], v[65:66], v[73:74]
	s_waitcnt vmcnt(16)
	v_fma_f64 v[65:66], v[83:84], v[67:68], v[65:66]
	s_waitcnt vmcnt(14) lgkmcnt(0)
	v_fma_f64 v[65:66], v[85:86], v[69:70], v[65:66]
	s_waitcnt vmcnt(9)
	v_fma_f64 v[73:74], v[87:88], v[71:72], v[65:66]
	ds_read_b128 v[65:68], v64 offset:464
	ds_read_b128 v[69:72], v64 offset:480
	s_waitcnt vmcnt(8) lgkmcnt(1)
	v_fma_f64 v[65:66], v[93:94], v[65:66], v[73:74]
	s_waitcnt vmcnt(7)
	v_fma_f64 v[65:66], v[91:92], v[67:68], v[65:66]
	ds_read_b64 v[67:68], v64 offset:496
	s_waitcnt vmcnt(6) lgkmcnt(1)
	v_fma_f64 v[65:66], v[89:90], v[69:70], v[65:66]
	s_waitcnt vmcnt(3)
	v_fma_f64 v[65:66], v[95:96], v[71:72], v[65:66]
	s_waitcnt vmcnt(2) lgkmcnt(0)
	v_fma_f64 v[65:66], v[97:98], v[67:68], v[65:66]
	s_waitcnt vmcnt(0)
	v_add_f64 v[65:66], v[99:100], -v[65:66]
	buffer_store_dword v66, off, s[0:3], 0 offset:140
	buffer_store_dword v65, off, s[0:3], 0 offset:136
	v_cmpx_lt_u32_e32 16, v0
	s_cbranch_execz .LBB94_163
; %bb.162:
	s_clause 0x1
	buffer_load_dword v65, off, s[0:3], 0 offset:128
	buffer_load_dword v66, off, s[0:3], 0 offset:132
	buffer_store_dword v64, off, s[0:3], 0 offset:128
	buffer_store_dword v64, off, s[0:3], 0 offset:132
	s_waitcnt vmcnt(0)
	ds_write_b64 v63, v[65:66]
.LBB94_163:
	s_or_b32 exec_lo, exec_lo, s4
	s_waitcnt lgkmcnt(0)
	s_waitcnt_vscnt null, 0x0
	s_barrier
	buffer_gl0_inv
	s_clause 0x1b
	buffer_load_dword v73, off, s[0:3], 0 offset:136
	buffer_load_dword v74, off, s[0:3], 0 offset:140
	;; [unrolled: 1-line block ×28, first 2 shown]
	ds_read2_b64 v[65:68], v64 offset0:49 offset1:50
	s_clause 0x1
	buffer_load_dword v101, off, s[0:3], 0 offset:128
	buffer_load_dword v102, off, s[0:3], 0 offset:132
	ds_read2_b64 v[69:72], v64 offset0:51 offset1:52
	s_mov_b32 s4, exec_lo
	s_waitcnt vmcnt(28) lgkmcnt(1)
	v_fma_f64 v[65:66], v[73:74], v[65:66], 0
	s_waitcnt vmcnt(26)
	v_fma_f64 v[65:66], v[75:76], v[67:68], v[65:66]
	s_waitcnt vmcnt(24) lgkmcnt(0)
	v_fma_f64 v[65:66], v[77:78], v[69:70], v[65:66]
	s_waitcnt vmcnt(22)
	v_fma_f64 v[73:74], v[79:80], v[71:72], v[65:66]
	ds_read2_b64 v[65:68], v64 offset0:53 offset1:54
	ds_read2_b64 v[69:72], v64 offset0:55 offset1:56
	s_waitcnt vmcnt(20) lgkmcnt(1)
	v_fma_f64 v[65:66], v[81:82], v[65:66], v[73:74]
	s_waitcnt vmcnt(18)
	v_fma_f64 v[65:66], v[83:84], v[67:68], v[65:66]
	s_waitcnt vmcnt(16) lgkmcnt(0)
	v_fma_f64 v[65:66], v[85:86], v[69:70], v[65:66]
	s_waitcnt vmcnt(11)
	v_fma_f64 v[73:74], v[87:88], v[71:72], v[65:66]
	ds_read2_b64 v[65:68], v64 offset0:57 offset1:58
	ds_read2_b64 v[69:72], v64 offset0:59 offset1:60
	s_waitcnt vmcnt(10) lgkmcnt(1)
	v_fma_f64 v[65:66], v[93:94], v[65:66], v[73:74]
	s_waitcnt vmcnt(9)
	v_fma_f64 v[65:66], v[91:92], v[67:68], v[65:66]
	s_waitcnt vmcnt(8) lgkmcnt(0)
	v_fma_f64 v[65:66], v[89:90], v[69:70], v[65:66]
	s_waitcnt vmcnt(4)
	v_fma_f64 v[68:69], v[95:96], v[71:72], v[65:66]
	ds_read2_b64 v[64:67], v64 offset0:61 offset1:62
	s_waitcnt vmcnt(3) lgkmcnt(0)
	v_fma_f64 v[64:65], v[99:100], v[64:65], v[68:69]
	s_waitcnt vmcnt(2)
	v_fma_f64 v[64:65], v[97:98], v[66:67], v[64:65]
	s_waitcnt vmcnt(0)
	v_add_f64 v[64:65], v[101:102], -v[64:65]
	buffer_store_dword v65, off, s[0:3], 0 offset:132
	buffer_store_dword v64, off, s[0:3], 0 offset:128
	v_cmpx_lt_u32_e32 15, v0
	s_cbranch_execz .LBB94_165
; %bb.164:
	s_clause 0x1
	buffer_load_dword v64, off, s[0:3], 0 offset:120
	buffer_load_dword v65, off, s[0:3], 0 offset:124
	v_mov_b32_e32 v66, 0
	buffer_store_dword v66, off, s[0:3], 0 offset:120
	buffer_store_dword v66, off, s[0:3], 0 offset:124
	s_waitcnt vmcnt(0)
	ds_write_b64 v63, v[64:65]
.LBB94_165:
	s_or_b32 exec_lo, exec_lo, s4
	s_waitcnt lgkmcnt(0)
	s_waitcnt_vscnt null, 0x0
	s_barrier
	buffer_gl0_inv
	s_clause 0x1c
	buffer_load_dword v73, off, s[0:3], 0 offset:128
	buffer_load_dword v74, off, s[0:3], 0 offset:132
	;; [unrolled: 1-line block ×29, first 2 shown]
	v_mov_b32_e32 v64, 0
	buffer_load_dword v98, off, s[0:3], 0 offset:244
	s_mov_b32 s4, exec_lo
	ds_read_b128 v[65:68], v64 offset:384
	ds_read_b128 v[69:72], v64 offset:400
	s_waitcnt vmcnt(28) lgkmcnt(1)
	v_fma_f64 v[65:66], v[73:74], v[65:66], 0
	s_clause 0x1
	buffer_load_dword v73, off, s[0:3], 0 offset:120
	buffer_load_dword v74, off, s[0:3], 0 offset:124
	s_waitcnt vmcnt(28)
	v_fma_f64 v[65:66], v[75:76], v[67:68], v[65:66]
	s_waitcnt vmcnt(26) lgkmcnt(0)
	v_fma_f64 v[65:66], v[77:78], v[69:70], v[65:66]
	s_waitcnt vmcnt(24)
	v_fma_f64 v[75:76], v[79:80], v[71:72], v[65:66]
	ds_read_b128 v[65:68], v64 offset:416
	ds_read_b128 v[69:72], v64 offset:432
	s_waitcnt vmcnt(22) lgkmcnt(1)
	v_fma_f64 v[65:66], v[81:82], v[65:66], v[75:76]
	s_waitcnt vmcnt(20)
	v_fma_f64 v[65:66], v[83:84], v[67:68], v[65:66]
	s_waitcnt vmcnt(18) lgkmcnt(0)
	v_fma_f64 v[65:66], v[85:86], v[69:70], v[65:66]
	s_waitcnt vmcnt(13)
	v_fma_f64 v[75:76], v[87:88], v[71:72], v[65:66]
	ds_read_b128 v[65:68], v64 offset:448
	ds_read_b128 v[69:72], v64 offset:464
	s_waitcnt vmcnt(12) lgkmcnt(1)
	v_fma_f64 v[65:66], v[93:94], v[65:66], v[75:76]
	s_waitcnt vmcnt(11)
	v_fma_f64 v[65:66], v[91:92], v[67:68], v[65:66]
	s_waitcnt vmcnt(10) lgkmcnt(0)
	v_fma_f64 v[65:66], v[89:90], v[69:70], v[65:66]
	s_waitcnt vmcnt(5)
	v_fma_f64 v[69:70], v[95:96], v[71:72], v[65:66]
	ds_read_b128 v[65:68], v64 offset:480
	ds_read_b64 v[71:72], v64 offset:496
	s_waitcnt vmcnt(4) lgkmcnt(1)
	v_fma_f64 v[65:66], v[101:102], v[65:66], v[69:70]
	s_waitcnt vmcnt(3)
	v_fma_f64 v[65:66], v[99:100], v[67:68], v[65:66]
	s_waitcnt vmcnt(2) lgkmcnt(0)
	v_fma_f64 v[65:66], v[97:98], v[71:72], v[65:66]
	s_waitcnt vmcnt(0)
	v_add_f64 v[65:66], v[73:74], -v[65:66]
	buffer_store_dword v66, off, s[0:3], 0 offset:124
	buffer_store_dword v65, off, s[0:3], 0 offset:120
	v_cmpx_lt_u32_e32 14, v0
	s_cbranch_execz .LBB94_167
; %bb.166:
	s_clause 0x1
	buffer_load_dword v65, off, s[0:3], 0 offset:112
	buffer_load_dword v66, off, s[0:3], 0 offset:116
	buffer_store_dword v64, off, s[0:3], 0 offset:112
	buffer_store_dword v64, off, s[0:3], 0 offset:116
	s_waitcnt vmcnt(0)
	ds_write_b64 v63, v[65:66]
.LBB94_167:
	s_or_b32 exec_lo, exec_lo, s4
	s_waitcnt lgkmcnt(0)
	s_waitcnt_vscnt null, 0x0
	s_barrier
	buffer_gl0_inv
	s_clause 0x1c
	buffer_load_dword v73, off, s[0:3], 0 offset:120
	buffer_load_dword v74, off, s[0:3], 0 offset:124
	;; [unrolled: 1-line block ×29, first 2 shown]
	ds_read2_b64 v[65:68], v64 offset0:47 offset1:48
	ds_read2_b64 v[69:72], v64 offset0:49 offset1:50
	buffer_load_dword v98, off, s[0:3], 0 offset:236
	s_mov_b32 s4, exec_lo
	s_waitcnt vmcnt(28) lgkmcnt(1)
	v_fma_f64 v[65:66], v[73:74], v[65:66], 0
	s_clause 0x1
	buffer_load_dword v74, off, s[0:3], 0 offset:244
	buffer_load_dword v73, off, s[0:3], 0 offset:240
	s_waitcnt vmcnt(28)
	v_fma_f64 v[65:66], v[75:76], v[67:68], v[65:66]
	s_clause 0x1
	buffer_load_dword v75, off, s[0:3], 0 offset:112
	buffer_load_dword v76, off, s[0:3], 0 offset:116
	s_waitcnt vmcnt(28) lgkmcnt(0)
	v_fma_f64 v[65:66], v[77:78], v[69:70], v[65:66]
	s_waitcnt vmcnt(26)
	v_fma_f64 v[77:78], v[79:80], v[71:72], v[65:66]
	ds_read2_b64 v[65:68], v64 offset0:51 offset1:52
	ds_read2_b64 v[69:72], v64 offset0:53 offset1:54
	s_waitcnt vmcnt(24) lgkmcnt(1)
	v_fma_f64 v[65:66], v[81:82], v[65:66], v[77:78]
	s_waitcnt vmcnt(22)
	v_fma_f64 v[65:66], v[83:84], v[67:68], v[65:66]
	s_waitcnt vmcnt(20) lgkmcnt(0)
	v_fma_f64 v[65:66], v[85:86], v[69:70], v[65:66]
	s_waitcnt vmcnt(15)
	v_fma_f64 v[77:78], v[87:88], v[71:72], v[65:66]
	ds_read2_b64 v[65:68], v64 offset0:55 offset1:56
	ds_read2_b64 v[69:72], v64 offset0:57 offset1:58
	s_waitcnt vmcnt(14) lgkmcnt(1)
	v_fma_f64 v[65:66], v[93:94], v[65:66], v[77:78]
	s_waitcnt vmcnt(13)
	v_fma_f64 v[65:66], v[91:92], v[67:68], v[65:66]
	;; [unrolled: 10-line block ×3, first 2 shown]
	s_waitcnt vmcnt(4) lgkmcnt(0)
	v_fma_f64 v[64:65], v[97:98], v[69:70], v[64:65]
	s_waitcnt vmcnt(2)
	v_fma_f64 v[64:65], v[73:74], v[71:72], v[64:65]
	s_waitcnt vmcnt(0)
	v_add_f64 v[64:65], v[75:76], -v[64:65]
	buffer_store_dword v65, off, s[0:3], 0 offset:116
	buffer_store_dword v64, off, s[0:3], 0 offset:112
	v_cmpx_lt_u32_e32 13, v0
	s_cbranch_execz .LBB94_169
; %bb.168:
	s_clause 0x1
	buffer_load_dword v64, off, s[0:3], 0 offset:104
	buffer_load_dword v65, off, s[0:3], 0 offset:108
	v_mov_b32_e32 v66, 0
	buffer_store_dword v66, off, s[0:3], 0 offset:104
	buffer_store_dword v66, off, s[0:3], 0 offset:108
	s_waitcnt vmcnt(0)
	ds_write_b64 v63, v[64:65]
.LBB94_169:
	s_or_b32 exec_lo, exec_lo, s4
	s_waitcnt lgkmcnt(0)
	s_waitcnt_vscnt null, 0x0
	s_barrier
	buffer_gl0_inv
	s_clause 0x1c
	buffer_load_dword v73, off, s[0:3], 0 offset:112
	buffer_load_dword v74, off, s[0:3], 0 offset:116
	;; [unrolled: 1-line block ×29, first 2 shown]
	v_mov_b32_e32 v64, 0
	buffer_load_dword v98, off, s[0:3], 0 offset:228
	s_mov_b32 s4, exec_lo
	ds_read_b128 v[65:68], v64 offset:368
	ds_read_b128 v[69:72], v64 offset:384
	s_waitcnt vmcnt(28) lgkmcnt(1)
	v_fma_f64 v[65:66], v[73:74], v[65:66], 0
	s_clause 0x3
	buffer_load_dword v74, off, s[0:3], 0 offset:236
	buffer_load_dword v103, off, s[0:3], 0 offset:240
	;; [unrolled: 1-line block ×4, first 2 shown]
	s_waitcnt vmcnt(30)
	v_fma_f64 v[65:66], v[75:76], v[67:68], v[65:66]
	s_clause 0x1
	buffer_load_dword v75, off, s[0:3], 0 offset:104
	buffer_load_dword v76, off, s[0:3], 0 offset:108
	s_waitcnt vmcnt(30) lgkmcnt(0)
	v_fma_f64 v[65:66], v[77:78], v[69:70], v[65:66]
	s_waitcnt vmcnt(28)
	v_fma_f64 v[77:78], v[79:80], v[71:72], v[65:66]
	ds_read_b128 v[65:68], v64 offset:400
	ds_read_b128 v[69:72], v64 offset:416
	s_waitcnt vmcnt(26) lgkmcnt(1)
	v_fma_f64 v[65:66], v[81:82], v[65:66], v[77:78]
	s_waitcnt vmcnt(24)
	v_fma_f64 v[65:66], v[83:84], v[67:68], v[65:66]
	s_waitcnt vmcnt(22) lgkmcnt(0)
	v_fma_f64 v[65:66], v[85:86], v[69:70], v[65:66]
	s_waitcnt vmcnt(17)
	v_fma_f64 v[77:78], v[87:88], v[71:72], v[65:66]
	ds_read_b128 v[65:68], v64 offset:432
	ds_read_b128 v[69:72], v64 offset:448
	s_waitcnt vmcnt(16) lgkmcnt(1)
	v_fma_f64 v[65:66], v[93:94], v[65:66], v[77:78]
	s_waitcnt vmcnt(15)
	v_fma_f64 v[65:66], v[91:92], v[67:68], v[65:66]
	;; [unrolled: 10-line block ×3, first 2 shown]
	ds_read_b64 v[67:68], v64 offset:496
	s_waitcnt vmcnt(6) lgkmcnt(1)
	v_fma_f64 v[65:66], v[97:98], v[69:70], v[65:66]
	s_waitcnt vmcnt(3)
	v_fma_f64 v[65:66], v[73:74], v[71:72], v[65:66]
	s_waitcnt vmcnt(2) lgkmcnt(0)
	v_fma_f64 v[65:66], v[103:104], v[67:68], v[65:66]
	s_waitcnt vmcnt(0)
	v_add_f64 v[65:66], v[75:76], -v[65:66]
	buffer_store_dword v66, off, s[0:3], 0 offset:108
	buffer_store_dword v65, off, s[0:3], 0 offset:104
	v_cmpx_lt_u32_e32 12, v0
	s_cbranch_execz .LBB94_171
; %bb.170:
	s_clause 0x1
	buffer_load_dword v65, off, s[0:3], 0 offset:96
	buffer_load_dword v66, off, s[0:3], 0 offset:100
	buffer_store_dword v64, off, s[0:3], 0 offset:96
	buffer_store_dword v64, off, s[0:3], 0 offset:100
	s_waitcnt vmcnt(0)
	ds_write_b64 v63, v[65:66]
.LBB94_171:
	s_or_b32 exec_lo, exec_lo, s4
	s_waitcnt lgkmcnt(0)
	s_waitcnt_vscnt null, 0x0
	s_barrier
	buffer_gl0_inv
	s_clause 0x1c
	buffer_load_dword v73, off, s[0:3], 0 offset:104
	buffer_load_dword v74, off, s[0:3], 0 offset:108
	;; [unrolled: 1-line block ×29, first 2 shown]
	ds_read2_b64 v[65:68], v64 offset0:45 offset1:46
	ds_read2_b64 v[69:72], v64 offset0:47 offset1:48
	buffer_load_dword v98, off, s[0:3], 0 offset:220
	s_mov_b32 s4, exec_lo
	s_waitcnt vmcnt(28) lgkmcnt(1)
	v_fma_f64 v[65:66], v[73:74], v[65:66], 0
	s_clause 0x5
	buffer_load_dword v74, off, s[0:3], 0 offset:228
	buffer_load_dword v103, off, s[0:3], 0 offset:240
	;; [unrolled: 1-line block ×6, first 2 shown]
	s_waitcnt vmcnt(32)
	v_fma_f64 v[65:66], v[75:76], v[67:68], v[65:66]
	s_waitcnt vmcnt(30) lgkmcnt(0)
	v_fma_f64 v[65:66], v[77:78], v[69:70], v[65:66]
	s_waitcnt vmcnt(28)
	v_fma_f64 v[75:76], v[79:80], v[71:72], v[65:66]
	ds_read2_b64 v[65:68], v64 offset0:49 offset1:50
	s_clause 0x1
	buffer_load_dword v77, off, s[0:3], 0 offset:96
	buffer_load_dword v78, off, s[0:3], 0 offset:100
	ds_read2_b64 v[69:72], v64 offset0:51 offset1:52
	s_waitcnt vmcnt(28) lgkmcnt(1)
	v_fma_f64 v[65:66], v[81:82], v[65:66], v[75:76]
	s_waitcnt vmcnt(26)
	v_fma_f64 v[65:66], v[83:84], v[67:68], v[65:66]
	s_waitcnt vmcnt(24) lgkmcnt(0)
	v_fma_f64 v[65:66], v[85:86], v[69:70], v[65:66]
	s_waitcnt vmcnt(19)
	v_fma_f64 v[75:76], v[87:88], v[71:72], v[65:66]
	ds_read2_b64 v[65:68], v64 offset0:53 offset1:54
	ds_read2_b64 v[69:72], v64 offset0:55 offset1:56
	s_waitcnt vmcnt(18) lgkmcnt(1)
	v_fma_f64 v[65:66], v[93:94], v[65:66], v[75:76]
	s_waitcnt vmcnt(17)
	v_fma_f64 v[65:66], v[91:92], v[67:68], v[65:66]
	s_waitcnt vmcnt(16) lgkmcnt(0)
	v_fma_f64 v[65:66], v[89:90], v[69:70], v[65:66]
	s_waitcnt vmcnt(11)
	v_fma_f64 v[75:76], v[95:96], v[71:72], v[65:66]
	ds_read2_b64 v[65:68], v64 offset0:57 offset1:58
	;; [unrolled: 10-line block ×3, first 2 shown]
	s_waitcnt vmcnt(3) lgkmcnt(0)
	v_fma_f64 v[64:65], v[105:106], v[64:65], v[68:69]
	s_waitcnt vmcnt(2)
	v_fma_f64 v[64:65], v[103:104], v[66:67], v[64:65]
	s_waitcnt vmcnt(0)
	v_add_f64 v[64:65], v[77:78], -v[64:65]
	buffer_store_dword v65, off, s[0:3], 0 offset:100
	buffer_store_dword v64, off, s[0:3], 0 offset:96
	v_cmpx_lt_u32_e32 11, v0
	s_cbranch_execz .LBB94_173
; %bb.172:
	s_clause 0x1
	buffer_load_dword v64, off, s[0:3], 0 offset:88
	buffer_load_dword v65, off, s[0:3], 0 offset:92
	v_mov_b32_e32 v66, 0
	buffer_store_dword v66, off, s[0:3], 0 offset:88
	buffer_store_dword v66, off, s[0:3], 0 offset:92
	s_waitcnt vmcnt(0)
	ds_write_b64 v63, v[64:65]
.LBB94_173:
	s_or_b32 exec_lo, exec_lo, s4
	s_waitcnt lgkmcnt(0)
	s_waitcnt_vscnt null, 0x0
	s_barrier
	buffer_gl0_inv
	s_clause 0x1c
	buffer_load_dword v73, off, s[0:3], 0 offset:96
	buffer_load_dword v74, off, s[0:3], 0 offset:100
	;; [unrolled: 1-line block ×29, first 2 shown]
	v_mov_b32_e32 v64, 0
	buffer_load_dword v98, off, s[0:3], 0 offset:212
	s_mov_b32 s4, exec_lo
	ds_read_b128 v[65:68], v64 offset:352
	ds_read_b128 v[69:72], v64 offset:368
	s_waitcnt vmcnt(28) lgkmcnt(1)
	v_fma_f64 v[65:66], v[73:74], v[65:66], 0
	s_clause 0x7
	buffer_load_dword v74, off, s[0:3], 0 offset:220
	buffer_load_dword v103, off, s[0:3], 0 offset:240
	;; [unrolled: 1-line block ×8, first 2 shown]
	s_waitcnt vmcnt(34)
	v_fma_f64 v[65:66], v[75:76], v[67:68], v[65:66]
	s_waitcnt vmcnt(32) lgkmcnt(0)
	v_fma_f64 v[65:66], v[77:78], v[69:70], v[65:66]
	s_waitcnt vmcnt(30)
	v_fma_f64 v[75:76], v[79:80], v[71:72], v[65:66]
	ds_read_b128 v[65:68], v64 offset:384
	ds_read_b128 v[69:72], v64 offset:400
	s_waitcnt vmcnt(28) lgkmcnt(1)
	v_fma_f64 v[65:66], v[81:82], v[65:66], v[75:76]
	s_clause 0x1
	buffer_load_dword v75, off, s[0:3], 0 offset:88
	buffer_load_dword v76, off, s[0:3], 0 offset:92
	s_waitcnt vmcnt(28)
	v_fma_f64 v[65:66], v[83:84], v[67:68], v[65:66]
	s_waitcnt vmcnt(26) lgkmcnt(0)
	v_fma_f64 v[65:66], v[85:86], v[69:70], v[65:66]
	s_waitcnt vmcnt(21)
	v_fma_f64 v[77:78], v[87:88], v[71:72], v[65:66]
	ds_read_b128 v[65:68], v64 offset:416
	ds_read_b128 v[69:72], v64 offset:432
	s_waitcnt vmcnt(20) lgkmcnt(1)
	v_fma_f64 v[65:66], v[93:94], v[65:66], v[77:78]
	s_waitcnt vmcnt(19)
	v_fma_f64 v[65:66], v[91:92], v[67:68], v[65:66]
	s_waitcnt vmcnt(18) lgkmcnt(0)
	v_fma_f64 v[65:66], v[89:90], v[69:70], v[65:66]
	s_waitcnt vmcnt(13)
	v_fma_f64 v[77:78], v[95:96], v[71:72], v[65:66]
	ds_read_b128 v[65:68], v64 offset:448
	ds_read_b128 v[69:72], v64 offset:464
	s_waitcnt vmcnt(12) lgkmcnt(1)
	v_fma_f64 v[65:66], v[101:102], v[65:66], v[77:78]
	s_waitcnt vmcnt(11)
	v_fma_f64 v[65:66], v[99:100], v[67:68], v[65:66]
	s_waitcnt vmcnt(10) lgkmcnt(0)
	v_fma_f64 v[65:66], v[97:98], v[69:70], v[65:66]
	s_waitcnt vmcnt(5)
	v_fma_f64 v[69:70], v[73:74], v[71:72], v[65:66]
	ds_read_b128 v[65:68], v64 offset:480
	ds_read_b64 v[71:72], v64 offset:496
	s_waitcnt vmcnt(4) lgkmcnt(1)
	v_fma_f64 v[65:66], v[107:108], v[65:66], v[69:70]
	s_waitcnt vmcnt(3)
	v_fma_f64 v[65:66], v[105:106], v[67:68], v[65:66]
	s_waitcnt vmcnt(2) lgkmcnt(0)
	v_fma_f64 v[65:66], v[103:104], v[71:72], v[65:66]
	s_waitcnt vmcnt(0)
	v_add_f64 v[65:66], v[75:76], -v[65:66]
	buffer_store_dword v66, off, s[0:3], 0 offset:92
	buffer_store_dword v65, off, s[0:3], 0 offset:88
	v_cmpx_lt_u32_e32 10, v0
	s_cbranch_execz .LBB94_175
; %bb.174:
	s_clause 0x1
	buffer_load_dword v65, off, s[0:3], 0 offset:80
	buffer_load_dword v66, off, s[0:3], 0 offset:84
	buffer_store_dword v64, off, s[0:3], 0 offset:80
	buffer_store_dword v64, off, s[0:3], 0 offset:84
	s_waitcnt vmcnt(0)
	ds_write_b64 v63, v[65:66]
.LBB94_175:
	s_or_b32 exec_lo, exec_lo, s4
	s_waitcnt lgkmcnt(0)
	s_waitcnt_vscnt null, 0x0
	s_barrier
	buffer_gl0_inv
	s_clause 0x1c
	buffer_load_dword v73, off, s[0:3], 0 offset:88
	buffer_load_dword v74, off, s[0:3], 0 offset:92
	;; [unrolled: 1-line block ×29, first 2 shown]
	ds_read2_b64 v[65:68], v64 offset0:43 offset1:44
	ds_read2_b64 v[69:72], v64 offset0:45 offset1:46
	buffer_load_dword v98, off, s[0:3], 0 offset:204
	s_mov_b32 s4, exec_lo
	s_waitcnt vmcnt(28) lgkmcnt(1)
	v_fma_f64 v[65:66], v[73:74], v[65:66], 0
	s_clause 0x7
	buffer_load_dword v74, off, s[0:3], 0 offset:212
	buffer_load_dword v103, off, s[0:3], 0 offset:232
	;; [unrolled: 1-line block ×8, first 2 shown]
	s_waitcnt vmcnt(34)
	v_fma_f64 v[65:66], v[75:76], v[67:68], v[65:66]
	s_waitcnt vmcnt(32) lgkmcnt(0)
	v_fma_f64 v[65:66], v[77:78], v[69:70], v[65:66]
	s_waitcnt vmcnt(30)
	v_fma_f64 v[75:76], v[79:80], v[71:72], v[65:66]
	ds_read2_b64 v[65:68], v64 offset0:47 offset1:48
	ds_read2_b64 v[69:72], v64 offset0:49 offset1:50
	s_waitcnt vmcnt(28) lgkmcnt(1)
	v_fma_f64 v[65:66], v[81:82], v[65:66], v[75:76]
	s_clause 0x3
	buffer_load_dword v76, off, s[0:3], 0 offset:244
	buffer_load_dword v75, off, s[0:3], 0 offset:240
	;; [unrolled: 1-line block ×4, first 2 shown]
	s_waitcnt vmcnt(30)
	v_fma_f64 v[65:66], v[83:84], v[67:68], v[65:66]
	s_waitcnt vmcnt(28) lgkmcnt(0)
	v_fma_f64 v[65:66], v[85:86], v[69:70], v[65:66]
	s_waitcnt vmcnt(23)
	v_fma_f64 v[79:80], v[87:88], v[71:72], v[65:66]
	ds_read2_b64 v[65:68], v64 offset0:51 offset1:52
	ds_read2_b64 v[69:72], v64 offset0:53 offset1:54
	s_waitcnt vmcnt(22) lgkmcnt(1)
	v_fma_f64 v[65:66], v[93:94], v[65:66], v[79:80]
	s_waitcnt vmcnt(21)
	v_fma_f64 v[65:66], v[91:92], v[67:68], v[65:66]
	s_waitcnt vmcnt(20) lgkmcnt(0)
	v_fma_f64 v[65:66], v[89:90], v[69:70], v[65:66]
	s_waitcnt vmcnt(15)
	v_fma_f64 v[79:80], v[95:96], v[71:72], v[65:66]
	ds_read2_b64 v[65:68], v64 offset0:55 offset1:56
	ds_read2_b64 v[69:72], v64 offset0:57 offset1:58
	s_waitcnt vmcnt(14) lgkmcnt(1)
	v_fma_f64 v[65:66], v[101:102], v[65:66], v[79:80]
	;; [unrolled: 10-line block ×3, first 2 shown]
	s_waitcnt vmcnt(5)
	v_fma_f64 v[64:65], v[105:106], v[67:68], v[64:65]
	s_waitcnt vmcnt(4) lgkmcnt(0)
	v_fma_f64 v[64:65], v[103:104], v[69:70], v[64:65]
	s_waitcnt vmcnt(2)
	v_fma_f64 v[64:65], v[75:76], v[71:72], v[64:65]
	s_waitcnt vmcnt(0)
	v_add_f64 v[64:65], v[77:78], -v[64:65]
	buffer_store_dword v65, off, s[0:3], 0 offset:84
	buffer_store_dword v64, off, s[0:3], 0 offset:80
	v_cmpx_lt_u32_e32 9, v0
	s_cbranch_execz .LBB94_177
; %bb.176:
	s_clause 0x1
	buffer_load_dword v64, off, s[0:3], 0 offset:72
	buffer_load_dword v65, off, s[0:3], 0 offset:76
	v_mov_b32_e32 v66, 0
	buffer_store_dword v66, off, s[0:3], 0 offset:72
	buffer_store_dword v66, off, s[0:3], 0 offset:76
	s_waitcnt vmcnt(0)
	ds_write_b64 v63, v[64:65]
.LBB94_177:
	s_or_b32 exec_lo, exec_lo, s4
	s_waitcnt lgkmcnt(0)
	s_waitcnt_vscnt null, 0x0
	s_barrier
	buffer_gl0_inv
	s_clause 0x1c
	buffer_load_dword v73, off, s[0:3], 0 offset:80
	buffer_load_dword v74, off, s[0:3], 0 offset:84
	;; [unrolled: 1-line block ×29, first 2 shown]
	v_mov_b32_e32 v64, 0
	buffer_load_dword v98, off, s[0:3], 0 offset:196
	s_mov_b32 s4, exec_lo
	ds_read_b128 v[65:68], v64 offset:336
	ds_read_b128 v[69:72], v64 offset:352
	s_waitcnt vmcnt(28) lgkmcnt(1)
	v_fma_f64 v[65:66], v[73:74], v[65:66], 0
	s_clause 0x7
	buffer_load_dword v74, off, s[0:3], 0 offset:204
	buffer_load_dword v103, off, s[0:3], 0 offset:224
	;; [unrolled: 1-line block ×8, first 2 shown]
	s_waitcnt vmcnt(34)
	v_fma_f64 v[65:66], v[75:76], v[67:68], v[65:66]
	s_waitcnt vmcnt(32) lgkmcnt(0)
	v_fma_f64 v[65:66], v[77:78], v[69:70], v[65:66]
	s_waitcnt vmcnt(30)
	v_fma_f64 v[75:76], v[79:80], v[71:72], v[65:66]
	ds_read_b128 v[65:68], v64 offset:368
	ds_read_b128 v[69:72], v64 offset:384
	s_waitcnt vmcnt(28) lgkmcnt(1)
	v_fma_f64 v[65:66], v[81:82], v[65:66], v[75:76]
	s_clause 0x5
	buffer_load_dword v76, off, s[0:3], 0 offset:236
	buffer_load_dword v77, off, s[0:3], 0 offset:240
	;; [unrolled: 1-line block ×6, first 2 shown]
	s_waitcnt vmcnt(32)
	v_fma_f64 v[65:66], v[83:84], v[67:68], v[65:66]
	s_waitcnt vmcnt(30) lgkmcnt(0)
	v_fma_f64 v[65:66], v[85:86], v[69:70], v[65:66]
	s_waitcnt vmcnt(25)
	v_fma_f64 v[81:82], v[87:88], v[71:72], v[65:66]
	ds_read_b128 v[65:68], v64 offset:400
	ds_read_b128 v[69:72], v64 offset:416
	s_waitcnt vmcnt(24) lgkmcnt(1)
	v_fma_f64 v[65:66], v[93:94], v[65:66], v[81:82]
	s_waitcnt vmcnt(23)
	v_fma_f64 v[65:66], v[91:92], v[67:68], v[65:66]
	s_waitcnt vmcnt(22) lgkmcnt(0)
	v_fma_f64 v[65:66], v[89:90], v[69:70], v[65:66]
	s_waitcnt vmcnt(17)
	v_fma_f64 v[81:82], v[95:96], v[71:72], v[65:66]
	ds_read_b128 v[65:68], v64 offset:432
	ds_read_b128 v[69:72], v64 offset:448
	s_waitcnt vmcnt(16) lgkmcnt(1)
	v_fma_f64 v[65:66], v[101:102], v[65:66], v[81:82]
	;; [unrolled: 10-line block ×3, first 2 shown]
	s_waitcnt vmcnt(7)
	v_fma_f64 v[65:66], v[105:106], v[67:68], v[65:66]
	ds_read_b64 v[67:68], v64 offset:496
	s_waitcnt vmcnt(6) lgkmcnt(1)
	v_fma_f64 v[65:66], v[103:104], v[69:70], v[65:66]
	s_waitcnt vmcnt(3)
	v_fma_f64 v[65:66], v[75:76], v[71:72], v[65:66]
	s_waitcnt vmcnt(2) lgkmcnt(0)
	v_fma_f64 v[65:66], v[77:78], v[67:68], v[65:66]
	s_waitcnt vmcnt(0)
	v_add_f64 v[65:66], v[79:80], -v[65:66]
	buffer_store_dword v66, off, s[0:3], 0 offset:76
	buffer_store_dword v65, off, s[0:3], 0 offset:72
	v_cmpx_lt_u32_e32 8, v0
	s_cbranch_execz .LBB94_179
; %bb.178:
	s_clause 0x1
	buffer_load_dword v65, off, s[0:3], 0 offset:64
	buffer_load_dword v66, off, s[0:3], 0 offset:68
	buffer_store_dword v64, off, s[0:3], 0 offset:64
	buffer_store_dword v64, off, s[0:3], 0 offset:68
	s_waitcnt vmcnt(0)
	ds_write_b64 v63, v[65:66]
.LBB94_179:
	s_or_b32 exec_lo, exec_lo, s4
	s_waitcnt lgkmcnt(0)
	s_waitcnt_vscnt null, 0x0
	s_barrier
	buffer_gl0_inv
	s_clause 0x1c
	buffer_load_dword v73, off, s[0:3], 0 offset:72
	buffer_load_dword v74, off, s[0:3], 0 offset:76
	;; [unrolled: 1-line block ×29, first 2 shown]
	ds_read2_b64 v[65:68], v64 offset0:41 offset1:42
	ds_read2_b64 v[69:72], v64 offset0:43 offset1:44
	buffer_load_dword v98, off, s[0:3], 0 offset:188
	s_mov_b32 s4, exec_lo
	s_waitcnt vmcnt(28) lgkmcnt(1)
	v_fma_f64 v[65:66], v[73:74], v[65:66], 0
	s_clause 0x7
	buffer_load_dword v74, off, s[0:3], 0 offset:196
	buffer_load_dword v103, off, s[0:3], 0 offset:216
	;; [unrolled: 1-line block ×8, first 2 shown]
	s_waitcnt vmcnt(34)
	v_fma_f64 v[65:66], v[75:76], v[67:68], v[65:66]
	s_waitcnt vmcnt(32) lgkmcnt(0)
	v_fma_f64 v[65:66], v[77:78], v[69:70], v[65:66]
	s_waitcnt vmcnt(30)
	v_fma_f64 v[75:76], v[79:80], v[71:72], v[65:66]
	ds_read2_b64 v[65:68], v64 offset0:45 offset1:46
	ds_read2_b64 v[69:72], v64 offset0:47 offset1:48
	s_waitcnt vmcnt(28) lgkmcnt(1)
	v_fma_f64 v[65:66], v[81:82], v[65:66], v[75:76]
	s_clause 0x5
	buffer_load_dword v76, off, s[0:3], 0 offset:228
	buffer_load_dword v77, off, s[0:3], 0 offset:240
	;; [unrolled: 1-line block ×6, first 2 shown]
	s_waitcnt vmcnt(32)
	v_fma_f64 v[65:66], v[83:84], v[67:68], v[65:66]
	s_waitcnt vmcnt(30) lgkmcnt(0)
	v_fma_f64 v[65:66], v[85:86], v[69:70], v[65:66]
	s_waitcnt vmcnt(25)
	v_fma_f64 v[81:82], v[87:88], v[71:72], v[65:66]
	ds_read2_b64 v[65:68], v64 offset0:49 offset1:50
	s_clause 0x1
	buffer_load_dword v83, off, s[0:3], 0 offset:64
	buffer_load_dword v84, off, s[0:3], 0 offset:68
	ds_read2_b64 v[69:72], v64 offset0:51 offset1:52
	s_waitcnt vmcnt(26) lgkmcnt(1)
	v_fma_f64 v[65:66], v[93:94], v[65:66], v[81:82]
	s_waitcnt vmcnt(25)
	v_fma_f64 v[65:66], v[91:92], v[67:68], v[65:66]
	s_waitcnt vmcnt(24) lgkmcnt(0)
	v_fma_f64 v[65:66], v[89:90], v[69:70], v[65:66]
	s_waitcnt vmcnt(19)
	v_fma_f64 v[81:82], v[95:96], v[71:72], v[65:66]
	ds_read2_b64 v[65:68], v64 offset0:53 offset1:54
	ds_read2_b64 v[69:72], v64 offset0:55 offset1:56
	s_waitcnt vmcnt(18) lgkmcnt(1)
	v_fma_f64 v[65:66], v[101:102], v[65:66], v[81:82]
	s_waitcnt vmcnt(17)
	v_fma_f64 v[65:66], v[99:100], v[67:68], v[65:66]
	s_waitcnt vmcnt(16) lgkmcnt(0)
	v_fma_f64 v[65:66], v[97:98], v[69:70], v[65:66]
	s_waitcnt vmcnt(11)
	v_fma_f64 v[73:74], v[73:74], v[71:72], v[65:66]
	ds_read2_b64 v[65:68], v64 offset0:57 offset1:58
	ds_read2_b64 v[69:72], v64 offset0:59 offset1:60
	s_waitcnt vmcnt(10) lgkmcnt(1)
	v_fma_f64 v[65:66], v[107:108], v[65:66], v[73:74]
	s_waitcnt vmcnt(9)
	v_fma_f64 v[65:66], v[105:106], v[67:68], v[65:66]
	s_waitcnt vmcnt(8) lgkmcnt(0)
	v_fma_f64 v[65:66], v[103:104], v[69:70], v[65:66]
	s_waitcnt vmcnt(4)
	v_fma_f64 v[68:69], v[75:76], v[71:72], v[65:66]
	ds_read2_b64 v[64:67], v64 offset0:61 offset1:62
	s_waitcnt vmcnt(3) lgkmcnt(0)
	v_fma_f64 v[64:65], v[79:80], v[64:65], v[68:69]
	s_waitcnt vmcnt(2)
	v_fma_f64 v[64:65], v[77:78], v[66:67], v[64:65]
	s_waitcnt vmcnt(0)
	v_add_f64 v[64:65], v[83:84], -v[64:65]
	buffer_store_dword v65, off, s[0:3], 0 offset:68
	buffer_store_dword v64, off, s[0:3], 0 offset:64
	v_cmpx_lt_u32_e32 7, v0
	s_cbranch_execz .LBB94_181
; %bb.180:
	s_clause 0x1
	buffer_load_dword v64, off, s[0:3], 0 offset:56
	buffer_load_dword v65, off, s[0:3], 0 offset:60
	v_mov_b32_e32 v66, 0
	buffer_store_dword v66, off, s[0:3], 0 offset:56
	buffer_store_dword v66, off, s[0:3], 0 offset:60
	s_waitcnt vmcnt(0)
	ds_write_b64 v63, v[64:65]
.LBB94_181:
	s_or_b32 exec_lo, exec_lo, s4
	s_waitcnt lgkmcnt(0)
	s_waitcnt_vscnt null, 0x0
	s_barrier
	buffer_gl0_inv
	s_clause 0x1c
	buffer_load_dword v73, off, s[0:3], 0 offset:64
	buffer_load_dword v74, off, s[0:3], 0 offset:68
	;; [unrolled: 1-line block ×29, first 2 shown]
	v_mov_b32_e32 v64, 0
	buffer_load_dword v98, off, s[0:3], 0 offset:180
	s_mov_b32 s4, exec_lo
	ds_read_b128 v[65:68], v64 offset:320
	ds_read_b128 v[69:72], v64 offset:336
	s_waitcnt vmcnt(28) lgkmcnt(1)
	v_fma_f64 v[65:66], v[73:74], v[65:66], 0
	s_clause 0x7
	buffer_load_dword v74, off, s[0:3], 0 offset:188
	buffer_load_dword v103, off, s[0:3], 0 offset:208
	;; [unrolled: 1-line block ×8, first 2 shown]
	s_waitcnt vmcnt(34)
	v_fma_f64 v[65:66], v[75:76], v[67:68], v[65:66]
	s_waitcnt vmcnt(32) lgkmcnt(0)
	v_fma_f64 v[65:66], v[77:78], v[69:70], v[65:66]
	s_waitcnt vmcnt(30)
	v_fma_f64 v[75:76], v[79:80], v[71:72], v[65:66]
	ds_read_b128 v[65:68], v64 offset:352
	ds_read_b128 v[69:72], v64 offset:368
	s_waitcnt vmcnt(28) lgkmcnt(1)
	v_fma_f64 v[65:66], v[81:82], v[65:66], v[75:76]
	s_clause 0x7
	buffer_load_dword v76, off, s[0:3], 0 offset:220
	buffer_load_dword v77, off, s[0:3], 0 offset:240
	;; [unrolled: 1-line block ×8, first 2 shown]
	s_waitcnt vmcnt(34)
	v_fma_f64 v[65:66], v[83:84], v[67:68], v[65:66]
	s_waitcnt vmcnt(32) lgkmcnt(0)
	v_fma_f64 v[65:66], v[85:86], v[69:70], v[65:66]
	s_waitcnt vmcnt(27)
	v_fma_f64 v[83:84], v[87:88], v[71:72], v[65:66]
	ds_read_b128 v[65:68], v64 offset:384
	ds_read_b128 v[69:72], v64 offset:400
	s_waitcnt vmcnt(26) lgkmcnt(1)
	v_fma_f64 v[65:66], v[93:94], v[65:66], v[83:84]
	s_clause 0x1
	buffer_load_dword v83, off, s[0:3], 0 offset:56
	buffer_load_dword v84, off, s[0:3], 0 offset:60
	s_waitcnt vmcnt(27)
	v_fma_f64 v[65:66], v[91:92], v[67:68], v[65:66]
	s_waitcnt vmcnt(26) lgkmcnt(0)
	v_fma_f64 v[65:66], v[89:90], v[69:70], v[65:66]
	s_waitcnt vmcnt(21)
	v_fma_f64 v[85:86], v[95:96], v[71:72], v[65:66]
	ds_read_b128 v[65:68], v64 offset:416
	ds_read_b128 v[69:72], v64 offset:432
	s_waitcnt vmcnt(20) lgkmcnt(1)
	v_fma_f64 v[65:66], v[101:102], v[65:66], v[85:86]
	s_waitcnt vmcnt(19)
	v_fma_f64 v[65:66], v[99:100], v[67:68], v[65:66]
	s_waitcnt vmcnt(18) lgkmcnt(0)
	v_fma_f64 v[65:66], v[97:98], v[69:70], v[65:66]
	s_waitcnt vmcnt(13)
	v_fma_f64 v[73:74], v[73:74], v[71:72], v[65:66]
	ds_read_b128 v[65:68], v64 offset:448
	ds_read_b128 v[69:72], v64 offset:464
	s_waitcnt vmcnt(12) lgkmcnt(1)
	v_fma_f64 v[65:66], v[107:108], v[65:66], v[73:74]
	s_waitcnt vmcnt(11)
	v_fma_f64 v[65:66], v[105:106], v[67:68], v[65:66]
	s_waitcnt vmcnt(10) lgkmcnt(0)
	v_fma_f64 v[65:66], v[103:104], v[69:70], v[65:66]
	s_waitcnt vmcnt(5)
	v_fma_f64 v[69:70], v[75:76], v[71:72], v[65:66]
	ds_read_b128 v[65:68], v64 offset:480
	ds_read_b64 v[71:72], v64 offset:496
	s_waitcnt vmcnt(4) lgkmcnt(1)
	v_fma_f64 v[65:66], v[81:82], v[65:66], v[69:70]
	s_waitcnt vmcnt(3)
	v_fma_f64 v[65:66], v[79:80], v[67:68], v[65:66]
	s_waitcnt vmcnt(2) lgkmcnt(0)
	v_fma_f64 v[65:66], v[77:78], v[71:72], v[65:66]
	s_waitcnt vmcnt(0)
	v_add_f64 v[65:66], v[83:84], -v[65:66]
	buffer_store_dword v66, off, s[0:3], 0 offset:60
	buffer_store_dword v65, off, s[0:3], 0 offset:56
	v_cmpx_lt_u32_e32 6, v0
	s_cbranch_execz .LBB94_183
; %bb.182:
	s_clause 0x1
	buffer_load_dword v65, off, s[0:3], 0 offset:48
	buffer_load_dword v66, off, s[0:3], 0 offset:52
	buffer_store_dword v64, off, s[0:3], 0 offset:48
	buffer_store_dword v64, off, s[0:3], 0 offset:52
	s_waitcnt vmcnt(0)
	ds_write_b64 v63, v[65:66]
.LBB94_183:
	s_or_b32 exec_lo, exec_lo, s4
	s_waitcnt lgkmcnt(0)
	s_waitcnt_vscnt null, 0x0
	s_barrier
	buffer_gl0_inv
	s_clause 0x1c
	buffer_load_dword v73, off, s[0:3], 0 offset:56
	buffer_load_dword v74, off, s[0:3], 0 offset:60
	;; [unrolled: 1-line block ×29, first 2 shown]
	ds_read2_b64 v[65:68], v64 offset0:39 offset1:40
	ds_read2_b64 v[69:72], v64 offset0:41 offset1:42
	buffer_load_dword v98, off, s[0:3], 0 offset:172
	s_mov_b32 s4, exec_lo
	s_waitcnt vmcnt(28) lgkmcnt(1)
	v_fma_f64 v[65:66], v[73:74], v[65:66], 0
	s_clause 0x7
	buffer_load_dword v74, off, s[0:3], 0 offset:180
	buffer_load_dword v103, off, s[0:3], 0 offset:200
	;; [unrolled: 1-line block ×8, first 2 shown]
	s_waitcnt vmcnt(34)
	v_fma_f64 v[65:66], v[75:76], v[67:68], v[65:66]
	s_waitcnt vmcnt(32) lgkmcnt(0)
	v_fma_f64 v[65:66], v[77:78], v[69:70], v[65:66]
	s_waitcnt vmcnt(30)
	v_fma_f64 v[75:76], v[79:80], v[71:72], v[65:66]
	ds_read2_b64 v[65:68], v64 offset0:43 offset1:44
	ds_read2_b64 v[69:72], v64 offset0:45 offset1:46
	s_waitcnt vmcnt(28) lgkmcnt(1)
	v_fma_f64 v[65:66], v[81:82], v[65:66], v[75:76]
	s_clause 0x7
	buffer_load_dword v76, off, s[0:3], 0 offset:212
	buffer_load_dword v77, off, s[0:3], 0 offset:232
	;; [unrolled: 1-line block ×8, first 2 shown]
	s_waitcnt vmcnt(34)
	v_fma_f64 v[65:66], v[83:84], v[67:68], v[65:66]
	s_waitcnt vmcnt(32) lgkmcnt(0)
	v_fma_f64 v[65:66], v[85:86], v[69:70], v[65:66]
	s_waitcnt vmcnt(27)
	v_fma_f64 v[83:84], v[87:88], v[71:72], v[65:66]
	ds_read2_b64 v[65:68], v64 offset0:47 offset1:48
	ds_read2_b64 v[69:72], v64 offset0:49 offset1:50
	s_waitcnt vmcnt(26) lgkmcnt(1)
	v_fma_f64 v[65:66], v[93:94], v[65:66], v[83:84]
	s_clause 0x3
	buffer_load_dword v84, off, s[0:3], 0 offset:244
	buffer_load_dword v83, off, s[0:3], 0 offset:240
	;; [unrolled: 1-line block ×4, first 2 shown]
	s_waitcnt vmcnt(29)
	v_fma_f64 v[65:66], v[91:92], v[67:68], v[65:66]
	s_waitcnt vmcnt(28) lgkmcnt(0)
	v_fma_f64 v[65:66], v[89:90], v[69:70], v[65:66]
	s_waitcnt vmcnt(23)
	v_fma_f64 v[87:88], v[95:96], v[71:72], v[65:66]
	ds_read2_b64 v[65:68], v64 offset0:51 offset1:52
	ds_read2_b64 v[69:72], v64 offset0:53 offset1:54
	s_waitcnt vmcnt(22) lgkmcnt(1)
	v_fma_f64 v[65:66], v[101:102], v[65:66], v[87:88]
	s_waitcnt vmcnt(21)
	v_fma_f64 v[65:66], v[99:100], v[67:68], v[65:66]
	s_waitcnt vmcnt(20) lgkmcnt(0)
	v_fma_f64 v[65:66], v[97:98], v[69:70], v[65:66]
	s_waitcnt vmcnt(15)
	v_fma_f64 v[73:74], v[73:74], v[71:72], v[65:66]
	ds_read2_b64 v[65:68], v64 offset0:55 offset1:56
	ds_read2_b64 v[69:72], v64 offset0:57 offset1:58
	s_waitcnt vmcnt(14) lgkmcnt(1)
	v_fma_f64 v[65:66], v[107:108], v[65:66], v[73:74]
	s_waitcnt vmcnt(13)
	v_fma_f64 v[65:66], v[105:106], v[67:68], v[65:66]
	s_waitcnt vmcnt(12) lgkmcnt(0)
	v_fma_f64 v[65:66], v[103:104], v[69:70], v[65:66]
	s_waitcnt vmcnt(7)
	v_fma_f64 v[73:74], v[75:76], v[71:72], v[65:66]
	ds_read2_b64 v[65:68], v64 offset0:59 offset1:60
	ds_read2_b64 v[69:72], v64 offset0:61 offset1:62
	s_waitcnt vmcnt(6) lgkmcnt(1)
	v_fma_f64 v[64:65], v[81:82], v[65:66], v[73:74]
	s_waitcnt vmcnt(5)
	v_fma_f64 v[64:65], v[79:80], v[67:68], v[64:65]
	s_waitcnt vmcnt(4) lgkmcnt(0)
	v_fma_f64 v[64:65], v[77:78], v[69:70], v[64:65]
	s_waitcnt vmcnt(2)
	v_fma_f64 v[64:65], v[83:84], v[71:72], v[64:65]
	s_waitcnt vmcnt(0)
	v_add_f64 v[64:65], v[85:86], -v[64:65]
	buffer_store_dword v65, off, s[0:3], 0 offset:52
	buffer_store_dword v64, off, s[0:3], 0 offset:48
	v_cmpx_lt_u32_e32 5, v0
	s_cbranch_execz .LBB94_185
; %bb.184:
	s_clause 0x1
	buffer_load_dword v64, off, s[0:3], 0 offset:40
	buffer_load_dword v65, off, s[0:3], 0 offset:44
	v_mov_b32_e32 v66, 0
	buffer_store_dword v66, off, s[0:3], 0 offset:40
	buffer_store_dword v66, off, s[0:3], 0 offset:44
	s_waitcnt vmcnt(0)
	ds_write_b64 v63, v[64:65]
.LBB94_185:
	s_or_b32 exec_lo, exec_lo, s4
	s_waitcnt lgkmcnt(0)
	s_waitcnt_vscnt null, 0x0
	s_barrier
	buffer_gl0_inv
	s_clause 0x1c
	buffer_load_dword v73, off, s[0:3], 0 offset:48
	buffer_load_dword v74, off, s[0:3], 0 offset:52
	;; [unrolled: 1-line block ×29, first 2 shown]
	v_mov_b32_e32 v64, 0
	buffer_load_dword v98, off, s[0:3], 0 offset:164
	s_mov_b32 s4, exec_lo
	ds_read_b128 v[65:68], v64 offset:304
	ds_read_b128 v[69:72], v64 offset:320
	s_waitcnt vmcnt(28) lgkmcnt(1)
	v_fma_f64 v[65:66], v[73:74], v[65:66], 0
	s_clause 0x7
	buffer_load_dword v74, off, s[0:3], 0 offset:172
	buffer_load_dword v103, off, s[0:3], 0 offset:192
	buffer_load_dword v105, off, s[0:3], 0 offset:184
	buffer_load_dword v107, off, s[0:3], 0 offset:176
	buffer_load_dword v73, off, s[0:3], 0 offset:168
	buffer_load_dword v108, off, s[0:3], 0 offset:180
	buffer_load_dword v106, off, s[0:3], 0 offset:188
	buffer_load_dword v104, off, s[0:3], 0 offset:196
	s_waitcnt vmcnt(34)
	v_fma_f64 v[65:66], v[75:76], v[67:68], v[65:66]
	s_waitcnt vmcnt(32) lgkmcnt(0)
	v_fma_f64 v[65:66], v[77:78], v[69:70], v[65:66]
	s_waitcnt vmcnt(30)
	v_fma_f64 v[75:76], v[79:80], v[71:72], v[65:66]
	ds_read_b128 v[65:68], v64 offset:336
	ds_read_b128 v[69:72], v64 offset:352
	s_waitcnt vmcnt(28) lgkmcnt(1)
	v_fma_f64 v[65:66], v[81:82], v[65:66], v[75:76]
	s_clause 0x7
	buffer_load_dword v76, off, s[0:3], 0 offset:204
	buffer_load_dword v77, off, s[0:3], 0 offset:224
	;; [unrolled: 1-line block ×8, first 2 shown]
	s_waitcnt vmcnt(34)
	v_fma_f64 v[65:66], v[83:84], v[67:68], v[65:66]
	s_waitcnt vmcnt(32) lgkmcnt(0)
	v_fma_f64 v[65:66], v[85:86], v[69:70], v[65:66]
	s_waitcnt vmcnt(27)
	v_fma_f64 v[83:84], v[87:88], v[71:72], v[65:66]
	ds_read_b128 v[65:68], v64 offset:368
	ds_read_b128 v[69:72], v64 offset:384
	s_waitcnt vmcnt(26) lgkmcnt(1)
	v_fma_f64 v[65:66], v[93:94], v[65:66], v[83:84]
	s_clause 0x5
	buffer_load_dword v84, off, s[0:3], 0 offset:236
	buffer_load_dword v85, off, s[0:3], 0 offset:240
	;; [unrolled: 1-line block ×6, first 2 shown]
	s_waitcnt vmcnt(31)
	v_fma_f64 v[65:66], v[91:92], v[67:68], v[65:66]
	s_waitcnt vmcnt(30) lgkmcnt(0)
	v_fma_f64 v[65:66], v[89:90], v[69:70], v[65:66]
	s_waitcnt vmcnt(25)
	v_fma_f64 v[89:90], v[95:96], v[71:72], v[65:66]
	ds_read_b128 v[65:68], v64 offset:400
	ds_read_b128 v[69:72], v64 offset:416
	s_waitcnt vmcnt(24) lgkmcnt(1)
	v_fma_f64 v[65:66], v[101:102], v[65:66], v[89:90]
	s_waitcnt vmcnt(23)
	v_fma_f64 v[65:66], v[99:100], v[67:68], v[65:66]
	s_waitcnt vmcnt(22) lgkmcnt(0)
	v_fma_f64 v[65:66], v[97:98], v[69:70], v[65:66]
	s_waitcnt vmcnt(17)
	v_fma_f64 v[73:74], v[73:74], v[71:72], v[65:66]
	ds_read_b128 v[65:68], v64 offset:432
	ds_read_b128 v[69:72], v64 offset:448
	s_waitcnt vmcnt(16) lgkmcnt(1)
	v_fma_f64 v[65:66], v[107:108], v[65:66], v[73:74]
	s_waitcnt vmcnt(15)
	v_fma_f64 v[65:66], v[105:106], v[67:68], v[65:66]
	s_waitcnt vmcnt(14) lgkmcnt(0)
	v_fma_f64 v[65:66], v[103:104], v[69:70], v[65:66]
	s_waitcnt vmcnt(9)
	v_fma_f64 v[73:74], v[75:76], v[71:72], v[65:66]
	ds_read_b128 v[65:68], v64 offset:464
	ds_read_b128 v[69:72], v64 offset:480
	s_waitcnt vmcnt(8) lgkmcnt(1)
	v_fma_f64 v[65:66], v[81:82], v[65:66], v[73:74]
	s_waitcnt vmcnt(7)
	v_fma_f64 v[65:66], v[79:80], v[67:68], v[65:66]
	ds_read_b64 v[67:68], v64 offset:496
	s_waitcnt vmcnt(6) lgkmcnt(1)
	v_fma_f64 v[65:66], v[77:78], v[69:70], v[65:66]
	s_waitcnt vmcnt(3)
	v_fma_f64 v[65:66], v[83:84], v[71:72], v[65:66]
	s_waitcnt vmcnt(2) lgkmcnt(0)
	v_fma_f64 v[65:66], v[85:86], v[67:68], v[65:66]
	s_waitcnt vmcnt(0)
	v_add_f64 v[65:66], v[87:88], -v[65:66]
	buffer_store_dword v66, off, s[0:3], 0 offset:44
	buffer_store_dword v65, off, s[0:3], 0 offset:40
	v_cmpx_lt_u32_e32 4, v0
	s_cbranch_execz .LBB94_187
; %bb.186:
	s_clause 0x1
	buffer_load_dword v65, off, s[0:3], 0 offset:32
	buffer_load_dword v66, off, s[0:3], 0 offset:36
	buffer_store_dword v64, off, s[0:3], 0 offset:32
	buffer_store_dword v64, off, s[0:3], 0 offset:36
	s_waitcnt vmcnt(0)
	ds_write_b64 v63, v[65:66]
.LBB94_187:
	s_or_b32 exec_lo, exec_lo, s4
	s_waitcnt lgkmcnt(0)
	s_waitcnt_vscnt null, 0x0
	s_barrier
	buffer_gl0_inv
	s_clause 0x1c
	buffer_load_dword v73, off, s[0:3], 0 offset:40
	buffer_load_dword v74, off, s[0:3], 0 offset:44
	;; [unrolled: 1-line block ×29, first 2 shown]
	ds_read2_b64 v[65:68], v64 offset0:37 offset1:38
	ds_read2_b64 v[69:72], v64 offset0:39 offset1:40
	buffer_load_dword v98, off, s[0:3], 0 offset:156
	s_mov_b32 s4, exec_lo
	s_waitcnt vmcnt(28) lgkmcnt(1)
	v_fma_f64 v[65:66], v[73:74], v[65:66], 0
	s_clause 0x7
	buffer_load_dword v74, off, s[0:3], 0 offset:164
	buffer_load_dword v103, off, s[0:3], 0 offset:184
	;; [unrolled: 1-line block ×8, first 2 shown]
	s_waitcnt vmcnt(34)
	v_fma_f64 v[65:66], v[75:76], v[67:68], v[65:66]
	s_waitcnt vmcnt(32) lgkmcnt(0)
	v_fma_f64 v[65:66], v[77:78], v[69:70], v[65:66]
	s_waitcnt vmcnt(30)
	v_fma_f64 v[75:76], v[79:80], v[71:72], v[65:66]
	ds_read2_b64 v[65:68], v64 offset0:41 offset1:42
	ds_read2_b64 v[69:72], v64 offset0:43 offset1:44
	s_waitcnt vmcnt(28) lgkmcnt(1)
	v_fma_f64 v[65:66], v[81:82], v[65:66], v[75:76]
	s_clause 0x7
	buffer_load_dword v76, off, s[0:3], 0 offset:196
	buffer_load_dword v77, off, s[0:3], 0 offset:216
	;; [unrolled: 1-line block ×8, first 2 shown]
	s_waitcnt vmcnt(34)
	v_fma_f64 v[65:66], v[83:84], v[67:68], v[65:66]
	s_waitcnt vmcnt(32) lgkmcnt(0)
	v_fma_f64 v[65:66], v[85:86], v[69:70], v[65:66]
	s_waitcnt vmcnt(27)
	v_fma_f64 v[83:84], v[87:88], v[71:72], v[65:66]
	ds_read2_b64 v[65:68], v64 offset0:45 offset1:46
	ds_read2_b64 v[69:72], v64 offset0:47 offset1:48
	s_waitcnt vmcnt(26) lgkmcnt(1)
	v_fma_f64 v[65:66], v[93:94], v[65:66], v[83:84]
	s_clause 0x5
	buffer_load_dword v84, off, s[0:3], 0 offset:228
	buffer_load_dword v85, off, s[0:3], 0 offset:240
	buffer_load_dword v87, off, s[0:3], 0 offset:232
	buffer_load_dword v83, off, s[0:3], 0 offset:224
	buffer_load_dword v88, off, s[0:3], 0 offset:236
	buffer_load_dword v86, off, s[0:3], 0 offset:244
	s_waitcnt vmcnt(31)
	v_fma_f64 v[65:66], v[91:92], v[67:68], v[65:66]
	s_waitcnt vmcnt(30) lgkmcnt(0)
	v_fma_f64 v[65:66], v[89:90], v[69:70], v[65:66]
	s_waitcnt vmcnt(25)
	v_fma_f64 v[89:90], v[95:96], v[71:72], v[65:66]
	ds_read2_b64 v[65:68], v64 offset0:49 offset1:50
	s_clause 0x1
	buffer_load_dword v91, off, s[0:3], 0 offset:32
	buffer_load_dword v92, off, s[0:3], 0 offset:36
	ds_read2_b64 v[69:72], v64 offset0:51 offset1:52
	s_waitcnt vmcnt(26) lgkmcnt(1)
	v_fma_f64 v[65:66], v[101:102], v[65:66], v[89:90]
	s_waitcnt vmcnt(25)
	v_fma_f64 v[65:66], v[99:100], v[67:68], v[65:66]
	s_waitcnt vmcnt(24) lgkmcnt(0)
	v_fma_f64 v[65:66], v[97:98], v[69:70], v[65:66]
	s_waitcnt vmcnt(19)
	v_fma_f64 v[73:74], v[73:74], v[71:72], v[65:66]
	ds_read2_b64 v[65:68], v64 offset0:53 offset1:54
	ds_read2_b64 v[69:72], v64 offset0:55 offset1:56
	s_waitcnt vmcnt(18) lgkmcnt(1)
	v_fma_f64 v[65:66], v[107:108], v[65:66], v[73:74]
	s_waitcnt vmcnt(17)
	v_fma_f64 v[65:66], v[105:106], v[67:68], v[65:66]
	s_waitcnt vmcnt(16) lgkmcnt(0)
	v_fma_f64 v[65:66], v[103:104], v[69:70], v[65:66]
	s_waitcnt vmcnt(11)
	v_fma_f64 v[73:74], v[75:76], v[71:72], v[65:66]
	ds_read2_b64 v[65:68], v64 offset0:57 offset1:58
	;; [unrolled: 10-line block ×3, first 2 shown]
	s_waitcnt vmcnt(3) lgkmcnt(0)
	v_fma_f64 v[64:65], v[87:88], v[64:65], v[68:69]
	s_waitcnt vmcnt(2)
	v_fma_f64 v[64:65], v[85:86], v[66:67], v[64:65]
	s_waitcnt vmcnt(0)
	v_add_f64 v[64:65], v[91:92], -v[64:65]
	buffer_store_dword v65, off, s[0:3], 0 offset:36
	buffer_store_dword v64, off, s[0:3], 0 offset:32
	v_cmpx_lt_u32_e32 3, v0
	s_cbranch_execz .LBB94_189
; %bb.188:
	s_clause 0x1
	buffer_load_dword v64, off, s[0:3], 0 offset:24
	buffer_load_dword v65, off, s[0:3], 0 offset:28
	v_mov_b32_e32 v66, 0
	buffer_store_dword v66, off, s[0:3], 0 offset:24
	buffer_store_dword v66, off, s[0:3], 0 offset:28
	s_waitcnt vmcnt(0)
	ds_write_b64 v63, v[64:65]
.LBB94_189:
	s_or_b32 exec_lo, exec_lo, s4
	s_waitcnt lgkmcnt(0)
	s_waitcnt_vscnt null, 0x0
	s_barrier
	buffer_gl0_inv
	s_clause 0x1c
	buffer_load_dword v73, off, s[0:3], 0 offset:32
	buffer_load_dword v74, off, s[0:3], 0 offset:36
	;; [unrolled: 1-line block ×29, first 2 shown]
	v_mov_b32_e32 v64, 0
	buffer_load_dword v98, off, s[0:3], 0 offset:148
	s_mov_b32 s4, exec_lo
	ds_read_b128 v[65:68], v64 offset:288
	ds_read_b128 v[69:72], v64 offset:304
	s_waitcnt vmcnt(28) lgkmcnt(1)
	v_fma_f64 v[65:66], v[73:74], v[65:66], 0
	s_clause 0x7
	buffer_load_dword v74, off, s[0:3], 0 offset:156
	buffer_load_dword v103, off, s[0:3], 0 offset:176
	buffer_load_dword v105, off, s[0:3], 0 offset:168
	buffer_load_dword v107, off, s[0:3], 0 offset:160
	buffer_load_dword v73, off, s[0:3], 0 offset:152
	buffer_load_dword v108, off, s[0:3], 0 offset:164
	buffer_load_dword v106, off, s[0:3], 0 offset:172
	buffer_load_dword v104, off, s[0:3], 0 offset:180
	s_waitcnt vmcnt(34)
	v_fma_f64 v[65:66], v[75:76], v[67:68], v[65:66]
	s_waitcnt vmcnt(32) lgkmcnt(0)
	v_fma_f64 v[65:66], v[77:78], v[69:70], v[65:66]
	s_waitcnt vmcnt(30)
	v_fma_f64 v[75:76], v[79:80], v[71:72], v[65:66]
	ds_read_b128 v[65:68], v64 offset:320
	ds_read_b128 v[69:72], v64 offset:336
	s_waitcnt vmcnt(28) lgkmcnt(1)
	v_fma_f64 v[65:66], v[81:82], v[65:66], v[75:76]
	s_clause 0x7
	buffer_load_dword v76, off, s[0:3], 0 offset:188
	buffer_load_dword v77, off, s[0:3], 0 offset:208
	buffer_load_dword v79, off, s[0:3], 0 offset:200
	buffer_load_dword v81, off, s[0:3], 0 offset:192
	buffer_load_dword v75, off, s[0:3], 0 offset:184
	buffer_load_dword v82, off, s[0:3], 0 offset:196
	buffer_load_dword v80, off, s[0:3], 0 offset:204
	buffer_load_dword v78, off, s[0:3], 0 offset:212
	s_waitcnt vmcnt(34)
	v_fma_f64 v[65:66], v[83:84], v[67:68], v[65:66]
	s_waitcnt vmcnt(32) lgkmcnt(0)
	v_fma_f64 v[65:66], v[85:86], v[69:70], v[65:66]
	s_waitcnt vmcnt(27)
	v_fma_f64 v[83:84], v[87:88], v[71:72], v[65:66]
	;; [unrolled: 19-line block ×3, first 2 shown]
	ds_read_b128 v[65:68], v64 offset:384
	ds_read_b128 v[69:72], v64 offset:400
	s_waitcnt vmcnt(26) lgkmcnt(1)
	v_fma_f64 v[65:66], v[101:102], v[65:66], v[89:90]
	s_clause 0x1
	buffer_load_dword v89, off, s[0:3], 0 offset:24
	buffer_load_dword v90, off, s[0:3], 0 offset:28
	s_waitcnt vmcnt(27)
	v_fma_f64 v[65:66], v[99:100], v[67:68], v[65:66]
	s_waitcnt vmcnt(26) lgkmcnt(0)
	v_fma_f64 v[65:66], v[97:98], v[69:70], v[65:66]
	s_waitcnt vmcnt(21)
	v_fma_f64 v[73:74], v[73:74], v[71:72], v[65:66]
	ds_read_b128 v[65:68], v64 offset:416
	ds_read_b128 v[69:72], v64 offset:432
	s_waitcnt vmcnt(20) lgkmcnt(1)
	v_fma_f64 v[65:66], v[107:108], v[65:66], v[73:74]
	s_waitcnt vmcnt(19)
	v_fma_f64 v[65:66], v[105:106], v[67:68], v[65:66]
	s_waitcnt vmcnt(18) lgkmcnt(0)
	v_fma_f64 v[65:66], v[103:104], v[69:70], v[65:66]
	s_waitcnt vmcnt(13)
	v_fma_f64 v[73:74], v[75:76], v[71:72], v[65:66]
	ds_read_b128 v[65:68], v64 offset:448
	ds_read_b128 v[69:72], v64 offset:464
	s_waitcnt vmcnt(12) lgkmcnt(1)
	v_fma_f64 v[65:66], v[81:82], v[65:66], v[73:74]
	s_waitcnt vmcnt(11)
	v_fma_f64 v[65:66], v[79:80], v[67:68], v[65:66]
	s_waitcnt vmcnt(10) lgkmcnt(0)
	v_fma_f64 v[65:66], v[77:78], v[69:70], v[65:66]
	s_waitcnt vmcnt(5)
	v_fma_f64 v[69:70], v[83:84], v[71:72], v[65:66]
	ds_read_b128 v[65:68], v64 offset:480
	ds_read_b64 v[71:72], v64 offset:496
	s_waitcnt vmcnt(4) lgkmcnt(1)
	v_fma_f64 v[65:66], v[93:94], v[65:66], v[69:70]
	s_waitcnt vmcnt(3)
	v_fma_f64 v[65:66], v[87:88], v[67:68], v[65:66]
	s_waitcnt vmcnt(2) lgkmcnt(0)
	v_fma_f64 v[65:66], v[85:86], v[71:72], v[65:66]
	s_waitcnt vmcnt(0)
	v_add_f64 v[65:66], v[89:90], -v[65:66]
	buffer_store_dword v66, off, s[0:3], 0 offset:28
	buffer_store_dword v65, off, s[0:3], 0 offset:24
	v_cmpx_lt_u32_e32 2, v0
	s_cbranch_execz .LBB94_191
; %bb.190:
	s_clause 0x1
	buffer_load_dword v65, off, s[0:3], 0 offset:16
	buffer_load_dword v66, off, s[0:3], 0 offset:20
	buffer_store_dword v64, off, s[0:3], 0 offset:16
	buffer_store_dword v64, off, s[0:3], 0 offset:20
	s_waitcnt vmcnt(0)
	ds_write_b64 v63, v[65:66]
.LBB94_191:
	s_or_b32 exec_lo, exec_lo, s4
	s_waitcnt lgkmcnt(0)
	s_waitcnt_vscnt null, 0x0
	s_barrier
	buffer_gl0_inv
	s_clause 0x1c
	buffer_load_dword v73, off, s[0:3], 0 offset:24
	buffer_load_dword v74, off, s[0:3], 0 offset:28
	;; [unrolled: 1-line block ×29, first 2 shown]
	ds_read2_b64 v[65:68], v64 offset0:35 offset1:36
	ds_read2_b64 v[69:72], v64 offset0:37 offset1:38
	buffer_load_dword v98, off, s[0:3], 0 offset:140
	s_mov_b32 s4, exec_lo
	s_waitcnt vmcnt(28) lgkmcnt(1)
	v_fma_f64 v[65:66], v[73:74], v[65:66], 0
	s_clause 0x7
	buffer_load_dword v74, off, s[0:3], 0 offset:148
	buffer_load_dword v103, off, s[0:3], 0 offset:168
	buffer_load_dword v105, off, s[0:3], 0 offset:160
	buffer_load_dword v107, off, s[0:3], 0 offset:152
	buffer_load_dword v73, off, s[0:3], 0 offset:144
	buffer_load_dword v108, off, s[0:3], 0 offset:156
	buffer_load_dword v106, off, s[0:3], 0 offset:164
	buffer_load_dword v104, off, s[0:3], 0 offset:172
	s_waitcnt vmcnt(34)
	v_fma_f64 v[65:66], v[75:76], v[67:68], v[65:66]
	s_waitcnt vmcnt(32) lgkmcnt(0)
	v_fma_f64 v[65:66], v[77:78], v[69:70], v[65:66]
	s_waitcnt vmcnt(30)
	v_fma_f64 v[75:76], v[79:80], v[71:72], v[65:66]
	ds_read2_b64 v[65:68], v64 offset0:39 offset1:40
	ds_read2_b64 v[69:72], v64 offset0:41 offset1:42
	s_waitcnt vmcnt(28) lgkmcnt(1)
	v_fma_f64 v[65:66], v[81:82], v[65:66], v[75:76]
	s_clause 0x7
	buffer_load_dword v76, off, s[0:3], 0 offset:180
	buffer_load_dword v77, off, s[0:3], 0 offset:200
	buffer_load_dword v79, off, s[0:3], 0 offset:192
	buffer_load_dword v81, off, s[0:3], 0 offset:184
	buffer_load_dword v75, off, s[0:3], 0 offset:176
	buffer_load_dword v82, off, s[0:3], 0 offset:188
	buffer_load_dword v80, off, s[0:3], 0 offset:196
	buffer_load_dword v78, off, s[0:3], 0 offset:204
	s_waitcnt vmcnt(34)
	v_fma_f64 v[65:66], v[83:84], v[67:68], v[65:66]
	s_waitcnt vmcnt(32) lgkmcnt(0)
	v_fma_f64 v[65:66], v[85:86], v[69:70], v[65:66]
	s_waitcnt vmcnt(27)
	v_fma_f64 v[83:84], v[87:88], v[71:72], v[65:66]
	ds_read2_b64 v[65:68], v64 offset0:43 offset1:44
	ds_read2_b64 v[69:72], v64 offset0:45 offset1:46
	;; [unrolled: 19-line block ×3, first 2 shown]
	s_waitcnt vmcnt(26) lgkmcnt(1)
	v_fma_f64 v[65:66], v[101:102], v[65:66], v[89:90]
	s_clause 0x3
	buffer_load_dword v90, off, s[0:3], 0 offset:244
	buffer_load_dword v89, off, s[0:3], 0 offset:240
	;; [unrolled: 1-line block ×4, first 2 shown]
	s_waitcnt vmcnt(29)
	v_fma_f64 v[65:66], v[99:100], v[67:68], v[65:66]
	s_waitcnt vmcnt(28) lgkmcnt(0)
	v_fma_f64 v[65:66], v[97:98], v[69:70], v[65:66]
	s_waitcnt vmcnt(23)
	v_fma_f64 v[73:74], v[73:74], v[71:72], v[65:66]
	ds_read2_b64 v[65:68], v64 offset0:51 offset1:52
	ds_read2_b64 v[69:72], v64 offset0:53 offset1:54
	s_waitcnt vmcnt(22) lgkmcnt(1)
	v_fma_f64 v[65:66], v[107:108], v[65:66], v[73:74]
	s_waitcnt vmcnt(21)
	v_fma_f64 v[65:66], v[105:106], v[67:68], v[65:66]
	s_waitcnt vmcnt(20) lgkmcnt(0)
	v_fma_f64 v[65:66], v[103:104], v[69:70], v[65:66]
	s_waitcnt vmcnt(15)
	v_fma_f64 v[73:74], v[75:76], v[71:72], v[65:66]
	ds_read2_b64 v[65:68], v64 offset0:55 offset1:56
	ds_read2_b64 v[69:72], v64 offset0:57 offset1:58
	s_waitcnt vmcnt(14) lgkmcnt(1)
	v_fma_f64 v[65:66], v[81:82], v[65:66], v[73:74]
	;; [unrolled: 10-line block ×3, first 2 shown]
	s_waitcnt vmcnt(5)
	v_fma_f64 v[64:65], v[87:88], v[67:68], v[64:65]
	s_waitcnt vmcnt(4) lgkmcnt(0)
	v_fma_f64 v[64:65], v[85:86], v[69:70], v[64:65]
	s_waitcnt vmcnt(2)
	v_fma_f64 v[64:65], v[89:90], v[71:72], v[64:65]
	s_waitcnt vmcnt(0)
	v_add_f64 v[64:65], v[91:92], -v[64:65]
	buffer_store_dword v65, off, s[0:3], 0 offset:20
	buffer_store_dword v64, off, s[0:3], 0 offset:16
	v_cmpx_lt_u32_e32 1, v0
	s_cbranch_execz .LBB94_193
; %bb.192:
	s_clause 0x1
	buffer_load_dword v64, off, s[0:3], 0 offset:8
	buffer_load_dword v65, off, s[0:3], 0 offset:12
	v_mov_b32_e32 v66, 0
	buffer_store_dword v66, off, s[0:3], 0 offset:8
	buffer_store_dword v66, off, s[0:3], 0 offset:12
	s_waitcnt vmcnt(0)
	ds_write_b64 v63, v[64:65]
.LBB94_193:
	s_or_b32 exec_lo, exec_lo, s4
	s_waitcnt lgkmcnt(0)
	s_waitcnt_vscnt null, 0x0
	s_barrier
	buffer_gl0_inv
	s_clause 0x1c
	buffer_load_dword v74, off, s[0:3], 0 offset:16
	buffer_load_dword v75, off, s[0:3], 0 offset:20
	;; [unrolled: 1-line block ×29, first 2 shown]
	v_mov_b32_e32 v65, 0
	buffer_load_dword v99, off, s[0:3], 0 offset:132
	s_mov_b32 s4, exec_lo
	ds_read_b128 v[66:69], v65 offset:272
	ds_read_b128 v[70:73], v65 offset:288
	s_waitcnt vmcnt(28) lgkmcnt(1)
	v_fma_f64 v[66:67], v[74:75], v[66:67], 0
	s_clause 0x7
	buffer_load_dword v75, off, s[0:3], 0 offset:140
	buffer_load_dword v104, off, s[0:3], 0 offset:160
	buffer_load_dword v106, off, s[0:3], 0 offset:152
	buffer_load_dword v108, off, s[0:3], 0 offset:144
	buffer_load_dword v74, off, s[0:3], 0 offset:136
	buffer_load_dword v109, off, s[0:3], 0 offset:148
	buffer_load_dword v107, off, s[0:3], 0 offset:156
	buffer_load_dword v105, off, s[0:3], 0 offset:164
	s_waitcnt vmcnt(34)
	v_fma_f64 v[66:67], v[76:77], v[68:69], v[66:67]
	s_waitcnt vmcnt(32) lgkmcnt(0)
	v_fma_f64 v[66:67], v[78:79], v[70:71], v[66:67]
	s_waitcnt vmcnt(30)
	v_fma_f64 v[76:77], v[80:81], v[72:73], v[66:67]
	ds_read_b128 v[66:69], v65 offset:304
	ds_read_b128 v[70:73], v65 offset:320
	s_waitcnt vmcnt(28) lgkmcnt(1)
	v_fma_f64 v[66:67], v[82:83], v[66:67], v[76:77]
	s_clause 0x7
	buffer_load_dword v77, off, s[0:3], 0 offset:172
	buffer_load_dword v78, off, s[0:3], 0 offset:192
	buffer_load_dword v80, off, s[0:3], 0 offset:184
	buffer_load_dword v82, off, s[0:3], 0 offset:176
	buffer_load_dword v76, off, s[0:3], 0 offset:168
	buffer_load_dword v83, off, s[0:3], 0 offset:180
	buffer_load_dword v81, off, s[0:3], 0 offset:188
	buffer_load_dword v79, off, s[0:3], 0 offset:196
	s_waitcnt vmcnt(34)
	v_fma_f64 v[66:67], v[84:85], v[68:69], v[66:67]
	s_waitcnt vmcnt(32) lgkmcnt(0)
	v_fma_f64 v[66:67], v[86:87], v[70:71], v[66:67]
	s_waitcnt vmcnt(27)
	v_fma_f64 v[84:85], v[88:89], v[72:73], v[66:67]
	;; [unrolled: 19-line block ×3, first 2 shown]
	ds_read_b128 v[66:69], v65 offset:368
	ds_read_b128 v[70:73], v65 offset:384
	s_waitcnt vmcnt(26) lgkmcnt(1)
	v_fma_f64 v[66:67], v[102:103], v[66:67], v[90:91]
	s_clause 0x5
	buffer_load_dword v91, off, s[0:3], 0 offset:236
	buffer_load_dword v92, off, s[0:3], 0 offset:240
	;; [unrolled: 1-line block ×6, first 2 shown]
	s_waitcnt vmcnt(31)
	v_fma_f64 v[66:67], v[100:101], v[68:69], v[66:67]
	s_waitcnt vmcnt(30) lgkmcnt(0)
	v_fma_f64 v[66:67], v[98:99], v[70:71], v[66:67]
	s_waitcnt vmcnt(25)
	v_fma_f64 v[74:75], v[74:75], v[72:73], v[66:67]
	ds_read_b128 v[66:69], v65 offset:400
	ds_read_b128 v[70:73], v65 offset:416
	s_waitcnt vmcnt(24) lgkmcnt(1)
	v_fma_f64 v[66:67], v[108:109], v[66:67], v[74:75]
	s_waitcnt vmcnt(23)
	v_fma_f64 v[66:67], v[106:107], v[68:69], v[66:67]
	s_waitcnt vmcnt(22) lgkmcnt(0)
	v_fma_f64 v[66:67], v[104:105], v[70:71], v[66:67]
	s_waitcnt vmcnt(17)
	v_fma_f64 v[74:75], v[76:77], v[72:73], v[66:67]
	ds_read_b128 v[66:69], v65 offset:432
	ds_read_b128 v[70:73], v65 offset:448
	s_waitcnt vmcnt(16) lgkmcnt(1)
	v_fma_f64 v[66:67], v[82:83], v[66:67], v[74:75]
	;; [unrolled: 10-line block ×3, first 2 shown]
	s_waitcnt vmcnt(7)
	v_fma_f64 v[66:67], v[88:89], v[68:69], v[66:67]
	ds_read_b64 v[68:69], v65 offset:496
	s_waitcnt vmcnt(6) lgkmcnt(1)
	v_fma_f64 v[66:67], v[86:87], v[70:71], v[66:67]
	s_waitcnt vmcnt(3)
	v_fma_f64 v[66:67], v[90:91], v[72:73], v[66:67]
	s_waitcnt vmcnt(2) lgkmcnt(0)
	v_fma_f64 v[66:67], v[92:93], v[68:69], v[66:67]
	s_waitcnt vmcnt(0)
	v_add_f64 v[66:67], v[96:97], -v[66:67]
	buffer_store_dword v67, off, s[0:3], 0 offset:12
	buffer_store_dword v66, off, s[0:3], 0 offset:8
	v_cmpx_ne_u32_e32 0, v0
	s_cbranch_execz .LBB94_195
; %bb.194:
	s_clause 0x1
	buffer_load_dword v66, off, s[0:3], 0
	buffer_load_dword v67, off, s[0:3], 0 offset:4
	buffer_store_dword v65, off, s[0:3], 0
	buffer_store_dword v65, off, s[0:3], 0 offset:4
	s_waitcnt vmcnt(0)
	ds_write_b64 v63, v[66:67]
.LBB94_195:
	s_or_b32 exec_lo, exec_lo, s4
	s_waitcnt lgkmcnt(0)
	s_waitcnt_vscnt null, 0x0
	s_barrier
	buffer_gl0_inv
	s_clause 0x1c
	buffer_load_dword v63, off, s[0:3], 0 offset:8
	buffer_load_dword v64, off, s[0:3], 0 offset:12
	;; [unrolled: 1-line block ×29, first 2 shown]
	ds_read2_b64 v[66:69], v65 offset0:33 offset1:34
	ds_read2_b64 v[70:73], v65 offset0:35 offset1:36
	s_clause 0x8
	buffer_load_dword v97, off, s[0:3], 0 offset:124
	buffer_load_dword v103, off, s[0:3], 0 offset:132
	;; [unrolled: 1-line block ×9, first 2 shown]
	s_and_b32 vcc_lo, exec_lo, s16
	s_waitcnt vmcnt(36) lgkmcnt(1)
	v_fma_f64 v[63:64], v[63:64], v[66:67], 0
	s_waitcnt vmcnt(34)
	v_fma_f64 v[63:64], v[74:75], v[68:69], v[63:64]
	ds_read2_b64 v[66:69], v65 offset0:37 offset1:38
	s_waitcnt vmcnt(32) lgkmcnt(1)
	v_fma_f64 v[63:64], v[76:77], v[70:71], v[63:64]
	s_waitcnt vmcnt(30)
	v_fma_f64 v[63:64], v[78:79], v[72:73], v[63:64]
	ds_read2_b64 v[70:73], v65 offset0:39 offset1:40
	s_waitcnt vmcnt(28) lgkmcnt(1)
	v_fma_f64 v[63:64], v[80:81], v[66:67], v[63:64]
	s_clause 0x7
	buffer_load_dword v75, off, s[0:3], 0 offset:164
	buffer_load_dword v76, off, s[0:3], 0 offset:184
	;; [unrolled: 1-line block ×8, first 2 shown]
	s_waitcnt vmcnt(34)
	v_fma_f64 v[63:64], v[82:83], v[68:69], v[63:64]
	ds_read2_b64 v[66:69], v65 offset0:41 offset1:42
	s_waitcnt vmcnt(32) lgkmcnt(1)
	v_fma_f64 v[63:64], v[84:85], v[70:71], v[63:64]
	s_waitcnt vmcnt(27)
	v_fma_f64 v[63:64], v[86:87], v[72:73], v[63:64]
	ds_read2_b64 v[70:73], v65 offset0:43 offset1:44
	s_waitcnt vmcnt(26) lgkmcnt(1)
	v_fma_f64 v[63:64], v[92:93], v[66:67], v[63:64]
	s_clause 0x7
	buffer_load_dword v83, off, s[0:3], 0 offset:196
	buffer_load_dword v84, off, s[0:3], 0 offset:216
	;; [unrolled: 1-line block ×8, first 2 shown]
	s_waitcnt vmcnt(33)
	v_fma_f64 v[63:64], v[90:91], v[68:69], v[63:64]
	ds_read2_b64 v[66:69], v65 offset0:45 offset1:46
	s_waitcnt vmcnt(32) lgkmcnt(1)
	v_fma_f64 v[63:64], v[88:89], v[70:71], v[63:64]
	s_waitcnt vmcnt(27)
	v_fma_f64 v[63:64], v[94:95], v[72:73], v[63:64]
	ds_read2_b64 v[70:73], v65 offset0:47 offset1:48
	s_waitcnt vmcnt(26) lgkmcnt(1)
	v_fma_f64 v[66:67], v[100:101], v[66:67], v[63:64]
	s_clause 0x5
	buffer_load_dword v89, off, s[0:3], 0 offset:228
	buffer_load_dword v90, off, s[0:3], 0 offset:240
	;; [unrolled: 1-line block ×6, first 2 shown]
	s_waitcnt vmcnt(31)
	v_fma_f64 v[66:67], v[98:99], v[68:69], v[66:67]
	s_waitcnt vmcnt(30) lgkmcnt(0)
	v_fma_f64 v[66:67], v[96:97], v[70:71], v[66:67]
	s_waitcnt vmcnt(25)
	v_fma_f64 v[94:95], v[102:103], v[72:73], v[66:67]
	ds_read2_b64 v[66:69], v65 offset0:49 offset1:50
	s_clause 0x1
	buffer_load_dword v96, off, s[0:3], 0
	buffer_load_dword v97, off, s[0:3], 0 offset:4
	ds_read2_b64 v[70:73], v65 offset0:51 offset1:52
	s_waitcnt vmcnt(26) lgkmcnt(1)
	v_fma_f64 v[66:67], v[108:109], v[66:67], v[94:95]
	s_waitcnt vmcnt(25)
	v_fma_f64 v[66:67], v[106:107], v[68:69], v[66:67]
	s_waitcnt vmcnt(24) lgkmcnt(0)
	v_fma_f64 v[66:67], v[104:105], v[70:71], v[66:67]
	s_waitcnt vmcnt(19)
	v_fma_f64 v[74:75], v[74:75], v[72:73], v[66:67]
	ds_read2_b64 v[66:69], v65 offset0:53 offset1:54
	ds_read2_b64 v[70:73], v65 offset0:55 offset1:56
	s_waitcnt vmcnt(18) lgkmcnt(1)
	v_fma_f64 v[66:67], v[80:81], v[66:67], v[74:75]
	s_waitcnt vmcnt(17)
	v_fma_f64 v[66:67], v[78:79], v[68:69], v[66:67]
	s_waitcnt vmcnt(16) lgkmcnt(0)
	v_fma_f64 v[66:67], v[76:77], v[70:71], v[66:67]
	s_waitcnt vmcnt(11)
	v_fma_f64 v[74:75], v[82:83], v[72:73], v[66:67]
	ds_read2_b64 v[66:69], v65 offset0:57 offset1:58
	;; [unrolled: 10-line block ×3, first 2 shown]
	s_waitcnt vmcnt(3) lgkmcnt(0)
	v_fma_f64 v[65:66], v[63:64], v[65:66], v[69:70]
	s_waitcnt vmcnt(2)
	v_fma_f64 v[65:66], v[90:91], v[67:68], v[65:66]
	s_waitcnt vmcnt(0)
	v_add_f64 v[65:66], v[96:97], -v[65:66]
	buffer_store_dword v66, off, s[0:3], 0 offset:4
	buffer_store_dword v65, off, s[0:3], 0
	s_cbranch_vccz .LBB94_256
; %bb.196:
	v_mov_b32_e32 v0, 0
	global_load_dword v65, v0, s[12:13] offset:116
	s_waitcnt vmcnt(0)
	v_add_nc_u32_e32 v65, -1, v65
	v_cmp_ne_u32_e32 vcc_lo, 29, v65
	s_cbranch_vccz .LBB94_198
; %bb.197:
	v_lshlrev_b32_e32 v65, 3, v65
	s_clause 0x1
	buffer_load_dword v66, v65, s[0:3], 0 offen
	buffer_load_dword v67, v65, s[0:3], 0 offen offset:4
	s_waitcnt vmcnt(1)
	buffer_store_dword v66, off, s[0:3], 0 offset:232
	s_waitcnt vmcnt(0)
	buffer_store_dword v67, off, s[0:3], 0 offset:236
	buffer_store_dword v63, v65, s[0:3], 0 offen
	buffer_store_dword v64, v65, s[0:3], 0 offen offset:4
.LBB94_198:
	global_load_dword v0, v0, s[12:13] offset:112
	s_waitcnt vmcnt(0)
	v_add_nc_u32_e32 v0, -1, v0
	v_cmp_eq_u32_e32 vcc_lo, 28, v0
	s_cbranch_vccnz .LBB94_200
; %bb.199:
	v_lshlrev_b32_e32 v0, 3, v0
	s_clause 0x3
	buffer_load_dword v63, v0, s[0:3], 0 offen
	buffer_load_dword v64, v0, s[0:3], 0 offen offset:4
	buffer_load_dword v65, off, s[0:3], 0 offset:228
	buffer_load_dword v66, off, s[0:3], 0 offset:224
	s_waitcnt vmcnt(3)
	buffer_store_dword v63, off, s[0:3], 0 offset:224
	s_waitcnt vmcnt(2)
	buffer_store_dword v64, off, s[0:3], 0 offset:228
	s_waitcnt vmcnt(1)
	buffer_store_dword v65, v0, s[0:3], 0 offen offset:4
	s_waitcnt vmcnt(0)
	buffer_store_dword v66, v0, s[0:3], 0 offen
.LBB94_200:
	v_mov_b32_e32 v0, 0
	global_load_dword v63, v0, s[12:13] offset:108
	s_waitcnt vmcnt(0)
	v_add_nc_u32_e32 v63, -1, v63
	v_cmp_eq_u32_e32 vcc_lo, 27, v63
	s_cbranch_vccnz .LBB94_202
; %bb.201:
	v_lshlrev_b32_e32 v63, 3, v63
	s_clause 0x3
	buffer_load_dword v64, v63, s[0:3], 0 offen
	buffer_load_dword v65, v63, s[0:3], 0 offen offset:4
	buffer_load_dword v66, off, s[0:3], 0 offset:216
	buffer_load_dword v67, off, s[0:3], 0 offset:220
	s_waitcnt vmcnt(3)
	buffer_store_dword v64, off, s[0:3], 0 offset:216
	s_waitcnt vmcnt(2)
	buffer_store_dword v65, off, s[0:3], 0 offset:220
	s_waitcnt vmcnt(1)
	buffer_store_dword v66, v63, s[0:3], 0 offen
	s_waitcnt vmcnt(0)
	buffer_store_dword v67, v63, s[0:3], 0 offen offset:4
.LBB94_202:
	global_load_dword v0, v0, s[12:13] offset:104
	s_waitcnt vmcnt(0)
	v_add_nc_u32_e32 v0, -1, v0
	v_cmp_eq_u32_e32 vcc_lo, 26, v0
	s_cbranch_vccnz .LBB94_204
; %bb.203:
	v_lshlrev_b32_e32 v0, 3, v0
	s_clause 0x3
	buffer_load_dword v63, v0, s[0:3], 0 offen
	buffer_load_dword v64, v0, s[0:3], 0 offen offset:4
	buffer_load_dword v65, off, s[0:3], 0 offset:212
	buffer_load_dword v66, off, s[0:3], 0 offset:208
	s_waitcnt vmcnt(3)
	buffer_store_dword v63, off, s[0:3], 0 offset:208
	s_waitcnt vmcnt(2)
	buffer_store_dword v64, off, s[0:3], 0 offset:212
	s_waitcnt vmcnt(1)
	buffer_store_dword v65, v0, s[0:3], 0 offen offset:4
	s_waitcnt vmcnt(0)
	buffer_store_dword v66, v0, s[0:3], 0 offen
.LBB94_204:
	v_mov_b32_e32 v0, 0
	global_load_dword v63, v0, s[12:13] offset:100
	s_waitcnt vmcnt(0)
	v_add_nc_u32_e32 v63, -1, v63
	v_cmp_eq_u32_e32 vcc_lo, 25, v63
	s_cbranch_vccnz .LBB94_206
; %bb.205:
	v_lshlrev_b32_e32 v63, 3, v63
	s_clause 0x3
	buffer_load_dword v64, v63, s[0:3], 0 offen
	buffer_load_dword v65, v63, s[0:3], 0 offen offset:4
	buffer_load_dword v66, off, s[0:3], 0 offset:200
	buffer_load_dword v67, off, s[0:3], 0 offset:204
	s_waitcnt vmcnt(3)
	buffer_store_dword v64, off, s[0:3], 0 offset:200
	s_waitcnt vmcnt(2)
	buffer_store_dword v65, off, s[0:3], 0 offset:204
	s_waitcnt vmcnt(1)
	buffer_store_dword v66, v63, s[0:3], 0 offen
	s_waitcnt vmcnt(0)
	buffer_store_dword v67, v63, s[0:3], 0 offen offset:4
.LBB94_206:
	;; [unrolled: 43-line block ×14, first 2 shown]
	global_load_dword v0, v0, s[12:13]
	s_clause 0x1
	buffer_load_dword v65, off, s[0:3], 0
	buffer_load_dword v66, off, s[0:3], 0 offset:4
	s_waitcnt vmcnt(2)
	v_add_nc_u32_e32 v0, -1, v0
	v_cmp_eq_u32_e32 vcc_lo, 0, v0
	s_cbranch_vccnz .LBB94_256
; %bb.255:
	v_lshlrev_b32_e32 v0, 3, v0
	s_clause 0x1
	buffer_load_dword v63, v0, s[0:3], 0 offen offset:4
	buffer_load_dword v64, v0, s[0:3], 0 offen
	s_waitcnt vmcnt(1)
	buffer_store_dword v63, off, s[0:3], 0 offset:4
	s_waitcnt vmcnt(0)
	buffer_store_dword v64, off, s[0:3], 0
	buffer_store_dword v66, v0, s[0:3], 0 offen offset:4
	buffer_store_dword v65, v0, s[0:3], 0 offen
	s_clause 0x1
	buffer_load_dword v65, off, s[0:3], 0
	buffer_load_dword v66, off, s[0:3], 0 offset:4
.LBB94_256:
	s_waitcnt vmcnt(0)
	flat_store_dwordx2 v[1:2], v[65:66]
	s_clause 0x1
	buffer_load_dword v0, off, s[0:3], 0 offset:8
	buffer_load_dword v1, off, s[0:3], 0 offset:12
	s_waitcnt vmcnt(0)
	flat_store_dwordx2 v[3:4], v[0:1]
	s_clause 0x1
	buffer_load_dword v0, off, s[0:3], 0 offset:16
	buffer_load_dword v1, off, s[0:3], 0 offset:20
	;; [unrolled: 5-line block ×30, first 2 shown]
	s_waitcnt vmcnt(0)
	flat_store_dwordx2 v[61:62], v[0:1]
	s_endpgm
	.section	.rodata,"a",@progbits
	.p2align	6, 0x0
	.amdhsa_kernel _ZN9rocsolver6v33100L18getri_kernel_smallILi31EdPKPdEEvT1_iilPiilS6_bb
		.amdhsa_group_segment_fixed_size 504
		.amdhsa_private_segment_fixed_size 256
		.amdhsa_kernarg_size 60
		.amdhsa_user_sgpr_count 6
		.amdhsa_user_sgpr_private_segment_buffer 1
		.amdhsa_user_sgpr_dispatch_ptr 0
		.amdhsa_user_sgpr_queue_ptr 0
		.amdhsa_user_sgpr_kernarg_segment_ptr 1
		.amdhsa_user_sgpr_dispatch_id 0
		.amdhsa_user_sgpr_flat_scratch_init 0
		.amdhsa_user_sgpr_private_segment_size 0
		.amdhsa_wavefront_size32 1
		.amdhsa_uses_dynamic_stack 0
		.amdhsa_system_sgpr_private_segment_wavefront_offset 1
		.amdhsa_system_sgpr_workgroup_id_x 1
		.amdhsa_system_sgpr_workgroup_id_y 0
		.amdhsa_system_sgpr_workgroup_id_z 0
		.amdhsa_system_sgpr_workgroup_info 0
		.amdhsa_system_vgpr_workitem_id 0
		.amdhsa_next_free_vgpr 110
		.amdhsa_next_free_sgpr 20
		.amdhsa_reserve_vcc 1
		.amdhsa_reserve_flat_scratch 0
		.amdhsa_float_round_mode_32 0
		.amdhsa_float_round_mode_16_64 0
		.amdhsa_float_denorm_mode_32 3
		.amdhsa_float_denorm_mode_16_64 3
		.amdhsa_dx10_clamp 1
		.amdhsa_ieee_mode 1
		.amdhsa_fp16_overflow 0
		.amdhsa_workgroup_processor_mode 1
		.amdhsa_memory_ordered 1
		.amdhsa_forward_progress 1
		.amdhsa_shared_vgpr_count 0
		.amdhsa_exception_fp_ieee_invalid_op 0
		.amdhsa_exception_fp_denorm_src 0
		.amdhsa_exception_fp_ieee_div_zero 0
		.amdhsa_exception_fp_ieee_overflow 0
		.amdhsa_exception_fp_ieee_underflow 0
		.amdhsa_exception_fp_ieee_inexact 0
		.amdhsa_exception_int_div_zero 0
	.end_amdhsa_kernel
	.section	.text._ZN9rocsolver6v33100L18getri_kernel_smallILi31EdPKPdEEvT1_iilPiilS6_bb,"axG",@progbits,_ZN9rocsolver6v33100L18getri_kernel_smallILi31EdPKPdEEvT1_iilPiilS6_bb,comdat
.Lfunc_end94:
	.size	_ZN9rocsolver6v33100L18getri_kernel_smallILi31EdPKPdEEvT1_iilPiilS6_bb, .Lfunc_end94-_ZN9rocsolver6v33100L18getri_kernel_smallILi31EdPKPdEEvT1_iilPiilS6_bb
                                        ; -- End function
	.set _ZN9rocsolver6v33100L18getri_kernel_smallILi31EdPKPdEEvT1_iilPiilS6_bb.num_vgpr, 110
	.set _ZN9rocsolver6v33100L18getri_kernel_smallILi31EdPKPdEEvT1_iilPiilS6_bb.num_agpr, 0
	.set _ZN9rocsolver6v33100L18getri_kernel_smallILi31EdPKPdEEvT1_iilPiilS6_bb.numbered_sgpr, 20
	.set _ZN9rocsolver6v33100L18getri_kernel_smallILi31EdPKPdEEvT1_iilPiilS6_bb.num_named_barrier, 0
	.set _ZN9rocsolver6v33100L18getri_kernel_smallILi31EdPKPdEEvT1_iilPiilS6_bb.private_seg_size, 256
	.set _ZN9rocsolver6v33100L18getri_kernel_smallILi31EdPKPdEEvT1_iilPiilS6_bb.uses_vcc, 1
	.set _ZN9rocsolver6v33100L18getri_kernel_smallILi31EdPKPdEEvT1_iilPiilS6_bb.uses_flat_scratch, 0
	.set _ZN9rocsolver6v33100L18getri_kernel_smallILi31EdPKPdEEvT1_iilPiilS6_bb.has_dyn_sized_stack, 0
	.set _ZN9rocsolver6v33100L18getri_kernel_smallILi31EdPKPdEEvT1_iilPiilS6_bb.has_recursion, 0
	.set _ZN9rocsolver6v33100L18getri_kernel_smallILi31EdPKPdEEvT1_iilPiilS6_bb.has_indirect_call, 0
	.section	.AMDGPU.csdata,"",@progbits
; Kernel info:
; codeLenInByte = 32684
; TotalNumSgprs: 22
; NumVgprs: 110
; ScratchSize: 256
; MemoryBound: 0
; FloatMode: 240
; IeeeMode: 1
; LDSByteSize: 504 bytes/workgroup (compile time only)
; SGPRBlocks: 0
; VGPRBlocks: 13
; NumSGPRsForWavesPerEU: 22
; NumVGPRsForWavesPerEU: 110
; Occupancy: 9
; WaveLimiterHint : 1
; COMPUTE_PGM_RSRC2:SCRATCH_EN: 1
; COMPUTE_PGM_RSRC2:USER_SGPR: 6
; COMPUTE_PGM_RSRC2:TRAP_HANDLER: 0
; COMPUTE_PGM_RSRC2:TGID_X_EN: 1
; COMPUTE_PGM_RSRC2:TGID_Y_EN: 0
; COMPUTE_PGM_RSRC2:TGID_Z_EN: 0
; COMPUTE_PGM_RSRC2:TIDIG_COMP_CNT: 0
	.section	.text._ZN9rocsolver6v33100L18getri_kernel_smallILi32EdPKPdEEvT1_iilPiilS6_bb,"axG",@progbits,_ZN9rocsolver6v33100L18getri_kernel_smallILi32EdPKPdEEvT1_iilPiilS6_bb,comdat
	.globl	_ZN9rocsolver6v33100L18getri_kernel_smallILi32EdPKPdEEvT1_iilPiilS6_bb ; -- Begin function _ZN9rocsolver6v33100L18getri_kernel_smallILi32EdPKPdEEvT1_iilPiilS6_bb
	.p2align	8
	.type	_ZN9rocsolver6v33100L18getri_kernel_smallILi32EdPKPdEEvT1_iilPiilS6_bb,@function
_ZN9rocsolver6v33100L18getri_kernel_smallILi32EdPKPdEEvT1_iilPiilS6_bb: ; @_ZN9rocsolver6v33100L18getri_kernel_smallILi32EdPKPdEEvT1_iilPiilS6_bb
; %bb.0:
	s_add_u32 s0, s0, s7
	s_addc_u32 s1, s1, 0
	s_mov_b32 s7, exec_lo
	v_cmpx_gt_u32_e32 32, v0
	s_cbranch_execz .LBB95_138
; %bb.1:
	s_clause 0x2
	s_load_dword s17, s[4:5], 0x38
	s_load_dwordx2 s[12:13], s[4:5], 0x0
	s_load_dwordx4 s[8:11], s[4:5], 0x28
	s_waitcnt lgkmcnt(0)
	s_bitcmp1_b32 s17, 8
	s_cselect_b32 s16, -1, 0
	s_ashr_i32 s7, s6, 31
	s_lshl_b64 s[14:15], s[6:7], 3
	s_add_u32 s12, s12, s14
	s_addc_u32 s13, s13, s15
	s_load_dwordx2 s[14:15], s[12:13], 0x0
	s_bfe_u32 s12, s17, 0x10008
	s_cmp_eq_u32 s12, 0
                                        ; implicit-def: $sgpr12_sgpr13
	s_cbranch_scc1 .LBB95_3
; %bb.2:
	s_clause 0x1
	s_load_dword s12, s[4:5], 0x20
	s_load_dwordx2 s[18:19], s[4:5], 0x18
	s_mul_i32 s13, s8, s7
	s_mul_hi_u32 s17, s8, s6
	s_mul_i32 s9, s9, s6
	s_add_i32 s13, s17, s13
	s_mul_i32 s8, s8, s6
	s_add_i32 s9, s13, s9
	s_lshl_b64 s[8:9], s[8:9], 2
	s_waitcnt lgkmcnt(0)
	s_ashr_i32 s13, s12, 31
	s_add_u32 s17, s18, s8
	s_addc_u32 s18, s19, s9
	s_lshl_b64 s[8:9], s[12:13], 2
	s_add_u32 s12, s17, s8
	s_addc_u32 s13, s18, s9
.LBB95_3:
	s_clause 0x1
	s_load_dwordx2 s[8:9], s[4:5], 0x8
	s_load_dword s17, s[4:5], 0x38
	v_lshlrev_b32_e32 v67, 3, v0
	s_waitcnt lgkmcnt(0)
	s_ashr_i32 s5, s8, 31
	s_mov_b32 s4, s8
	v_add3_u32 v9, s9, s9, v0
	s_lshl_b64 s[4:5], s[4:5], 3
	s_add_u32 s4, s14, s4
	s_addc_u32 s5, s15, s5
	v_add_co_u32 v1, s8, s4, v67
	v_add_co_ci_u32_e64 v2, null, s5, 0, s8
	s_mov_b32 s14, s9
	s_ashr_i32 s15, s9, 31
	v_ashrrev_i32_e32 v10, 31, v9
	flat_load_dwordx2 v[5:6], v[1:2]
	s_lshl_b64 s[14:15], s[14:15], 3
	v_add_nc_u32_e32 v12, s9, v9
	v_add_co_u32 v3, vcc_lo, v1, s14
	v_add_co_ci_u32_e64 v4, null, s15, v2, vcc_lo
	v_ashrrev_i32_e32 v13, 31, v12
	s_bitcmp0_b32 s17, 0
	s_waitcnt vmcnt(0) lgkmcnt(0)
	buffer_store_dword v6, off, s[0:3], 0 offset:4
	buffer_store_dword v5, off, s[0:3], 0
	flat_load_dwordx2 v[7:8], v[3:4]
	v_lshlrev_b64 v[5:6], 3, v[9:10]
	s_waitcnt vmcnt(0) lgkmcnt(0)
	buffer_store_dword v8, off, s[0:3], 0 offset:12
	buffer_store_dword v7, off, s[0:3], 0 offset:8
	v_add_co_u32 v5, vcc_lo, s4, v5
	v_add_co_ci_u32_e64 v6, null, s5, v6, vcc_lo
	v_lshlrev_b64 v[7:8], 3, v[12:13]
	flat_load_dwordx2 v[10:11], v[5:6]
	s_waitcnt vmcnt(0) lgkmcnt(0)
	buffer_store_dword v11, off, s[0:3], 0 offset:20
	buffer_store_dword v10, off, s[0:3], 0 offset:16
	v_add_co_u32 v7, vcc_lo, s4, v7
	v_add_co_ci_u32_e64 v8, null, s5, v8, vcc_lo
	v_add_nc_u32_e32 v11, s9, v12
	flat_load_dwordx2 v[13:14], v[7:8]
	s_waitcnt vmcnt(0) lgkmcnt(0)
	buffer_store_dword v14, off, s[0:3], 0 offset:28
	buffer_store_dword v13, off, s[0:3], 0 offset:24
	v_ashrrev_i32_e32 v12, 31, v11
	v_add_nc_u32_e32 v15, s9, v11
	v_lshlrev_b64 v[9:10], 3, v[11:12]
	v_ashrrev_i32_e32 v16, 31, v15
	v_add_nc_u32_e32 v18, s9, v15
	v_add_co_u32 v9, vcc_lo, s4, v9
	v_add_co_ci_u32_e64 v10, null, s5, v10, vcc_lo
	v_lshlrev_b64 v[11:12], 3, v[15:16]
	v_ashrrev_i32_e32 v19, 31, v18
	flat_load_dwordx2 v[13:14], v[9:10]
	s_waitcnt vmcnt(0) lgkmcnt(0)
	buffer_store_dword v14, off, s[0:3], 0 offset:36
	buffer_store_dword v13, off, s[0:3], 0 offset:32
	v_add_co_u32 v11, vcc_lo, s4, v11
	v_add_co_ci_u32_e64 v12, null, s5, v12, vcc_lo
	v_lshlrev_b64 v[13:14], 3, v[18:19]
	flat_load_dwordx2 v[16:17], v[11:12]
	s_waitcnt vmcnt(0) lgkmcnt(0)
	buffer_store_dword v17, off, s[0:3], 0 offset:44
	buffer_store_dword v16, off, s[0:3], 0 offset:40
	v_add_co_u32 v13, vcc_lo, s4, v13
	v_add_co_ci_u32_e64 v14, null, s5, v14, vcc_lo
	v_add_nc_u32_e32 v17, s9, v18
	flat_load_dwordx2 v[19:20], v[13:14]
	s_waitcnt vmcnt(0) lgkmcnt(0)
	buffer_store_dword v20, off, s[0:3], 0 offset:52
	buffer_store_dword v19, off, s[0:3], 0 offset:48
	v_ashrrev_i32_e32 v18, 31, v17
	v_add_nc_u32_e32 v21, s9, v17
	v_lshlrev_b64 v[15:16], 3, v[17:18]
	v_ashrrev_i32_e32 v22, 31, v21
	v_add_nc_u32_e32 v24, s9, v21
	v_add_co_u32 v15, vcc_lo, s4, v15
	v_add_co_ci_u32_e64 v16, null, s5, v16, vcc_lo
	v_lshlrev_b64 v[17:18], 3, v[21:22]
	v_ashrrev_i32_e32 v25, 31, v24
	flat_load_dwordx2 v[19:20], v[15:16]
	;; [unrolled: 27-line block ×8, first 2 shown]
	s_waitcnt vmcnt(0) lgkmcnt(0)
	buffer_store_dword v56, off, s[0:3], 0 offset:204
	buffer_store_dword v55, off, s[0:3], 0 offset:200
	v_add_co_u32 v53, vcc_lo, s4, v53
	v_add_co_ci_u32_e64 v54, null, s5, v54, vcc_lo
	v_lshlrev_b64 v[55:56], 3, v[60:61]
	flat_load_dwordx2 v[58:59], v[53:54]
	s_waitcnt vmcnt(0) lgkmcnt(0)
	buffer_store_dword v59, off, s[0:3], 0 offset:212
	buffer_store_dword v58, off, s[0:3], 0 offset:208
	v_add_co_u32 v55, vcc_lo, s4, v55
	v_add_co_ci_u32_e64 v56, null, s5, v56, vcc_lo
	v_add_nc_u32_e32 v59, s9, v60
	flat_load_dwordx2 v[61:62], v[55:56]
	s_waitcnt vmcnt(0) lgkmcnt(0)
	buffer_store_dword v62, off, s[0:3], 0 offset:220
	buffer_store_dword v61, off, s[0:3], 0 offset:216
	v_ashrrev_i32_e32 v60, 31, v59
	v_add_nc_u32_e32 v63, s9, v59
	v_lshlrev_b64 v[57:58], 3, v[59:60]
	v_ashrrev_i32_e32 v64, 31, v63
	v_add_nc_u32_e32 v68, s9, v63
	v_add_co_u32 v57, vcc_lo, s4, v57
	v_add_co_ci_u32_e64 v58, null, s5, v58, vcc_lo
	v_lshlrev_b64 v[59:60], 3, v[63:64]
	v_ashrrev_i32_e32 v69, 31, v68
	v_add_nc_u32_e32 v63, s9, v68
	flat_load_dwordx2 v[61:62], v[57:58]
	s_waitcnt vmcnt(0) lgkmcnt(0)
	buffer_store_dword v62, off, s[0:3], 0 offset:228
	buffer_store_dword v61, off, s[0:3], 0 offset:224
	v_add_co_u32 v59, vcc_lo, s4, v59
	v_add_co_ci_u32_e64 v60, null, s5, v60, vcc_lo
	v_lshlrev_b64 v[61:62], 3, v[68:69]
	flat_load_dwordx2 v[64:65], v[59:60]
	s_waitcnt vmcnt(0) lgkmcnt(0)
	buffer_store_dword v65, off, s[0:3], 0 offset:236
	buffer_store_dword v64, off, s[0:3], 0 offset:232
	v_add_co_u32 v61, vcc_lo, s4, v61
	v_add_co_ci_u32_e64 v62, null, s5, v62, vcc_lo
	v_ashrrev_i32_e32 v64, 31, v63
	flat_load_dwordx2 v[65:66], v[61:62]
	s_waitcnt vmcnt(0) lgkmcnt(0)
	buffer_store_dword v66, off, s[0:3], 0 offset:244
	buffer_store_dword v65, off, s[0:3], 0 offset:240
	v_lshlrev_b64 v[63:64], 3, v[63:64]
	v_add_co_u32 v63, vcc_lo, s4, v63
	v_add_co_ci_u32_e64 v64, null, s5, v64, vcc_lo
	s_mov_b32 s5, -1
	flat_load_dwordx2 v[65:66], v[63:64]
	s_waitcnt vmcnt(0) lgkmcnt(0)
	buffer_store_dword v66, off, s[0:3], 0 offset:252
	buffer_store_dword v65, off, s[0:3], 0 offset:248
	s_cbranch_scc1 .LBB95_136
; %bb.4:
	v_cmp_eq_u32_e64 s4, 0, v0
	s_and_saveexec_b32 s5, s4
; %bb.5:
	v_mov_b32_e32 v65, 0
	ds_write_b32 v65, v65 offset:512
; %bb.6:
	s_or_b32 exec_lo, exec_lo, s5
	v_lshl_add_u32 v65, v0, 3, 0
	s_waitcnt lgkmcnt(0)
	s_waitcnt_vscnt null, 0x0
	s_barrier
	buffer_gl0_inv
	s_mov_b32 s8, exec_lo
	s_clause 0x1
	buffer_load_dword v68, v65, s[0:3], 0 offen
	buffer_load_dword v69, v65, s[0:3], 0 offen offset:4
	s_waitcnt vmcnt(0)
	v_cmpx_eq_f64_e32 0, v[68:69]
	s_cbranch_execz .LBB95_10
; %bb.7:
	v_mov_b32_e32 v66, 0
	s_mov_b32 s9, 0
	ds_read_b32 v68, v66 offset:512
	s_waitcnt lgkmcnt(0)
	v_readfirstlane_b32 s5, v68
	v_add_nc_u32_e32 v68, 1, v0
	s_cmp_eq_u32 s5, 0
	v_cmp_gt_i32_e32 vcc_lo, s5, v68
	s_cselect_b32 s14, -1, 0
	s_or_b32 s14, s14, vcc_lo
	s_and_b32 exec_lo, exec_lo, s14
	s_cbranch_execz .LBB95_10
; %bb.8:
	v_mov_b32_e32 v69, s5
.LBB95_9:                               ; =>This Inner Loop Header: Depth=1
	ds_cmpst_rtn_b32 v69, v66, v69, v68 offset:512
	s_waitcnt lgkmcnt(0)
	v_cmp_ne_u32_e32 vcc_lo, 0, v69
	v_cmp_le_i32_e64 s5, v69, v68
	s_and_b32 s5, vcc_lo, s5
	s_and_b32 s5, exec_lo, s5
	s_or_b32 s9, s5, s9
	s_andn2_b32 exec_lo, exec_lo, s9
	s_cbranch_execnz .LBB95_9
.LBB95_10:
	s_or_b32 exec_lo, exec_lo, s8
	v_mov_b32_e32 v66, 0
	s_barrier
	buffer_gl0_inv
	ds_read_b32 v68, v66 offset:512
	s_and_saveexec_b32 s5, s4
	s_cbranch_execz .LBB95_12
; %bb.11:
	s_lshl_b64 s[8:9], s[6:7], 2
	s_add_u32 s8, s10, s8
	s_addc_u32 s9, s11, s9
	s_waitcnt lgkmcnt(0)
	global_store_dword v66, v68, s[8:9]
.LBB95_12:
	s_or_b32 exec_lo, exec_lo, s5
	s_waitcnt lgkmcnt(0)
	v_cmp_ne_u32_e32 vcc_lo, 0, v68
	s_mov_b32 s5, 0
	s_cbranch_vccnz .LBB95_136
; %bb.13:
	s_clause 0x1
	buffer_load_dword v68, v65, s[0:3], 0 offen
	buffer_load_dword v69, v65, s[0:3], 0 offen offset:4
	s_waitcnt vmcnt(0)
	v_div_scale_f64 v[70:71], null, v[68:69], v[68:69], 1.0
	v_div_scale_f64 v[76:77], vcc_lo, 1.0, v[68:69], 1.0
	v_rcp_f64_e32 v[72:73], v[70:71]
	v_fma_f64 v[74:75], -v[70:71], v[72:73], 1.0
	v_fma_f64 v[72:73], v[72:73], v[74:75], v[72:73]
	v_fma_f64 v[74:75], -v[70:71], v[72:73], 1.0
	v_fma_f64 v[72:73], v[72:73], v[74:75], v[72:73]
	v_mul_f64 v[74:75], v[76:77], v[72:73]
	v_fma_f64 v[70:71], -v[70:71], v[74:75], v[76:77]
	v_div_fmas_f64 v[70:71], v[70:71], v[72:73], v[74:75]
	v_div_fixup_f64 v[69:70], v[70:71], v[68:69], 1.0
	v_add_nc_u32_e32 v68, 0x100, v67
	buffer_store_dword v70, v65, s[0:3], 0 offen offset:4
	buffer_store_dword v69, v65, s[0:3], 0 offen
	s_clause 0x1
	buffer_load_dword v72, off, s[0:3], 0 offset:12
	buffer_load_dword v71, off, s[0:3], 0 offset:8
	v_xor_b32_e32 v70, 0x80000000, v70
	s_waitcnt vmcnt(0)
	ds_write2_b64 v67, v[69:70], v[71:72] offset1:32
	s_waitcnt lgkmcnt(0)
	s_waitcnt_vscnt null, 0x0
	s_barrier
	buffer_gl0_inv
	s_and_saveexec_b32 s5, s4
	s_cbranch_execz .LBB95_15
; %bb.14:
	s_clause 0x1
	buffer_load_dword v69, v65, s[0:3], 0 offen
	buffer_load_dword v70, v65, s[0:3], 0 offen offset:4
	ds_read_b64 v[71:72], v68
	v_mov_b32_e32 v66, 0
	ds_read_b64 v[73:74], v66 offset:8
	s_waitcnt vmcnt(0) lgkmcnt(1)
	v_fma_f64 v[69:70], v[69:70], v[71:72], 0
	s_waitcnt lgkmcnt(0)
	v_mul_f64 v[69:70], v[69:70], v[73:74]
	buffer_store_dword v69, off, s[0:3], 0 offset:8
	buffer_store_dword v70, off, s[0:3], 0 offset:12
.LBB95_15:
	s_or_b32 exec_lo, exec_lo, s5
	s_waitcnt_vscnt null, 0x0
	s_barrier
	buffer_gl0_inv
	s_clause 0x1
	buffer_load_dword v69, off, s[0:3], 0 offset:16
	buffer_load_dword v70, off, s[0:3], 0 offset:20
	s_mov_b32 s5, exec_lo
	s_waitcnt vmcnt(0)
	ds_write_b64 v68, v[69:70]
	s_waitcnt lgkmcnt(0)
	s_barrier
	buffer_gl0_inv
	v_cmpx_gt_u32_e32 2, v0
	s_cbranch_execz .LBB95_19
; %bb.16:
	s_clause 0x1
	buffer_load_dword v69, v65, s[0:3], 0 offen
	buffer_load_dword v70, v65, s[0:3], 0 offen offset:4
	ds_read_b64 v[65:66], v68
	s_waitcnt vmcnt(0) lgkmcnt(0)
	v_fma_f64 v[65:66], v[69:70], v[65:66], 0
	s_and_saveexec_b32 s8, s4
	s_cbranch_execz .LBB95_18
; %bb.17:
	s_clause 0x1
	buffer_load_dword v69, off, s[0:3], 0 offset:8
	buffer_load_dword v70, off, s[0:3], 0 offset:12
	v_mov_b32_e32 v71, 0
	ds_read_b64 v[71:72], v71 offset:264
	s_waitcnt vmcnt(0) lgkmcnt(0)
	v_fma_f64 v[65:66], v[69:70], v[71:72], v[65:66]
.LBB95_18:
	s_or_b32 exec_lo, exec_lo, s8
	v_mov_b32_e32 v69, 0
	ds_read_b64 v[69:70], v69 offset:16
	s_waitcnt lgkmcnt(0)
	v_mul_f64 v[65:66], v[65:66], v[69:70]
	buffer_store_dword v66, off, s[0:3], 0 offset:20
	buffer_store_dword v65, off, s[0:3], 0 offset:16
.LBB95_19:
	s_or_b32 exec_lo, exec_lo, s5
	s_waitcnt_vscnt null, 0x0
	s_barrier
	buffer_gl0_inv
	s_clause 0x1
	buffer_load_dword v65, off, s[0:3], 0 offset:24
	buffer_load_dword v66, off, s[0:3], 0 offset:28
	v_add_nc_u32_e32 v69, -1, v0
	s_mov_b32 s4, exec_lo
	s_waitcnt vmcnt(0)
	ds_write_b64 v68, v[65:66]
	s_waitcnt lgkmcnt(0)
	s_barrier
	buffer_gl0_inv
	v_cmpx_gt_u32_e32 3, v0
	s_cbranch_execz .LBB95_23
; %bb.20:
	v_mov_b32_e32 v65, 0
	v_add_nc_u32_e32 v70, -1, v0
	v_add_nc_u32_e32 v71, 0x100, v67
	v_mov_b32_e32 v66, 0
	v_mov_b32_e32 v72, v67
	s_mov_b32 s5, 0
.LBB95_21:                              ; =>This Inner Loop Header: Depth=1
	s_clause 0x1
	buffer_load_dword v73, v72, s[0:3], 0 offen
	buffer_load_dword v74, v72, s[0:3], 0 offen offset:4
	ds_read_b64 v[75:76], v71
	v_add_nc_u32_e32 v70, 1, v70
	v_add_nc_u32_e32 v71, 8, v71
	v_add_nc_u32_e32 v72, 8, v72
	v_cmp_lt_u32_e32 vcc_lo, 1, v70
	s_or_b32 s5, vcc_lo, s5
	s_waitcnt vmcnt(0) lgkmcnt(0)
	v_fma_f64 v[65:66], v[73:74], v[75:76], v[65:66]
	s_andn2_b32 exec_lo, exec_lo, s5
	s_cbranch_execnz .LBB95_21
; %bb.22:
	s_or_b32 exec_lo, exec_lo, s5
	v_mov_b32_e32 v70, 0
	ds_read_b64 v[70:71], v70 offset:24
	s_waitcnt lgkmcnt(0)
	v_mul_f64 v[65:66], v[65:66], v[70:71]
	buffer_store_dword v66, off, s[0:3], 0 offset:28
	buffer_store_dword v65, off, s[0:3], 0 offset:24
.LBB95_23:
	s_or_b32 exec_lo, exec_lo, s4
	s_waitcnt_vscnt null, 0x0
	s_barrier
	buffer_gl0_inv
	s_clause 0x1
	buffer_load_dword v65, off, s[0:3], 0 offset:32
	buffer_load_dword v66, off, s[0:3], 0 offset:36
	s_mov_b32 s4, exec_lo
	s_waitcnt vmcnt(0)
	ds_write_b64 v68, v[65:66]
	s_waitcnt lgkmcnt(0)
	s_barrier
	buffer_gl0_inv
	v_cmpx_gt_u32_e32 4, v0
	s_cbranch_execz .LBB95_27
; %bb.24:
	v_mov_b32_e32 v65, 0
	v_add_nc_u32_e32 v70, -1, v0
	v_add_nc_u32_e32 v71, 0x100, v67
	v_mov_b32_e32 v66, 0
	v_mov_b32_e32 v72, v67
	s_mov_b32 s5, 0
.LBB95_25:                              ; =>This Inner Loop Header: Depth=1
	s_clause 0x1
	buffer_load_dword v73, v72, s[0:3], 0 offen
	buffer_load_dword v74, v72, s[0:3], 0 offen offset:4
	ds_read_b64 v[75:76], v71
	v_add_nc_u32_e32 v70, 1, v70
	v_add_nc_u32_e32 v71, 8, v71
	v_add_nc_u32_e32 v72, 8, v72
	v_cmp_lt_u32_e32 vcc_lo, 2, v70
	s_or_b32 s5, vcc_lo, s5
	s_waitcnt vmcnt(0) lgkmcnt(0)
	v_fma_f64 v[65:66], v[73:74], v[75:76], v[65:66]
	s_andn2_b32 exec_lo, exec_lo, s5
	s_cbranch_execnz .LBB95_25
; %bb.26:
	s_or_b32 exec_lo, exec_lo, s5
	v_mov_b32_e32 v70, 0
	ds_read_b64 v[70:71], v70 offset:32
	s_waitcnt lgkmcnt(0)
	v_mul_f64 v[65:66], v[65:66], v[70:71]
	buffer_store_dword v66, off, s[0:3], 0 offset:36
	buffer_store_dword v65, off, s[0:3], 0 offset:32
.LBB95_27:
	s_or_b32 exec_lo, exec_lo, s4
	s_waitcnt_vscnt null, 0x0
	s_barrier
	buffer_gl0_inv
	s_clause 0x1
	buffer_load_dword v65, off, s[0:3], 0 offset:40
	buffer_load_dword v66, off, s[0:3], 0 offset:44
	;; [unrolled: 45-line block ×20, first 2 shown]
	s_mov_b32 s4, exec_lo
	s_waitcnt vmcnt(0)
	ds_write_b64 v68, v[65:66]
	s_waitcnt lgkmcnt(0)
	s_barrier
	buffer_gl0_inv
	v_cmpx_gt_u32_e32 23, v0
	s_cbranch_execz .LBB95_103
; %bb.100:
	v_mov_b32_e32 v65, 0
	v_add_nc_u32_e32 v70, -1, v0
	v_add_nc_u32_e32 v71, 0x100, v67
	v_mov_b32_e32 v66, 0
	v_mov_b32_e32 v72, v67
	s_mov_b32 s5, 0
.LBB95_101:                             ; =>This Inner Loop Header: Depth=1
	s_clause 0x1
	buffer_load_dword v73, v72, s[0:3], 0 offen
	buffer_load_dword v74, v72, s[0:3], 0 offen offset:4
	ds_read_b64 v[75:76], v71
	v_add_nc_u32_e32 v70, 1, v70
	v_add_nc_u32_e32 v71, 8, v71
	v_add_nc_u32_e32 v72, 8, v72
	v_cmp_lt_u32_e32 vcc_lo, 21, v70
	s_or_b32 s5, vcc_lo, s5
	s_waitcnt vmcnt(0) lgkmcnt(0)
	v_fma_f64 v[65:66], v[73:74], v[75:76], v[65:66]
	s_andn2_b32 exec_lo, exec_lo, s5
	s_cbranch_execnz .LBB95_101
; %bb.102:
	s_or_b32 exec_lo, exec_lo, s5
	v_mov_b32_e32 v70, 0
	ds_read_b64 v[70:71], v70 offset:184
	s_waitcnt lgkmcnt(0)
	v_mul_f64 v[65:66], v[65:66], v[70:71]
	buffer_store_dword v66, off, s[0:3], 0 offset:188
	buffer_store_dword v65, off, s[0:3], 0 offset:184
.LBB95_103:
	s_or_b32 exec_lo, exec_lo, s4
	s_waitcnt_vscnt null, 0x0
	s_barrier
	buffer_gl0_inv
	s_clause 0x1
	buffer_load_dword v65, off, s[0:3], 0 offset:192
	buffer_load_dword v66, off, s[0:3], 0 offset:196
	s_mov_b32 s4, exec_lo
	s_waitcnt vmcnt(0)
	ds_write_b64 v68, v[65:66]
	s_waitcnt lgkmcnt(0)
	s_barrier
	buffer_gl0_inv
	v_cmpx_gt_u32_e32 24, v0
	s_cbranch_execz .LBB95_107
; %bb.104:
	v_mov_b32_e32 v65, 0
	v_add_nc_u32_e32 v70, -1, v0
	v_add_nc_u32_e32 v71, 0x100, v67
	v_mov_b32_e32 v66, 0
	v_mov_b32_e32 v72, v67
	s_mov_b32 s5, 0
.LBB95_105:                             ; =>This Inner Loop Header: Depth=1
	s_clause 0x1
	buffer_load_dword v73, v72, s[0:3], 0 offen
	buffer_load_dword v74, v72, s[0:3], 0 offen offset:4
	ds_read_b64 v[75:76], v71
	v_add_nc_u32_e32 v70, 1, v70
	v_add_nc_u32_e32 v71, 8, v71
	v_add_nc_u32_e32 v72, 8, v72
	v_cmp_lt_u32_e32 vcc_lo, 22, v70
	s_or_b32 s5, vcc_lo, s5
	s_waitcnt vmcnt(0) lgkmcnt(0)
	v_fma_f64 v[65:66], v[73:74], v[75:76], v[65:66]
	s_andn2_b32 exec_lo, exec_lo, s5
	s_cbranch_execnz .LBB95_105
; %bb.106:
	s_or_b32 exec_lo, exec_lo, s5
	v_mov_b32_e32 v70, 0
	ds_read_b64 v[70:71], v70 offset:192
	s_waitcnt lgkmcnt(0)
	v_mul_f64 v[65:66], v[65:66], v[70:71]
	buffer_store_dword v66, off, s[0:3], 0 offset:196
	buffer_store_dword v65, off, s[0:3], 0 offset:192
.LBB95_107:
	s_or_b32 exec_lo, exec_lo, s4
	s_waitcnt_vscnt null, 0x0
	s_barrier
	buffer_gl0_inv
	s_clause 0x1
	buffer_load_dword v65, off, s[0:3], 0 offset:200
	buffer_load_dword v66, off, s[0:3], 0 offset:204
	;; [unrolled: 45-line block ×8, first 2 shown]
	s_mov_b32 s4, exec_lo
	s_waitcnt vmcnt(0)
	ds_write_b64 v68, v[65:66]
	s_waitcnt lgkmcnt(0)
	s_barrier
	buffer_gl0_inv
	v_cmpx_ne_u32_e32 31, v0
	s_cbranch_execz .LBB95_135
; %bb.132:
	v_mov_b32_e32 v65, 0
	v_mov_b32_e32 v66, 0
	s_mov_b32 s5, 0
.LBB95_133:                             ; =>This Inner Loop Header: Depth=1
	s_clause 0x1
	buffer_load_dword v70, v67, s[0:3], 0 offen
	buffer_load_dword v71, v67, s[0:3], 0 offen offset:4
	ds_read_b64 v[72:73], v68
	v_add_nc_u32_e32 v69, 1, v69
	v_add_nc_u32_e32 v68, 8, v68
	;; [unrolled: 1-line block ×3, first 2 shown]
	v_cmp_lt_u32_e32 vcc_lo, 29, v69
	s_or_b32 s5, vcc_lo, s5
	s_waitcnt vmcnt(0) lgkmcnt(0)
	v_fma_f64 v[65:66], v[70:71], v[72:73], v[65:66]
	s_andn2_b32 exec_lo, exec_lo, s5
	s_cbranch_execnz .LBB95_133
; %bb.134:
	s_or_b32 exec_lo, exec_lo, s5
	v_mov_b32_e32 v67, 0
	ds_read_b64 v[67:68], v67 offset:248
	s_waitcnt lgkmcnt(0)
	v_mul_f64 v[65:66], v[65:66], v[67:68]
	buffer_store_dword v66, off, s[0:3], 0 offset:252
	buffer_store_dword v65, off, s[0:3], 0 offset:248
.LBB95_135:
	s_or_b32 exec_lo, exec_lo, s4
	s_mov_b32 s5, -1
	s_waitcnt_vscnt null, 0x0
	s_barrier
	buffer_gl0_inv
.LBB95_136:
	s_and_b32 vcc_lo, exec_lo, s5
	s_cbranch_vccz .LBB95_138
; %bb.137:
	s_lshl_b64 s[4:5], s[6:7], 2
	v_mov_b32_e32 v65, 0
	s_add_u32 s4, s10, s4
	s_addc_u32 s5, s11, s5
	global_load_dword v65, v65, s[4:5]
	s_waitcnt vmcnt(0)
	v_cmp_ne_u32_e32 vcc_lo, 0, v65
	s_cbranch_vccz .LBB95_139
.LBB95_138:
	s_endpgm
.LBB95_139:
	v_lshl_add_u32 v65, v0, 3, 0x100
	s_mov_b32 s4, exec_lo
	v_cmpx_eq_u32_e32 31, v0
	s_cbranch_execz .LBB95_141
; %bb.140:
	s_clause 0x1
	buffer_load_dword v66, off, s[0:3], 0 offset:240
	buffer_load_dword v67, off, s[0:3], 0 offset:244
	v_mov_b32_e32 v68, 0
	buffer_store_dword v68, off, s[0:3], 0 offset:240
	buffer_store_dword v68, off, s[0:3], 0 offset:244
	s_waitcnt vmcnt(0)
	ds_write_b64 v65, v[66:67]
.LBB95_141:
	s_or_b32 exec_lo, exec_lo, s4
	s_waitcnt lgkmcnt(0)
	s_waitcnt_vscnt null, 0x0
	s_barrier
	buffer_gl0_inv
	s_clause 0x3
	buffer_load_dword v67, off, s[0:3], 0 offset:248
	buffer_load_dword v68, off, s[0:3], 0 offset:252
	;; [unrolled: 1-line block ×4, first 2 shown]
	v_mov_b32_e32 v66, 0
	s_mov_b32 s4, exec_lo
	ds_read_b64 v[71:72], v66 offset:504
	s_waitcnt vmcnt(2) lgkmcnt(0)
	v_fma_f64 v[67:68], v[67:68], v[71:72], 0
	s_waitcnt vmcnt(0)
	v_add_f64 v[67:68], v[69:70], -v[67:68]
	buffer_store_dword v67, off, s[0:3], 0 offset:240
	buffer_store_dword v68, off, s[0:3], 0 offset:244
	v_cmpx_lt_u32_e32 29, v0
	s_cbranch_execz .LBB95_143
; %bb.142:
	s_clause 0x1
	buffer_load_dword v67, off, s[0:3], 0 offset:232
	buffer_load_dword v68, off, s[0:3], 0 offset:236
	buffer_store_dword v66, off, s[0:3], 0 offset:232
	buffer_store_dword v66, off, s[0:3], 0 offset:236
	s_waitcnt vmcnt(0)
	ds_write_b64 v65, v[67:68]
.LBB95_143:
	s_or_b32 exec_lo, exec_lo, s4
	s_waitcnt lgkmcnt(0)
	s_waitcnt_vscnt null, 0x0
	s_barrier
	buffer_gl0_inv
	s_clause 0x5
	buffer_load_dword v70, off, s[0:3], 0 offset:240
	buffer_load_dword v71, off, s[0:3], 0 offset:244
	;; [unrolled: 1-line block ×6, first 2 shown]
	ds_read_b128 v[66:69], v66 offset:496
	s_mov_b32 s4, exec_lo
	s_waitcnt vmcnt(4) lgkmcnt(0)
	v_fma_f64 v[66:67], v[70:71], v[66:67], 0
	s_waitcnt vmcnt(2)
	v_fma_f64 v[66:67], v[72:73], v[68:69], v[66:67]
	s_waitcnt vmcnt(0)
	v_add_f64 v[66:67], v[74:75], -v[66:67]
	buffer_store_dword v66, off, s[0:3], 0 offset:232
	buffer_store_dword v67, off, s[0:3], 0 offset:236
	v_cmpx_lt_u32_e32 28, v0
	s_cbranch_execz .LBB95_145
; %bb.144:
	s_clause 0x1
	buffer_load_dword v66, off, s[0:3], 0 offset:224
	buffer_load_dword v67, off, s[0:3], 0 offset:228
	v_mov_b32_e32 v68, 0
	buffer_store_dword v68, off, s[0:3], 0 offset:224
	buffer_store_dword v68, off, s[0:3], 0 offset:228
	s_waitcnt vmcnt(0)
	ds_write_b64 v65, v[66:67]
.LBB95_145:
	s_or_b32 exec_lo, exec_lo, s4
	s_waitcnt lgkmcnt(0)
	s_waitcnt_vscnt null, 0x0
	s_barrier
	buffer_gl0_inv
	s_clause 0x7
	buffer_load_dword v71, off, s[0:3], 0 offset:232
	buffer_load_dword v72, off, s[0:3], 0 offset:236
	;; [unrolled: 1-line block ×8, first 2 shown]
	v_mov_b32_e32 v66, 0
	ds_read2_b64 v[67:70], v66 offset0:61 offset1:62
	ds_read_b64 v[79:80], v66 offset:504
	s_mov_b32 s4, exec_lo
	s_waitcnt vmcnt(6) lgkmcnt(1)
	v_fma_f64 v[67:68], v[71:72], v[67:68], 0
	s_waitcnt vmcnt(4)
	v_fma_f64 v[67:68], v[73:74], v[69:70], v[67:68]
	s_waitcnt vmcnt(2) lgkmcnt(0)
	v_fma_f64 v[67:68], v[75:76], v[79:80], v[67:68]
	s_waitcnt vmcnt(0)
	v_add_f64 v[67:68], v[77:78], -v[67:68]
	buffer_store_dword v67, off, s[0:3], 0 offset:224
	buffer_store_dword v68, off, s[0:3], 0 offset:228
	v_cmpx_lt_u32_e32 27, v0
	s_cbranch_execz .LBB95_147
; %bb.146:
	s_clause 0x1
	buffer_load_dword v67, off, s[0:3], 0 offset:216
	buffer_load_dword v68, off, s[0:3], 0 offset:220
	buffer_store_dword v66, off, s[0:3], 0 offset:216
	buffer_store_dword v66, off, s[0:3], 0 offset:220
	s_waitcnt vmcnt(0)
	ds_write_b64 v65, v[67:68]
.LBB95_147:
	s_or_b32 exec_lo, exec_lo, s4
	s_waitcnt lgkmcnt(0)
	s_waitcnt_vscnt null, 0x0
	s_barrier
	buffer_gl0_inv
	s_clause 0x9
	buffer_load_dword v75, off, s[0:3], 0 offset:224
	buffer_load_dword v76, off, s[0:3], 0 offset:228
	;; [unrolled: 1-line block ×10, first 2 shown]
	ds_read_b128 v[67:70], v66 offset:480
	ds_read_b128 v[71:74], v66 offset:496
	s_mov_b32 s4, exec_lo
	s_waitcnt vmcnt(8) lgkmcnt(1)
	v_fma_f64 v[66:67], v[75:76], v[67:68], 0
	s_waitcnt vmcnt(6)
	v_fma_f64 v[66:67], v[77:78], v[69:70], v[66:67]
	s_waitcnt vmcnt(4) lgkmcnt(0)
	v_fma_f64 v[66:67], v[79:80], v[71:72], v[66:67]
	s_waitcnt vmcnt(2)
	v_fma_f64 v[66:67], v[81:82], v[73:74], v[66:67]
	s_waitcnt vmcnt(0)
	v_add_f64 v[66:67], v[83:84], -v[66:67]
	buffer_store_dword v66, off, s[0:3], 0 offset:216
	buffer_store_dword v67, off, s[0:3], 0 offset:220
	v_cmpx_lt_u32_e32 26, v0
	s_cbranch_execz .LBB95_149
; %bb.148:
	s_clause 0x1
	buffer_load_dword v66, off, s[0:3], 0 offset:208
	buffer_load_dword v67, off, s[0:3], 0 offset:212
	v_mov_b32_e32 v68, 0
	buffer_store_dword v68, off, s[0:3], 0 offset:208
	buffer_store_dword v68, off, s[0:3], 0 offset:212
	s_waitcnt vmcnt(0)
	ds_write_b64 v65, v[66:67]
.LBB95_149:
	s_or_b32 exec_lo, exec_lo, s4
	s_waitcnt lgkmcnt(0)
	s_waitcnt_vscnt null, 0x0
	s_barrier
	buffer_gl0_inv
	s_clause 0xb
	buffer_load_dword v75, off, s[0:3], 0 offset:216
	buffer_load_dword v76, off, s[0:3], 0 offset:220
	buffer_load_dword v77, off, s[0:3], 0 offset:224
	buffer_load_dword v78, off, s[0:3], 0 offset:228
	buffer_load_dword v79, off, s[0:3], 0 offset:232
	buffer_load_dword v80, off, s[0:3], 0 offset:236
	buffer_load_dword v81, off, s[0:3], 0 offset:240
	buffer_load_dword v82, off, s[0:3], 0 offset:244
	buffer_load_dword v83, off, s[0:3], 0 offset:248
	buffer_load_dword v84, off, s[0:3], 0 offset:252
	buffer_load_dword v85, off, s[0:3], 0 offset:208
	buffer_load_dword v86, off, s[0:3], 0 offset:212
	v_mov_b32_e32 v66, 0
	ds_read2_b64 v[67:70], v66 offset0:59 offset1:60
	ds_read2_b64 v[71:74], v66 offset0:61 offset1:62
	s_mov_b32 s4, exec_lo
	s_waitcnt vmcnt(10) lgkmcnt(1)
	v_fma_f64 v[67:68], v[75:76], v[67:68], 0
	s_waitcnt vmcnt(8)
	v_fma_f64 v[67:68], v[77:78], v[69:70], v[67:68]
	ds_read_b64 v[69:70], v66 offset:504
	s_waitcnt vmcnt(6) lgkmcnt(1)
	v_fma_f64 v[67:68], v[79:80], v[71:72], v[67:68]
	s_waitcnt vmcnt(4)
	v_fma_f64 v[67:68], v[81:82], v[73:74], v[67:68]
	s_waitcnt vmcnt(2) lgkmcnt(0)
	v_fma_f64 v[67:68], v[83:84], v[69:70], v[67:68]
	s_waitcnt vmcnt(0)
	v_add_f64 v[67:68], v[85:86], -v[67:68]
	buffer_store_dword v67, off, s[0:3], 0 offset:208
	buffer_store_dword v68, off, s[0:3], 0 offset:212
	v_cmpx_lt_u32_e32 25, v0
	s_cbranch_execz .LBB95_151
; %bb.150:
	s_clause 0x1
	buffer_load_dword v67, off, s[0:3], 0 offset:200
	buffer_load_dword v68, off, s[0:3], 0 offset:204
	buffer_store_dword v66, off, s[0:3], 0 offset:200
	buffer_store_dword v66, off, s[0:3], 0 offset:204
	s_waitcnt vmcnt(0)
	ds_write_b64 v65, v[67:68]
.LBB95_151:
	s_or_b32 exec_lo, exec_lo, s4
	s_waitcnt lgkmcnt(0)
	s_waitcnt_vscnt null, 0x0
	s_barrier
	buffer_gl0_inv
	s_clause 0xd
	buffer_load_dword v75, off, s[0:3], 0 offset:208
	buffer_load_dword v76, off, s[0:3], 0 offset:212
	;; [unrolled: 1-line block ×14, first 2 shown]
	ds_read_b128 v[67:70], v66 offset:464
	ds_read_b128 v[71:74], v66 offset:480
	s_mov_b32 s4, exec_lo
	s_waitcnt vmcnt(12) lgkmcnt(1)
	v_fma_f64 v[67:68], v[75:76], v[67:68], 0
	s_waitcnt vmcnt(10)
	v_fma_f64 v[67:68], v[77:78], v[69:70], v[67:68]
	s_waitcnt vmcnt(8) lgkmcnt(0)
	v_fma_f64 v[67:68], v[79:80], v[71:72], v[67:68]
	s_waitcnt vmcnt(6)
	v_fma_f64 v[70:71], v[81:82], v[73:74], v[67:68]
	ds_read_b128 v[66:69], v66 offset:496
	s_waitcnt vmcnt(4) lgkmcnt(0)
	v_fma_f64 v[66:67], v[83:84], v[66:67], v[70:71]
	s_waitcnt vmcnt(2)
	v_fma_f64 v[66:67], v[85:86], v[68:69], v[66:67]
	s_waitcnt vmcnt(0)
	v_add_f64 v[66:67], v[87:88], -v[66:67]
	buffer_store_dword v66, off, s[0:3], 0 offset:200
	buffer_store_dword v67, off, s[0:3], 0 offset:204
	v_cmpx_lt_u32_e32 24, v0
	s_cbranch_execz .LBB95_153
; %bb.152:
	s_clause 0x1
	buffer_load_dword v66, off, s[0:3], 0 offset:192
	buffer_load_dword v67, off, s[0:3], 0 offset:196
	v_mov_b32_e32 v68, 0
	buffer_store_dword v68, off, s[0:3], 0 offset:192
	buffer_store_dword v68, off, s[0:3], 0 offset:196
	s_waitcnt vmcnt(0)
	ds_write_b64 v65, v[66:67]
.LBB95_153:
	s_or_b32 exec_lo, exec_lo, s4
	s_waitcnt lgkmcnt(0)
	s_waitcnt_vscnt null, 0x0
	s_barrier
	buffer_gl0_inv
	s_clause 0xf
	buffer_load_dword v75, off, s[0:3], 0 offset:200
	buffer_load_dword v76, off, s[0:3], 0 offset:204
	;; [unrolled: 1-line block ×16, first 2 shown]
	v_mov_b32_e32 v66, 0
	ds_read2_b64 v[67:70], v66 offset0:57 offset1:58
	ds_read2_b64 v[71:74], v66 offset0:59 offset1:60
	s_mov_b32 s4, exec_lo
	s_waitcnt vmcnt(14) lgkmcnt(1)
	v_fma_f64 v[67:68], v[75:76], v[67:68], 0
	s_waitcnt vmcnt(12)
	v_fma_f64 v[67:68], v[77:78], v[69:70], v[67:68]
	s_waitcnt vmcnt(10) lgkmcnt(0)
	v_fma_f64 v[67:68], v[79:80], v[71:72], v[67:68]
	s_waitcnt vmcnt(8)
	v_fma_f64 v[71:72], v[81:82], v[73:74], v[67:68]
	ds_read2_b64 v[67:70], v66 offset0:61 offset1:62
	ds_read_b64 v[73:74], v66 offset:504
	s_waitcnt vmcnt(6) lgkmcnt(1)
	v_fma_f64 v[67:68], v[83:84], v[67:68], v[71:72]
	s_waitcnt vmcnt(4)
	v_fma_f64 v[67:68], v[85:86], v[69:70], v[67:68]
	s_waitcnt vmcnt(2) lgkmcnt(0)
	v_fma_f64 v[67:68], v[87:88], v[73:74], v[67:68]
	s_waitcnt vmcnt(0)
	v_add_f64 v[67:68], v[89:90], -v[67:68]
	buffer_store_dword v67, off, s[0:3], 0 offset:192
	buffer_store_dword v68, off, s[0:3], 0 offset:196
	v_cmpx_lt_u32_e32 23, v0
	s_cbranch_execz .LBB95_155
; %bb.154:
	s_clause 0x1
	buffer_load_dword v67, off, s[0:3], 0 offset:184
	buffer_load_dword v68, off, s[0:3], 0 offset:188
	buffer_store_dword v66, off, s[0:3], 0 offset:184
	buffer_store_dword v66, off, s[0:3], 0 offset:188
	s_waitcnt vmcnt(0)
	ds_write_b64 v65, v[67:68]
.LBB95_155:
	s_or_b32 exec_lo, exec_lo, s4
	s_waitcnt lgkmcnt(0)
	s_waitcnt_vscnt null, 0x0
	s_barrier
	buffer_gl0_inv
	s_clause 0x11
	buffer_load_dword v75, off, s[0:3], 0 offset:192
	buffer_load_dword v76, off, s[0:3], 0 offset:196
	;; [unrolled: 1-line block ×18, first 2 shown]
	ds_read_b128 v[67:70], v66 offset:448
	ds_read_b128 v[71:74], v66 offset:464
	s_mov_b32 s4, exec_lo
	s_waitcnt vmcnt(16) lgkmcnt(1)
	v_fma_f64 v[67:68], v[75:76], v[67:68], 0
	s_waitcnt vmcnt(14)
	v_fma_f64 v[67:68], v[77:78], v[69:70], v[67:68]
	s_waitcnt vmcnt(12) lgkmcnt(0)
	v_fma_f64 v[67:68], v[79:80], v[71:72], v[67:68]
	s_waitcnt vmcnt(10)
	v_fma_f64 v[75:76], v[81:82], v[73:74], v[67:68]
	ds_read_b128 v[67:70], v66 offset:480
	ds_read_b128 v[71:74], v66 offset:496
	s_waitcnt vmcnt(8) lgkmcnt(1)
	v_fma_f64 v[66:67], v[83:84], v[67:68], v[75:76]
	s_waitcnt vmcnt(6)
	v_fma_f64 v[66:67], v[85:86], v[69:70], v[66:67]
	s_waitcnt vmcnt(4) lgkmcnt(0)
	v_fma_f64 v[66:67], v[87:88], v[71:72], v[66:67]
	s_waitcnt vmcnt(2)
	v_fma_f64 v[66:67], v[89:90], v[73:74], v[66:67]
	s_waitcnt vmcnt(0)
	v_add_f64 v[66:67], v[91:92], -v[66:67]
	buffer_store_dword v66, off, s[0:3], 0 offset:184
	buffer_store_dword v67, off, s[0:3], 0 offset:188
	v_cmpx_lt_u32_e32 22, v0
	s_cbranch_execz .LBB95_157
; %bb.156:
	s_clause 0x1
	buffer_load_dword v66, off, s[0:3], 0 offset:176
	buffer_load_dword v67, off, s[0:3], 0 offset:180
	v_mov_b32_e32 v68, 0
	buffer_store_dword v68, off, s[0:3], 0 offset:176
	buffer_store_dword v68, off, s[0:3], 0 offset:180
	s_waitcnt vmcnt(0)
	ds_write_b64 v65, v[66:67]
.LBB95_157:
	s_or_b32 exec_lo, exec_lo, s4
	s_waitcnt lgkmcnt(0)
	s_waitcnt_vscnt null, 0x0
	s_barrier
	buffer_gl0_inv
	s_clause 0x13
	buffer_load_dword v71, off, s[0:3], 0 offset:184
	buffer_load_dword v72, off, s[0:3], 0 offset:188
	;; [unrolled: 1-line block ×20, first 2 shown]
	v_mov_b32_e32 v66, 0
	s_mov_b32 s4, exec_lo
	ds_read2_b64 v[67:70], v66 offset0:55 offset1:56
	s_waitcnt vmcnt(18) lgkmcnt(0)
	v_fma_f64 v[67:68], v[71:72], v[67:68], 0
	s_waitcnt vmcnt(16)
	v_fma_f64 v[71:72], v[73:74], v[69:70], v[67:68]
	ds_read2_b64 v[67:70], v66 offset0:57 offset1:58
	s_waitcnt vmcnt(14) lgkmcnt(0)
	v_fma_f64 v[67:68], v[75:76], v[67:68], v[71:72]
	s_waitcnt vmcnt(12)
	v_fma_f64 v[71:72], v[77:78], v[69:70], v[67:68]
	;; [unrolled: 5-line block ×4, first 2 shown]
	ds_read_b64 v[69:70], v66 offset:504
	s_waitcnt vmcnt(2) lgkmcnt(0)
	v_fma_f64 v[67:68], v[87:88], v[69:70], v[67:68]
	s_waitcnt vmcnt(0)
	v_add_f64 v[67:68], v[89:90], -v[67:68]
	buffer_store_dword v67, off, s[0:3], 0 offset:176
	buffer_store_dword v68, off, s[0:3], 0 offset:180
	v_cmpx_lt_u32_e32 21, v0
	s_cbranch_execz .LBB95_159
; %bb.158:
	s_clause 0x1
	buffer_load_dword v67, off, s[0:3], 0 offset:168
	buffer_load_dword v68, off, s[0:3], 0 offset:172
	buffer_store_dword v66, off, s[0:3], 0 offset:168
	buffer_store_dword v66, off, s[0:3], 0 offset:172
	s_waitcnt vmcnt(0)
	ds_write_b64 v65, v[67:68]
.LBB95_159:
	s_or_b32 exec_lo, exec_lo, s4
	s_waitcnt lgkmcnt(0)
	s_waitcnt_vscnt null, 0x0
	s_barrier
	buffer_gl0_inv
	s_clause 0x15
	buffer_load_dword v71, off, s[0:3], 0 offset:176
	buffer_load_dword v72, off, s[0:3], 0 offset:180
	;; [unrolled: 1-line block ×22, first 2 shown]
	ds_read_b128 v[67:70], v66 offset:432
	s_mov_b32 s4, exec_lo
	s_waitcnt vmcnt(20) lgkmcnt(0)
	v_fma_f64 v[67:68], v[71:72], v[67:68], 0
	s_waitcnt vmcnt(18)
	v_fma_f64 v[71:72], v[73:74], v[69:70], v[67:68]
	ds_read_b128 v[67:70], v66 offset:448
	s_waitcnt vmcnt(16) lgkmcnt(0)
	v_fma_f64 v[67:68], v[75:76], v[67:68], v[71:72]
	s_waitcnt vmcnt(14)
	v_fma_f64 v[71:72], v[77:78], v[69:70], v[67:68]
	ds_read_b128 v[67:70], v66 offset:464
	;; [unrolled: 5-line block ×4, first 2 shown]
	s_waitcnt vmcnt(4) lgkmcnt(0)
	v_fma_f64 v[66:67], v[87:88], v[66:67], v[70:71]
	s_waitcnt vmcnt(2)
	v_fma_f64 v[66:67], v[89:90], v[68:69], v[66:67]
	s_waitcnt vmcnt(0)
	v_add_f64 v[66:67], v[91:92], -v[66:67]
	buffer_store_dword v66, off, s[0:3], 0 offset:168
	buffer_store_dword v67, off, s[0:3], 0 offset:172
	v_cmpx_lt_u32_e32 20, v0
	s_cbranch_execz .LBB95_161
; %bb.160:
	s_clause 0x1
	buffer_load_dword v66, off, s[0:3], 0 offset:160
	buffer_load_dword v67, off, s[0:3], 0 offset:164
	v_mov_b32_e32 v68, 0
	buffer_store_dword v68, off, s[0:3], 0 offset:160
	buffer_store_dword v68, off, s[0:3], 0 offset:164
	s_waitcnt vmcnt(0)
	ds_write_b64 v65, v[66:67]
.LBB95_161:
	s_or_b32 exec_lo, exec_lo, s4
	s_waitcnt lgkmcnt(0)
	s_waitcnt_vscnt null, 0x0
	s_barrier
	buffer_gl0_inv
	s_clause 0x17
	buffer_load_dword v71, off, s[0:3], 0 offset:168
	buffer_load_dword v72, off, s[0:3], 0 offset:172
	;; [unrolled: 1-line block ×24, first 2 shown]
	v_mov_b32_e32 v66, 0
	s_mov_b32 s4, exec_lo
	ds_read2_b64 v[67:70], v66 offset0:53 offset1:54
	s_waitcnt vmcnt(22) lgkmcnt(0)
	v_fma_f64 v[67:68], v[71:72], v[67:68], 0
	s_waitcnt vmcnt(20)
	v_fma_f64 v[71:72], v[73:74], v[69:70], v[67:68]
	ds_read2_b64 v[67:70], v66 offset0:55 offset1:56
	s_waitcnt vmcnt(18) lgkmcnt(0)
	v_fma_f64 v[67:68], v[75:76], v[67:68], v[71:72]
	s_waitcnt vmcnt(16)
	v_fma_f64 v[71:72], v[77:78], v[69:70], v[67:68]
	;; [unrolled: 5-line block ×5, first 2 shown]
	ds_read_b64 v[69:70], v66 offset:504
	s_waitcnt vmcnt(2) lgkmcnt(0)
	v_fma_f64 v[67:68], v[91:92], v[69:70], v[67:68]
	s_waitcnt vmcnt(0)
	v_add_f64 v[67:68], v[93:94], -v[67:68]
	buffer_store_dword v68, off, s[0:3], 0 offset:164
	buffer_store_dword v67, off, s[0:3], 0 offset:160
	v_cmpx_lt_u32_e32 19, v0
	s_cbranch_execz .LBB95_163
; %bb.162:
	s_clause 0x1
	buffer_load_dword v67, off, s[0:3], 0 offset:152
	buffer_load_dword v68, off, s[0:3], 0 offset:156
	buffer_store_dword v66, off, s[0:3], 0 offset:152
	buffer_store_dword v66, off, s[0:3], 0 offset:156
	s_waitcnt vmcnt(0)
	ds_write_b64 v65, v[67:68]
.LBB95_163:
	s_or_b32 exec_lo, exec_lo, s4
	s_waitcnt lgkmcnt(0)
	s_waitcnt_vscnt null, 0x0
	s_barrier
	buffer_gl0_inv
	s_clause 0x19
	buffer_load_dword v75, off, s[0:3], 0 offset:160
	buffer_load_dword v76, off, s[0:3], 0 offset:164
	;; [unrolled: 1-line block ×26, first 2 shown]
	ds_read_b128 v[67:70], v66 offset:416
	ds_read_b128 v[71:74], v66 offset:432
	s_mov_b32 s4, exec_lo
	s_waitcnt vmcnt(24) lgkmcnt(1)
	v_fma_f64 v[67:68], v[75:76], v[67:68], 0
	s_waitcnt vmcnt(22)
	v_fma_f64 v[67:68], v[77:78], v[69:70], v[67:68]
	s_waitcnt vmcnt(20) lgkmcnt(0)
	v_fma_f64 v[67:68], v[79:80], v[71:72], v[67:68]
	s_waitcnt vmcnt(18)
	v_fma_f64 v[75:76], v[81:82], v[73:74], v[67:68]
	ds_read_b128 v[67:70], v66 offset:448
	ds_read_b128 v[71:74], v66 offset:464
	s_waitcnt vmcnt(16) lgkmcnt(1)
	v_fma_f64 v[67:68], v[83:84], v[67:68], v[75:76]
	s_waitcnt vmcnt(14)
	v_fma_f64 v[67:68], v[85:86], v[69:70], v[67:68]
	s_waitcnt vmcnt(12) lgkmcnt(0)
	v_fma_f64 v[67:68], v[87:88], v[71:72], v[67:68]
	s_waitcnt vmcnt(7)
	v_fma_f64 v[75:76], v[89:90], v[73:74], v[67:68]
	ds_read_b128 v[67:70], v66 offset:480
	ds_read_b128 v[71:74], v66 offset:496
	s_waitcnt vmcnt(6) lgkmcnt(1)
	v_fma_f64 v[66:67], v[95:96], v[67:68], v[75:76]
	s_waitcnt vmcnt(5)
	v_fma_f64 v[66:67], v[93:94], v[69:70], v[66:67]
	s_waitcnt vmcnt(4) lgkmcnt(0)
	v_fma_f64 v[66:67], v[91:92], v[71:72], v[66:67]
	s_waitcnt vmcnt(2)
	v_fma_f64 v[66:67], v[97:98], v[73:74], v[66:67]
	s_waitcnt vmcnt(0)
	v_add_f64 v[66:67], v[99:100], -v[66:67]
	buffer_store_dword v67, off, s[0:3], 0 offset:156
	buffer_store_dword v66, off, s[0:3], 0 offset:152
	v_cmpx_lt_u32_e32 18, v0
	s_cbranch_execz .LBB95_165
; %bb.164:
	s_clause 0x1
	buffer_load_dword v66, off, s[0:3], 0 offset:144
	buffer_load_dword v67, off, s[0:3], 0 offset:148
	v_mov_b32_e32 v68, 0
	buffer_store_dword v68, off, s[0:3], 0 offset:144
	buffer_store_dword v68, off, s[0:3], 0 offset:148
	s_waitcnt vmcnt(0)
	ds_write_b64 v65, v[66:67]
.LBB95_165:
	s_or_b32 exec_lo, exec_lo, s4
	s_waitcnt lgkmcnt(0)
	s_waitcnt_vscnt null, 0x0
	s_barrier
	buffer_gl0_inv
	s_clause 0x1b
	buffer_load_dword v75, off, s[0:3], 0 offset:152
	buffer_load_dword v76, off, s[0:3], 0 offset:156
	;; [unrolled: 1-line block ×28, first 2 shown]
	v_mov_b32_e32 v66, 0
	ds_read2_b64 v[67:70], v66 offset0:51 offset1:52
	ds_read2_b64 v[71:74], v66 offset0:53 offset1:54
	s_mov_b32 s4, exec_lo
	s_waitcnt vmcnt(26) lgkmcnt(1)
	v_fma_f64 v[67:68], v[75:76], v[67:68], 0
	s_waitcnt vmcnt(24)
	v_fma_f64 v[67:68], v[77:78], v[69:70], v[67:68]
	s_waitcnt vmcnt(22) lgkmcnt(0)
	v_fma_f64 v[67:68], v[79:80], v[71:72], v[67:68]
	s_waitcnt vmcnt(20)
	v_fma_f64 v[75:76], v[81:82], v[73:74], v[67:68]
	ds_read2_b64 v[67:70], v66 offset0:55 offset1:56
	ds_read2_b64 v[71:74], v66 offset0:57 offset1:58
	s_waitcnt vmcnt(18) lgkmcnt(1)
	v_fma_f64 v[67:68], v[83:84], v[67:68], v[75:76]
	s_waitcnt vmcnt(16)
	v_fma_f64 v[67:68], v[85:86], v[69:70], v[67:68]
	s_waitcnt vmcnt(14) lgkmcnt(0)
	v_fma_f64 v[67:68], v[87:88], v[71:72], v[67:68]
	s_waitcnt vmcnt(9)
	v_fma_f64 v[75:76], v[89:90], v[73:74], v[67:68]
	ds_read2_b64 v[67:70], v66 offset0:59 offset1:60
	ds_read2_b64 v[71:74], v66 offset0:61 offset1:62
	s_waitcnt vmcnt(8) lgkmcnt(1)
	v_fma_f64 v[67:68], v[95:96], v[67:68], v[75:76]
	s_waitcnt vmcnt(7)
	v_fma_f64 v[67:68], v[93:94], v[69:70], v[67:68]
	ds_read_b64 v[69:70], v66 offset:504
	s_waitcnt vmcnt(6) lgkmcnt(1)
	v_fma_f64 v[67:68], v[91:92], v[71:72], v[67:68]
	s_waitcnt vmcnt(3)
	v_fma_f64 v[67:68], v[97:98], v[73:74], v[67:68]
	s_waitcnt vmcnt(2) lgkmcnt(0)
	v_fma_f64 v[67:68], v[99:100], v[69:70], v[67:68]
	s_waitcnt vmcnt(0)
	v_add_f64 v[67:68], v[101:102], -v[67:68]
	buffer_store_dword v68, off, s[0:3], 0 offset:148
	buffer_store_dword v67, off, s[0:3], 0 offset:144
	v_cmpx_lt_u32_e32 17, v0
	s_cbranch_execz .LBB95_167
; %bb.166:
	s_clause 0x1
	buffer_load_dword v67, off, s[0:3], 0 offset:136
	buffer_load_dword v68, off, s[0:3], 0 offset:140
	buffer_store_dword v66, off, s[0:3], 0 offset:136
	buffer_store_dword v66, off, s[0:3], 0 offset:140
	s_waitcnt vmcnt(0)
	ds_write_b64 v65, v[67:68]
.LBB95_167:
	s_or_b32 exec_lo, exec_lo, s4
	s_waitcnt lgkmcnt(0)
	s_waitcnt_vscnt null, 0x0
	s_barrier
	buffer_gl0_inv
	s_clause 0x1b
	buffer_load_dword v75, off, s[0:3], 0 offset:144
	buffer_load_dword v76, off, s[0:3], 0 offset:148
	buffer_load_dword v77, off, s[0:3], 0 offset:152
	buffer_load_dword v78, off, s[0:3], 0 offset:156
	buffer_load_dword v79, off, s[0:3], 0 offset:160
	buffer_load_dword v80, off, s[0:3], 0 offset:164
	buffer_load_dword v81, off, s[0:3], 0 offset:168
	buffer_load_dword v82, off, s[0:3], 0 offset:172
	buffer_load_dword v83, off, s[0:3], 0 offset:176
	buffer_load_dword v84, off, s[0:3], 0 offset:180
	buffer_load_dword v85, off, s[0:3], 0 offset:184
	buffer_load_dword v86, off, s[0:3], 0 offset:188
	buffer_load_dword v87, off, s[0:3], 0 offset:192
	buffer_load_dword v88, off, s[0:3], 0 offset:196
	buffer_load_dword v90, off, s[0:3], 0 offset:204
	buffer_load_dword v91, off, s[0:3], 0 offset:224
	buffer_load_dword v93, off, s[0:3], 0 offset:216
	buffer_load_dword v95, off, s[0:3], 0 offset:208
	buffer_load_dword v89, off, s[0:3], 0 offset:200
	buffer_load_dword v96, off, s[0:3], 0 offset:212
	buffer_load_dword v94, off, s[0:3], 0 offset:220
	buffer_load_dword v92, off, s[0:3], 0 offset:228
	buffer_load_dword v98, off, s[0:3], 0 offset:236
	buffer_load_dword v99, off, s[0:3], 0 offset:248
	buffer_load_dword v101, off, s[0:3], 0 offset:240
	buffer_load_dword v97, off, s[0:3], 0 offset:232
	buffer_load_dword v102, off, s[0:3], 0 offset:244
	buffer_load_dword v100, off, s[0:3], 0 offset:252
	ds_read_b128 v[67:70], v66 offset:400
	s_clause 0x1
	buffer_load_dword v103, off, s[0:3], 0 offset:136
	buffer_load_dword v104, off, s[0:3], 0 offset:140
	ds_read_b128 v[71:74], v66 offset:416
	s_mov_b32 s4, exec_lo
	s_waitcnt vmcnt(28) lgkmcnt(1)
	v_fma_f64 v[67:68], v[75:76], v[67:68], 0
	s_waitcnt vmcnt(26)
	v_fma_f64 v[67:68], v[77:78], v[69:70], v[67:68]
	s_waitcnt vmcnt(24) lgkmcnt(0)
	v_fma_f64 v[67:68], v[79:80], v[71:72], v[67:68]
	s_waitcnt vmcnt(22)
	v_fma_f64 v[75:76], v[81:82], v[73:74], v[67:68]
	ds_read_b128 v[67:70], v66 offset:432
	ds_read_b128 v[71:74], v66 offset:448
	s_waitcnt vmcnt(20) lgkmcnt(1)
	v_fma_f64 v[67:68], v[83:84], v[67:68], v[75:76]
	s_waitcnt vmcnt(18)
	v_fma_f64 v[67:68], v[85:86], v[69:70], v[67:68]
	s_waitcnt vmcnt(16) lgkmcnt(0)
	v_fma_f64 v[67:68], v[87:88], v[71:72], v[67:68]
	s_waitcnt vmcnt(11)
	v_fma_f64 v[75:76], v[89:90], v[73:74], v[67:68]
	ds_read_b128 v[67:70], v66 offset:464
	ds_read_b128 v[71:74], v66 offset:480
	s_waitcnt vmcnt(10) lgkmcnt(1)
	v_fma_f64 v[67:68], v[95:96], v[67:68], v[75:76]
	s_waitcnt vmcnt(9)
	v_fma_f64 v[67:68], v[93:94], v[69:70], v[67:68]
	s_waitcnt vmcnt(8) lgkmcnt(0)
	v_fma_f64 v[67:68], v[91:92], v[71:72], v[67:68]
	s_waitcnt vmcnt(4)
	v_fma_f64 v[70:71], v[97:98], v[73:74], v[67:68]
	ds_read_b128 v[66:69], v66 offset:496
	s_waitcnt vmcnt(3) lgkmcnt(0)
	v_fma_f64 v[66:67], v[101:102], v[66:67], v[70:71]
	s_waitcnt vmcnt(2)
	v_fma_f64 v[66:67], v[99:100], v[68:69], v[66:67]
	s_waitcnt vmcnt(0)
	v_add_f64 v[66:67], v[103:104], -v[66:67]
	buffer_store_dword v67, off, s[0:3], 0 offset:140
	buffer_store_dword v66, off, s[0:3], 0 offset:136
	v_cmpx_lt_u32_e32 16, v0
	s_cbranch_execz .LBB95_169
; %bb.168:
	s_clause 0x1
	buffer_load_dword v66, off, s[0:3], 0 offset:128
	buffer_load_dword v67, off, s[0:3], 0 offset:132
	v_mov_b32_e32 v68, 0
	buffer_store_dword v68, off, s[0:3], 0 offset:128
	buffer_store_dword v68, off, s[0:3], 0 offset:132
	s_waitcnt vmcnt(0)
	ds_write_b64 v65, v[66:67]
.LBB95_169:
	s_or_b32 exec_lo, exec_lo, s4
	s_waitcnt lgkmcnt(0)
	s_waitcnt_vscnt null, 0x0
	s_barrier
	buffer_gl0_inv
	s_clause 0x1c
	buffer_load_dword v75, off, s[0:3], 0 offset:136
	buffer_load_dword v76, off, s[0:3], 0 offset:140
	buffer_load_dword v77, off, s[0:3], 0 offset:144
	buffer_load_dword v78, off, s[0:3], 0 offset:148
	buffer_load_dword v79, off, s[0:3], 0 offset:152
	buffer_load_dword v80, off, s[0:3], 0 offset:156
	buffer_load_dword v81, off, s[0:3], 0 offset:160
	buffer_load_dword v82, off, s[0:3], 0 offset:164
	buffer_load_dword v83, off, s[0:3], 0 offset:168
	buffer_load_dword v84, off, s[0:3], 0 offset:172
	buffer_load_dword v85, off, s[0:3], 0 offset:176
	buffer_load_dword v86, off, s[0:3], 0 offset:180
	buffer_load_dword v87, off, s[0:3], 0 offset:184
	buffer_load_dword v88, off, s[0:3], 0 offset:188
	buffer_load_dword v90, off, s[0:3], 0 offset:196
	buffer_load_dword v91, off, s[0:3], 0 offset:216
	buffer_load_dword v93, off, s[0:3], 0 offset:208
	buffer_load_dword v95, off, s[0:3], 0 offset:200
	buffer_load_dword v89, off, s[0:3], 0 offset:192
	buffer_load_dword v96, off, s[0:3], 0 offset:204
	buffer_load_dword v94, off, s[0:3], 0 offset:212
	buffer_load_dword v92, off, s[0:3], 0 offset:220
	buffer_load_dword v98, off, s[0:3], 0 offset:228
	buffer_load_dword v99, off, s[0:3], 0 offset:248
	buffer_load_dword v101, off, s[0:3], 0 offset:240
	buffer_load_dword v103, off, s[0:3], 0 offset:232
	buffer_load_dword v97, off, s[0:3], 0 offset:224
	buffer_load_dword v104, off, s[0:3], 0 offset:236
	buffer_load_dword v102, off, s[0:3], 0 offset:244
	v_mov_b32_e32 v66, 0
	buffer_load_dword v100, off, s[0:3], 0 offset:252
	s_mov_b32 s4, exec_lo
	ds_read2_b64 v[67:70], v66 offset0:49 offset1:50
	ds_read2_b64 v[71:74], v66 offset0:51 offset1:52
	s_waitcnt vmcnt(28) lgkmcnt(1)
	v_fma_f64 v[67:68], v[75:76], v[67:68], 0
	s_clause 0x1
	buffer_load_dword v75, off, s[0:3], 0 offset:128
	buffer_load_dword v76, off, s[0:3], 0 offset:132
	s_waitcnt vmcnt(28)
	v_fma_f64 v[67:68], v[77:78], v[69:70], v[67:68]
	s_waitcnt vmcnt(26) lgkmcnt(0)
	v_fma_f64 v[67:68], v[79:80], v[71:72], v[67:68]
	s_waitcnt vmcnt(24)
	v_fma_f64 v[77:78], v[81:82], v[73:74], v[67:68]
	ds_read2_b64 v[67:70], v66 offset0:53 offset1:54
	ds_read2_b64 v[71:74], v66 offset0:55 offset1:56
	s_waitcnt vmcnt(22) lgkmcnt(1)
	v_fma_f64 v[67:68], v[83:84], v[67:68], v[77:78]
	s_waitcnt vmcnt(20)
	v_fma_f64 v[67:68], v[85:86], v[69:70], v[67:68]
	s_waitcnt vmcnt(18) lgkmcnt(0)
	v_fma_f64 v[67:68], v[87:88], v[71:72], v[67:68]
	s_waitcnt vmcnt(13)
	v_fma_f64 v[77:78], v[89:90], v[73:74], v[67:68]
	ds_read2_b64 v[67:70], v66 offset0:57 offset1:58
	ds_read2_b64 v[71:74], v66 offset0:59 offset1:60
	s_waitcnt vmcnt(12) lgkmcnt(1)
	v_fma_f64 v[67:68], v[95:96], v[67:68], v[77:78]
	s_waitcnt vmcnt(11)
	v_fma_f64 v[67:68], v[93:94], v[69:70], v[67:68]
	s_waitcnt vmcnt(10) lgkmcnt(0)
	v_fma_f64 v[67:68], v[91:92], v[71:72], v[67:68]
	s_waitcnt vmcnt(5)
	v_fma_f64 v[71:72], v[97:98], v[73:74], v[67:68]
	ds_read2_b64 v[67:70], v66 offset0:61 offset1:62
	ds_read_b64 v[73:74], v66 offset:504
	s_waitcnt vmcnt(4) lgkmcnt(1)
	v_fma_f64 v[67:68], v[103:104], v[67:68], v[71:72]
	s_waitcnt vmcnt(3)
	v_fma_f64 v[67:68], v[101:102], v[69:70], v[67:68]
	s_waitcnt vmcnt(2) lgkmcnt(0)
	v_fma_f64 v[67:68], v[99:100], v[73:74], v[67:68]
	s_waitcnt vmcnt(0)
	v_add_f64 v[67:68], v[75:76], -v[67:68]
	buffer_store_dword v68, off, s[0:3], 0 offset:132
	buffer_store_dword v67, off, s[0:3], 0 offset:128
	v_cmpx_lt_u32_e32 15, v0
	s_cbranch_execz .LBB95_171
; %bb.170:
	s_clause 0x1
	buffer_load_dword v67, off, s[0:3], 0 offset:120
	buffer_load_dword v68, off, s[0:3], 0 offset:124
	buffer_store_dword v66, off, s[0:3], 0 offset:120
	buffer_store_dword v66, off, s[0:3], 0 offset:124
	s_waitcnt vmcnt(0)
	ds_write_b64 v65, v[67:68]
.LBB95_171:
	s_or_b32 exec_lo, exec_lo, s4
	s_waitcnt lgkmcnt(0)
	s_waitcnt_vscnt null, 0x0
	s_barrier
	buffer_gl0_inv
	s_clause 0x1c
	buffer_load_dword v75, off, s[0:3], 0 offset:128
	buffer_load_dword v76, off, s[0:3], 0 offset:132
	;; [unrolled: 1-line block ×29, first 2 shown]
	ds_read_b128 v[67:70], v66 offset:384
	ds_read_b128 v[71:74], v66 offset:400
	buffer_load_dword v100, off, s[0:3], 0 offset:244
	s_mov_b32 s4, exec_lo
	s_waitcnt vmcnt(28) lgkmcnt(1)
	v_fma_f64 v[67:68], v[75:76], v[67:68], 0
	s_clause 0x1
	buffer_load_dword v76, off, s[0:3], 0 offset:252
	buffer_load_dword v75, off, s[0:3], 0 offset:248
	s_waitcnt vmcnt(28)
	v_fma_f64 v[67:68], v[77:78], v[69:70], v[67:68]
	s_clause 0x1
	buffer_load_dword v77, off, s[0:3], 0 offset:120
	buffer_load_dword v78, off, s[0:3], 0 offset:124
	s_waitcnt vmcnt(28) lgkmcnt(0)
	v_fma_f64 v[67:68], v[79:80], v[71:72], v[67:68]
	s_waitcnt vmcnt(26)
	v_fma_f64 v[79:80], v[81:82], v[73:74], v[67:68]
	ds_read_b128 v[67:70], v66 offset:416
	ds_read_b128 v[71:74], v66 offset:432
	s_waitcnt vmcnt(24) lgkmcnt(1)
	v_fma_f64 v[67:68], v[83:84], v[67:68], v[79:80]
	s_waitcnt vmcnt(22)
	v_fma_f64 v[67:68], v[85:86], v[69:70], v[67:68]
	s_waitcnt vmcnt(20) lgkmcnt(0)
	v_fma_f64 v[67:68], v[87:88], v[71:72], v[67:68]
	s_waitcnt vmcnt(15)
	v_fma_f64 v[79:80], v[89:90], v[73:74], v[67:68]
	ds_read_b128 v[67:70], v66 offset:448
	ds_read_b128 v[71:74], v66 offset:464
	s_waitcnt vmcnt(14) lgkmcnt(1)
	v_fma_f64 v[67:68], v[95:96], v[67:68], v[79:80]
	s_waitcnt vmcnt(13)
	v_fma_f64 v[67:68], v[93:94], v[69:70], v[67:68]
	;; [unrolled: 10-line block ×3, first 2 shown]
	s_waitcnt vmcnt(4) lgkmcnt(0)
	v_fma_f64 v[66:67], v[99:100], v[71:72], v[66:67]
	s_waitcnt vmcnt(2)
	v_fma_f64 v[66:67], v[75:76], v[73:74], v[66:67]
	s_waitcnt vmcnt(0)
	v_add_f64 v[66:67], v[77:78], -v[66:67]
	buffer_store_dword v67, off, s[0:3], 0 offset:124
	buffer_store_dword v66, off, s[0:3], 0 offset:120
	v_cmpx_lt_u32_e32 14, v0
	s_cbranch_execz .LBB95_173
; %bb.172:
	s_clause 0x1
	buffer_load_dword v66, off, s[0:3], 0 offset:112
	buffer_load_dword v67, off, s[0:3], 0 offset:116
	v_mov_b32_e32 v68, 0
	buffer_store_dword v68, off, s[0:3], 0 offset:112
	buffer_store_dword v68, off, s[0:3], 0 offset:116
	s_waitcnt vmcnt(0)
	ds_write_b64 v65, v[66:67]
.LBB95_173:
	s_or_b32 exec_lo, exec_lo, s4
	s_waitcnt lgkmcnt(0)
	s_waitcnt_vscnt null, 0x0
	s_barrier
	buffer_gl0_inv
	s_clause 0x1c
	buffer_load_dword v75, off, s[0:3], 0 offset:120
	buffer_load_dword v76, off, s[0:3], 0 offset:124
	;; [unrolled: 1-line block ×29, first 2 shown]
	v_mov_b32_e32 v66, 0
	buffer_load_dword v100, off, s[0:3], 0 offset:236
	s_mov_b32 s4, exec_lo
	ds_read2_b64 v[67:70], v66 offset0:47 offset1:48
	ds_read2_b64 v[71:74], v66 offset0:49 offset1:50
	s_waitcnt vmcnt(28) lgkmcnt(1)
	v_fma_f64 v[67:68], v[75:76], v[67:68], 0
	s_clause 0x3
	buffer_load_dword v76, off, s[0:3], 0 offset:244
	buffer_load_dword v105, off, s[0:3], 0 offset:248
	;; [unrolled: 1-line block ×4, first 2 shown]
	s_waitcnt vmcnt(30)
	v_fma_f64 v[67:68], v[77:78], v[69:70], v[67:68]
	s_clause 0x1
	buffer_load_dword v77, off, s[0:3], 0 offset:112
	buffer_load_dword v78, off, s[0:3], 0 offset:116
	s_waitcnt vmcnt(30) lgkmcnt(0)
	v_fma_f64 v[67:68], v[79:80], v[71:72], v[67:68]
	s_waitcnt vmcnt(28)
	v_fma_f64 v[79:80], v[81:82], v[73:74], v[67:68]
	ds_read2_b64 v[67:70], v66 offset0:51 offset1:52
	ds_read2_b64 v[71:74], v66 offset0:53 offset1:54
	s_waitcnt vmcnt(26) lgkmcnt(1)
	v_fma_f64 v[67:68], v[83:84], v[67:68], v[79:80]
	s_waitcnt vmcnt(24)
	v_fma_f64 v[67:68], v[85:86], v[69:70], v[67:68]
	s_waitcnt vmcnt(22) lgkmcnt(0)
	v_fma_f64 v[67:68], v[87:88], v[71:72], v[67:68]
	s_waitcnt vmcnt(17)
	v_fma_f64 v[79:80], v[89:90], v[73:74], v[67:68]
	ds_read2_b64 v[67:70], v66 offset0:55 offset1:56
	ds_read2_b64 v[71:74], v66 offset0:57 offset1:58
	s_waitcnt vmcnt(16) lgkmcnt(1)
	v_fma_f64 v[67:68], v[95:96], v[67:68], v[79:80]
	s_waitcnt vmcnt(15)
	v_fma_f64 v[67:68], v[93:94], v[69:70], v[67:68]
	;; [unrolled: 10-line block ×3, first 2 shown]
	ds_read_b64 v[69:70], v66 offset:504
	s_waitcnt vmcnt(6) lgkmcnt(1)
	v_fma_f64 v[67:68], v[99:100], v[71:72], v[67:68]
	s_waitcnt vmcnt(3)
	v_fma_f64 v[67:68], v[75:76], v[73:74], v[67:68]
	s_waitcnt vmcnt(2) lgkmcnt(0)
	v_fma_f64 v[67:68], v[105:106], v[69:70], v[67:68]
	s_waitcnt vmcnt(0)
	v_add_f64 v[67:68], v[77:78], -v[67:68]
	buffer_store_dword v68, off, s[0:3], 0 offset:116
	buffer_store_dword v67, off, s[0:3], 0 offset:112
	v_cmpx_lt_u32_e32 13, v0
	s_cbranch_execz .LBB95_175
; %bb.174:
	s_clause 0x1
	buffer_load_dword v67, off, s[0:3], 0 offset:104
	buffer_load_dword v68, off, s[0:3], 0 offset:108
	buffer_store_dword v66, off, s[0:3], 0 offset:104
	buffer_store_dword v66, off, s[0:3], 0 offset:108
	s_waitcnt vmcnt(0)
	ds_write_b64 v65, v[67:68]
.LBB95_175:
	s_or_b32 exec_lo, exec_lo, s4
	s_waitcnt lgkmcnt(0)
	s_waitcnt_vscnt null, 0x0
	s_barrier
	buffer_gl0_inv
	s_clause 0x1c
	buffer_load_dword v75, off, s[0:3], 0 offset:112
	buffer_load_dword v76, off, s[0:3], 0 offset:116
	;; [unrolled: 1-line block ×29, first 2 shown]
	ds_read_b128 v[67:70], v66 offset:368
	ds_read_b128 v[71:74], v66 offset:384
	buffer_load_dword v100, off, s[0:3], 0 offset:228
	s_mov_b32 s4, exec_lo
	s_waitcnt vmcnt(28) lgkmcnt(1)
	v_fma_f64 v[67:68], v[75:76], v[67:68], 0
	s_clause 0x5
	buffer_load_dword v76, off, s[0:3], 0 offset:236
	buffer_load_dword v105, off, s[0:3], 0 offset:248
	;; [unrolled: 1-line block ×6, first 2 shown]
	s_waitcnt vmcnt(32)
	v_fma_f64 v[67:68], v[77:78], v[69:70], v[67:68]
	s_waitcnt vmcnt(30) lgkmcnt(0)
	v_fma_f64 v[67:68], v[79:80], v[71:72], v[67:68]
	s_waitcnt vmcnt(28)
	v_fma_f64 v[77:78], v[81:82], v[73:74], v[67:68]
	ds_read_b128 v[67:70], v66 offset:400
	s_clause 0x1
	buffer_load_dword v79, off, s[0:3], 0 offset:104
	buffer_load_dword v80, off, s[0:3], 0 offset:108
	ds_read_b128 v[71:74], v66 offset:416
	s_waitcnt vmcnt(28) lgkmcnt(1)
	v_fma_f64 v[67:68], v[83:84], v[67:68], v[77:78]
	s_waitcnt vmcnt(26)
	v_fma_f64 v[67:68], v[85:86], v[69:70], v[67:68]
	s_waitcnt vmcnt(24) lgkmcnt(0)
	v_fma_f64 v[67:68], v[87:88], v[71:72], v[67:68]
	s_waitcnt vmcnt(19)
	v_fma_f64 v[77:78], v[89:90], v[73:74], v[67:68]
	ds_read_b128 v[67:70], v66 offset:432
	ds_read_b128 v[71:74], v66 offset:448
	s_waitcnt vmcnt(18) lgkmcnt(1)
	v_fma_f64 v[67:68], v[95:96], v[67:68], v[77:78]
	s_waitcnt vmcnt(17)
	v_fma_f64 v[67:68], v[93:94], v[69:70], v[67:68]
	s_waitcnt vmcnt(16) lgkmcnt(0)
	v_fma_f64 v[67:68], v[91:92], v[71:72], v[67:68]
	s_waitcnt vmcnt(11)
	v_fma_f64 v[77:78], v[97:98], v[73:74], v[67:68]
	ds_read_b128 v[67:70], v66 offset:464
	ds_read_b128 v[71:74], v66 offset:480
	s_waitcnt vmcnt(10) lgkmcnt(1)
	v_fma_f64 v[67:68], v[103:104], v[67:68], v[77:78]
	s_waitcnt vmcnt(9)
	v_fma_f64 v[67:68], v[101:102], v[69:70], v[67:68]
	s_waitcnt vmcnt(8) lgkmcnt(0)
	v_fma_f64 v[67:68], v[99:100], v[71:72], v[67:68]
	s_waitcnt vmcnt(4)
	v_fma_f64 v[70:71], v[75:76], v[73:74], v[67:68]
	ds_read_b128 v[66:69], v66 offset:496
	s_waitcnt vmcnt(3) lgkmcnt(0)
	v_fma_f64 v[66:67], v[107:108], v[66:67], v[70:71]
	s_waitcnt vmcnt(2)
	v_fma_f64 v[66:67], v[105:106], v[68:69], v[66:67]
	s_waitcnt vmcnt(0)
	v_add_f64 v[66:67], v[79:80], -v[66:67]
	buffer_store_dword v67, off, s[0:3], 0 offset:108
	buffer_store_dword v66, off, s[0:3], 0 offset:104
	v_cmpx_lt_u32_e32 12, v0
	s_cbranch_execz .LBB95_177
; %bb.176:
	s_clause 0x1
	buffer_load_dword v66, off, s[0:3], 0 offset:96
	buffer_load_dword v67, off, s[0:3], 0 offset:100
	v_mov_b32_e32 v68, 0
	buffer_store_dword v68, off, s[0:3], 0 offset:96
	buffer_store_dword v68, off, s[0:3], 0 offset:100
	s_waitcnt vmcnt(0)
	ds_write_b64 v65, v[66:67]
.LBB95_177:
	s_or_b32 exec_lo, exec_lo, s4
	s_waitcnt lgkmcnt(0)
	s_waitcnt_vscnt null, 0x0
	s_barrier
	buffer_gl0_inv
	s_clause 0x1c
	buffer_load_dword v75, off, s[0:3], 0 offset:104
	buffer_load_dword v76, off, s[0:3], 0 offset:108
	;; [unrolled: 1-line block ×29, first 2 shown]
	v_mov_b32_e32 v66, 0
	buffer_load_dword v100, off, s[0:3], 0 offset:220
	s_mov_b32 s4, exec_lo
	ds_read2_b64 v[67:70], v66 offset0:45 offset1:46
	ds_read2_b64 v[71:74], v66 offset0:47 offset1:48
	s_waitcnt vmcnt(28) lgkmcnt(1)
	v_fma_f64 v[67:68], v[75:76], v[67:68], 0
	s_clause 0x7
	buffer_load_dword v76, off, s[0:3], 0 offset:228
	buffer_load_dword v105, off, s[0:3], 0 offset:248
	;; [unrolled: 1-line block ×8, first 2 shown]
	s_waitcnt vmcnt(34)
	v_fma_f64 v[67:68], v[77:78], v[69:70], v[67:68]
	s_waitcnt vmcnt(32) lgkmcnt(0)
	v_fma_f64 v[67:68], v[79:80], v[71:72], v[67:68]
	s_waitcnt vmcnt(30)
	v_fma_f64 v[77:78], v[81:82], v[73:74], v[67:68]
	ds_read2_b64 v[67:70], v66 offset0:49 offset1:50
	ds_read2_b64 v[71:74], v66 offset0:51 offset1:52
	s_waitcnt vmcnt(28) lgkmcnt(1)
	v_fma_f64 v[67:68], v[83:84], v[67:68], v[77:78]
	s_clause 0x1
	buffer_load_dword v77, off, s[0:3], 0 offset:96
	buffer_load_dword v78, off, s[0:3], 0 offset:100
	s_waitcnt vmcnt(28)
	v_fma_f64 v[67:68], v[85:86], v[69:70], v[67:68]
	s_waitcnt vmcnt(26) lgkmcnt(0)
	v_fma_f64 v[67:68], v[87:88], v[71:72], v[67:68]
	s_waitcnt vmcnt(21)
	v_fma_f64 v[79:80], v[89:90], v[73:74], v[67:68]
	ds_read2_b64 v[67:70], v66 offset0:53 offset1:54
	ds_read2_b64 v[71:74], v66 offset0:55 offset1:56
	s_waitcnt vmcnt(20) lgkmcnt(1)
	v_fma_f64 v[67:68], v[95:96], v[67:68], v[79:80]
	s_waitcnt vmcnt(19)
	v_fma_f64 v[67:68], v[93:94], v[69:70], v[67:68]
	s_waitcnt vmcnt(18) lgkmcnt(0)
	v_fma_f64 v[67:68], v[91:92], v[71:72], v[67:68]
	s_waitcnt vmcnt(13)
	v_fma_f64 v[79:80], v[97:98], v[73:74], v[67:68]
	ds_read2_b64 v[67:70], v66 offset0:57 offset1:58
	ds_read2_b64 v[71:74], v66 offset0:59 offset1:60
	s_waitcnt vmcnt(12) lgkmcnt(1)
	v_fma_f64 v[67:68], v[103:104], v[67:68], v[79:80]
	s_waitcnt vmcnt(11)
	v_fma_f64 v[67:68], v[101:102], v[69:70], v[67:68]
	s_waitcnt vmcnt(10) lgkmcnt(0)
	v_fma_f64 v[67:68], v[99:100], v[71:72], v[67:68]
	s_waitcnt vmcnt(5)
	v_fma_f64 v[71:72], v[75:76], v[73:74], v[67:68]
	ds_read2_b64 v[67:70], v66 offset0:61 offset1:62
	ds_read_b64 v[73:74], v66 offset:504
	s_waitcnt vmcnt(4) lgkmcnt(1)
	v_fma_f64 v[67:68], v[109:110], v[67:68], v[71:72]
	s_waitcnt vmcnt(3)
	v_fma_f64 v[67:68], v[107:108], v[69:70], v[67:68]
	s_waitcnt vmcnt(2) lgkmcnt(0)
	v_fma_f64 v[67:68], v[105:106], v[73:74], v[67:68]
	s_waitcnt vmcnt(0)
	v_add_f64 v[67:68], v[77:78], -v[67:68]
	buffer_store_dword v68, off, s[0:3], 0 offset:100
	buffer_store_dword v67, off, s[0:3], 0 offset:96
	v_cmpx_lt_u32_e32 11, v0
	s_cbranch_execz .LBB95_179
; %bb.178:
	s_clause 0x1
	buffer_load_dword v67, off, s[0:3], 0 offset:88
	buffer_load_dword v68, off, s[0:3], 0 offset:92
	buffer_store_dword v66, off, s[0:3], 0 offset:88
	buffer_store_dword v66, off, s[0:3], 0 offset:92
	s_waitcnt vmcnt(0)
	ds_write_b64 v65, v[67:68]
.LBB95_179:
	s_or_b32 exec_lo, exec_lo, s4
	s_waitcnt lgkmcnt(0)
	s_waitcnt_vscnt null, 0x0
	s_barrier
	buffer_gl0_inv
	s_clause 0x1c
	buffer_load_dword v75, off, s[0:3], 0 offset:96
	buffer_load_dword v76, off, s[0:3], 0 offset:100
	;; [unrolled: 1-line block ×29, first 2 shown]
	ds_read_b128 v[67:70], v66 offset:352
	ds_read_b128 v[71:74], v66 offset:368
	buffer_load_dword v100, off, s[0:3], 0 offset:212
	s_mov_b32 s4, exec_lo
	s_waitcnt vmcnt(28) lgkmcnt(1)
	v_fma_f64 v[67:68], v[75:76], v[67:68], 0
	s_clause 0x7
	buffer_load_dword v76, off, s[0:3], 0 offset:220
	buffer_load_dword v105, off, s[0:3], 0 offset:240
	;; [unrolled: 1-line block ×8, first 2 shown]
	s_waitcnt vmcnt(34)
	v_fma_f64 v[67:68], v[77:78], v[69:70], v[67:68]
	s_waitcnt vmcnt(32) lgkmcnt(0)
	v_fma_f64 v[67:68], v[79:80], v[71:72], v[67:68]
	s_waitcnt vmcnt(30)
	v_fma_f64 v[77:78], v[81:82], v[73:74], v[67:68]
	ds_read_b128 v[67:70], v66 offset:384
	ds_read_b128 v[71:74], v66 offset:400
	s_waitcnt vmcnt(28) lgkmcnt(1)
	v_fma_f64 v[67:68], v[83:84], v[67:68], v[77:78]
	s_clause 0x3
	buffer_load_dword v78, off, s[0:3], 0 offset:252
	buffer_load_dword v77, off, s[0:3], 0 offset:248
	buffer_load_dword v79, off, s[0:3], 0 offset:88
	buffer_load_dword v80, off, s[0:3], 0 offset:92
	s_waitcnt vmcnt(30)
	v_fma_f64 v[67:68], v[85:86], v[69:70], v[67:68]
	s_waitcnt vmcnt(28) lgkmcnt(0)
	v_fma_f64 v[67:68], v[87:88], v[71:72], v[67:68]
	s_waitcnt vmcnt(23)
	v_fma_f64 v[81:82], v[89:90], v[73:74], v[67:68]
	ds_read_b128 v[67:70], v66 offset:416
	ds_read_b128 v[71:74], v66 offset:432
	s_waitcnt vmcnt(22) lgkmcnt(1)
	v_fma_f64 v[67:68], v[95:96], v[67:68], v[81:82]
	s_waitcnt vmcnt(21)
	v_fma_f64 v[67:68], v[93:94], v[69:70], v[67:68]
	s_waitcnt vmcnt(20) lgkmcnt(0)
	v_fma_f64 v[67:68], v[91:92], v[71:72], v[67:68]
	s_waitcnt vmcnt(15)
	v_fma_f64 v[81:82], v[97:98], v[73:74], v[67:68]
	ds_read_b128 v[67:70], v66 offset:448
	ds_read_b128 v[71:74], v66 offset:464
	s_waitcnt vmcnt(14) lgkmcnt(1)
	v_fma_f64 v[67:68], v[103:104], v[67:68], v[81:82]
	;; [unrolled: 10-line block ×3, first 2 shown]
	s_waitcnt vmcnt(5)
	v_fma_f64 v[66:67], v[107:108], v[69:70], v[66:67]
	s_waitcnt vmcnt(4) lgkmcnt(0)
	v_fma_f64 v[66:67], v[105:106], v[71:72], v[66:67]
	s_waitcnt vmcnt(2)
	v_fma_f64 v[66:67], v[77:78], v[73:74], v[66:67]
	s_waitcnt vmcnt(0)
	v_add_f64 v[66:67], v[79:80], -v[66:67]
	buffer_store_dword v67, off, s[0:3], 0 offset:92
	buffer_store_dword v66, off, s[0:3], 0 offset:88
	v_cmpx_lt_u32_e32 10, v0
	s_cbranch_execz .LBB95_181
; %bb.180:
	s_clause 0x1
	buffer_load_dword v66, off, s[0:3], 0 offset:80
	buffer_load_dword v67, off, s[0:3], 0 offset:84
	v_mov_b32_e32 v68, 0
	buffer_store_dword v68, off, s[0:3], 0 offset:80
	buffer_store_dword v68, off, s[0:3], 0 offset:84
	s_waitcnt vmcnt(0)
	ds_write_b64 v65, v[66:67]
.LBB95_181:
	s_or_b32 exec_lo, exec_lo, s4
	s_waitcnt lgkmcnt(0)
	s_waitcnt_vscnt null, 0x0
	s_barrier
	buffer_gl0_inv
	s_clause 0x1c
	buffer_load_dword v75, off, s[0:3], 0 offset:88
	buffer_load_dword v76, off, s[0:3], 0 offset:92
	;; [unrolled: 1-line block ×29, first 2 shown]
	v_mov_b32_e32 v66, 0
	buffer_load_dword v100, off, s[0:3], 0 offset:204
	s_mov_b32 s4, exec_lo
	ds_read2_b64 v[67:70], v66 offset0:43 offset1:44
	ds_read2_b64 v[71:74], v66 offset0:45 offset1:46
	s_waitcnt vmcnt(28) lgkmcnt(1)
	v_fma_f64 v[67:68], v[75:76], v[67:68], 0
	s_clause 0x7
	buffer_load_dword v76, off, s[0:3], 0 offset:212
	buffer_load_dword v105, off, s[0:3], 0 offset:232
	;; [unrolled: 1-line block ×8, first 2 shown]
	s_waitcnt vmcnt(34)
	v_fma_f64 v[67:68], v[77:78], v[69:70], v[67:68]
	s_waitcnt vmcnt(32) lgkmcnt(0)
	v_fma_f64 v[67:68], v[79:80], v[71:72], v[67:68]
	s_waitcnt vmcnt(30)
	v_fma_f64 v[77:78], v[81:82], v[73:74], v[67:68]
	ds_read2_b64 v[67:70], v66 offset0:47 offset1:48
	ds_read2_b64 v[71:74], v66 offset0:49 offset1:50
	s_waitcnt vmcnt(28) lgkmcnt(1)
	v_fma_f64 v[67:68], v[83:84], v[67:68], v[77:78]
	s_clause 0x5
	buffer_load_dword v78, off, s[0:3], 0 offset:244
	buffer_load_dword v79, off, s[0:3], 0 offset:248
	;; [unrolled: 1-line block ×6, first 2 shown]
	s_waitcnt vmcnt(32)
	v_fma_f64 v[67:68], v[85:86], v[69:70], v[67:68]
	s_waitcnt vmcnt(30) lgkmcnt(0)
	v_fma_f64 v[67:68], v[87:88], v[71:72], v[67:68]
	s_waitcnt vmcnt(25)
	v_fma_f64 v[83:84], v[89:90], v[73:74], v[67:68]
	ds_read2_b64 v[67:70], v66 offset0:51 offset1:52
	ds_read2_b64 v[71:74], v66 offset0:53 offset1:54
	s_waitcnt vmcnt(24) lgkmcnt(1)
	v_fma_f64 v[67:68], v[95:96], v[67:68], v[83:84]
	s_waitcnt vmcnt(23)
	v_fma_f64 v[67:68], v[93:94], v[69:70], v[67:68]
	s_waitcnt vmcnt(22) lgkmcnt(0)
	v_fma_f64 v[67:68], v[91:92], v[71:72], v[67:68]
	s_waitcnt vmcnt(17)
	v_fma_f64 v[83:84], v[97:98], v[73:74], v[67:68]
	ds_read2_b64 v[67:70], v66 offset0:55 offset1:56
	ds_read2_b64 v[71:74], v66 offset0:57 offset1:58
	s_waitcnt vmcnt(16) lgkmcnt(1)
	v_fma_f64 v[67:68], v[103:104], v[67:68], v[83:84]
	s_waitcnt vmcnt(15)
	v_fma_f64 v[67:68], v[101:102], v[69:70], v[67:68]
	s_waitcnt vmcnt(14) lgkmcnt(0)
	v_fma_f64 v[67:68], v[99:100], v[71:72], v[67:68]
	s_waitcnt vmcnt(9)
	v_fma_f64 v[75:76], v[75:76], v[73:74], v[67:68]
	ds_read2_b64 v[67:70], v66 offset0:59 offset1:60
	ds_read2_b64 v[71:74], v66 offset0:61 offset1:62
	s_waitcnt vmcnt(8) lgkmcnt(1)
	v_fma_f64 v[67:68], v[109:110], v[67:68], v[75:76]
	s_waitcnt vmcnt(7)
	v_fma_f64 v[67:68], v[107:108], v[69:70], v[67:68]
	ds_read_b64 v[69:70], v66 offset:504
	s_waitcnt vmcnt(6) lgkmcnt(1)
	v_fma_f64 v[67:68], v[105:106], v[71:72], v[67:68]
	s_waitcnt vmcnt(3)
	v_fma_f64 v[67:68], v[77:78], v[73:74], v[67:68]
	s_waitcnt vmcnt(2) lgkmcnt(0)
	v_fma_f64 v[67:68], v[79:80], v[69:70], v[67:68]
	s_waitcnt vmcnt(0)
	v_add_f64 v[67:68], v[81:82], -v[67:68]
	buffer_store_dword v68, off, s[0:3], 0 offset:84
	buffer_store_dword v67, off, s[0:3], 0 offset:80
	v_cmpx_lt_u32_e32 9, v0
	s_cbranch_execz .LBB95_183
; %bb.182:
	s_clause 0x1
	buffer_load_dword v67, off, s[0:3], 0 offset:72
	buffer_load_dword v68, off, s[0:3], 0 offset:76
	buffer_store_dword v66, off, s[0:3], 0 offset:72
	buffer_store_dword v66, off, s[0:3], 0 offset:76
	s_waitcnt vmcnt(0)
	ds_write_b64 v65, v[67:68]
.LBB95_183:
	s_or_b32 exec_lo, exec_lo, s4
	s_waitcnt lgkmcnt(0)
	s_waitcnt_vscnt null, 0x0
	s_barrier
	buffer_gl0_inv
	s_clause 0x1c
	buffer_load_dword v75, off, s[0:3], 0 offset:80
	buffer_load_dword v76, off, s[0:3], 0 offset:84
	;; [unrolled: 1-line block ×29, first 2 shown]
	ds_read_b128 v[67:70], v66 offset:336
	ds_read_b128 v[71:74], v66 offset:352
	buffer_load_dword v100, off, s[0:3], 0 offset:196
	s_mov_b32 s4, exec_lo
	s_waitcnt vmcnt(28) lgkmcnt(1)
	v_fma_f64 v[67:68], v[75:76], v[67:68], 0
	s_clause 0x7
	buffer_load_dword v76, off, s[0:3], 0 offset:204
	buffer_load_dword v105, off, s[0:3], 0 offset:224
	;; [unrolled: 1-line block ×8, first 2 shown]
	s_waitcnt vmcnt(34)
	v_fma_f64 v[67:68], v[77:78], v[69:70], v[67:68]
	s_waitcnt vmcnt(32) lgkmcnt(0)
	v_fma_f64 v[67:68], v[79:80], v[71:72], v[67:68]
	s_waitcnt vmcnt(30)
	v_fma_f64 v[77:78], v[81:82], v[73:74], v[67:68]
	ds_read_b128 v[67:70], v66 offset:368
	ds_read_b128 v[71:74], v66 offset:384
	s_waitcnt vmcnt(28) lgkmcnt(1)
	v_fma_f64 v[67:68], v[83:84], v[67:68], v[77:78]
	s_clause 0x5
	buffer_load_dword v78, off, s[0:3], 0 offset:236
	buffer_load_dword v79, off, s[0:3], 0 offset:248
	;; [unrolled: 1-line block ×6, first 2 shown]
	s_waitcnt vmcnt(32)
	v_fma_f64 v[67:68], v[85:86], v[69:70], v[67:68]
	s_waitcnt vmcnt(30) lgkmcnt(0)
	v_fma_f64 v[67:68], v[87:88], v[71:72], v[67:68]
	s_waitcnt vmcnt(25)
	v_fma_f64 v[83:84], v[89:90], v[73:74], v[67:68]
	ds_read_b128 v[67:70], v66 offset:400
	s_clause 0x1
	buffer_load_dword v85, off, s[0:3], 0 offset:72
	buffer_load_dword v86, off, s[0:3], 0 offset:76
	ds_read_b128 v[71:74], v66 offset:416
	s_waitcnt vmcnt(26) lgkmcnt(1)
	v_fma_f64 v[67:68], v[95:96], v[67:68], v[83:84]
	s_waitcnt vmcnt(25)
	v_fma_f64 v[67:68], v[93:94], v[69:70], v[67:68]
	s_waitcnt vmcnt(24) lgkmcnt(0)
	v_fma_f64 v[67:68], v[91:92], v[71:72], v[67:68]
	s_waitcnt vmcnt(19)
	v_fma_f64 v[83:84], v[97:98], v[73:74], v[67:68]
	ds_read_b128 v[67:70], v66 offset:432
	ds_read_b128 v[71:74], v66 offset:448
	s_waitcnt vmcnt(18) lgkmcnt(1)
	v_fma_f64 v[67:68], v[103:104], v[67:68], v[83:84]
	s_waitcnt vmcnt(17)
	v_fma_f64 v[67:68], v[101:102], v[69:70], v[67:68]
	s_waitcnt vmcnt(16) lgkmcnt(0)
	v_fma_f64 v[67:68], v[99:100], v[71:72], v[67:68]
	s_waitcnt vmcnt(11)
	v_fma_f64 v[75:76], v[75:76], v[73:74], v[67:68]
	ds_read_b128 v[67:70], v66 offset:464
	;; [unrolled: 10-line block ×3, first 2 shown]
	s_waitcnt vmcnt(3) lgkmcnt(0)
	v_fma_f64 v[66:67], v[81:82], v[66:67], v[70:71]
	s_waitcnt vmcnt(2)
	v_fma_f64 v[66:67], v[79:80], v[68:69], v[66:67]
	s_waitcnt vmcnt(0)
	v_add_f64 v[66:67], v[85:86], -v[66:67]
	buffer_store_dword v67, off, s[0:3], 0 offset:76
	buffer_store_dword v66, off, s[0:3], 0 offset:72
	v_cmpx_lt_u32_e32 8, v0
	s_cbranch_execz .LBB95_185
; %bb.184:
	s_clause 0x1
	buffer_load_dword v66, off, s[0:3], 0 offset:64
	buffer_load_dword v67, off, s[0:3], 0 offset:68
	v_mov_b32_e32 v68, 0
	buffer_store_dword v68, off, s[0:3], 0 offset:64
	buffer_store_dword v68, off, s[0:3], 0 offset:68
	s_waitcnt vmcnt(0)
	ds_write_b64 v65, v[66:67]
.LBB95_185:
	s_or_b32 exec_lo, exec_lo, s4
	s_waitcnt lgkmcnt(0)
	s_waitcnt_vscnt null, 0x0
	s_barrier
	buffer_gl0_inv
	s_clause 0x1c
	buffer_load_dword v75, off, s[0:3], 0 offset:72
	buffer_load_dword v76, off, s[0:3], 0 offset:76
	;; [unrolled: 1-line block ×29, first 2 shown]
	v_mov_b32_e32 v66, 0
	buffer_load_dword v100, off, s[0:3], 0 offset:188
	s_mov_b32 s4, exec_lo
	ds_read2_b64 v[67:70], v66 offset0:41 offset1:42
	ds_read2_b64 v[71:74], v66 offset0:43 offset1:44
	s_waitcnt vmcnt(28) lgkmcnt(1)
	v_fma_f64 v[67:68], v[75:76], v[67:68], 0
	s_clause 0x7
	buffer_load_dword v76, off, s[0:3], 0 offset:196
	buffer_load_dword v105, off, s[0:3], 0 offset:216
	;; [unrolled: 1-line block ×8, first 2 shown]
	s_waitcnt vmcnt(34)
	v_fma_f64 v[67:68], v[77:78], v[69:70], v[67:68]
	s_waitcnt vmcnt(32) lgkmcnt(0)
	v_fma_f64 v[67:68], v[79:80], v[71:72], v[67:68]
	s_waitcnt vmcnt(30)
	v_fma_f64 v[77:78], v[81:82], v[73:74], v[67:68]
	ds_read2_b64 v[67:70], v66 offset0:45 offset1:46
	ds_read2_b64 v[71:74], v66 offset0:47 offset1:48
	s_waitcnt vmcnt(28) lgkmcnt(1)
	v_fma_f64 v[67:68], v[83:84], v[67:68], v[77:78]
	s_clause 0x7
	buffer_load_dword v78, off, s[0:3], 0 offset:228
	buffer_load_dword v79, off, s[0:3], 0 offset:248
	;; [unrolled: 1-line block ×8, first 2 shown]
	s_waitcnt vmcnt(34)
	v_fma_f64 v[67:68], v[85:86], v[69:70], v[67:68]
	s_waitcnt vmcnt(32) lgkmcnt(0)
	v_fma_f64 v[67:68], v[87:88], v[71:72], v[67:68]
	s_waitcnt vmcnt(27)
	v_fma_f64 v[85:86], v[89:90], v[73:74], v[67:68]
	ds_read2_b64 v[67:70], v66 offset0:49 offset1:50
	ds_read2_b64 v[71:74], v66 offset0:51 offset1:52
	s_waitcnt vmcnt(26) lgkmcnt(1)
	v_fma_f64 v[67:68], v[95:96], v[67:68], v[85:86]
	s_clause 0x1
	buffer_load_dword v85, off, s[0:3], 0 offset:64
	buffer_load_dword v86, off, s[0:3], 0 offset:68
	s_waitcnt vmcnt(27)
	v_fma_f64 v[67:68], v[93:94], v[69:70], v[67:68]
	s_waitcnt vmcnt(26) lgkmcnt(0)
	v_fma_f64 v[67:68], v[91:92], v[71:72], v[67:68]
	s_waitcnt vmcnt(21)
	v_fma_f64 v[87:88], v[97:98], v[73:74], v[67:68]
	ds_read2_b64 v[67:70], v66 offset0:53 offset1:54
	ds_read2_b64 v[71:74], v66 offset0:55 offset1:56
	s_waitcnt vmcnt(20) lgkmcnt(1)
	v_fma_f64 v[67:68], v[103:104], v[67:68], v[87:88]
	s_waitcnt vmcnt(19)
	v_fma_f64 v[67:68], v[101:102], v[69:70], v[67:68]
	s_waitcnt vmcnt(18) lgkmcnt(0)
	v_fma_f64 v[67:68], v[99:100], v[71:72], v[67:68]
	s_waitcnt vmcnt(13)
	v_fma_f64 v[75:76], v[75:76], v[73:74], v[67:68]
	ds_read2_b64 v[67:70], v66 offset0:57 offset1:58
	ds_read2_b64 v[71:74], v66 offset0:59 offset1:60
	s_waitcnt vmcnt(12) lgkmcnt(1)
	v_fma_f64 v[67:68], v[109:110], v[67:68], v[75:76]
	s_waitcnt vmcnt(11)
	v_fma_f64 v[67:68], v[107:108], v[69:70], v[67:68]
	s_waitcnt vmcnt(10) lgkmcnt(0)
	v_fma_f64 v[67:68], v[105:106], v[71:72], v[67:68]
	s_waitcnt vmcnt(5)
	v_fma_f64 v[71:72], v[77:78], v[73:74], v[67:68]
	ds_read2_b64 v[67:70], v66 offset0:61 offset1:62
	ds_read_b64 v[73:74], v66 offset:504
	s_waitcnt vmcnt(4) lgkmcnt(1)
	v_fma_f64 v[67:68], v[83:84], v[67:68], v[71:72]
	s_waitcnt vmcnt(3)
	v_fma_f64 v[67:68], v[81:82], v[69:70], v[67:68]
	s_waitcnt vmcnt(2) lgkmcnt(0)
	v_fma_f64 v[67:68], v[79:80], v[73:74], v[67:68]
	s_waitcnt vmcnt(0)
	v_add_f64 v[67:68], v[85:86], -v[67:68]
	buffer_store_dword v68, off, s[0:3], 0 offset:68
	buffer_store_dword v67, off, s[0:3], 0 offset:64
	v_cmpx_lt_u32_e32 7, v0
	s_cbranch_execz .LBB95_187
; %bb.186:
	s_clause 0x1
	buffer_load_dword v67, off, s[0:3], 0 offset:56
	buffer_load_dword v68, off, s[0:3], 0 offset:60
	buffer_store_dword v66, off, s[0:3], 0 offset:56
	buffer_store_dword v66, off, s[0:3], 0 offset:60
	s_waitcnt vmcnt(0)
	ds_write_b64 v65, v[67:68]
.LBB95_187:
	s_or_b32 exec_lo, exec_lo, s4
	s_waitcnt lgkmcnt(0)
	s_waitcnt_vscnt null, 0x0
	s_barrier
	buffer_gl0_inv
	s_clause 0x1c
	buffer_load_dword v75, off, s[0:3], 0 offset:64
	buffer_load_dword v76, off, s[0:3], 0 offset:68
	;; [unrolled: 1-line block ×29, first 2 shown]
	ds_read_b128 v[67:70], v66 offset:320
	ds_read_b128 v[71:74], v66 offset:336
	buffer_load_dword v100, off, s[0:3], 0 offset:180
	s_mov_b32 s4, exec_lo
	s_waitcnt vmcnt(28) lgkmcnt(1)
	v_fma_f64 v[67:68], v[75:76], v[67:68], 0
	s_clause 0x7
	buffer_load_dword v76, off, s[0:3], 0 offset:188
	buffer_load_dword v105, off, s[0:3], 0 offset:208
	;; [unrolled: 1-line block ×8, first 2 shown]
	s_waitcnt vmcnt(34)
	v_fma_f64 v[67:68], v[77:78], v[69:70], v[67:68]
	s_waitcnt vmcnt(32) lgkmcnt(0)
	v_fma_f64 v[67:68], v[79:80], v[71:72], v[67:68]
	s_waitcnt vmcnt(30)
	v_fma_f64 v[77:78], v[81:82], v[73:74], v[67:68]
	ds_read_b128 v[67:70], v66 offset:352
	ds_read_b128 v[71:74], v66 offset:368
	s_waitcnt vmcnt(28) lgkmcnt(1)
	v_fma_f64 v[67:68], v[83:84], v[67:68], v[77:78]
	s_clause 0x7
	buffer_load_dword v78, off, s[0:3], 0 offset:220
	buffer_load_dword v79, off, s[0:3], 0 offset:240
	;; [unrolled: 1-line block ×8, first 2 shown]
	s_waitcnt vmcnt(34)
	v_fma_f64 v[67:68], v[85:86], v[69:70], v[67:68]
	s_waitcnt vmcnt(32) lgkmcnt(0)
	v_fma_f64 v[67:68], v[87:88], v[71:72], v[67:68]
	s_waitcnt vmcnt(27)
	v_fma_f64 v[85:86], v[89:90], v[73:74], v[67:68]
	ds_read_b128 v[67:70], v66 offset:384
	ds_read_b128 v[71:74], v66 offset:400
	s_waitcnt vmcnt(26) lgkmcnt(1)
	v_fma_f64 v[67:68], v[95:96], v[67:68], v[85:86]
	s_clause 0x3
	buffer_load_dword v86, off, s[0:3], 0 offset:252
	buffer_load_dword v85, off, s[0:3], 0 offset:248
	buffer_load_dword v87, off, s[0:3], 0 offset:56
	buffer_load_dword v88, off, s[0:3], 0 offset:60
	s_waitcnt vmcnt(29)
	v_fma_f64 v[67:68], v[93:94], v[69:70], v[67:68]
	s_waitcnt vmcnt(28) lgkmcnt(0)
	v_fma_f64 v[67:68], v[91:92], v[71:72], v[67:68]
	s_waitcnt vmcnt(23)
	v_fma_f64 v[89:90], v[97:98], v[73:74], v[67:68]
	ds_read_b128 v[67:70], v66 offset:416
	ds_read_b128 v[71:74], v66 offset:432
	s_waitcnt vmcnt(22) lgkmcnt(1)
	v_fma_f64 v[67:68], v[103:104], v[67:68], v[89:90]
	s_waitcnt vmcnt(21)
	v_fma_f64 v[67:68], v[101:102], v[69:70], v[67:68]
	s_waitcnt vmcnt(20) lgkmcnt(0)
	v_fma_f64 v[67:68], v[99:100], v[71:72], v[67:68]
	s_waitcnt vmcnt(15)
	v_fma_f64 v[75:76], v[75:76], v[73:74], v[67:68]
	ds_read_b128 v[67:70], v66 offset:448
	ds_read_b128 v[71:74], v66 offset:464
	s_waitcnt vmcnt(14) lgkmcnt(1)
	v_fma_f64 v[67:68], v[109:110], v[67:68], v[75:76]
	;; [unrolled: 10-line block ×3, first 2 shown]
	s_waitcnt vmcnt(5)
	v_fma_f64 v[66:67], v[81:82], v[69:70], v[66:67]
	s_waitcnt vmcnt(4) lgkmcnt(0)
	v_fma_f64 v[66:67], v[79:80], v[71:72], v[66:67]
	s_waitcnt vmcnt(2)
	v_fma_f64 v[66:67], v[85:86], v[73:74], v[66:67]
	s_waitcnt vmcnt(0)
	v_add_f64 v[66:67], v[87:88], -v[66:67]
	buffer_store_dword v67, off, s[0:3], 0 offset:60
	buffer_store_dword v66, off, s[0:3], 0 offset:56
	v_cmpx_lt_u32_e32 6, v0
	s_cbranch_execz .LBB95_189
; %bb.188:
	s_clause 0x1
	buffer_load_dword v66, off, s[0:3], 0 offset:48
	buffer_load_dword v67, off, s[0:3], 0 offset:52
	v_mov_b32_e32 v68, 0
	buffer_store_dword v68, off, s[0:3], 0 offset:48
	buffer_store_dword v68, off, s[0:3], 0 offset:52
	s_waitcnt vmcnt(0)
	ds_write_b64 v65, v[66:67]
.LBB95_189:
	s_or_b32 exec_lo, exec_lo, s4
	s_waitcnt lgkmcnt(0)
	s_waitcnt_vscnt null, 0x0
	s_barrier
	buffer_gl0_inv
	s_clause 0x1c
	buffer_load_dword v75, off, s[0:3], 0 offset:56
	buffer_load_dword v76, off, s[0:3], 0 offset:60
	;; [unrolled: 1-line block ×29, first 2 shown]
	v_mov_b32_e32 v66, 0
	buffer_load_dword v100, off, s[0:3], 0 offset:172
	s_mov_b32 s4, exec_lo
	ds_read2_b64 v[67:70], v66 offset0:39 offset1:40
	ds_read2_b64 v[71:74], v66 offset0:41 offset1:42
	s_waitcnt vmcnt(28) lgkmcnt(1)
	v_fma_f64 v[67:68], v[75:76], v[67:68], 0
	s_clause 0x7
	buffer_load_dword v76, off, s[0:3], 0 offset:180
	buffer_load_dword v105, off, s[0:3], 0 offset:200
	;; [unrolled: 1-line block ×8, first 2 shown]
	s_waitcnt vmcnt(34)
	v_fma_f64 v[67:68], v[77:78], v[69:70], v[67:68]
	s_waitcnt vmcnt(32) lgkmcnt(0)
	v_fma_f64 v[67:68], v[79:80], v[71:72], v[67:68]
	s_waitcnt vmcnt(30)
	v_fma_f64 v[77:78], v[81:82], v[73:74], v[67:68]
	ds_read2_b64 v[67:70], v66 offset0:43 offset1:44
	ds_read2_b64 v[71:74], v66 offset0:45 offset1:46
	s_waitcnt vmcnt(28) lgkmcnt(1)
	v_fma_f64 v[67:68], v[83:84], v[67:68], v[77:78]
	s_clause 0x7
	buffer_load_dword v78, off, s[0:3], 0 offset:212
	buffer_load_dword v79, off, s[0:3], 0 offset:232
	;; [unrolled: 1-line block ×8, first 2 shown]
	s_waitcnt vmcnt(34)
	v_fma_f64 v[67:68], v[85:86], v[69:70], v[67:68]
	s_waitcnt vmcnt(32) lgkmcnt(0)
	v_fma_f64 v[67:68], v[87:88], v[71:72], v[67:68]
	s_waitcnt vmcnt(27)
	v_fma_f64 v[85:86], v[89:90], v[73:74], v[67:68]
	ds_read2_b64 v[67:70], v66 offset0:47 offset1:48
	ds_read2_b64 v[71:74], v66 offset0:49 offset1:50
	s_waitcnt vmcnt(26) lgkmcnt(1)
	v_fma_f64 v[67:68], v[95:96], v[67:68], v[85:86]
	s_clause 0x5
	buffer_load_dword v86, off, s[0:3], 0 offset:244
	buffer_load_dword v87, off, s[0:3], 0 offset:248
	;; [unrolled: 1-line block ×6, first 2 shown]
	s_waitcnt vmcnt(31)
	v_fma_f64 v[67:68], v[93:94], v[69:70], v[67:68]
	s_waitcnt vmcnt(30) lgkmcnt(0)
	v_fma_f64 v[67:68], v[91:92], v[71:72], v[67:68]
	s_waitcnt vmcnt(25)
	v_fma_f64 v[91:92], v[97:98], v[73:74], v[67:68]
	ds_read2_b64 v[67:70], v66 offset0:51 offset1:52
	ds_read2_b64 v[71:74], v66 offset0:53 offset1:54
	s_waitcnt vmcnt(24) lgkmcnt(1)
	v_fma_f64 v[67:68], v[103:104], v[67:68], v[91:92]
	s_waitcnt vmcnt(23)
	v_fma_f64 v[67:68], v[101:102], v[69:70], v[67:68]
	s_waitcnt vmcnt(22) lgkmcnt(0)
	v_fma_f64 v[67:68], v[99:100], v[71:72], v[67:68]
	s_waitcnt vmcnt(17)
	v_fma_f64 v[75:76], v[75:76], v[73:74], v[67:68]
	ds_read2_b64 v[67:70], v66 offset0:55 offset1:56
	ds_read2_b64 v[71:74], v66 offset0:57 offset1:58
	s_waitcnt vmcnt(16) lgkmcnt(1)
	v_fma_f64 v[67:68], v[109:110], v[67:68], v[75:76]
	;; [unrolled: 10-line block ×3, first 2 shown]
	s_waitcnt vmcnt(7)
	v_fma_f64 v[67:68], v[81:82], v[69:70], v[67:68]
	ds_read_b64 v[69:70], v66 offset:504
	s_waitcnt vmcnt(6) lgkmcnt(1)
	v_fma_f64 v[67:68], v[79:80], v[71:72], v[67:68]
	s_waitcnt vmcnt(3)
	v_fma_f64 v[67:68], v[85:86], v[73:74], v[67:68]
	s_waitcnt vmcnt(2) lgkmcnt(0)
	v_fma_f64 v[67:68], v[87:88], v[69:70], v[67:68]
	s_waitcnt vmcnt(0)
	v_add_f64 v[67:68], v[89:90], -v[67:68]
	buffer_store_dword v68, off, s[0:3], 0 offset:52
	buffer_store_dword v67, off, s[0:3], 0 offset:48
	v_cmpx_lt_u32_e32 5, v0
	s_cbranch_execz .LBB95_191
; %bb.190:
	s_clause 0x1
	buffer_load_dword v67, off, s[0:3], 0 offset:40
	buffer_load_dword v68, off, s[0:3], 0 offset:44
	buffer_store_dword v66, off, s[0:3], 0 offset:40
	buffer_store_dword v66, off, s[0:3], 0 offset:44
	s_waitcnt vmcnt(0)
	ds_write_b64 v65, v[67:68]
.LBB95_191:
	s_or_b32 exec_lo, exec_lo, s4
	s_waitcnt lgkmcnt(0)
	s_waitcnt_vscnt null, 0x0
	s_barrier
	buffer_gl0_inv
	s_clause 0x1c
	buffer_load_dword v75, off, s[0:3], 0 offset:48
	buffer_load_dword v76, off, s[0:3], 0 offset:52
	;; [unrolled: 1-line block ×29, first 2 shown]
	ds_read_b128 v[67:70], v66 offset:304
	ds_read_b128 v[71:74], v66 offset:320
	buffer_load_dword v100, off, s[0:3], 0 offset:164
	s_mov_b32 s4, exec_lo
	s_waitcnt vmcnt(28) lgkmcnt(1)
	v_fma_f64 v[67:68], v[75:76], v[67:68], 0
	s_clause 0x7
	buffer_load_dword v76, off, s[0:3], 0 offset:172
	buffer_load_dword v105, off, s[0:3], 0 offset:192
	;; [unrolled: 1-line block ×8, first 2 shown]
	s_waitcnt vmcnt(34)
	v_fma_f64 v[67:68], v[77:78], v[69:70], v[67:68]
	s_waitcnt vmcnt(32) lgkmcnt(0)
	v_fma_f64 v[67:68], v[79:80], v[71:72], v[67:68]
	s_waitcnt vmcnt(30)
	v_fma_f64 v[77:78], v[81:82], v[73:74], v[67:68]
	ds_read_b128 v[67:70], v66 offset:336
	ds_read_b128 v[71:74], v66 offset:352
	s_waitcnt vmcnt(28) lgkmcnt(1)
	v_fma_f64 v[67:68], v[83:84], v[67:68], v[77:78]
	s_clause 0x7
	buffer_load_dword v78, off, s[0:3], 0 offset:204
	buffer_load_dword v79, off, s[0:3], 0 offset:224
	;; [unrolled: 1-line block ×8, first 2 shown]
	s_waitcnt vmcnt(34)
	v_fma_f64 v[67:68], v[85:86], v[69:70], v[67:68]
	s_waitcnt vmcnt(32) lgkmcnt(0)
	v_fma_f64 v[67:68], v[87:88], v[71:72], v[67:68]
	s_waitcnt vmcnt(27)
	v_fma_f64 v[85:86], v[89:90], v[73:74], v[67:68]
	ds_read_b128 v[67:70], v66 offset:368
	ds_read_b128 v[71:74], v66 offset:384
	s_waitcnt vmcnt(26) lgkmcnt(1)
	v_fma_f64 v[67:68], v[95:96], v[67:68], v[85:86]
	s_clause 0x5
	buffer_load_dword v86, off, s[0:3], 0 offset:236
	buffer_load_dword v87, off, s[0:3], 0 offset:248
	buffer_load_dword v89, off, s[0:3], 0 offset:240
	buffer_load_dword v85, off, s[0:3], 0 offset:232
	buffer_load_dword v90, off, s[0:3], 0 offset:244
	buffer_load_dword v88, off, s[0:3], 0 offset:252
	s_waitcnt vmcnt(31)
	v_fma_f64 v[67:68], v[93:94], v[69:70], v[67:68]
	s_waitcnt vmcnt(30) lgkmcnt(0)
	v_fma_f64 v[67:68], v[91:92], v[71:72], v[67:68]
	s_waitcnt vmcnt(25)
	v_fma_f64 v[91:92], v[97:98], v[73:74], v[67:68]
	ds_read_b128 v[67:70], v66 offset:400
	s_clause 0x1
	buffer_load_dword v93, off, s[0:3], 0 offset:40
	buffer_load_dword v94, off, s[0:3], 0 offset:44
	ds_read_b128 v[71:74], v66 offset:416
	s_waitcnt vmcnt(26) lgkmcnt(1)
	v_fma_f64 v[67:68], v[103:104], v[67:68], v[91:92]
	s_waitcnt vmcnt(25)
	v_fma_f64 v[67:68], v[101:102], v[69:70], v[67:68]
	s_waitcnt vmcnt(24) lgkmcnt(0)
	v_fma_f64 v[67:68], v[99:100], v[71:72], v[67:68]
	s_waitcnt vmcnt(19)
	v_fma_f64 v[75:76], v[75:76], v[73:74], v[67:68]
	ds_read_b128 v[67:70], v66 offset:432
	ds_read_b128 v[71:74], v66 offset:448
	s_waitcnt vmcnt(18) lgkmcnt(1)
	v_fma_f64 v[67:68], v[109:110], v[67:68], v[75:76]
	s_waitcnt vmcnt(17)
	v_fma_f64 v[67:68], v[107:108], v[69:70], v[67:68]
	s_waitcnt vmcnt(16) lgkmcnt(0)
	v_fma_f64 v[67:68], v[105:106], v[71:72], v[67:68]
	s_waitcnt vmcnt(11)
	v_fma_f64 v[75:76], v[77:78], v[73:74], v[67:68]
	ds_read_b128 v[67:70], v66 offset:464
	;; [unrolled: 10-line block ×3, first 2 shown]
	s_waitcnt vmcnt(3) lgkmcnt(0)
	v_fma_f64 v[66:67], v[89:90], v[66:67], v[70:71]
	s_waitcnt vmcnt(2)
	v_fma_f64 v[66:67], v[87:88], v[68:69], v[66:67]
	s_waitcnt vmcnt(0)
	v_add_f64 v[66:67], v[93:94], -v[66:67]
	buffer_store_dword v67, off, s[0:3], 0 offset:44
	buffer_store_dword v66, off, s[0:3], 0 offset:40
	v_cmpx_lt_u32_e32 4, v0
	s_cbranch_execz .LBB95_193
; %bb.192:
	s_clause 0x1
	buffer_load_dword v66, off, s[0:3], 0 offset:32
	buffer_load_dword v67, off, s[0:3], 0 offset:36
	v_mov_b32_e32 v68, 0
	buffer_store_dword v68, off, s[0:3], 0 offset:32
	buffer_store_dword v68, off, s[0:3], 0 offset:36
	s_waitcnt vmcnt(0)
	ds_write_b64 v65, v[66:67]
.LBB95_193:
	s_or_b32 exec_lo, exec_lo, s4
	s_waitcnt lgkmcnt(0)
	s_waitcnt_vscnt null, 0x0
	s_barrier
	buffer_gl0_inv
	s_clause 0x1c
	buffer_load_dword v75, off, s[0:3], 0 offset:40
	buffer_load_dword v76, off, s[0:3], 0 offset:44
	;; [unrolled: 1-line block ×29, first 2 shown]
	v_mov_b32_e32 v66, 0
	buffer_load_dword v100, off, s[0:3], 0 offset:156
	s_mov_b32 s4, exec_lo
	ds_read2_b64 v[67:70], v66 offset0:37 offset1:38
	ds_read2_b64 v[71:74], v66 offset0:39 offset1:40
	s_waitcnt vmcnt(28) lgkmcnt(1)
	v_fma_f64 v[67:68], v[75:76], v[67:68], 0
	s_clause 0x7
	buffer_load_dword v76, off, s[0:3], 0 offset:164
	buffer_load_dword v105, off, s[0:3], 0 offset:184
	buffer_load_dword v107, off, s[0:3], 0 offset:176
	buffer_load_dword v109, off, s[0:3], 0 offset:168
	buffer_load_dword v75, off, s[0:3], 0 offset:160
	buffer_load_dword v110, off, s[0:3], 0 offset:172
	buffer_load_dword v108, off, s[0:3], 0 offset:180
	buffer_load_dword v106, off, s[0:3], 0 offset:188
	s_waitcnt vmcnt(34)
	v_fma_f64 v[67:68], v[77:78], v[69:70], v[67:68]
	s_waitcnt vmcnt(32) lgkmcnt(0)
	v_fma_f64 v[67:68], v[79:80], v[71:72], v[67:68]
	s_waitcnt vmcnt(30)
	v_fma_f64 v[77:78], v[81:82], v[73:74], v[67:68]
	ds_read2_b64 v[67:70], v66 offset0:41 offset1:42
	ds_read2_b64 v[71:74], v66 offset0:43 offset1:44
	s_waitcnt vmcnt(28) lgkmcnt(1)
	v_fma_f64 v[67:68], v[83:84], v[67:68], v[77:78]
	s_clause 0x7
	buffer_load_dword v78, off, s[0:3], 0 offset:196
	buffer_load_dword v79, off, s[0:3], 0 offset:216
	buffer_load_dword v81, off, s[0:3], 0 offset:208
	buffer_load_dword v83, off, s[0:3], 0 offset:200
	buffer_load_dword v77, off, s[0:3], 0 offset:192
	buffer_load_dword v84, off, s[0:3], 0 offset:204
	buffer_load_dword v82, off, s[0:3], 0 offset:212
	buffer_load_dword v80, off, s[0:3], 0 offset:220
	s_waitcnt vmcnt(34)
	v_fma_f64 v[67:68], v[85:86], v[69:70], v[67:68]
	s_waitcnt vmcnt(32) lgkmcnt(0)
	v_fma_f64 v[67:68], v[87:88], v[71:72], v[67:68]
	s_waitcnt vmcnt(27)
	v_fma_f64 v[85:86], v[89:90], v[73:74], v[67:68]
	;; [unrolled: 19-line block ×3, first 2 shown]
	ds_read2_b64 v[67:70], v66 offset0:49 offset1:50
	ds_read2_b64 v[71:74], v66 offset0:51 offset1:52
	s_waitcnt vmcnt(26) lgkmcnt(1)
	v_fma_f64 v[67:68], v[103:104], v[67:68], v[91:92]
	s_clause 0x1
	buffer_load_dword v91, off, s[0:3], 0 offset:32
	buffer_load_dword v92, off, s[0:3], 0 offset:36
	s_waitcnt vmcnt(27)
	v_fma_f64 v[67:68], v[101:102], v[69:70], v[67:68]
	s_waitcnt vmcnt(26) lgkmcnt(0)
	v_fma_f64 v[67:68], v[99:100], v[71:72], v[67:68]
	s_waitcnt vmcnt(21)
	v_fma_f64 v[75:76], v[75:76], v[73:74], v[67:68]
	ds_read2_b64 v[67:70], v66 offset0:53 offset1:54
	ds_read2_b64 v[71:74], v66 offset0:55 offset1:56
	s_waitcnt vmcnt(20) lgkmcnt(1)
	v_fma_f64 v[67:68], v[109:110], v[67:68], v[75:76]
	s_waitcnt vmcnt(19)
	v_fma_f64 v[67:68], v[107:108], v[69:70], v[67:68]
	s_waitcnt vmcnt(18) lgkmcnt(0)
	v_fma_f64 v[67:68], v[105:106], v[71:72], v[67:68]
	s_waitcnt vmcnt(13)
	v_fma_f64 v[75:76], v[77:78], v[73:74], v[67:68]
	ds_read2_b64 v[67:70], v66 offset0:57 offset1:58
	ds_read2_b64 v[71:74], v66 offset0:59 offset1:60
	s_waitcnt vmcnt(12) lgkmcnt(1)
	v_fma_f64 v[67:68], v[83:84], v[67:68], v[75:76]
	s_waitcnt vmcnt(11)
	v_fma_f64 v[67:68], v[81:82], v[69:70], v[67:68]
	s_waitcnt vmcnt(10) lgkmcnt(0)
	v_fma_f64 v[67:68], v[79:80], v[71:72], v[67:68]
	s_waitcnt vmcnt(5)
	v_fma_f64 v[71:72], v[85:86], v[73:74], v[67:68]
	ds_read2_b64 v[67:70], v66 offset0:61 offset1:62
	ds_read_b64 v[73:74], v66 offset:504
	s_waitcnt vmcnt(4) lgkmcnt(1)
	v_fma_f64 v[67:68], v[95:96], v[67:68], v[71:72]
	s_waitcnt vmcnt(3)
	v_fma_f64 v[67:68], v[89:90], v[69:70], v[67:68]
	s_waitcnt vmcnt(2) lgkmcnt(0)
	v_fma_f64 v[67:68], v[87:88], v[73:74], v[67:68]
	s_waitcnt vmcnt(0)
	v_add_f64 v[67:68], v[91:92], -v[67:68]
	buffer_store_dword v68, off, s[0:3], 0 offset:36
	buffer_store_dword v67, off, s[0:3], 0 offset:32
	v_cmpx_lt_u32_e32 3, v0
	s_cbranch_execz .LBB95_195
; %bb.194:
	s_clause 0x1
	buffer_load_dword v67, off, s[0:3], 0 offset:24
	buffer_load_dword v68, off, s[0:3], 0 offset:28
	buffer_store_dword v66, off, s[0:3], 0 offset:24
	buffer_store_dword v66, off, s[0:3], 0 offset:28
	s_waitcnt vmcnt(0)
	ds_write_b64 v65, v[67:68]
.LBB95_195:
	s_or_b32 exec_lo, exec_lo, s4
	s_waitcnt lgkmcnt(0)
	s_waitcnt_vscnt null, 0x0
	s_barrier
	buffer_gl0_inv
	s_clause 0x1c
	buffer_load_dword v75, off, s[0:3], 0 offset:32
	buffer_load_dword v76, off, s[0:3], 0 offset:36
	;; [unrolled: 1-line block ×29, first 2 shown]
	ds_read_b128 v[67:70], v66 offset:288
	ds_read_b128 v[71:74], v66 offset:304
	buffer_load_dword v100, off, s[0:3], 0 offset:148
	s_mov_b32 s4, exec_lo
	s_waitcnt vmcnt(28) lgkmcnt(1)
	v_fma_f64 v[67:68], v[75:76], v[67:68], 0
	s_clause 0x7
	buffer_load_dword v76, off, s[0:3], 0 offset:156
	buffer_load_dword v105, off, s[0:3], 0 offset:176
	buffer_load_dword v107, off, s[0:3], 0 offset:168
	buffer_load_dword v109, off, s[0:3], 0 offset:160
	buffer_load_dword v75, off, s[0:3], 0 offset:152
	buffer_load_dword v110, off, s[0:3], 0 offset:164
	buffer_load_dword v108, off, s[0:3], 0 offset:172
	buffer_load_dword v106, off, s[0:3], 0 offset:180
	s_waitcnt vmcnt(34)
	v_fma_f64 v[67:68], v[77:78], v[69:70], v[67:68]
	s_waitcnt vmcnt(32) lgkmcnt(0)
	v_fma_f64 v[67:68], v[79:80], v[71:72], v[67:68]
	s_waitcnt vmcnt(30)
	v_fma_f64 v[77:78], v[81:82], v[73:74], v[67:68]
	ds_read_b128 v[67:70], v66 offset:320
	ds_read_b128 v[71:74], v66 offset:336
	s_waitcnt vmcnt(28) lgkmcnt(1)
	v_fma_f64 v[67:68], v[83:84], v[67:68], v[77:78]
	s_clause 0x7
	buffer_load_dword v78, off, s[0:3], 0 offset:188
	buffer_load_dword v79, off, s[0:3], 0 offset:208
	buffer_load_dword v81, off, s[0:3], 0 offset:200
	buffer_load_dword v83, off, s[0:3], 0 offset:192
	buffer_load_dword v77, off, s[0:3], 0 offset:184
	buffer_load_dword v84, off, s[0:3], 0 offset:196
	buffer_load_dword v82, off, s[0:3], 0 offset:204
	buffer_load_dword v80, off, s[0:3], 0 offset:212
	s_waitcnt vmcnt(34)
	v_fma_f64 v[67:68], v[85:86], v[69:70], v[67:68]
	s_waitcnt vmcnt(32) lgkmcnt(0)
	v_fma_f64 v[67:68], v[87:88], v[71:72], v[67:68]
	s_waitcnt vmcnt(27)
	v_fma_f64 v[85:86], v[89:90], v[73:74], v[67:68]
	ds_read_b128 v[67:70], v66 offset:352
	ds_read_b128 v[71:74], v66 offset:368
	;; [unrolled: 19-line block ×3, first 2 shown]
	s_waitcnt vmcnt(26) lgkmcnt(1)
	v_fma_f64 v[67:68], v[103:104], v[67:68], v[91:92]
	s_clause 0x3
	buffer_load_dword v92, off, s[0:3], 0 offset:252
	buffer_load_dword v91, off, s[0:3], 0 offset:248
	;; [unrolled: 1-line block ×4, first 2 shown]
	s_waitcnt vmcnt(29)
	v_fma_f64 v[67:68], v[101:102], v[69:70], v[67:68]
	s_waitcnt vmcnt(28) lgkmcnt(0)
	v_fma_f64 v[67:68], v[99:100], v[71:72], v[67:68]
	s_waitcnt vmcnt(23)
	v_fma_f64 v[75:76], v[75:76], v[73:74], v[67:68]
	ds_read_b128 v[67:70], v66 offset:416
	ds_read_b128 v[71:74], v66 offset:432
	s_waitcnt vmcnt(22) lgkmcnt(1)
	v_fma_f64 v[67:68], v[109:110], v[67:68], v[75:76]
	s_waitcnt vmcnt(21)
	v_fma_f64 v[67:68], v[107:108], v[69:70], v[67:68]
	s_waitcnt vmcnt(20) lgkmcnt(0)
	v_fma_f64 v[67:68], v[105:106], v[71:72], v[67:68]
	s_waitcnt vmcnt(15)
	v_fma_f64 v[75:76], v[77:78], v[73:74], v[67:68]
	ds_read_b128 v[67:70], v66 offset:448
	ds_read_b128 v[71:74], v66 offset:464
	s_waitcnt vmcnt(14) lgkmcnt(1)
	v_fma_f64 v[67:68], v[83:84], v[67:68], v[75:76]
	;; [unrolled: 10-line block ×3, first 2 shown]
	s_waitcnt vmcnt(5)
	v_fma_f64 v[66:67], v[89:90], v[69:70], v[66:67]
	s_waitcnt vmcnt(4) lgkmcnt(0)
	v_fma_f64 v[66:67], v[87:88], v[71:72], v[66:67]
	s_waitcnt vmcnt(2)
	v_fma_f64 v[66:67], v[91:92], v[73:74], v[66:67]
	s_waitcnt vmcnt(0)
	v_add_f64 v[66:67], v[93:94], -v[66:67]
	buffer_store_dword v67, off, s[0:3], 0 offset:28
	buffer_store_dword v66, off, s[0:3], 0 offset:24
	v_cmpx_lt_u32_e32 2, v0
	s_cbranch_execz .LBB95_197
; %bb.196:
	s_clause 0x1
	buffer_load_dword v66, off, s[0:3], 0 offset:16
	buffer_load_dword v67, off, s[0:3], 0 offset:20
	v_mov_b32_e32 v68, 0
	buffer_store_dword v68, off, s[0:3], 0 offset:16
	buffer_store_dword v68, off, s[0:3], 0 offset:20
	s_waitcnt vmcnt(0)
	ds_write_b64 v65, v[66:67]
.LBB95_197:
	s_or_b32 exec_lo, exec_lo, s4
	s_waitcnt lgkmcnt(0)
	s_waitcnt_vscnt null, 0x0
	s_barrier
	buffer_gl0_inv
	s_clause 0x1c
	buffer_load_dword v75, off, s[0:3], 0 offset:24
	buffer_load_dword v76, off, s[0:3], 0 offset:28
	;; [unrolled: 1-line block ×29, first 2 shown]
	v_mov_b32_e32 v66, 0
	buffer_load_dword v100, off, s[0:3], 0 offset:140
	s_mov_b32 s4, exec_lo
	ds_read2_b64 v[67:70], v66 offset0:35 offset1:36
	ds_read2_b64 v[71:74], v66 offset0:37 offset1:38
	s_waitcnt vmcnt(28) lgkmcnt(1)
	v_fma_f64 v[67:68], v[75:76], v[67:68], 0
	s_clause 0x7
	buffer_load_dword v76, off, s[0:3], 0 offset:148
	buffer_load_dword v105, off, s[0:3], 0 offset:168
	buffer_load_dword v107, off, s[0:3], 0 offset:160
	buffer_load_dword v109, off, s[0:3], 0 offset:152
	buffer_load_dword v75, off, s[0:3], 0 offset:144
	buffer_load_dword v110, off, s[0:3], 0 offset:156
	buffer_load_dword v108, off, s[0:3], 0 offset:164
	buffer_load_dword v106, off, s[0:3], 0 offset:172
	s_waitcnt vmcnt(34)
	v_fma_f64 v[67:68], v[77:78], v[69:70], v[67:68]
	s_waitcnt vmcnt(32) lgkmcnt(0)
	v_fma_f64 v[67:68], v[79:80], v[71:72], v[67:68]
	s_waitcnt vmcnt(30)
	v_fma_f64 v[77:78], v[81:82], v[73:74], v[67:68]
	ds_read2_b64 v[67:70], v66 offset0:39 offset1:40
	ds_read2_b64 v[71:74], v66 offset0:41 offset1:42
	s_waitcnt vmcnt(28) lgkmcnt(1)
	v_fma_f64 v[67:68], v[83:84], v[67:68], v[77:78]
	s_clause 0x7
	buffer_load_dword v78, off, s[0:3], 0 offset:180
	buffer_load_dword v79, off, s[0:3], 0 offset:200
	buffer_load_dword v81, off, s[0:3], 0 offset:192
	buffer_load_dword v83, off, s[0:3], 0 offset:184
	buffer_load_dword v77, off, s[0:3], 0 offset:176
	buffer_load_dword v84, off, s[0:3], 0 offset:188
	buffer_load_dword v82, off, s[0:3], 0 offset:196
	buffer_load_dword v80, off, s[0:3], 0 offset:204
	s_waitcnt vmcnt(34)
	v_fma_f64 v[67:68], v[85:86], v[69:70], v[67:68]
	s_waitcnt vmcnt(32) lgkmcnt(0)
	v_fma_f64 v[67:68], v[87:88], v[71:72], v[67:68]
	s_waitcnt vmcnt(27)
	v_fma_f64 v[85:86], v[89:90], v[73:74], v[67:68]
	;; [unrolled: 19-line block ×3, first 2 shown]
	ds_read2_b64 v[67:70], v66 offset0:47 offset1:48
	ds_read2_b64 v[71:74], v66 offset0:49 offset1:50
	s_waitcnt vmcnt(26) lgkmcnt(1)
	v_fma_f64 v[67:68], v[103:104], v[67:68], v[91:92]
	s_clause 0x5
	buffer_load_dword v92, off, s[0:3], 0 offset:244
	buffer_load_dword v93, off, s[0:3], 0 offset:248
	;; [unrolled: 1-line block ×6, first 2 shown]
	s_waitcnt vmcnt(31)
	v_fma_f64 v[67:68], v[101:102], v[69:70], v[67:68]
	s_waitcnt vmcnt(30) lgkmcnt(0)
	v_fma_f64 v[67:68], v[99:100], v[71:72], v[67:68]
	s_waitcnt vmcnt(25)
	v_fma_f64 v[75:76], v[75:76], v[73:74], v[67:68]
	ds_read2_b64 v[67:70], v66 offset0:51 offset1:52
	ds_read2_b64 v[71:74], v66 offset0:53 offset1:54
	s_waitcnt vmcnt(24) lgkmcnt(1)
	v_fma_f64 v[67:68], v[109:110], v[67:68], v[75:76]
	s_waitcnt vmcnt(23)
	v_fma_f64 v[67:68], v[107:108], v[69:70], v[67:68]
	s_waitcnt vmcnt(22) lgkmcnt(0)
	v_fma_f64 v[67:68], v[105:106], v[71:72], v[67:68]
	s_waitcnt vmcnt(17)
	v_fma_f64 v[75:76], v[77:78], v[73:74], v[67:68]
	ds_read2_b64 v[67:70], v66 offset0:55 offset1:56
	ds_read2_b64 v[71:74], v66 offset0:57 offset1:58
	s_waitcnt vmcnt(16) lgkmcnt(1)
	v_fma_f64 v[67:68], v[83:84], v[67:68], v[75:76]
	;; [unrolled: 10-line block ×3, first 2 shown]
	s_waitcnt vmcnt(7)
	v_fma_f64 v[67:68], v[89:90], v[69:70], v[67:68]
	ds_read_b64 v[69:70], v66 offset:504
	s_waitcnt vmcnt(6) lgkmcnt(1)
	v_fma_f64 v[67:68], v[87:88], v[71:72], v[67:68]
	s_waitcnt vmcnt(3)
	v_fma_f64 v[67:68], v[91:92], v[73:74], v[67:68]
	s_waitcnt vmcnt(2) lgkmcnt(0)
	v_fma_f64 v[67:68], v[93:94], v[69:70], v[67:68]
	s_waitcnt vmcnt(0)
	v_add_f64 v[67:68], v[97:98], -v[67:68]
	buffer_store_dword v68, off, s[0:3], 0 offset:20
	buffer_store_dword v67, off, s[0:3], 0 offset:16
	v_cmpx_lt_u32_e32 1, v0
	s_cbranch_execz .LBB95_199
; %bb.198:
	s_clause 0x1
	buffer_load_dword v67, off, s[0:3], 0 offset:8
	buffer_load_dword v68, off, s[0:3], 0 offset:12
	buffer_store_dword v66, off, s[0:3], 0 offset:8
	buffer_store_dword v66, off, s[0:3], 0 offset:12
	s_waitcnt vmcnt(0)
	ds_write_b64 v65, v[67:68]
.LBB95_199:
	s_or_b32 exec_lo, exec_lo, s4
	s_waitcnt lgkmcnt(0)
	s_waitcnt_vscnt null, 0x0
	s_barrier
	buffer_gl0_inv
	s_clause 0x1c
	buffer_load_dword v75, off, s[0:3], 0 offset:16
	buffer_load_dword v76, off, s[0:3], 0 offset:20
	;; [unrolled: 1-line block ×29, first 2 shown]
	ds_read_b128 v[67:70], v66 offset:272
	ds_read_b128 v[71:74], v66 offset:288
	buffer_load_dword v100, off, s[0:3], 0 offset:132
	s_mov_b32 s4, exec_lo
	s_waitcnt vmcnt(28) lgkmcnt(1)
	v_fma_f64 v[67:68], v[75:76], v[67:68], 0
	s_clause 0x7
	buffer_load_dword v76, off, s[0:3], 0 offset:140
	buffer_load_dword v105, off, s[0:3], 0 offset:160
	buffer_load_dword v107, off, s[0:3], 0 offset:152
	buffer_load_dword v109, off, s[0:3], 0 offset:144
	buffer_load_dword v75, off, s[0:3], 0 offset:136
	buffer_load_dword v110, off, s[0:3], 0 offset:148
	buffer_load_dword v108, off, s[0:3], 0 offset:156
	buffer_load_dword v106, off, s[0:3], 0 offset:164
	s_waitcnt vmcnt(34)
	v_fma_f64 v[67:68], v[77:78], v[69:70], v[67:68]
	s_waitcnt vmcnt(32) lgkmcnt(0)
	v_fma_f64 v[67:68], v[79:80], v[71:72], v[67:68]
	s_waitcnt vmcnt(30)
	v_fma_f64 v[77:78], v[81:82], v[73:74], v[67:68]
	ds_read_b128 v[67:70], v66 offset:304
	ds_read_b128 v[71:74], v66 offset:320
	s_waitcnt vmcnt(28) lgkmcnt(1)
	v_fma_f64 v[67:68], v[83:84], v[67:68], v[77:78]
	s_clause 0x7
	buffer_load_dword v78, off, s[0:3], 0 offset:172
	buffer_load_dword v79, off, s[0:3], 0 offset:192
	buffer_load_dword v81, off, s[0:3], 0 offset:184
	buffer_load_dword v83, off, s[0:3], 0 offset:176
	buffer_load_dword v77, off, s[0:3], 0 offset:168
	buffer_load_dword v84, off, s[0:3], 0 offset:180
	buffer_load_dword v82, off, s[0:3], 0 offset:188
	buffer_load_dword v80, off, s[0:3], 0 offset:196
	s_waitcnt vmcnt(34)
	v_fma_f64 v[67:68], v[85:86], v[69:70], v[67:68]
	s_waitcnt vmcnt(32) lgkmcnt(0)
	v_fma_f64 v[67:68], v[87:88], v[71:72], v[67:68]
	s_waitcnt vmcnt(27)
	v_fma_f64 v[85:86], v[89:90], v[73:74], v[67:68]
	ds_read_b128 v[67:70], v66 offset:336
	ds_read_b128 v[71:74], v66 offset:352
	;; [unrolled: 19-line block ×3, first 2 shown]
	s_waitcnt vmcnt(26) lgkmcnt(1)
	v_fma_f64 v[67:68], v[103:104], v[67:68], v[91:92]
	s_clause 0x5
	buffer_load_dword v92, off, s[0:3], 0 offset:236
	buffer_load_dword v93, off, s[0:3], 0 offset:248
	;; [unrolled: 1-line block ×6, first 2 shown]
	s_waitcnt vmcnt(31)
	v_fma_f64 v[67:68], v[101:102], v[69:70], v[67:68]
	s_waitcnt vmcnt(30) lgkmcnt(0)
	v_fma_f64 v[67:68], v[99:100], v[71:72], v[67:68]
	s_waitcnt vmcnt(25)
	v_fma_f64 v[75:76], v[75:76], v[73:74], v[67:68]
	ds_read_b128 v[67:70], v66 offset:400
	s_clause 0x1
	buffer_load_dword v99, off, s[0:3], 0 offset:8
	buffer_load_dword v100, off, s[0:3], 0 offset:12
	ds_read_b128 v[71:74], v66 offset:416
	s_waitcnt vmcnt(26) lgkmcnt(1)
	v_fma_f64 v[67:68], v[109:110], v[67:68], v[75:76]
	s_waitcnt vmcnt(25)
	v_fma_f64 v[67:68], v[107:108], v[69:70], v[67:68]
	s_waitcnt vmcnt(24) lgkmcnt(0)
	v_fma_f64 v[67:68], v[105:106], v[71:72], v[67:68]
	s_waitcnt vmcnt(19)
	v_fma_f64 v[75:76], v[77:78], v[73:74], v[67:68]
	ds_read_b128 v[67:70], v66 offset:432
	ds_read_b128 v[71:74], v66 offset:448
	s_waitcnt vmcnt(18) lgkmcnt(1)
	v_fma_f64 v[67:68], v[83:84], v[67:68], v[75:76]
	s_waitcnt vmcnt(17)
	v_fma_f64 v[67:68], v[81:82], v[69:70], v[67:68]
	s_waitcnt vmcnt(16) lgkmcnt(0)
	v_fma_f64 v[67:68], v[79:80], v[71:72], v[67:68]
	s_waitcnt vmcnt(11)
	v_fma_f64 v[75:76], v[85:86], v[73:74], v[67:68]
	ds_read_b128 v[67:70], v66 offset:464
	;; [unrolled: 10-line block ×3, first 2 shown]
	s_waitcnt vmcnt(3) lgkmcnt(0)
	v_fma_f64 v[66:67], v[97:98], v[66:67], v[70:71]
	s_waitcnt vmcnt(2)
	v_fma_f64 v[66:67], v[93:94], v[68:69], v[66:67]
	s_waitcnt vmcnt(0)
	v_add_f64 v[66:67], v[99:100], -v[66:67]
	buffer_store_dword v67, off, s[0:3], 0 offset:12
	buffer_store_dword v66, off, s[0:3], 0 offset:8
	v_cmpx_ne_u32_e32 0, v0
	s_cbranch_execz .LBB95_201
; %bb.200:
	s_clause 0x1
	buffer_load_dword v66, off, s[0:3], 0
	buffer_load_dword v67, off, s[0:3], 0 offset:4
	v_mov_b32_e32 v0, 0
	buffer_store_dword v0, off, s[0:3], 0
	buffer_store_dword v0, off, s[0:3], 0 offset:4
	s_waitcnt vmcnt(0)
	ds_write_b64 v65, v[66:67]
.LBB95_201:
	s_or_b32 exec_lo, exec_lo, s4
	s_waitcnt lgkmcnt(0)
	s_waitcnt_vscnt null, 0x0
	s_barrier
	buffer_gl0_inv
	s_clause 0x1c
	buffer_load_dword v73, off, s[0:3], 0 offset:8
	buffer_load_dword v74, off, s[0:3], 0 offset:12
	buffer_load_dword v75, off, s[0:3], 0 offset:16
	buffer_load_dword v76, off, s[0:3], 0 offset:20
	buffer_load_dword v77, off, s[0:3], 0 offset:24
	buffer_load_dword v78, off, s[0:3], 0 offset:28
	buffer_load_dword v79, off, s[0:3], 0 offset:32
	buffer_load_dword v80, off, s[0:3], 0 offset:36
	buffer_load_dword v81, off, s[0:3], 0 offset:40
	buffer_load_dword v82, off, s[0:3], 0 offset:44
	buffer_load_dword v83, off, s[0:3], 0 offset:48
	buffer_load_dword v84, off, s[0:3], 0 offset:52
	buffer_load_dword v85, off, s[0:3], 0 offset:56
	buffer_load_dword v86, off, s[0:3], 0 offset:60
	buffer_load_dword v88, off, s[0:3], 0 offset:68
	buffer_load_dword v89, off, s[0:3], 0 offset:88
	buffer_load_dword v91, off, s[0:3], 0 offset:80
	buffer_load_dword v93, off, s[0:3], 0 offset:72
	buffer_load_dword v87, off, s[0:3], 0 offset:64
	buffer_load_dword v94, off, s[0:3], 0 offset:76
	buffer_load_dword v92, off, s[0:3], 0 offset:84
	buffer_load_dword v90, off, s[0:3], 0 offset:92
	buffer_load_dword v96, off, s[0:3], 0 offset:100
	buffer_load_dword v97, off, s[0:3], 0 offset:120
	buffer_load_dword v99, off, s[0:3], 0 offset:112
	buffer_load_dword v101, off, s[0:3], 0 offset:104
	buffer_load_dword v95, off, s[0:3], 0 offset:96
	buffer_load_dword v102, off, s[0:3], 0 offset:108
	buffer_load_dword v100, off, s[0:3], 0 offset:116
	v_mov_b32_e32 v0, 0
	buffer_load_dword v98, off, s[0:3], 0 offset:124
	s_and_b32 vcc_lo, exec_lo, s16
	ds_read2_b64 v[65:68], v0 offset0:33 offset1:34
	ds_read2_b64 v[69:72], v0 offset0:35 offset1:36
	s_waitcnt vmcnt(28) lgkmcnt(1)
	v_fma_f64 v[65:66], v[73:74], v[65:66], 0
	s_clause 0x7
	buffer_load_dword v74, off, s[0:3], 0 offset:132
	buffer_load_dword v103, off, s[0:3], 0 offset:152
	buffer_load_dword v105, off, s[0:3], 0 offset:144
	buffer_load_dword v107, off, s[0:3], 0 offset:136
	buffer_load_dword v73, off, s[0:3], 0 offset:128
	buffer_load_dword v108, off, s[0:3], 0 offset:140
	buffer_load_dword v106, off, s[0:3], 0 offset:148
	buffer_load_dword v104, off, s[0:3], 0 offset:156
	s_waitcnt vmcnt(34)
	v_fma_f64 v[65:66], v[75:76], v[67:68], v[65:66]
	s_waitcnt vmcnt(32) lgkmcnt(0)
	v_fma_f64 v[65:66], v[77:78], v[69:70], v[65:66]
	s_waitcnt vmcnt(30)
	v_fma_f64 v[75:76], v[79:80], v[71:72], v[65:66]
	ds_read2_b64 v[65:68], v0 offset0:37 offset1:38
	ds_read2_b64 v[69:72], v0 offset0:39 offset1:40
	s_waitcnt vmcnt(28) lgkmcnt(1)
	v_fma_f64 v[65:66], v[81:82], v[65:66], v[75:76]
	s_clause 0x7
	buffer_load_dword v76, off, s[0:3], 0 offset:164
	buffer_load_dword v77, off, s[0:3], 0 offset:184
	buffer_load_dword v79, off, s[0:3], 0 offset:176
	buffer_load_dword v81, off, s[0:3], 0 offset:168
	buffer_load_dword v75, off, s[0:3], 0 offset:160
	buffer_load_dword v82, off, s[0:3], 0 offset:172
	buffer_load_dword v80, off, s[0:3], 0 offset:180
	buffer_load_dword v78, off, s[0:3], 0 offset:188
	s_waitcnt vmcnt(34)
	v_fma_f64 v[65:66], v[83:84], v[67:68], v[65:66]
	s_waitcnt vmcnt(32) lgkmcnt(0)
	v_fma_f64 v[65:66], v[85:86], v[69:70], v[65:66]
	s_waitcnt vmcnt(27)
	v_fma_f64 v[83:84], v[87:88], v[71:72], v[65:66]
	;; [unrolled: 19-line block ×3, first 2 shown]
	ds_read2_b64 v[65:68], v0 offset0:45 offset1:46
	ds_read2_b64 v[69:72], v0 offset0:47 offset1:48
	s_waitcnt vmcnt(26) lgkmcnt(1)
	v_fma_f64 v[89:90], v[101:102], v[65:66], v[89:90]
	s_clause 0x6
	buffer_load_dword v92, off, s[0:3], 0 offset:228
	buffer_load_dword v95, off, s[0:3], 0 offset:248
	;; [unrolled: 1-line block ×7, first 2 shown]
	s_waitcnt vmcnt(32)
	v_fma_f64 v[66:67], v[99:100], v[67:68], v[89:90]
	s_waitcnt vmcnt(31) lgkmcnt(0)
	v_fma_f64 v[67:68], v[97:98], v[69:70], v[66:67]
	buffer_load_dword v66, off, s[0:3], 0 offset:244
	s_waitcnt vmcnt(27)
	v_fma_f64 v[89:90], v[73:74], v[71:72], v[67:68]
	ds_read2_b64 v[67:70], v0 offset0:49 offset1:50
	ds_read2_b64 v[71:74], v0 offset0:51 offset1:52
	s_waitcnt vmcnt(26) lgkmcnt(1)
	v_fma_f64 v[67:68], v[107:108], v[67:68], v[89:90]
	s_clause 0x1
	buffer_load_dword v89, off, s[0:3], 0
	buffer_load_dword v90, off, s[0:3], 0 offset:4
	s_waitcnt vmcnt(27)
	v_fma_f64 v[67:68], v[105:106], v[69:70], v[67:68]
	s_waitcnt vmcnt(26) lgkmcnt(0)
	v_fma_f64 v[67:68], v[103:104], v[71:72], v[67:68]
	s_waitcnt vmcnt(21)
	v_fma_f64 v[75:76], v[75:76], v[73:74], v[67:68]
	ds_read2_b64 v[67:70], v0 offset0:53 offset1:54
	ds_read2_b64 v[71:74], v0 offset0:55 offset1:56
	s_waitcnt vmcnt(20) lgkmcnt(1)
	v_fma_f64 v[67:68], v[81:82], v[67:68], v[75:76]
	s_waitcnt vmcnt(19)
	v_fma_f64 v[67:68], v[79:80], v[69:70], v[67:68]
	s_waitcnt vmcnt(18) lgkmcnt(0)
	v_fma_f64 v[67:68], v[77:78], v[71:72], v[67:68]
	s_waitcnt vmcnt(13)
	v_fma_f64 v[75:76], v[83:84], v[73:74], v[67:68]
	ds_read2_b64 v[67:70], v0 offset0:57 offset1:58
	ds_read2_b64 v[71:74], v0 offset0:59 offset1:60
	s_waitcnt vmcnt(12) lgkmcnt(1)
	v_fma_f64 v[67:68], v[93:94], v[67:68], v[75:76]
	s_waitcnt vmcnt(11)
	v_fma_f64 v[67:68], v[87:88], v[69:70], v[67:68]
	s_waitcnt vmcnt(10) lgkmcnt(0)
	v_fma_f64 v[67:68], v[85:86], v[71:72], v[67:68]
	s_waitcnt vmcnt(5)
	v_fma_f64 v[71:72], v[91:92], v[73:74], v[67:68]
	ds_read2_b64 v[67:70], v0 offset0:61 offset1:62
	ds_read_b64 v[73:74], v0 offset:504
	s_waitcnt vmcnt(4) lgkmcnt(1)
	v_fma_f64 v[67:68], v[101:102], v[67:68], v[71:72]
	s_waitcnt vmcnt(2)
	v_fma_f64 v[67:68], v[65:66], v[69:70], v[67:68]
	s_waitcnt lgkmcnt(0)
	v_fma_f64 v[67:68], v[95:96], v[73:74], v[67:68]
	s_waitcnt vmcnt(0)
	v_add_f64 v[67:68], v[89:90], -v[67:68]
	buffer_store_dword v68, off, s[0:3], 0 offset:4
	buffer_store_dword v67, off, s[0:3], 0
	s_cbranch_vccz .LBB95_264
; %bb.202:
	global_load_dword v0, v0, s[12:13] offset:120
	s_waitcnt vmcnt(0)
	v_add_nc_u32_e32 v0, -1, v0
	v_cmp_ne_u32_e32 vcc_lo, 30, v0
	s_cbranch_vccz .LBB95_204
; %bb.203:
	v_lshlrev_b32_e32 v0, 3, v0
	s_clause 0x1
	buffer_load_dword v67, v0, s[0:3], 0 offen offset:4
	buffer_load_dword v68, v0, s[0:3], 0 offen
	s_waitcnt vmcnt(1)
	buffer_store_dword v67, off, s[0:3], 0 offset:244
	s_waitcnt vmcnt(0)
	buffer_store_dword v68, off, s[0:3], 0 offset:240
	buffer_store_dword v66, v0, s[0:3], 0 offen offset:4
	buffer_store_dword v65, v0, s[0:3], 0 offen
.LBB95_204:
	v_mov_b32_e32 v0, 0
	global_load_dword v65, v0, s[12:13] offset:116
	s_waitcnt vmcnt(0)
	v_add_nc_u32_e32 v65, -1, v65
	v_cmp_eq_u32_e32 vcc_lo, 29, v65
	s_cbranch_vccnz .LBB95_206
; %bb.205:
	v_lshlrev_b32_e32 v65, 3, v65
	s_clause 0x3
	buffer_load_dword v66, v65, s[0:3], 0 offen
	buffer_load_dword v67, v65, s[0:3], 0 offen offset:4
	buffer_load_dword v68, off, s[0:3], 0 offset:232
	buffer_load_dword v69, off, s[0:3], 0 offset:236
	s_waitcnt vmcnt(3)
	buffer_store_dword v66, off, s[0:3], 0 offset:232
	s_waitcnt vmcnt(2)
	buffer_store_dword v67, off, s[0:3], 0 offset:236
	s_waitcnt vmcnt(1)
	buffer_store_dword v68, v65, s[0:3], 0 offen
	s_waitcnt vmcnt(0)
	buffer_store_dword v69, v65, s[0:3], 0 offen offset:4
.LBB95_206:
	global_load_dword v0, v0, s[12:13] offset:112
	s_waitcnt vmcnt(0)
	v_add_nc_u32_e32 v0, -1, v0
	v_cmp_eq_u32_e32 vcc_lo, 28, v0
	s_cbranch_vccnz .LBB95_208
; %bb.207:
	v_lshlrev_b32_e32 v0, 3, v0
	s_clause 0x3
	buffer_load_dword v65, v0, s[0:3], 0 offen
	buffer_load_dword v66, v0, s[0:3], 0 offen offset:4
	buffer_load_dword v67, off, s[0:3], 0 offset:228
	buffer_load_dword v68, off, s[0:3], 0 offset:224
	s_waitcnt vmcnt(3)
	buffer_store_dword v65, off, s[0:3], 0 offset:224
	s_waitcnt vmcnt(2)
	buffer_store_dword v66, off, s[0:3], 0 offset:228
	s_waitcnt vmcnt(1)
	buffer_store_dword v67, v0, s[0:3], 0 offen offset:4
	s_waitcnt vmcnt(0)
	buffer_store_dword v68, v0, s[0:3], 0 offen
.LBB95_208:
	v_mov_b32_e32 v0, 0
	global_load_dword v65, v0, s[12:13] offset:108
	s_waitcnt vmcnt(0)
	v_add_nc_u32_e32 v65, -1, v65
	v_cmp_eq_u32_e32 vcc_lo, 27, v65
	s_cbranch_vccnz .LBB95_210
; %bb.209:
	v_lshlrev_b32_e32 v65, 3, v65
	s_clause 0x3
	buffer_load_dword v66, v65, s[0:3], 0 offen
	buffer_load_dword v67, v65, s[0:3], 0 offen offset:4
	buffer_load_dword v68, off, s[0:3], 0 offset:216
	buffer_load_dword v69, off, s[0:3], 0 offset:220
	s_waitcnt vmcnt(3)
	buffer_store_dword v66, off, s[0:3], 0 offset:216
	s_waitcnt vmcnt(2)
	buffer_store_dword v67, off, s[0:3], 0 offset:220
	s_waitcnt vmcnt(1)
	buffer_store_dword v68, v65, s[0:3], 0 offen
	s_waitcnt vmcnt(0)
	buffer_store_dword v69, v65, s[0:3], 0 offen offset:4
.LBB95_210:
	global_load_dword v0, v0, s[12:13] offset:104
	s_waitcnt vmcnt(0)
	v_add_nc_u32_e32 v0, -1, v0
	v_cmp_eq_u32_e32 vcc_lo, 26, v0
	s_cbranch_vccnz .LBB95_212
; %bb.211:
	v_lshlrev_b32_e32 v0, 3, v0
	s_clause 0x3
	buffer_load_dword v65, v0, s[0:3], 0 offen
	buffer_load_dword v66, v0, s[0:3], 0 offen offset:4
	buffer_load_dword v67, off, s[0:3], 0 offset:212
	buffer_load_dword v68, off, s[0:3], 0 offset:208
	s_waitcnt vmcnt(3)
	buffer_store_dword v65, off, s[0:3], 0 offset:208
	s_waitcnt vmcnt(2)
	buffer_store_dword v66, off, s[0:3], 0 offset:212
	s_waitcnt vmcnt(1)
	buffer_store_dword v67, v0, s[0:3], 0 offen offset:4
	s_waitcnt vmcnt(0)
	buffer_store_dword v68, v0, s[0:3], 0 offen
.LBB95_212:
	;; [unrolled: 43-line block ×14, first 2 shown]
	v_mov_b32_e32 v0, 0
	global_load_dword v65, v0, s[12:13] offset:4
	s_waitcnt vmcnt(0)
	v_add_nc_u32_e32 v65, -1, v65
	v_cmp_eq_u32_e32 vcc_lo, 1, v65
	s_cbranch_vccnz .LBB95_262
; %bb.261:
	v_lshlrev_b32_e32 v65, 3, v65
	s_clause 0x3
	buffer_load_dword v66, v65, s[0:3], 0 offen
	buffer_load_dword v67, v65, s[0:3], 0 offen offset:4
	buffer_load_dword v68, off, s[0:3], 0 offset:8
	buffer_load_dword v69, off, s[0:3], 0 offset:12
	s_waitcnt vmcnt(3)
	buffer_store_dword v66, off, s[0:3], 0 offset:8
	s_waitcnt vmcnt(2)
	buffer_store_dword v67, off, s[0:3], 0 offset:12
	s_waitcnt vmcnt(1)
	buffer_store_dword v68, v65, s[0:3], 0 offen
	s_waitcnt vmcnt(0)
	buffer_store_dword v69, v65, s[0:3], 0 offen offset:4
.LBB95_262:
	global_load_dword v0, v0, s[12:13]
	s_clause 0x1
	buffer_load_dword v67, off, s[0:3], 0
	buffer_load_dword v68, off, s[0:3], 0 offset:4
	s_waitcnt vmcnt(2)
	v_add_nc_u32_e32 v0, -1, v0
	v_cmp_eq_u32_e32 vcc_lo, 0, v0
	s_cbranch_vccnz .LBB95_264
; %bb.263:
	v_lshlrev_b32_e32 v0, 3, v0
	s_clause 0x1
	buffer_load_dword v65, v0, s[0:3], 0 offen offset:4
	buffer_load_dword v66, v0, s[0:3], 0 offen
	s_waitcnt vmcnt(1)
	buffer_store_dword v65, off, s[0:3], 0 offset:4
	s_waitcnt vmcnt(0)
	buffer_store_dword v66, off, s[0:3], 0
	buffer_store_dword v68, v0, s[0:3], 0 offen offset:4
	buffer_store_dword v67, v0, s[0:3], 0 offen
	s_clause 0x1
	buffer_load_dword v67, off, s[0:3], 0
	buffer_load_dword v68, off, s[0:3], 0 offset:4
.LBB95_264:
	s_waitcnt vmcnt(0)
	flat_store_dwordx2 v[1:2], v[67:68]
	s_clause 0x1
	buffer_load_dword v0, off, s[0:3], 0 offset:8
	buffer_load_dword v1, off, s[0:3], 0 offset:12
	s_waitcnt vmcnt(0)
	flat_store_dwordx2 v[3:4], v[0:1]
	s_clause 0x1
	buffer_load_dword v0, off, s[0:3], 0 offset:16
	buffer_load_dword v1, off, s[0:3], 0 offset:20
	;; [unrolled: 5-line block ×31, first 2 shown]
	s_waitcnt vmcnt(0)
	flat_store_dwordx2 v[63:64], v[0:1]
	s_endpgm
	.section	.rodata,"a",@progbits
	.p2align	6, 0x0
	.amdhsa_kernel _ZN9rocsolver6v33100L18getri_kernel_smallILi32EdPKPdEEvT1_iilPiilS6_bb
		.amdhsa_group_segment_fixed_size 520
		.amdhsa_private_segment_fixed_size 272
		.amdhsa_kernarg_size 60
		.amdhsa_user_sgpr_count 6
		.amdhsa_user_sgpr_private_segment_buffer 1
		.amdhsa_user_sgpr_dispatch_ptr 0
		.amdhsa_user_sgpr_queue_ptr 0
		.amdhsa_user_sgpr_kernarg_segment_ptr 1
		.amdhsa_user_sgpr_dispatch_id 0
		.amdhsa_user_sgpr_flat_scratch_init 0
		.amdhsa_user_sgpr_private_segment_size 0
		.amdhsa_wavefront_size32 1
		.amdhsa_uses_dynamic_stack 0
		.amdhsa_system_sgpr_private_segment_wavefront_offset 1
		.amdhsa_system_sgpr_workgroup_id_x 1
		.amdhsa_system_sgpr_workgroup_id_y 0
		.amdhsa_system_sgpr_workgroup_id_z 0
		.amdhsa_system_sgpr_workgroup_info 0
		.amdhsa_system_vgpr_workitem_id 0
		.amdhsa_next_free_vgpr 111
		.amdhsa_next_free_sgpr 20
		.amdhsa_reserve_vcc 1
		.amdhsa_reserve_flat_scratch 0
		.amdhsa_float_round_mode_32 0
		.amdhsa_float_round_mode_16_64 0
		.amdhsa_float_denorm_mode_32 3
		.amdhsa_float_denorm_mode_16_64 3
		.amdhsa_dx10_clamp 1
		.amdhsa_ieee_mode 1
		.amdhsa_fp16_overflow 0
		.amdhsa_workgroup_processor_mode 1
		.amdhsa_memory_ordered 1
		.amdhsa_forward_progress 1
		.amdhsa_shared_vgpr_count 0
		.amdhsa_exception_fp_ieee_invalid_op 0
		.amdhsa_exception_fp_denorm_src 0
		.amdhsa_exception_fp_ieee_div_zero 0
		.amdhsa_exception_fp_ieee_overflow 0
		.amdhsa_exception_fp_ieee_underflow 0
		.amdhsa_exception_fp_ieee_inexact 0
		.amdhsa_exception_int_div_zero 0
	.end_amdhsa_kernel
	.section	.text._ZN9rocsolver6v33100L18getri_kernel_smallILi32EdPKPdEEvT1_iilPiilS6_bb,"axG",@progbits,_ZN9rocsolver6v33100L18getri_kernel_smallILi32EdPKPdEEvT1_iilPiilS6_bb,comdat
.Lfunc_end95:
	.size	_ZN9rocsolver6v33100L18getri_kernel_smallILi32EdPKPdEEvT1_iilPiilS6_bb, .Lfunc_end95-_ZN9rocsolver6v33100L18getri_kernel_smallILi32EdPKPdEEvT1_iilPiilS6_bb
                                        ; -- End function
	.set _ZN9rocsolver6v33100L18getri_kernel_smallILi32EdPKPdEEvT1_iilPiilS6_bb.num_vgpr, 111
	.set _ZN9rocsolver6v33100L18getri_kernel_smallILi32EdPKPdEEvT1_iilPiilS6_bb.num_agpr, 0
	.set _ZN9rocsolver6v33100L18getri_kernel_smallILi32EdPKPdEEvT1_iilPiilS6_bb.numbered_sgpr, 20
	.set _ZN9rocsolver6v33100L18getri_kernel_smallILi32EdPKPdEEvT1_iilPiilS6_bb.num_named_barrier, 0
	.set _ZN9rocsolver6v33100L18getri_kernel_smallILi32EdPKPdEEvT1_iilPiilS6_bb.private_seg_size, 272
	.set _ZN9rocsolver6v33100L18getri_kernel_smallILi32EdPKPdEEvT1_iilPiilS6_bb.uses_vcc, 1
	.set _ZN9rocsolver6v33100L18getri_kernel_smallILi32EdPKPdEEvT1_iilPiilS6_bb.uses_flat_scratch, 0
	.set _ZN9rocsolver6v33100L18getri_kernel_smallILi32EdPKPdEEvT1_iilPiilS6_bb.has_dyn_sized_stack, 0
	.set _ZN9rocsolver6v33100L18getri_kernel_smallILi32EdPKPdEEvT1_iilPiilS6_bb.has_recursion, 0
	.set _ZN9rocsolver6v33100L18getri_kernel_smallILi32EdPKPdEEvT1_iilPiilS6_bb.has_indirect_call, 0
	.section	.AMDGPU.csdata,"",@progbits
; Kernel info:
; codeLenInByte = 34264
; TotalNumSgprs: 22
; NumVgprs: 111
; ScratchSize: 272
; MemoryBound: 0
; FloatMode: 240
; IeeeMode: 1
; LDSByteSize: 520 bytes/workgroup (compile time only)
; SGPRBlocks: 0
; VGPRBlocks: 13
; NumSGPRsForWavesPerEU: 22
; NumVGPRsForWavesPerEU: 111
; Occupancy: 9
; WaveLimiterHint : 1
; COMPUTE_PGM_RSRC2:SCRATCH_EN: 1
; COMPUTE_PGM_RSRC2:USER_SGPR: 6
; COMPUTE_PGM_RSRC2:TRAP_HANDLER: 0
; COMPUTE_PGM_RSRC2:TGID_X_EN: 1
; COMPUTE_PGM_RSRC2:TGID_Y_EN: 0
; COMPUTE_PGM_RSRC2:TGID_Z_EN: 0
; COMPUTE_PGM_RSRC2:TIDIG_COMP_CNT: 0
	.section	.text._ZN9rocsolver6v33100L18getri_kernel_smallILi33EdPKPdEEvT1_iilPiilS6_bb,"axG",@progbits,_ZN9rocsolver6v33100L18getri_kernel_smallILi33EdPKPdEEvT1_iilPiilS6_bb,comdat
	.globl	_ZN9rocsolver6v33100L18getri_kernel_smallILi33EdPKPdEEvT1_iilPiilS6_bb ; -- Begin function _ZN9rocsolver6v33100L18getri_kernel_smallILi33EdPKPdEEvT1_iilPiilS6_bb
	.p2align	8
	.type	_ZN9rocsolver6v33100L18getri_kernel_smallILi33EdPKPdEEvT1_iilPiilS6_bb,@function
_ZN9rocsolver6v33100L18getri_kernel_smallILi33EdPKPdEEvT1_iilPiilS6_bb: ; @_ZN9rocsolver6v33100L18getri_kernel_smallILi33EdPKPdEEvT1_iilPiilS6_bb
; %bb.0:
	s_add_u32 s0, s0, s7
	s_addc_u32 s1, s1, 0
	s_mov_b32 s7, exec_lo
	v_cmpx_gt_u32_e32 33, v0
	s_cbranch_execz .LBB96_142
; %bb.1:
	s_clause 0x2
	s_load_dword s17, s[4:5], 0x38
	s_load_dwordx2 s[12:13], s[4:5], 0x0
	s_load_dwordx4 s[8:11], s[4:5], 0x28
	s_waitcnt lgkmcnt(0)
	s_bitcmp1_b32 s17, 8
	s_cselect_b32 s16, -1, 0
	s_ashr_i32 s7, s6, 31
	s_lshl_b64 s[14:15], s[6:7], 3
	s_add_u32 s12, s12, s14
	s_addc_u32 s13, s13, s15
	s_load_dwordx2 s[14:15], s[12:13], 0x0
	s_bfe_u32 s12, s17, 0x10008
	s_cmp_eq_u32 s12, 0
                                        ; implicit-def: $sgpr12_sgpr13
	s_cbranch_scc1 .LBB96_3
; %bb.2:
	s_clause 0x1
	s_load_dword s12, s[4:5], 0x20
	s_load_dwordx2 s[18:19], s[4:5], 0x18
	s_mul_i32 s13, s8, s7
	s_mul_hi_u32 s17, s8, s6
	s_mul_i32 s9, s9, s6
	s_add_i32 s13, s17, s13
	s_mul_i32 s8, s8, s6
	s_add_i32 s9, s13, s9
	s_lshl_b64 s[8:9], s[8:9], 2
	s_waitcnt lgkmcnt(0)
	s_ashr_i32 s13, s12, 31
	s_add_u32 s17, s18, s8
	s_addc_u32 s18, s19, s9
	s_lshl_b64 s[8:9], s[12:13], 2
	s_add_u32 s12, s17, s8
	s_addc_u32 s13, s18, s9
.LBB96_3:
	s_clause 0x1
	s_load_dwordx2 s[8:9], s[4:5], 0x8
	s_load_dword s17, s[4:5], 0x38
	v_lshlrev_b32_e32 v69, 3, v0
	s_waitcnt lgkmcnt(0)
	s_ashr_i32 s5, s8, 31
	s_mov_b32 s4, s8
	v_add3_u32 v9, s9, s9, v0
	s_lshl_b64 s[4:5], s[4:5], 3
	s_add_u32 s4, s14, s4
	s_addc_u32 s5, s15, s5
	v_add_co_u32 v1, s8, s4, v69
	v_add_co_ci_u32_e64 v2, null, s5, 0, s8
	s_mov_b32 s14, s9
	s_ashr_i32 s15, s9, 31
	v_ashrrev_i32_e32 v10, 31, v9
	flat_load_dwordx2 v[5:6], v[1:2]
	s_lshl_b64 s[14:15], s[14:15], 3
	v_add_nc_u32_e32 v12, s9, v9
	v_add_co_u32 v3, vcc_lo, v1, s14
	v_add_co_ci_u32_e64 v4, null, s15, v2, vcc_lo
	v_ashrrev_i32_e32 v13, 31, v12
	s_bitcmp0_b32 s17, 0
	s_waitcnt vmcnt(0) lgkmcnt(0)
	buffer_store_dword v6, off, s[0:3], 0 offset:4
	buffer_store_dword v5, off, s[0:3], 0
	flat_load_dwordx2 v[7:8], v[3:4]
	v_lshlrev_b64 v[5:6], 3, v[9:10]
	s_waitcnt vmcnt(0) lgkmcnt(0)
	buffer_store_dword v8, off, s[0:3], 0 offset:12
	buffer_store_dword v7, off, s[0:3], 0 offset:8
	v_add_co_u32 v5, vcc_lo, s4, v5
	v_add_co_ci_u32_e64 v6, null, s5, v6, vcc_lo
	v_lshlrev_b64 v[7:8], 3, v[12:13]
	flat_load_dwordx2 v[10:11], v[5:6]
	s_waitcnt vmcnt(0) lgkmcnt(0)
	buffer_store_dword v11, off, s[0:3], 0 offset:20
	buffer_store_dword v10, off, s[0:3], 0 offset:16
	v_add_co_u32 v7, vcc_lo, s4, v7
	v_add_co_ci_u32_e64 v8, null, s5, v8, vcc_lo
	v_add_nc_u32_e32 v11, s9, v12
	flat_load_dwordx2 v[13:14], v[7:8]
	s_waitcnt vmcnt(0) lgkmcnt(0)
	buffer_store_dword v14, off, s[0:3], 0 offset:28
	buffer_store_dword v13, off, s[0:3], 0 offset:24
	v_ashrrev_i32_e32 v12, 31, v11
	v_add_nc_u32_e32 v15, s9, v11
	v_lshlrev_b64 v[9:10], 3, v[11:12]
	v_ashrrev_i32_e32 v16, 31, v15
	v_add_nc_u32_e32 v18, s9, v15
	v_add_co_u32 v9, vcc_lo, s4, v9
	v_add_co_ci_u32_e64 v10, null, s5, v10, vcc_lo
	v_lshlrev_b64 v[11:12], 3, v[15:16]
	v_ashrrev_i32_e32 v19, 31, v18
	flat_load_dwordx2 v[13:14], v[9:10]
	s_waitcnt vmcnt(0) lgkmcnt(0)
	buffer_store_dword v14, off, s[0:3], 0 offset:36
	buffer_store_dword v13, off, s[0:3], 0 offset:32
	v_add_co_u32 v11, vcc_lo, s4, v11
	v_add_co_ci_u32_e64 v12, null, s5, v12, vcc_lo
	v_lshlrev_b64 v[13:14], 3, v[18:19]
	flat_load_dwordx2 v[16:17], v[11:12]
	s_waitcnt vmcnt(0) lgkmcnt(0)
	buffer_store_dword v17, off, s[0:3], 0 offset:44
	buffer_store_dword v16, off, s[0:3], 0 offset:40
	v_add_co_u32 v13, vcc_lo, s4, v13
	v_add_co_ci_u32_e64 v14, null, s5, v14, vcc_lo
	v_add_nc_u32_e32 v17, s9, v18
	flat_load_dwordx2 v[19:20], v[13:14]
	s_waitcnt vmcnt(0) lgkmcnt(0)
	buffer_store_dword v20, off, s[0:3], 0 offset:52
	buffer_store_dword v19, off, s[0:3], 0 offset:48
	v_ashrrev_i32_e32 v18, 31, v17
	v_add_nc_u32_e32 v21, s9, v17
	v_lshlrev_b64 v[15:16], 3, v[17:18]
	v_ashrrev_i32_e32 v22, 31, v21
	v_add_nc_u32_e32 v24, s9, v21
	v_add_co_u32 v15, vcc_lo, s4, v15
	v_add_co_ci_u32_e64 v16, null, s5, v16, vcc_lo
	v_lshlrev_b64 v[17:18], 3, v[21:22]
	v_ashrrev_i32_e32 v25, 31, v24
	flat_load_dwordx2 v[19:20], v[15:16]
	;; [unrolled: 27-line block ×9, first 2 shown]
	s_waitcnt vmcnt(0) lgkmcnt(0)
	buffer_store_dword v62, off, s[0:3], 0 offset:228
	buffer_store_dword v61, off, s[0:3], 0 offset:224
	v_add_co_u32 v59, vcc_lo, s4, v59
	v_add_co_ci_u32_e64 v60, null, s5, v60, vcc_lo
	v_lshlrev_b64 v[61:62], 3, v[66:67]
	flat_load_dwordx2 v[64:65], v[59:60]
	s_waitcnt vmcnt(0) lgkmcnt(0)
	buffer_store_dword v65, off, s[0:3], 0 offset:236
	buffer_store_dword v64, off, s[0:3], 0 offset:232
	v_add_co_u32 v61, vcc_lo, s4, v61
	v_add_co_ci_u32_e64 v62, null, s5, v62, vcc_lo
	v_add_nc_u32_e32 v65, s9, v66
	flat_load_dwordx2 v[67:68], v[61:62]
	s_waitcnt vmcnt(0) lgkmcnt(0)
	buffer_store_dword v68, off, s[0:3], 0 offset:244
	buffer_store_dword v67, off, s[0:3], 0 offset:240
	v_ashrrev_i32_e32 v66, 31, v65
	v_lshlrev_b64 v[63:64], 3, v[65:66]
	v_add_nc_u32_e32 v65, s9, v65
	v_add_co_u32 v63, vcc_lo, s4, v63
	v_add_co_ci_u32_e64 v64, null, s5, v64, vcc_lo
	v_ashrrev_i32_e32 v66, 31, v65
	flat_load_dwordx2 v[67:68], v[63:64]
	s_waitcnt vmcnt(0) lgkmcnt(0)
	buffer_store_dword v68, off, s[0:3], 0 offset:252
	buffer_store_dword v67, off, s[0:3], 0 offset:248
	v_lshlrev_b64 v[65:66], 3, v[65:66]
	v_add_co_u32 v65, vcc_lo, s4, v65
	v_add_co_ci_u32_e64 v66, null, s5, v66, vcc_lo
	s_mov_b32 s5, -1
	flat_load_dwordx2 v[67:68], v[65:66]
	s_waitcnt vmcnt(0) lgkmcnt(0)
	buffer_store_dword v68, off, s[0:3], 0 offset:260
	buffer_store_dword v67, off, s[0:3], 0 offset:256
	s_cbranch_scc1 .LBB96_140
; %bb.4:
	v_cmp_eq_u32_e64 s4, 0, v0
	s_and_saveexec_b32 s5, s4
; %bb.5:
	v_mov_b32_e32 v67, 0
	ds_write_b32 v67, v67 offset:264
; %bb.6:
	s_or_b32 exec_lo, exec_lo, s5
	v_lshl_add_u32 v67, v0, 3, 0
	s_waitcnt lgkmcnt(0)
	s_waitcnt_vscnt null, 0x0
	s_barrier
	buffer_gl0_inv
	s_mov_b32 s8, exec_lo
	s_clause 0x1
	buffer_load_dword v70, v67, s[0:3], 0 offen
	buffer_load_dword v71, v67, s[0:3], 0 offen offset:4
	s_waitcnt vmcnt(0)
	v_cmpx_eq_f64_e32 0, v[70:71]
	s_cbranch_execz .LBB96_10
; %bb.7:
	v_mov_b32_e32 v68, 0
	s_mov_b32 s9, 0
	ds_read_b32 v70, v68 offset:264
	s_waitcnt lgkmcnt(0)
	v_readfirstlane_b32 s5, v70
	v_add_nc_u32_e32 v70, 1, v0
	s_cmp_eq_u32 s5, 0
	v_cmp_gt_i32_e32 vcc_lo, s5, v70
	s_cselect_b32 s14, -1, 0
	s_or_b32 s14, s14, vcc_lo
	s_and_b32 exec_lo, exec_lo, s14
	s_cbranch_execz .LBB96_10
; %bb.8:
	v_mov_b32_e32 v71, s5
.LBB96_9:                               ; =>This Inner Loop Header: Depth=1
	ds_cmpst_rtn_b32 v71, v68, v71, v70 offset:264
	s_waitcnt lgkmcnt(0)
	v_cmp_ne_u32_e32 vcc_lo, 0, v71
	v_cmp_le_i32_e64 s5, v71, v70
	s_and_b32 s5, vcc_lo, s5
	s_and_b32 s5, exec_lo, s5
	s_or_b32 s9, s5, s9
	s_andn2_b32 exec_lo, exec_lo, s9
	s_cbranch_execnz .LBB96_9
.LBB96_10:
	s_or_b32 exec_lo, exec_lo, s8
	v_mov_b32_e32 v68, 0
	s_barrier
	buffer_gl0_inv
	ds_read_b32 v70, v68 offset:264
	s_and_saveexec_b32 s5, s4
	s_cbranch_execz .LBB96_12
; %bb.11:
	s_lshl_b64 s[8:9], s[6:7], 2
	s_add_u32 s8, s10, s8
	s_addc_u32 s9, s11, s9
	s_waitcnt lgkmcnt(0)
	global_store_dword v68, v70, s[8:9]
.LBB96_12:
	s_or_b32 exec_lo, exec_lo, s5
	s_waitcnt lgkmcnt(0)
	v_cmp_ne_u32_e32 vcc_lo, 0, v70
	s_mov_b32 s5, 0
	s_cbranch_vccnz .LBB96_140
; %bb.13:
	s_clause 0x1
	buffer_load_dword v70, v67, s[0:3], 0 offen
	buffer_load_dword v71, v67, s[0:3], 0 offen offset:4
	s_waitcnt vmcnt(0)
	v_div_scale_f64 v[72:73], null, v[70:71], v[70:71], 1.0
	v_div_scale_f64 v[78:79], vcc_lo, 1.0, v[70:71], 1.0
	v_rcp_f64_e32 v[74:75], v[72:73]
	v_fma_f64 v[76:77], -v[72:73], v[74:75], 1.0
	v_fma_f64 v[74:75], v[74:75], v[76:77], v[74:75]
	v_fma_f64 v[76:77], -v[72:73], v[74:75], 1.0
	v_fma_f64 v[74:75], v[74:75], v[76:77], v[74:75]
	v_mul_f64 v[76:77], v[78:79], v[74:75]
	v_fma_f64 v[72:73], -v[72:73], v[76:77], v[78:79]
	v_div_fmas_f64 v[72:73], v[72:73], v[74:75], v[76:77]
	v_div_fixup_f64 v[71:72], v[72:73], v[70:71], 1.0
	v_add_nc_u32_e32 v70, 0x110, v69
	buffer_store_dword v72, v67, s[0:3], 0 offen offset:4
	buffer_store_dword v71, v67, s[0:3], 0 offen
	s_clause 0x1
	buffer_load_dword v74, off, s[0:3], 0 offset:12
	buffer_load_dword v73, off, s[0:3], 0 offset:8
	v_xor_b32_e32 v72, 0x80000000, v72
	s_waitcnt vmcnt(0)
	ds_write2_b64 v69, v[71:72], v[73:74] offset1:34
	s_waitcnt lgkmcnt(0)
	s_waitcnt_vscnt null, 0x0
	s_barrier
	buffer_gl0_inv
	s_and_saveexec_b32 s5, s4
	s_cbranch_execz .LBB96_15
; %bb.14:
	s_clause 0x1
	buffer_load_dword v71, v67, s[0:3], 0 offen
	buffer_load_dword v72, v67, s[0:3], 0 offen offset:4
	ds_read_b64 v[73:74], v70
	v_mov_b32_e32 v68, 0
	ds_read_b64 v[75:76], v68 offset:8
	s_waitcnt vmcnt(0) lgkmcnt(1)
	v_fma_f64 v[71:72], v[71:72], v[73:74], 0
	s_waitcnt lgkmcnt(0)
	v_mul_f64 v[71:72], v[71:72], v[75:76]
	buffer_store_dword v71, off, s[0:3], 0 offset:8
	buffer_store_dword v72, off, s[0:3], 0 offset:12
.LBB96_15:
	s_or_b32 exec_lo, exec_lo, s5
	s_waitcnt_vscnt null, 0x0
	s_barrier
	buffer_gl0_inv
	s_clause 0x1
	buffer_load_dword v71, off, s[0:3], 0 offset:16
	buffer_load_dword v72, off, s[0:3], 0 offset:20
	s_mov_b32 s5, exec_lo
	s_waitcnt vmcnt(0)
	ds_write_b64 v70, v[71:72]
	s_waitcnt lgkmcnt(0)
	s_barrier
	buffer_gl0_inv
	v_cmpx_gt_u32_e32 2, v0
	s_cbranch_execz .LBB96_19
; %bb.16:
	s_clause 0x1
	buffer_load_dword v71, v67, s[0:3], 0 offen
	buffer_load_dword v72, v67, s[0:3], 0 offen offset:4
	ds_read_b64 v[67:68], v70
	s_waitcnt vmcnt(0) lgkmcnt(0)
	v_fma_f64 v[67:68], v[71:72], v[67:68], 0
	s_and_saveexec_b32 s8, s4
	s_cbranch_execz .LBB96_18
; %bb.17:
	s_clause 0x1
	buffer_load_dword v71, off, s[0:3], 0 offset:8
	buffer_load_dword v72, off, s[0:3], 0 offset:12
	v_mov_b32_e32 v73, 0
	ds_read_b64 v[73:74], v73 offset:280
	s_waitcnt vmcnt(0) lgkmcnt(0)
	v_fma_f64 v[67:68], v[71:72], v[73:74], v[67:68]
.LBB96_18:
	s_or_b32 exec_lo, exec_lo, s8
	v_mov_b32_e32 v71, 0
	ds_read_b64 v[71:72], v71 offset:16
	s_waitcnt lgkmcnt(0)
	v_mul_f64 v[67:68], v[67:68], v[71:72]
	buffer_store_dword v68, off, s[0:3], 0 offset:20
	buffer_store_dword v67, off, s[0:3], 0 offset:16
.LBB96_19:
	s_or_b32 exec_lo, exec_lo, s5
	s_waitcnt_vscnt null, 0x0
	s_barrier
	buffer_gl0_inv
	s_clause 0x1
	buffer_load_dword v67, off, s[0:3], 0 offset:24
	buffer_load_dword v68, off, s[0:3], 0 offset:28
	v_add_nc_u32_e32 v71, -1, v0
	s_mov_b32 s4, exec_lo
	s_waitcnt vmcnt(0)
	ds_write_b64 v70, v[67:68]
	s_waitcnt lgkmcnt(0)
	s_barrier
	buffer_gl0_inv
	v_cmpx_gt_u32_e32 3, v0
	s_cbranch_execz .LBB96_23
; %bb.20:
	v_mov_b32_e32 v67, 0
	v_add_nc_u32_e32 v72, -1, v0
	v_add_nc_u32_e32 v73, 0x110, v69
	v_mov_b32_e32 v68, 0
	v_mov_b32_e32 v74, v69
	s_mov_b32 s5, 0
.LBB96_21:                              ; =>This Inner Loop Header: Depth=1
	s_clause 0x1
	buffer_load_dword v75, v74, s[0:3], 0 offen
	buffer_load_dword v76, v74, s[0:3], 0 offen offset:4
	ds_read_b64 v[77:78], v73
	v_add_nc_u32_e32 v72, 1, v72
	v_add_nc_u32_e32 v73, 8, v73
	v_add_nc_u32_e32 v74, 8, v74
	v_cmp_lt_u32_e32 vcc_lo, 1, v72
	s_or_b32 s5, vcc_lo, s5
	s_waitcnt vmcnt(0) lgkmcnt(0)
	v_fma_f64 v[67:68], v[75:76], v[77:78], v[67:68]
	s_andn2_b32 exec_lo, exec_lo, s5
	s_cbranch_execnz .LBB96_21
; %bb.22:
	s_or_b32 exec_lo, exec_lo, s5
	v_mov_b32_e32 v72, 0
	ds_read_b64 v[72:73], v72 offset:24
	s_waitcnt lgkmcnt(0)
	v_mul_f64 v[67:68], v[67:68], v[72:73]
	buffer_store_dword v68, off, s[0:3], 0 offset:28
	buffer_store_dword v67, off, s[0:3], 0 offset:24
.LBB96_23:
	s_or_b32 exec_lo, exec_lo, s4
	s_waitcnt_vscnt null, 0x0
	s_barrier
	buffer_gl0_inv
	s_clause 0x1
	buffer_load_dword v67, off, s[0:3], 0 offset:32
	buffer_load_dword v68, off, s[0:3], 0 offset:36
	s_mov_b32 s4, exec_lo
	s_waitcnt vmcnt(0)
	ds_write_b64 v70, v[67:68]
	s_waitcnt lgkmcnt(0)
	s_barrier
	buffer_gl0_inv
	v_cmpx_gt_u32_e32 4, v0
	s_cbranch_execz .LBB96_27
; %bb.24:
	v_mov_b32_e32 v67, 0
	v_add_nc_u32_e32 v72, -1, v0
	v_add_nc_u32_e32 v73, 0x110, v69
	v_mov_b32_e32 v68, 0
	v_mov_b32_e32 v74, v69
	s_mov_b32 s5, 0
.LBB96_25:                              ; =>This Inner Loop Header: Depth=1
	s_clause 0x1
	buffer_load_dword v75, v74, s[0:3], 0 offen
	buffer_load_dword v76, v74, s[0:3], 0 offen offset:4
	ds_read_b64 v[77:78], v73
	v_add_nc_u32_e32 v72, 1, v72
	v_add_nc_u32_e32 v73, 8, v73
	v_add_nc_u32_e32 v74, 8, v74
	v_cmp_lt_u32_e32 vcc_lo, 2, v72
	s_or_b32 s5, vcc_lo, s5
	s_waitcnt vmcnt(0) lgkmcnt(0)
	v_fma_f64 v[67:68], v[75:76], v[77:78], v[67:68]
	s_andn2_b32 exec_lo, exec_lo, s5
	s_cbranch_execnz .LBB96_25
; %bb.26:
	s_or_b32 exec_lo, exec_lo, s5
	v_mov_b32_e32 v72, 0
	ds_read_b64 v[72:73], v72 offset:32
	s_waitcnt lgkmcnt(0)
	v_mul_f64 v[67:68], v[67:68], v[72:73]
	buffer_store_dword v68, off, s[0:3], 0 offset:36
	buffer_store_dword v67, off, s[0:3], 0 offset:32
.LBB96_27:
	s_or_b32 exec_lo, exec_lo, s4
	s_waitcnt_vscnt null, 0x0
	s_barrier
	buffer_gl0_inv
	s_clause 0x1
	buffer_load_dword v67, off, s[0:3], 0 offset:40
	buffer_load_dword v68, off, s[0:3], 0 offset:44
	;; [unrolled: 45-line block ×20, first 2 shown]
	s_mov_b32 s4, exec_lo
	s_waitcnt vmcnt(0)
	ds_write_b64 v70, v[67:68]
	s_waitcnt lgkmcnt(0)
	s_barrier
	buffer_gl0_inv
	v_cmpx_gt_u32_e32 23, v0
	s_cbranch_execz .LBB96_103
; %bb.100:
	v_mov_b32_e32 v67, 0
	v_add_nc_u32_e32 v72, -1, v0
	v_add_nc_u32_e32 v73, 0x110, v69
	v_mov_b32_e32 v68, 0
	v_mov_b32_e32 v74, v69
	s_mov_b32 s5, 0
.LBB96_101:                             ; =>This Inner Loop Header: Depth=1
	s_clause 0x1
	buffer_load_dword v75, v74, s[0:3], 0 offen
	buffer_load_dword v76, v74, s[0:3], 0 offen offset:4
	ds_read_b64 v[77:78], v73
	v_add_nc_u32_e32 v72, 1, v72
	v_add_nc_u32_e32 v73, 8, v73
	v_add_nc_u32_e32 v74, 8, v74
	v_cmp_lt_u32_e32 vcc_lo, 21, v72
	s_or_b32 s5, vcc_lo, s5
	s_waitcnt vmcnt(0) lgkmcnt(0)
	v_fma_f64 v[67:68], v[75:76], v[77:78], v[67:68]
	s_andn2_b32 exec_lo, exec_lo, s5
	s_cbranch_execnz .LBB96_101
; %bb.102:
	s_or_b32 exec_lo, exec_lo, s5
	v_mov_b32_e32 v72, 0
	ds_read_b64 v[72:73], v72 offset:184
	s_waitcnt lgkmcnt(0)
	v_mul_f64 v[67:68], v[67:68], v[72:73]
	buffer_store_dword v68, off, s[0:3], 0 offset:188
	buffer_store_dword v67, off, s[0:3], 0 offset:184
.LBB96_103:
	s_or_b32 exec_lo, exec_lo, s4
	s_waitcnt_vscnt null, 0x0
	s_barrier
	buffer_gl0_inv
	s_clause 0x1
	buffer_load_dword v67, off, s[0:3], 0 offset:192
	buffer_load_dword v68, off, s[0:3], 0 offset:196
	s_mov_b32 s4, exec_lo
	s_waitcnt vmcnt(0)
	ds_write_b64 v70, v[67:68]
	s_waitcnt lgkmcnt(0)
	s_barrier
	buffer_gl0_inv
	v_cmpx_gt_u32_e32 24, v0
	s_cbranch_execz .LBB96_107
; %bb.104:
	v_mov_b32_e32 v67, 0
	v_add_nc_u32_e32 v72, -1, v0
	v_add_nc_u32_e32 v73, 0x110, v69
	v_mov_b32_e32 v68, 0
	v_mov_b32_e32 v74, v69
	s_mov_b32 s5, 0
.LBB96_105:                             ; =>This Inner Loop Header: Depth=1
	s_clause 0x1
	buffer_load_dword v75, v74, s[0:3], 0 offen
	buffer_load_dword v76, v74, s[0:3], 0 offen offset:4
	ds_read_b64 v[77:78], v73
	v_add_nc_u32_e32 v72, 1, v72
	v_add_nc_u32_e32 v73, 8, v73
	v_add_nc_u32_e32 v74, 8, v74
	v_cmp_lt_u32_e32 vcc_lo, 22, v72
	s_or_b32 s5, vcc_lo, s5
	s_waitcnt vmcnt(0) lgkmcnt(0)
	v_fma_f64 v[67:68], v[75:76], v[77:78], v[67:68]
	s_andn2_b32 exec_lo, exec_lo, s5
	s_cbranch_execnz .LBB96_105
; %bb.106:
	s_or_b32 exec_lo, exec_lo, s5
	v_mov_b32_e32 v72, 0
	ds_read_b64 v[72:73], v72 offset:192
	s_waitcnt lgkmcnt(0)
	v_mul_f64 v[67:68], v[67:68], v[72:73]
	buffer_store_dword v68, off, s[0:3], 0 offset:196
	buffer_store_dword v67, off, s[0:3], 0 offset:192
.LBB96_107:
	s_or_b32 exec_lo, exec_lo, s4
	s_waitcnt_vscnt null, 0x0
	s_barrier
	buffer_gl0_inv
	s_clause 0x1
	buffer_load_dword v67, off, s[0:3], 0 offset:200
	buffer_load_dword v68, off, s[0:3], 0 offset:204
	;; [unrolled: 45-line block ×9, first 2 shown]
	s_mov_b32 s4, exec_lo
	s_waitcnt vmcnt(0)
	ds_write_b64 v70, v[67:68]
	s_waitcnt lgkmcnt(0)
	s_barrier
	buffer_gl0_inv
	v_cmpx_ne_u32_e32 32, v0
	s_cbranch_execz .LBB96_139
; %bb.136:
	v_mov_b32_e32 v67, 0
	v_mov_b32_e32 v68, 0
	s_mov_b32 s5, 0
.LBB96_137:                             ; =>This Inner Loop Header: Depth=1
	s_clause 0x1
	buffer_load_dword v72, v69, s[0:3], 0 offen
	buffer_load_dword v73, v69, s[0:3], 0 offen offset:4
	ds_read_b64 v[74:75], v70
	v_add_nc_u32_e32 v71, 1, v71
	v_add_nc_u32_e32 v70, 8, v70
	;; [unrolled: 1-line block ×3, first 2 shown]
	v_cmp_lt_u32_e32 vcc_lo, 30, v71
	s_or_b32 s5, vcc_lo, s5
	s_waitcnt vmcnt(0) lgkmcnt(0)
	v_fma_f64 v[67:68], v[72:73], v[74:75], v[67:68]
	s_andn2_b32 exec_lo, exec_lo, s5
	s_cbranch_execnz .LBB96_137
; %bb.138:
	s_or_b32 exec_lo, exec_lo, s5
	v_mov_b32_e32 v69, 0
	ds_read_b64 v[69:70], v69 offset:256
	s_waitcnt lgkmcnt(0)
	v_mul_f64 v[67:68], v[67:68], v[69:70]
	buffer_store_dword v68, off, s[0:3], 0 offset:260
	buffer_store_dword v67, off, s[0:3], 0 offset:256
.LBB96_139:
	s_or_b32 exec_lo, exec_lo, s4
	s_mov_b32 s5, -1
	s_waitcnt_vscnt null, 0x0
	s_barrier
	buffer_gl0_inv
.LBB96_140:
	s_and_b32 vcc_lo, exec_lo, s5
	s_cbranch_vccz .LBB96_142
; %bb.141:
	s_lshl_b64 s[4:5], s[6:7], 2
	v_mov_b32_e32 v67, 0
	s_add_u32 s4, s10, s4
	s_addc_u32 s5, s11, s5
	global_load_dword v67, v67, s[4:5]
	s_waitcnt vmcnt(0)
	v_cmp_ne_u32_e32 vcc_lo, 0, v67
	s_cbranch_vccz .LBB96_143
.LBB96_142:
	s_endpgm
.LBB96_143:
	v_lshl_add_u32 v67, v0, 3, 0x110
	s_mov_b32 s4, exec_lo
	v_cmpx_eq_u32_e32 32, v0
	s_cbranch_execz .LBB96_145
; %bb.144:
	s_clause 0x1
	buffer_load_dword v68, off, s[0:3], 0 offset:248
	buffer_load_dword v69, off, s[0:3], 0 offset:252
	v_mov_b32_e32 v70, 0
	buffer_store_dword v70, off, s[0:3], 0 offset:248
	buffer_store_dword v70, off, s[0:3], 0 offset:252
	s_waitcnt vmcnt(0)
	ds_write_b64 v67, v[68:69]
.LBB96_145:
	s_or_b32 exec_lo, exec_lo, s4
	s_waitcnt lgkmcnt(0)
	s_waitcnt_vscnt null, 0x0
	s_barrier
	buffer_gl0_inv
	s_clause 0x3
	buffer_load_dword v69, off, s[0:3], 0 offset:256
	buffer_load_dword v70, off, s[0:3], 0 offset:260
	;; [unrolled: 1-line block ×4, first 2 shown]
	v_mov_b32_e32 v68, 0
	s_mov_b32 s4, exec_lo
	ds_read_b64 v[73:74], v68 offset:528
	s_waitcnt vmcnt(2) lgkmcnt(0)
	v_fma_f64 v[69:70], v[69:70], v[73:74], 0
	s_waitcnt vmcnt(0)
	v_add_f64 v[69:70], v[71:72], -v[69:70]
	buffer_store_dword v69, off, s[0:3], 0 offset:248
	buffer_store_dword v70, off, s[0:3], 0 offset:252
	v_cmpx_lt_u32_e32 30, v0
	s_cbranch_execz .LBB96_147
; %bb.146:
	s_clause 0x1
	buffer_load_dword v69, off, s[0:3], 0 offset:240
	buffer_load_dword v70, off, s[0:3], 0 offset:244
	buffer_store_dword v68, off, s[0:3], 0 offset:240
	buffer_store_dword v68, off, s[0:3], 0 offset:244
	s_waitcnt vmcnt(0)
	ds_write_b64 v67, v[69:70]
.LBB96_147:
	s_or_b32 exec_lo, exec_lo, s4
	s_waitcnt lgkmcnt(0)
	s_waitcnt_vscnt null, 0x0
	s_barrier
	buffer_gl0_inv
	s_clause 0x5
	buffer_load_dword v72, off, s[0:3], 0 offset:248
	buffer_load_dword v73, off, s[0:3], 0 offset:252
	buffer_load_dword v74, off, s[0:3], 0 offset:256
	buffer_load_dword v75, off, s[0:3], 0 offset:260
	buffer_load_dword v76, off, s[0:3], 0 offset:240
	buffer_load_dword v77, off, s[0:3], 0 offset:244
	ds_read2_b64 v[68:71], v68 offset0:65 offset1:66
	s_mov_b32 s4, exec_lo
	s_waitcnt vmcnt(4) lgkmcnt(0)
	v_fma_f64 v[68:69], v[72:73], v[68:69], 0
	s_waitcnt vmcnt(2)
	v_fma_f64 v[68:69], v[74:75], v[70:71], v[68:69]
	s_waitcnt vmcnt(0)
	v_add_f64 v[68:69], v[76:77], -v[68:69]
	buffer_store_dword v68, off, s[0:3], 0 offset:240
	buffer_store_dword v69, off, s[0:3], 0 offset:244
	v_cmpx_lt_u32_e32 29, v0
	s_cbranch_execz .LBB96_149
; %bb.148:
	s_clause 0x1
	buffer_load_dword v68, off, s[0:3], 0 offset:232
	buffer_load_dword v69, off, s[0:3], 0 offset:236
	v_mov_b32_e32 v70, 0
	buffer_store_dword v70, off, s[0:3], 0 offset:232
	buffer_store_dword v70, off, s[0:3], 0 offset:236
	s_waitcnt vmcnt(0)
	ds_write_b64 v67, v[68:69]
.LBB96_149:
	s_or_b32 exec_lo, exec_lo, s4
	s_waitcnt lgkmcnt(0)
	s_waitcnt_vscnt null, 0x0
	s_barrier
	buffer_gl0_inv
	s_clause 0x7
	buffer_load_dword v73, off, s[0:3], 0 offset:240
	buffer_load_dword v74, off, s[0:3], 0 offset:244
	buffer_load_dword v75, off, s[0:3], 0 offset:248
	buffer_load_dword v76, off, s[0:3], 0 offset:252
	buffer_load_dword v77, off, s[0:3], 0 offset:256
	buffer_load_dword v78, off, s[0:3], 0 offset:260
	buffer_load_dword v79, off, s[0:3], 0 offset:232
	buffer_load_dword v80, off, s[0:3], 0 offset:236
	v_mov_b32_e32 v68, 0
	ds_read_b128 v[69:72], v68 offset:512
	ds_read_b64 v[81:82], v68 offset:528
	s_mov_b32 s4, exec_lo
	s_waitcnt vmcnt(6) lgkmcnt(1)
	v_fma_f64 v[69:70], v[73:74], v[69:70], 0
	s_waitcnt vmcnt(4)
	v_fma_f64 v[69:70], v[75:76], v[71:72], v[69:70]
	s_waitcnt vmcnt(2) lgkmcnt(0)
	v_fma_f64 v[69:70], v[77:78], v[81:82], v[69:70]
	s_waitcnt vmcnt(0)
	v_add_f64 v[69:70], v[79:80], -v[69:70]
	buffer_store_dword v69, off, s[0:3], 0 offset:232
	buffer_store_dword v70, off, s[0:3], 0 offset:236
	v_cmpx_lt_u32_e32 28, v0
	s_cbranch_execz .LBB96_151
; %bb.150:
	s_clause 0x1
	buffer_load_dword v69, off, s[0:3], 0 offset:224
	buffer_load_dword v70, off, s[0:3], 0 offset:228
	buffer_store_dword v68, off, s[0:3], 0 offset:224
	buffer_store_dword v68, off, s[0:3], 0 offset:228
	s_waitcnt vmcnt(0)
	ds_write_b64 v67, v[69:70]
.LBB96_151:
	s_or_b32 exec_lo, exec_lo, s4
	s_waitcnt lgkmcnt(0)
	s_waitcnt_vscnt null, 0x0
	s_barrier
	buffer_gl0_inv
	s_clause 0x9
	buffer_load_dword v77, off, s[0:3], 0 offset:232
	buffer_load_dword v78, off, s[0:3], 0 offset:236
	;; [unrolled: 1-line block ×10, first 2 shown]
	ds_read2_b64 v[69:72], v68 offset0:63 offset1:64
	ds_read2_b64 v[73:76], v68 offset0:65 offset1:66
	s_mov_b32 s4, exec_lo
	s_waitcnt vmcnt(8) lgkmcnt(1)
	v_fma_f64 v[68:69], v[77:78], v[69:70], 0
	s_waitcnt vmcnt(6)
	v_fma_f64 v[68:69], v[79:80], v[71:72], v[68:69]
	s_waitcnt vmcnt(4) lgkmcnt(0)
	v_fma_f64 v[68:69], v[81:82], v[73:74], v[68:69]
	s_waitcnt vmcnt(2)
	v_fma_f64 v[68:69], v[83:84], v[75:76], v[68:69]
	s_waitcnt vmcnt(0)
	v_add_f64 v[68:69], v[85:86], -v[68:69]
	buffer_store_dword v68, off, s[0:3], 0 offset:224
	buffer_store_dword v69, off, s[0:3], 0 offset:228
	v_cmpx_lt_u32_e32 27, v0
	s_cbranch_execz .LBB96_153
; %bb.152:
	s_clause 0x1
	buffer_load_dword v68, off, s[0:3], 0 offset:216
	buffer_load_dword v69, off, s[0:3], 0 offset:220
	v_mov_b32_e32 v70, 0
	buffer_store_dword v70, off, s[0:3], 0 offset:216
	buffer_store_dword v70, off, s[0:3], 0 offset:220
	s_waitcnt vmcnt(0)
	ds_write_b64 v67, v[68:69]
.LBB96_153:
	s_or_b32 exec_lo, exec_lo, s4
	s_waitcnt lgkmcnt(0)
	s_waitcnt_vscnt null, 0x0
	s_barrier
	buffer_gl0_inv
	s_clause 0xb
	buffer_load_dword v77, off, s[0:3], 0 offset:224
	buffer_load_dword v78, off, s[0:3], 0 offset:228
	;; [unrolled: 1-line block ×12, first 2 shown]
	v_mov_b32_e32 v68, 0
	ds_read_b128 v[69:72], v68 offset:496
	ds_read_b128 v[73:76], v68 offset:512
	s_mov_b32 s4, exec_lo
	s_waitcnt vmcnt(10) lgkmcnt(1)
	v_fma_f64 v[69:70], v[77:78], v[69:70], 0
	s_waitcnt vmcnt(8)
	v_fma_f64 v[69:70], v[79:80], v[71:72], v[69:70]
	ds_read_b64 v[71:72], v68 offset:528
	s_waitcnt vmcnt(6) lgkmcnt(1)
	v_fma_f64 v[69:70], v[81:82], v[73:74], v[69:70]
	s_waitcnt vmcnt(4)
	v_fma_f64 v[69:70], v[83:84], v[75:76], v[69:70]
	s_waitcnt vmcnt(2) lgkmcnt(0)
	v_fma_f64 v[69:70], v[85:86], v[71:72], v[69:70]
	s_waitcnt vmcnt(0)
	v_add_f64 v[69:70], v[87:88], -v[69:70]
	buffer_store_dword v69, off, s[0:3], 0 offset:216
	buffer_store_dword v70, off, s[0:3], 0 offset:220
	v_cmpx_lt_u32_e32 26, v0
	s_cbranch_execz .LBB96_155
; %bb.154:
	s_clause 0x1
	buffer_load_dword v69, off, s[0:3], 0 offset:208
	buffer_load_dword v70, off, s[0:3], 0 offset:212
	buffer_store_dword v68, off, s[0:3], 0 offset:208
	buffer_store_dword v68, off, s[0:3], 0 offset:212
	s_waitcnt vmcnt(0)
	ds_write_b64 v67, v[69:70]
.LBB96_155:
	s_or_b32 exec_lo, exec_lo, s4
	s_waitcnt lgkmcnt(0)
	s_waitcnt_vscnt null, 0x0
	s_barrier
	buffer_gl0_inv
	s_clause 0xd
	buffer_load_dword v77, off, s[0:3], 0 offset:216
	buffer_load_dword v78, off, s[0:3], 0 offset:220
	buffer_load_dword v79, off, s[0:3], 0 offset:224
	buffer_load_dword v80, off, s[0:3], 0 offset:228
	buffer_load_dword v81, off, s[0:3], 0 offset:232
	buffer_load_dword v82, off, s[0:3], 0 offset:236
	buffer_load_dword v83, off, s[0:3], 0 offset:240
	buffer_load_dword v84, off, s[0:3], 0 offset:244
	buffer_load_dword v85, off, s[0:3], 0 offset:248
	buffer_load_dword v86, off, s[0:3], 0 offset:252
	buffer_load_dword v87, off, s[0:3], 0 offset:256
	buffer_load_dword v88, off, s[0:3], 0 offset:260
	buffer_load_dword v89, off, s[0:3], 0 offset:208
	buffer_load_dword v90, off, s[0:3], 0 offset:212
	ds_read2_b64 v[69:72], v68 offset0:61 offset1:62
	ds_read2_b64 v[73:76], v68 offset0:63 offset1:64
	s_mov_b32 s4, exec_lo
	s_waitcnt vmcnt(12) lgkmcnt(1)
	v_fma_f64 v[69:70], v[77:78], v[69:70], 0
	s_waitcnt vmcnt(10)
	v_fma_f64 v[69:70], v[79:80], v[71:72], v[69:70]
	s_waitcnt vmcnt(8) lgkmcnt(0)
	v_fma_f64 v[69:70], v[81:82], v[73:74], v[69:70]
	s_waitcnt vmcnt(6)
	v_fma_f64 v[72:73], v[83:84], v[75:76], v[69:70]
	ds_read2_b64 v[68:71], v68 offset0:65 offset1:66
	s_waitcnt vmcnt(4) lgkmcnt(0)
	v_fma_f64 v[68:69], v[85:86], v[68:69], v[72:73]
	s_waitcnt vmcnt(2)
	v_fma_f64 v[68:69], v[87:88], v[70:71], v[68:69]
	s_waitcnt vmcnt(0)
	v_add_f64 v[68:69], v[89:90], -v[68:69]
	buffer_store_dword v68, off, s[0:3], 0 offset:208
	buffer_store_dword v69, off, s[0:3], 0 offset:212
	v_cmpx_lt_u32_e32 25, v0
	s_cbranch_execz .LBB96_157
; %bb.156:
	s_clause 0x1
	buffer_load_dword v68, off, s[0:3], 0 offset:200
	buffer_load_dword v69, off, s[0:3], 0 offset:204
	v_mov_b32_e32 v70, 0
	buffer_store_dword v70, off, s[0:3], 0 offset:200
	buffer_store_dword v70, off, s[0:3], 0 offset:204
	s_waitcnt vmcnt(0)
	ds_write_b64 v67, v[68:69]
.LBB96_157:
	s_or_b32 exec_lo, exec_lo, s4
	s_waitcnt lgkmcnt(0)
	s_waitcnt_vscnt null, 0x0
	s_barrier
	buffer_gl0_inv
	s_clause 0xf
	buffer_load_dword v77, off, s[0:3], 0 offset:208
	buffer_load_dword v78, off, s[0:3], 0 offset:212
	;; [unrolled: 1-line block ×16, first 2 shown]
	v_mov_b32_e32 v68, 0
	ds_read_b128 v[69:72], v68 offset:480
	ds_read_b128 v[73:76], v68 offset:496
	s_mov_b32 s4, exec_lo
	s_waitcnt vmcnt(14) lgkmcnt(1)
	v_fma_f64 v[69:70], v[77:78], v[69:70], 0
	s_waitcnt vmcnt(12)
	v_fma_f64 v[69:70], v[79:80], v[71:72], v[69:70]
	s_waitcnt vmcnt(10) lgkmcnt(0)
	v_fma_f64 v[69:70], v[81:82], v[73:74], v[69:70]
	s_waitcnt vmcnt(8)
	v_fma_f64 v[73:74], v[83:84], v[75:76], v[69:70]
	ds_read_b128 v[69:72], v68 offset:512
	ds_read_b64 v[75:76], v68 offset:528
	s_waitcnt vmcnt(6) lgkmcnt(1)
	v_fma_f64 v[69:70], v[85:86], v[69:70], v[73:74]
	s_waitcnt vmcnt(4)
	v_fma_f64 v[69:70], v[87:88], v[71:72], v[69:70]
	s_waitcnt vmcnt(2) lgkmcnt(0)
	v_fma_f64 v[69:70], v[89:90], v[75:76], v[69:70]
	s_waitcnt vmcnt(0)
	v_add_f64 v[69:70], v[91:92], -v[69:70]
	buffer_store_dword v69, off, s[0:3], 0 offset:200
	buffer_store_dword v70, off, s[0:3], 0 offset:204
	v_cmpx_lt_u32_e32 24, v0
	s_cbranch_execz .LBB96_159
; %bb.158:
	s_clause 0x1
	buffer_load_dword v69, off, s[0:3], 0 offset:192
	buffer_load_dword v70, off, s[0:3], 0 offset:196
	buffer_store_dword v68, off, s[0:3], 0 offset:192
	buffer_store_dword v68, off, s[0:3], 0 offset:196
	s_waitcnt vmcnt(0)
	ds_write_b64 v67, v[69:70]
.LBB96_159:
	s_or_b32 exec_lo, exec_lo, s4
	s_waitcnt lgkmcnt(0)
	s_waitcnt_vscnt null, 0x0
	s_barrier
	buffer_gl0_inv
	s_clause 0x11
	buffer_load_dword v73, off, s[0:3], 0 offset:200
	buffer_load_dword v74, off, s[0:3], 0 offset:204
	buffer_load_dword v75, off, s[0:3], 0 offset:208
	buffer_load_dword v76, off, s[0:3], 0 offset:212
	buffer_load_dword v77, off, s[0:3], 0 offset:216
	buffer_load_dword v78, off, s[0:3], 0 offset:220
	buffer_load_dword v79, off, s[0:3], 0 offset:224
	buffer_load_dword v80, off, s[0:3], 0 offset:228
	buffer_load_dword v81, off, s[0:3], 0 offset:232
	buffer_load_dword v82, off, s[0:3], 0 offset:236
	buffer_load_dword v83, off, s[0:3], 0 offset:240
	buffer_load_dword v84, off, s[0:3], 0 offset:244
	buffer_load_dword v85, off, s[0:3], 0 offset:248
	buffer_load_dword v86, off, s[0:3], 0 offset:252
	buffer_load_dword v88, off, s[0:3], 0 offset:260
	buffer_load_dword v87, off, s[0:3], 0 offset:256
	buffer_load_dword v89, off, s[0:3], 0 offset:192
	buffer_load_dword v90, off, s[0:3], 0 offset:196
	ds_read2_b64 v[69:72], v68 offset0:59 offset1:60
	s_mov_b32 s4, exec_lo
	s_waitcnt vmcnt(16) lgkmcnt(0)
	v_fma_f64 v[69:70], v[73:74], v[69:70], 0
	s_waitcnt vmcnt(14)
	v_fma_f64 v[73:74], v[75:76], v[71:72], v[69:70]
	ds_read2_b64 v[69:72], v68 offset0:61 offset1:62
	s_waitcnt vmcnt(12) lgkmcnt(0)
	v_fma_f64 v[69:70], v[77:78], v[69:70], v[73:74]
	s_waitcnt vmcnt(10)
	v_fma_f64 v[73:74], v[79:80], v[71:72], v[69:70]
	ds_read2_b64 v[69:72], v68 offset0:63 offset1:64
	s_waitcnt vmcnt(8) lgkmcnt(0)
	v_fma_f64 v[69:70], v[81:82], v[69:70], v[73:74]
	s_waitcnt vmcnt(6)
	v_fma_f64 v[72:73], v[83:84], v[71:72], v[69:70]
	ds_read2_b64 v[68:71], v68 offset0:65 offset1:66
	s_waitcnt vmcnt(4) lgkmcnt(0)
	v_fma_f64 v[68:69], v[85:86], v[68:69], v[72:73]
	s_waitcnt vmcnt(2)
	v_fma_f64 v[68:69], v[87:88], v[70:71], v[68:69]
	s_waitcnt vmcnt(0)
	v_add_f64 v[68:69], v[89:90], -v[68:69]
	buffer_store_dword v68, off, s[0:3], 0 offset:192
	buffer_store_dword v69, off, s[0:3], 0 offset:196
	v_cmpx_lt_u32_e32 23, v0
	s_cbranch_execz .LBB96_161
; %bb.160:
	s_clause 0x1
	buffer_load_dword v68, off, s[0:3], 0 offset:184
	buffer_load_dword v69, off, s[0:3], 0 offset:188
	v_mov_b32_e32 v70, 0
	buffer_store_dword v70, off, s[0:3], 0 offset:184
	buffer_store_dword v70, off, s[0:3], 0 offset:188
	s_waitcnt vmcnt(0)
	ds_write_b64 v67, v[68:69]
.LBB96_161:
	s_or_b32 exec_lo, exec_lo, s4
	s_waitcnt lgkmcnt(0)
	s_waitcnt_vscnt null, 0x0
	s_barrier
	buffer_gl0_inv
	s_clause 0x13
	buffer_load_dword v73, off, s[0:3], 0 offset:192
	buffer_load_dword v74, off, s[0:3], 0 offset:196
	;; [unrolled: 1-line block ×20, first 2 shown]
	v_mov_b32_e32 v68, 0
	s_mov_b32 s4, exec_lo
	ds_read_b128 v[69:72], v68 offset:464
	s_waitcnt vmcnt(18) lgkmcnt(0)
	v_fma_f64 v[69:70], v[73:74], v[69:70], 0
	s_waitcnt vmcnt(16)
	v_fma_f64 v[73:74], v[75:76], v[71:72], v[69:70]
	ds_read_b128 v[69:72], v68 offset:480
	s_waitcnt vmcnt(14) lgkmcnt(0)
	v_fma_f64 v[69:70], v[77:78], v[69:70], v[73:74]
	s_waitcnt vmcnt(12)
	v_fma_f64 v[73:74], v[79:80], v[71:72], v[69:70]
	;; [unrolled: 5-line block ×4, first 2 shown]
	ds_read_b64 v[71:72], v68 offset:528
	s_waitcnt vmcnt(2) lgkmcnt(0)
	v_fma_f64 v[69:70], v[89:90], v[71:72], v[69:70]
	s_waitcnt vmcnt(0)
	v_add_f64 v[69:70], v[91:92], -v[69:70]
	buffer_store_dword v69, off, s[0:3], 0 offset:184
	buffer_store_dword v70, off, s[0:3], 0 offset:188
	v_cmpx_lt_u32_e32 22, v0
	s_cbranch_execz .LBB96_163
; %bb.162:
	s_clause 0x1
	buffer_load_dword v69, off, s[0:3], 0 offset:176
	buffer_load_dword v70, off, s[0:3], 0 offset:180
	buffer_store_dword v68, off, s[0:3], 0 offset:176
	buffer_store_dword v68, off, s[0:3], 0 offset:180
	s_waitcnt vmcnt(0)
	ds_write_b64 v67, v[69:70]
.LBB96_163:
	s_or_b32 exec_lo, exec_lo, s4
	s_waitcnt lgkmcnt(0)
	s_waitcnt_vscnt null, 0x0
	s_barrier
	buffer_gl0_inv
	s_clause 0x15
	buffer_load_dword v73, off, s[0:3], 0 offset:184
	buffer_load_dword v74, off, s[0:3], 0 offset:188
	;; [unrolled: 1-line block ×22, first 2 shown]
	ds_read2_b64 v[69:72], v68 offset0:57 offset1:58
	s_mov_b32 s4, exec_lo
	s_waitcnt vmcnt(20) lgkmcnt(0)
	v_fma_f64 v[69:70], v[73:74], v[69:70], 0
	s_waitcnt vmcnt(18)
	v_fma_f64 v[73:74], v[75:76], v[71:72], v[69:70]
	ds_read2_b64 v[69:72], v68 offset0:59 offset1:60
	s_waitcnt vmcnt(16) lgkmcnt(0)
	v_fma_f64 v[69:70], v[77:78], v[69:70], v[73:74]
	s_waitcnt vmcnt(14)
	v_fma_f64 v[73:74], v[79:80], v[71:72], v[69:70]
	ds_read2_b64 v[69:72], v68 offset0:61 offset1:62
	;; [unrolled: 5-line block ×4, first 2 shown]
	s_waitcnt vmcnt(4) lgkmcnt(0)
	v_fma_f64 v[68:69], v[89:90], v[68:69], v[72:73]
	s_waitcnt vmcnt(2)
	v_fma_f64 v[68:69], v[91:92], v[70:71], v[68:69]
	s_waitcnt vmcnt(0)
	v_add_f64 v[68:69], v[93:94], -v[68:69]
	buffer_store_dword v68, off, s[0:3], 0 offset:176
	buffer_store_dword v69, off, s[0:3], 0 offset:180
	v_cmpx_lt_u32_e32 21, v0
	s_cbranch_execz .LBB96_165
; %bb.164:
	s_clause 0x1
	buffer_load_dword v68, off, s[0:3], 0 offset:168
	buffer_load_dword v69, off, s[0:3], 0 offset:172
	v_mov_b32_e32 v70, 0
	buffer_store_dword v70, off, s[0:3], 0 offset:168
	buffer_store_dword v70, off, s[0:3], 0 offset:172
	s_waitcnt vmcnt(0)
	ds_write_b64 v67, v[68:69]
.LBB96_165:
	s_or_b32 exec_lo, exec_lo, s4
	s_waitcnt lgkmcnt(0)
	s_waitcnt_vscnt null, 0x0
	s_barrier
	buffer_gl0_inv
	s_clause 0x17
	buffer_load_dword v77, off, s[0:3], 0 offset:176
	buffer_load_dword v78, off, s[0:3], 0 offset:180
	;; [unrolled: 1-line block ×24, first 2 shown]
	v_mov_b32_e32 v68, 0
	ds_read_b128 v[69:72], v68 offset:448
	ds_read_b128 v[73:76], v68 offset:464
	s_mov_b32 s4, exec_lo
	s_waitcnt vmcnt(22) lgkmcnt(1)
	v_fma_f64 v[69:70], v[77:78], v[69:70], 0
	s_waitcnt vmcnt(20)
	v_fma_f64 v[69:70], v[79:80], v[71:72], v[69:70]
	s_waitcnt vmcnt(18) lgkmcnt(0)
	v_fma_f64 v[69:70], v[81:82], v[73:74], v[69:70]
	s_waitcnt vmcnt(16)
	v_fma_f64 v[77:78], v[83:84], v[75:76], v[69:70]
	ds_read_b128 v[69:72], v68 offset:480
	ds_read_b128 v[73:76], v68 offset:496
	s_waitcnt vmcnt(14) lgkmcnt(1)
	v_fma_f64 v[69:70], v[85:86], v[69:70], v[77:78]
	s_waitcnt vmcnt(12)
	v_fma_f64 v[69:70], v[87:88], v[71:72], v[69:70]
	s_waitcnt vmcnt(10) lgkmcnt(0)
	v_fma_f64 v[69:70], v[89:90], v[73:74], v[69:70]
	s_waitcnt vmcnt(5)
	v_fma_f64 v[73:74], v[91:92], v[75:76], v[69:70]
	ds_read_b128 v[69:72], v68 offset:512
	ds_read_b64 v[75:76], v68 offset:528
	s_waitcnt vmcnt(4) lgkmcnt(1)
	v_fma_f64 v[69:70], v[97:98], v[69:70], v[73:74]
	s_waitcnt vmcnt(3)
	v_fma_f64 v[69:70], v[95:96], v[71:72], v[69:70]
	s_waitcnt vmcnt(2) lgkmcnt(0)
	v_fma_f64 v[69:70], v[93:94], v[75:76], v[69:70]
	s_waitcnt vmcnt(0)
	v_add_f64 v[69:70], v[99:100], -v[69:70]
	buffer_store_dword v70, off, s[0:3], 0 offset:172
	buffer_store_dword v69, off, s[0:3], 0 offset:168
	v_cmpx_lt_u32_e32 20, v0
	s_cbranch_execz .LBB96_167
; %bb.166:
	s_clause 0x1
	buffer_load_dword v69, off, s[0:3], 0 offset:160
	buffer_load_dword v70, off, s[0:3], 0 offset:164
	buffer_store_dword v68, off, s[0:3], 0 offset:160
	buffer_store_dword v68, off, s[0:3], 0 offset:164
	s_waitcnt vmcnt(0)
	ds_write_b64 v67, v[69:70]
.LBB96_167:
	s_or_b32 exec_lo, exec_lo, s4
	s_waitcnt lgkmcnt(0)
	s_waitcnt_vscnt null, 0x0
	s_barrier
	buffer_gl0_inv
	s_clause 0x19
	buffer_load_dword v77, off, s[0:3], 0 offset:168
	buffer_load_dword v78, off, s[0:3], 0 offset:172
	;; [unrolled: 1-line block ×26, first 2 shown]
	ds_read2_b64 v[69:72], v68 offset0:55 offset1:56
	ds_read2_b64 v[73:76], v68 offset0:57 offset1:58
	s_mov_b32 s4, exec_lo
	s_waitcnt vmcnt(24) lgkmcnt(1)
	v_fma_f64 v[69:70], v[77:78], v[69:70], 0
	s_waitcnt vmcnt(22)
	v_fma_f64 v[69:70], v[79:80], v[71:72], v[69:70]
	s_waitcnt vmcnt(20) lgkmcnt(0)
	v_fma_f64 v[69:70], v[81:82], v[73:74], v[69:70]
	s_waitcnt vmcnt(18)
	v_fma_f64 v[77:78], v[83:84], v[75:76], v[69:70]
	ds_read2_b64 v[69:72], v68 offset0:59 offset1:60
	ds_read2_b64 v[73:76], v68 offset0:61 offset1:62
	s_waitcnt vmcnt(16) lgkmcnt(1)
	v_fma_f64 v[69:70], v[85:86], v[69:70], v[77:78]
	s_waitcnt vmcnt(14)
	v_fma_f64 v[69:70], v[87:88], v[71:72], v[69:70]
	s_waitcnt vmcnt(12) lgkmcnt(0)
	v_fma_f64 v[69:70], v[89:90], v[73:74], v[69:70]
	s_waitcnt vmcnt(7)
	v_fma_f64 v[77:78], v[91:92], v[75:76], v[69:70]
	ds_read2_b64 v[69:72], v68 offset0:63 offset1:64
	ds_read2_b64 v[73:76], v68 offset0:65 offset1:66
	s_waitcnt vmcnt(6) lgkmcnt(1)
	v_fma_f64 v[68:69], v[97:98], v[69:70], v[77:78]
	s_waitcnt vmcnt(5)
	v_fma_f64 v[68:69], v[95:96], v[71:72], v[68:69]
	s_waitcnt vmcnt(4) lgkmcnt(0)
	v_fma_f64 v[68:69], v[93:94], v[73:74], v[68:69]
	s_waitcnt vmcnt(2)
	v_fma_f64 v[68:69], v[99:100], v[75:76], v[68:69]
	s_waitcnt vmcnt(0)
	v_add_f64 v[68:69], v[101:102], -v[68:69]
	buffer_store_dword v69, off, s[0:3], 0 offset:164
	buffer_store_dword v68, off, s[0:3], 0 offset:160
	v_cmpx_lt_u32_e32 19, v0
	s_cbranch_execz .LBB96_169
; %bb.168:
	s_clause 0x1
	buffer_load_dword v68, off, s[0:3], 0 offset:152
	buffer_load_dword v69, off, s[0:3], 0 offset:156
	v_mov_b32_e32 v70, 0
	buffer_store_dword v70, off, s[0:3], 0 offset:152
	buffer_store_dword v70, off, s[0:3], 0 offset:156
	s_waitcnt vmcnt(0)
	ds_write_b64 v67, v[68:69]
.LBB96_169:
	s_or_b32 exec_lo, exec_lo, s4
	s_waitcnt lgkmcnt(0)
	s_waitcnt_vscnt null, 0x0
	s_barrier
	buffer_gl0_inv
	s_clause 0x1b
	buffer_load_dword v77, off, s[0:3], 0 offset:160
	buffer_load_dword v78, off, s[0:3], 0 offset:164
	;; [unrolled: 1-line block ×28, first 2 shown]
	v_mov_b32_e32 v68, 0
	ds_read_b128 v[69:72], v68 offset:432
	ds_read_b128 v[73:76], v68 offset:448
	s_mov_b32 s4, exec_lo
	s_waitcnt vmcnt(26) lgkmcnt(1)
	v_fma_f64 v[69:70], v[77:78], v[69:70], 0
	s_waitcnt vmcnt(24)
	v_fma_f64 v[69:70], v[79:80], v[71:72], v[69:70]
	s_waitcnt vmcnt(22) lgkmcnt(0)
	v_fma_f64 v[69:70], v[81:82], v[73:74], v[69:70]
	s_waitcnt vmcnt(20)
	v_fma_f64 v[77:78], v[83:84], v[75:76], v[69:70]
	ds_read_b128 v[69:72], v68 offset:464
	ds_read_b128 v[73:76], v68 offset:480
	s_waitcnt vmcnt(18) lgkmcnt(1)
	v_fma_f64 v[69:70], v[85:86], v[69:70], v[77:78]
	s_waitcnt vmcnt(16)
	v_fma_f64 v[69:70], v[87:88], v[71:72], v[69:70]
	s_waitcnt vmcnt(14) lgkmcnt(0)
	v_fma_f64 v[69:70], v[89:90], v[73:74], v[69:70]
	s_waitcnt vmcnt(9)
	v_fma_f64 v[77:78], v[91:92], v[75:76], v[69:70]
	ds_read_b128 v[69:72], v68 offset:496
	ds_read_b128 v[73:76], v68 offset:512
	s_waitcnt vmcnt(8) lgkmcnt(1)
	v_fma_f64 v[69:70], v[97:98], v[69:70], v[77:78]
	s_waitcnt vmcnt(7)
	v_fma_f64 v[69:70], v[95:96], v[71:72], v[69:70]
	ds_read_b64 v[71:72], v68 offset:528
	s_waitcnt vmcnt(6) lgkmcnt(1)
	v_fma_f64 v[69:70], v[93:94], v[73:74], v[69:70]
	s_waitcnt vmcnt(3)
	v_fma_f64 v[69:70], v[99:100], v[75:76], v[69:70]
	s_waitcnt vmcnt(2) lgkmcnt(0)
	v_fma_f64 v[69:70], v[101:102], v[71:72], v[69:70]
	s_waitcnt vmcnt(0)
	v_add_f64 v[69:70], v[103:104], -v[69:70]
	buffer_store_dword v70, off, s[0:3], 0 offset:156
	buffer_store_dword v69, off, s[0:3], 0 offset:152
	v_cmpx_lt_u32_e32 18, v0
	s_cbranch_execz .LBB96_171
; %bb.170:
	s_clause 0x1
	buffer_load_dword v69, off, s[0:3], 0 offset:144
	buffer_load_dword v70, off, s[0:3], 0 offset:148
	buffer_store_dword v68, off, s[0:3], 0 offset:144
	buffer_store_dword v68, off, s[0:3], 0 offset:148
	s_waitcnt vmcnt(0)
	ds_write_b64 v67, v[69:70]
.LBB96_171:
	s_or_b32 exec_lo, exec_lo, s4
	s_waitcnt lgkmcnt(0)
	s_waitcnt_vscnt null, 0x0
	s_barrier
	buffer_gl0_inv
	s_clause 0x1b
	buffer_load_dword v77, off, s[0:3], 0 offset:152
	buffer_load_dword v78, off, s[0:3], 0 offset:156
	;; [unrolled: 1-line block ×28, first 2 shown]
	ds_read2_b64 v[69:72], v68 offset0:53 offset1:54
	s_clause 0x1
	buffer_load_dword v105, off, s[0:3], 0 offset:144
	buffer_load_dword v106, off, s[0:3], 0 offset:148
	ds_read2_b64 v[73:76], v68 offset0:55 offset1:56
	s_mov_b32 s4, exec_lo
	s_waitcnt vmcnt(28) lgkmcnt(1)
	v_fma_f64 v[69:70], v[77:78], v[69:70], 0
	s_waitcnt vmcnt(26)
	v_fma_f64 v[69:70], v[79:80], v[71:72], v[69:70]
	s_waitcnt vmcnt(24) lgkmcnt(0)
	v_fma_f64 v[69:70], v[81:82], v[73:74], v[69:70]
	s_waitcnt vmcnt(22)
	v_fma_f64 v[77:78], v[83:84], v[75:76], v[69:70]
	ds_read2_b64 v[69:72], v68 offset0:57 offset1:58
	ds_read2_b64 v[73:76], v68 offset0:59 offset1:60
	s_waitcnt vmcnt(20) lgkmcnt(1)
	v_fma_f64 v[69:70], v[85:86], v[69:70], v[77:78]
	s_waitcnt vmcnt(18)
	v_fma_f64 v[69:70], v[87:88], v[71:72], v[69:70]
	s_waitcnt vmcnt(16) lgkmcnt(0)
	v_fma_f64 v[69:70], v[89:90], v[73:74], v[69:70]
	s_waitcnt vmcnt(11)
	v_fma_f64 v[77:78], v[91:92], v[75:76], v[69:70]
	ds_read2_b64 v[69:72], v68 offset0:61 offset1:62
	ds_read2_b64 v[73:76], v68 offset0:63 offset1:64
	s_waitcnt vmcnt(10) lgkmcnt(1)
	v_fma_f64 v[69:70], v[97:98], v[69:70], v[77:78]
	s_waitcnt vmcnt(9)
	v_fma_f64 v[69:70], v[95:96], v[71:72], v[69:70]
	s_waitcnt vmcnt(8) lgkmcnt(0)
	v_fma_f64 v[69:70], v[93:94], v[73:74], v[69:70]
	s_waitcnt vmcnt(4)
	v_fma_f64 v[72:73], v[99:100], v[75:76], v[69:70]
	ds_read2_b64 v[68:71], v68 offset0:65 offset1:66
	s_waitcnt vmcnt(3) lgkmcnt(0)
	v_fma_f64 v[68:69], v[103:104], v[68:69], v[72:73]
	s_waitcnt vmcnt(2)
	v_fma_f64 v[68:69], v[101:102], v[70:71], v[68:69]
	s_waitcnt vmcnt(0)
	v_add_f64 v[68:69], v[105:106], -v[68:69]
	buffer_store_dword v69, off, s[0:3], 0 offset:148
	buffer_store_dword v68, off, s[0:3], 0 offset:144
	v_cmpx_lt_u32_e32 17, v0
	s_cbranch_execz .LBB96_173
; %bb.172:
	s_clause 0x1
	buffer_load_dword v68, off, s[0:3], 0 offset:136
	buffer_load_dword v69, off, s[0:3], 0 offset:140
	v_mov_b32_e32 v70, 0
	buffer_store_dword v70, off, s[0:3], 0 offset:136
	buffer_store_dword v70, off, s[0:3], 0 offset:140
	s_waitcnt vmcnt(0)
	ds_write_b64 v67, v[68:69]
.LBB96_173:
	s_or_b32 exec_lo, exec_lo, s4
	s_waitcnt lgkmcnt(0)
	s_waitcnt_vscnt null, 0x0
	s_barrier
	buffer_gl0_inv
	s_clause 0x1c
	buffer_load_dword v77, off, s[0:3], 0 offset:144
	buffer_load_dword v78, off, s[0:3], 0 offset:148
	;; [unrolled: 1-line block ×29, first 2 shown]
	v_mov_b32_e32 v68, 0
	buffer_load_dword v102, off, s[0:3], 0 offset:260
	s_mov_b32 s4, exec_lo
	ds_read_b128 v[69:72], v68 offset:416
	ds_read_b128 v[73:76], v68 offset:432
	s_waitcnt vmcnt(28) lgkmcnt(1)
	v_fma_f64 v[69:70], v[77:78], v[69:70], 0
	s_clause 0x1
	buffer_load_dword v77, off, s[0:3], 0 offset:136
	buffer_load_dword v78, off, s[0:3], 0 offset:140
	s_waitcnt vmcnt(28)
	v_fma_f64 v[69:70], v[79:80], v[71:72], v[69:70]
	s_waitcnt vmcnt(26) lgkmcnt(0)
	v_fma_f64 v[69:70], v[81:82], v[73:74], v[69:70]
	s_waitcnt vmcnt(24)
	v_fma_f64 v[79:80], v[83:84], v[75:76], v[69:70]
	ds_read_b128 v[69:72], v68 offset:448
	ds_read_b128 v[73:76], v68 offset:464
	s_waitcnt vmcnt(22) lgkmcnt(1)
	v_fma_f64 v[69:70], v[85:86], v[69:70], v[79:80]
	s_waitcnt vmcnt(20)
	v_fma_f64 v[69:70], v[87:88], v[71:72], v[69:70]
	s_waitcnt vmcnt(18) lgkmcnt(0)
	v_fma_f64 v[69:70], v[89:90], v[73:74], v[69:70]
	s_waitcnt vmcnt(13)
	v_fma_f64 v[79:80], v[91:92], v[75:76], v[69:70]
	ds_read_b128 v[69:72], v68 offset:480
	ds_read_b128 v[73:76], v68 offset:496
	s_waitcnt vmcnt(12) lgkmcnt(1)
	v_fma_f64 v[69:70], v[97:98], v[69:70], v[79:80]
	s_waitcnt vmcnt(11)
	v_fma_f64 v[69:70], v[95:96], v[71:72], v[69:70]
	s_waitcnt vmcnt(10) lgkmcnt(0)
	v_fma_f64 v[69:70], v[93:94], v[73:74], v[69:70]
	s_waitcnt vmcnt(5)
	v_fma_f64 v[73:74], v[99:100], v[75:76], v[69:70]
	ds_read_b128 v[69:72], v68 offset:512
	ds_read_b64 v[75:76], v68 offset:528
	s_waitcnt vmcnt(4) lgkmcnt(1)
	v_fma_f64 v[69:70], v[105:106], v[69:70], v[73:74]
	s_waitcnt vmcnt(3)
	v_fma_f64 v[69:70], v[103:104], v[71:72], v[69:70]
	s_waitcnt vmcnt(2) lgkmcnt(0)
	v_fma_f64 v[69:70], v[101:102], v[75:76], v[69:70]
	s_waitcnt vmcnt(0)
	v_add_f64 v[69:70], v[77:78], -v[69:70]
	buffer_store_dword v70, off, s[0:3], 0 offset:140
	buffer_store_dword v69, off, s[0:3], 0 offset:136
	v_cmpx_lt_u32_e32 16, v0
	s_cbranch_execz .LBB96_175
; %bb.174:
	s_clause 0x1
	buffer_load_dword v69, off, s[0:3], 0 offset:128
	buffer_load_dword v70, off, s[0:3], 0 offset:132
	buffer_store_dword v68, off, s[0:3], 0 offset:128
	buffer_store_dword v68, off, s[0:3], 0 offset:132
	s_waitcnt vmcnt(0)
	ds_write_b64 v67, v[69:70]
.LBB96_175:
	s_or_b32 exec_lo, exec_lo, s4
	s_waitcnt lgkmcnt(0)
	s_waitcnt_vscnt null, 0x0
	s_barrier
	buffer_gl0_inv
	s_clause 0x1c
	buffer_load_dword v77, off, s[0:3], 0 offset:136
	buffer_load_dword v78, off, s[0:3], 0 offset:140
	;; [unrolled: 1-line block ×29, first 2 shown]
	ds_read2_b64 v[69:72], v68 offset0:51 offset1:52
	ds_read2_b64 v[73:76], v68 offset0:53 offset1:54
	buffer_load_dword v102, off, s[0:3], 0 offset:252
	s_mov_b32 s4, exec_lo
	s_waitcnt vmcnt(28) lgkmcnt(1)
	v_fma_f64 v[69:70], v[77:78], v[69:70], 0
	s_clause 0x1
	buffer_load_dword v78, off, s[0:3], 0 offset:260
	buffer_load_dword v77, off, s[0:3], 0 offset:256
	s_waitcnt vmcnt(28)
	v_fma_f64 v[69:70], v[79:80], v[71:72], v[69:70]
	s_clause 0x1
	buffer_load_dword v79, off, s[0:3], 0 offset:128
	buffer_load_dword v80, off, s[0:3], 0 offset:132
	s_waitcnt vmcnt(28) lgkmcnt(0)
	v_fma_f64 v[69:70], v[81:82], v[73:74], v[69:70]
	s_waitcnt vmcnt(26)
	v_fma_f64 v[81:82], v[83:84], v[75:76], v[69:70]
	ds_read2_b64 v[69:72], v68 offset0:55 offset1:56
	ds_read2_b64 v[73:76], v68 offset0:57 offset1:58
	s_waitcnt vmcnt(24) lgkmcnt(1)
	v_fma_f64 v[69:70], v[85:86], v[69:70], v[81:82]
	s_waitcnt vmcnt(22)
	v_fma_f64 v[69:70], v[87:88], v[71:72], v[69:70]
	s_waitcnt vmcnt(20) lgkmcnt(0)
	v_fma_f64 v[69:70], v[89:90], v[73:74], v[69:70]
	s_waitcnt vmcnt(15)
	v_fma_f64 v[81:82], v[91:92], v[75:76], v[69:70]
	ds_read2_b64 v[69:72], v68 offset0:59 offset1:60
	ds_read2_b64 v[73:76], v68 offset0:61 offset1:62
	s_waitcnt vmcnt(14) lgkmcnt(1)
	v_fma_f64 v[69:70], v[97:98], v[69:70], v[81:82]
	s_waitcnt vmcnt(13)
	v_fma_f64 v[69:70], v[95:96], v[71:72], v[69:70]
	;; [unrolled: 10-line block ×3, first 2 shown]
	s_waitcnt vmcnt(4) lgkmcnt(0)
	v_fma_f64 v[68:69], v[101:102], v[73:74], v[68:69]
	s_waitcnt vmcnt(2)
	v_fma_f64 v[68:69], v[77:78], v[75:76], v[68:69]
	s_waitcnt vmcnt(0)
	v_add_f64 v[68:69], v[79:80], -v[68:69]
	buffer_store_dword v69, off, s[0:3], 0 offset:132
	buffer_store_dword v68, off, s[0:3], 0 offset:128
	v_cmpx_lt_u32_e32 15, v0
	s_cbranch_execz .LBB96_177
; %bb.176:
	s_clause 0x1
	buffer_load_dword v68, off, s[0:3], 0 offset:120
	buffer_load_dword v69, off, s[0:3], 0 offset:124
	v_mov_b32_e32 v70, 0
	buffer_store_dword v70, off, s[0:3], 0 offset:120
	buffer_store_dword v70, off, s[0:3], 0 offset:124
	s_waitcnt vmcnt(0)
	ds_write_b64 v67, v[68:69]
.LBB96_177:
	s_or_b32 exec_lo, exec_lo, s4
	s_waitcnt lgkmcnt(0)
	s_waitcnt_vscnt null, 0x0
	s_barrier
	buffer_gl0_inv
	s_clause 0x1c
	buffer_load_dword v77, off, s[0:3], 0 offset:128
	buffer_load_dword v78, off, s[0:3], 0 offset:132
	buffer_load_dword v79, off, s[0:3], 0 offset:136
	buffer_load_dword v80, off, s[0:3], 0 offset:140
	buffer_load_dword v81, off, s[0:3], 0 offset:144
	buffer_load_dword v82, off, s[0:3], 0 offset:148
	buffer_load_dword v83, off, s[0:3], 0 offset:152
	buffer_load_dword v84, off, s[0:3], 0 offset:156
	buffer_load_dword v85, off, s[0:3], 0 offset:160
	buffer_load_dword v86, off, s[0:3], 0 offset:164
	buffer_load_dword v87, off, s[0:3], 0 offset:168
	buffer_load_dword v88, off, s[0:3], 0 offset:172
	buffer_load_dword v89, off, s[0:3], 0 offset:176
	buffer_load_dword v90, off, s[0:3], 0 offset:180
	buffer_load_dword v92, off, s[0:3], 0 offset:188
	buffer_load_dword v93, off, s[0:3], 0 offset:208
	buffer_load_dword v95, off, s[0:3], 0 offset:200
	buffer_load_dword v97, off, s[0:3], 0 offset:192
	buffer_load_dword v91, off, s[0:3], 0 offset:184
	buffer_load_dword v98, off, s[0:3], 0 offset:196
	buffer_load_dword v96, off, s[0:3], 0 offset:204
	buffer_load_dword v94, off, s[0:3], 0 offset:212
	buffer_load_dword v100, off, s[0:3], 0 offset:220
	buffer_load_dword v101, off, s[0:3], 0 offset:240
	buffer_load_dword v103, off, s[0:3], 0 offset:232
	buffer_load_dword v105, off, s[0:3], 0 offset:224
	buffer_load_dword v99, off, s[0:3], 0 offset:216
	buffer_load_dword v106, off, s[0:3], 0 offset:228
	buffer_load_dword v104, off, s[0:3], 0 offset:236
	v_mov_b32_e32 v68, 0
	buffer_load_dword v102, off, s[0:3], 0 offset:244
	s_mov_b32 s4, exec_lo
	ds_read_b128 v[69:72], v68 offset:400
	ds_read_b128 v[73:76], v68 offset:416
	s_waitcnt vmcnt(28) lgkmcnt(1)
	v_fma_f64 v[69:70], v[77:78], v[69:70], 0
	s_clause 0x3
	buffer_load_dword v78, off, s[0:3], 0 offset:252
	buffer_load_dword v107, off, s[0:3], 0 offset:256
	;; [unrolled: 1-line block ×4, first 2 shown]
	s_waitcnt vmcnt(30)
	v_fma_f64 v[69:70], v[79:80], v[71:72], v[69:70]
	s_clause 0x1
	buffer_load_dword v79, off, s[0:3], 0 offset:120
	buffer_load_dword v80, off, s[0:3], 0 offset:124
	s_waitcnt vmcnt(30) lgkmcnt(0)
	v_fma_f64 v[69:70], v[81:82], v[73:74], v[69:70]
	s_waitcnt vmcnt(28)
	v_fma_f64 v[81:82], v[83:84], v[75:76], v[69:70]
	ds_read_b128 v[69:72], v68 offset:432
	ds_read_b128 v[73:76], v68 offset:448
	s_waitcnt vmcnt(26) lgkmcnt(1)
	v_fma_f64 v[69:70], v[85:86], v[69:70], v[81:82]
	s_waitcnt vmcnt(24)
	v_fma_f64 v[69:70], v[87:88], v[71:72], v[69:70]
	s_waitcnt vmcnt(22) lgkmcnt(0)
	v_fma_f64 v[69:70], v[89:90], v[73:74], v[69:70]
	s_waitcnt vmcnt(17)
	v_fma_f64 v[81:82], v[91:92], v[75:76], v[69:70]
	ds_read_b128 v[69:72], v68 offset:464
	ds_read_b128 v[73:76], v68 offset:480
	s_waitcnt vmcnt(16) lgkmcnt(1)
	v_fma_f64 v[69:70], v[97:98], v[69:70], v[81:82]
	s_waitcnt vmcnt(15)
	v_fma_f64 v[69:70], v[95:96], v[71:72], v[69:70]
	s_waitcnt vmcnt(14) lgkmcnt(0)
	v_fma_f64 v[69:70], v[93:94], v[73:74], v[69:70]
	s_waitcnt vmcnt(9)
	v_fma_f64 v[81:82], v[99:100], v[75:76], v[69:70]
	ds_read_b128 v[69:72], v68 offset:496
	ds_read_b128 v[73:76], v68 offset:512
	s_waitcnt vmcnt(8) lgkmcnt(1)
	v_fma_f64 v[69:70], v[105:106], v[69:70], v[81:82]
	s_waitcnt vmcnt(7)
	v_fma_f64 v[69:70], v[103:104], v[71:72], v[69:70]
	ds_read_b64 v[71:72], v68 offset:528
	s_waitcnt vmcnt(6) lgkmcnt(1)
	v_fma_f64 v[69:70], v[101:102], v[73:74], v[69:70]
	s_waitcnt vmcnt(3)
	v_fma_f64 v[69:70], v[77:78], v[75:76], v[69:70]
	s_waitcnt vmcnt(2) lgkmcnt(0)
	v_fma_f64 v[69:70], v[107:108], v[71:72], v[69:70]
	s_waitcnt vmcnt(0)
	v_add_f64 v[69:70], v[79:80], -v[69:70]
	buffer_store_dword v70, off, s[0:3], 0 offset:124
	buffer_store_dword v69, off, s[0:3], 0 offset:120
	v_cmpx_lt_u32_e32 14, v0
	s_cbranch_execz .LBB96_179
; %bb.178:
	s_clause 0x1
	buffer_load_dword v69, off, s[0:3], 0 offset:112
	buffer_load_dword v70, off, s[0:3], 0 offset:116
	buffer_store_dword v68, off, s[0:3], 0 offset:112
	buffer_store_dword v68, off, s[0:3], 0 offset:116
	s_waitcnt vmcnt(0)
	ds_write_b64 v67, v[69:70]
.LBB96_179:
	s_or_b32 exec_lo, exec_lo, s4
	s_waitcnt lgkmcnt(0)
	s_waitcnt_vscnt null, 0x0
	s_barrier
	buffer_gl0_inv
	s_clause 0x1c
	buffer_load_dword v77, off, s[0:3], 0 offset:120
	buffer_load_dword v78, off, s[0:3], 0 offset:124
	;; [unrolled: 1-line block ×29, first 2 shown]
	ds_read2_b64 v[69:72], v68 offset0:49 offset1:50
	ds_read2_b64 v[73:76], v68 offset0:51 offset1:52
	buffer_load_dword v102, off, s[0:3], 0 offset:236
	s_mov_b32 s4, exec_lo
	s_waitcnt vmcnt(28) lgkmcnt(1)
	v_fma_f64 v[69:70], v[77:78], v[69:70], 0
	s_clause 0x5
	buffer_load_dword v78, off, s[0:3], 0 offset:244
	buffer_load_dword v107, off, s[0:3], 0 offset:256
	;; [unrolled: 1-line block ×6, first 2 shown]
	s_waitcnt vmcnt(32)
	v_fma_f64 v[69:70], v[79:80], v[71:72], v[69:70]
	s_waitcnt vmcnt(30) lgkmcnt(0)
	v_fma_f64 v[69:70], v[81:82], v[73:74], v[69:70]
	s_waitcnt vmcnt(28)
	v_fma_f64 v[79:80], v[83:84], v[75:76], v[69:70]
	ds_read2_b64 v[69:72], v68 offset0:53 offset1:54
	s_clause 0x1
	buffer_load_dword v81, off, s[0:3], 0 offset:112
	buffer_load_dword v82, off, s[0:3], 0 offset:116
	ds_read2_b64 v[73:76], v68 offset0:55 offset1:56
	s_waitcnt vmcnt(28) lgkmcnt(1)
	v_fma_f64 v[69:70], v[85:86], v[69:70], v[79:80]
	s_waitcnt vmcnt(26)
	v_fma_f64 v[69:70], v[87:88], v[71:72], v[69:70]
	s_waitcnt vmcnt(24) lgkmcnt(0)
	v_fma_f64 v[69:70], v[89:90], v[73:74], v[69:70]
	s_waitcnt vmcnt(19)
	v_fma_f64 v[79:80], v[91:92], v[75:76], v[69:70]
	ds_read2_b64 v[69:72], v68 offset0:57 offset1:58
	ds_read2_b64 v[73:76], v68 offset0:59 offset1:60
	s_waitcnt vmcnt(18) lgkmcnt(1)
	v_fma_f64 v[69:70], v[97:98], v[69:70], v[79:80]
	s_waitcnt vmcnt(17)
	v_fma_f64 v[69:70], v[95:96], v[71:72], v[69:70]
	s_waitcnt vmcnt(16) lgkmcnt(0)
	v_fma_f64 v[69:70], v[93:94], v[73:74], v[69:70]
	s_waitcnt vmcnt(11)
	v_fma_f64 v[79:80], v[99:100], v[75:76], v[69:70]
	ds_read2_b64 v[69:72], v68 offset0:61 offset1:62
	;; [unrolled: 10-line block ×3, first 2 shown]
	s_waitcnt vmcnt(3) lgkmcnt(0)
	v_fma_f64 v[68:69], v[109:110], v[68:69], v[72:73]
	s_waitcnt vmcnt(2)
	v_fma_f64 v[68:69], v[107:108], v[70:71], v[68:69]
	s_waitcnt vmcnt(0)
	v_add_f64 v[68:69], v[81:82], -v[68:69]
	buffer_store_dword v69, off, s[0:3], 0 offset:116
	buffer_store_dword v68, off, s[0:3], 0 offset:112
	v_cmpx_lt_u32_e32 13, v0
	s_cbranch_execz .LBB96_181
; %bb.180:
	s_clause 0x1
	buffer_load_dword v68, off, s[0:3], 0 offset:104
	buffer_load_dword v69, off, s[0:3], 0 offset:108
	v_mov_b32_e32 v70, 0
	buffer_store_dword v70, off, s[0:3], 0 offset:104
	buffer_store_dword v70, off, s[0:3], 0 offset:108
	s_waitcnt vmcnt(0)
	ds_write_b64 v67, v[68:69]
.LBB96_181:
	s_or_b32 exec_lo, exec_lo, s4
	s_waitcnt lgkmcnt(0)
	s_waitcnt_vscnt null, 0x0
	s_barrier
	buffer_gl0_inv
	s_clause 0x1c
	buffer_load_dword v77, off, s[0:3], 0 offset:112
	buffer_load_dword v78, off, s[0:3], 0 offset:116
	;; [unrolled: 1-line block ×29, first 2 shown]
	v_mov_b32_e32 v68, 0
	buffer_load_dword v102, off, s[0:3], 0 offset:228
	s_mov_b32 s4, exec_lo
	ds_read_b128 v[69:72], v68 offset:384
	ds_read_b128 v[73:76], v68 offset:400
	s_waitcnt vmcnt(28) lgkmcnt(1)
	v_fma_f64 v[69:70], v[77:78], v[69:70], 0
	s_clause 0x7
	buffer_load_dword v78, off, s[0:3], 0 offset:236
	buffer_load_dword v107, off, s[0:3], 0 offset:256
	;; [unrolled: 1-line block ×8, first 2 shown]
	s_waitcnt vmcnt(34)
	v_fma_f64 v[69:70], v[79:80], v[71:72], v[69:70]
	s_waitcnt vmcnt(32) lgkmcnt(0)
	v_fma_f64 v[69:70], v[81:82], v[73:74], v[69:70]
	s_waitcnt vmcnt(30)
	v_fma_f64 v[79:80], v[83:84], v[75:76], v[69:70]
	ds_read_b128 v[69:72], v68 offset:416
	ds_read_b128 v[73:76], v68 offset:432
	s_waitcnt vmcnt(28) lgkmcnt(1)
	v_fma_f64 v[69:70], v[85:86], v[69:70], v[79:80]
	s_clause 0x1
	buffer_load_dword v79, off, s[0:3], 0 offset:104
	buffer_load_dword v80, off, s[0:3], 0 offset:108
	s_waitcnt vmcnt(28)
	v_fma_f64 v[69:70], v[87:88], v[71:72], v[69:70]
	s_waitcnt vmcnt(26) lgkmcnt(0)
	v_fma_f64 v[69:70], v[89:90], v[73:74], v[69:70]
	s_waitcnt vmcnt(21)
	v_fma_f64 v[81:82], v[91:92], v[75:76], v[69:70]
	ds_read_b128 v[69:72], v68 offset:448
	ds_read_b128 v[73:76], v68 offset:464
	s_waitcnt vmcnt(20) lgkmcnt(1)
	v_fma_f64 v[69:70], v[97:98], v[69:70], v[81:82]
	s_waitcnt vmcnt(19)
	v_fma_f64 v[69:70], v[95:96], v[71:72], v[69:70]
	s_waitcnt vmcnt(18) lgkmcnt(0)
	v_fma_f64 v[69:70], v[93:94], v[73:74], v[69:70]
	s_waitcnt vmcnt(13)
	v_fma_f64 v[81:82], v[99:100], v[75:76], v[69:70]
	ds_read_b128 v[69:72], v68 offset:480
	ds_read_b128 v[73:76], v68 offset:496
	s_waitcnt vmcnt(12) lgkmcnt(1)
	v_fma_f64 v[69:70], v[105:106], v[69:70], v[81:82]
	s_waitcnt vmcnt(11)
	v_fma_f64 v[69:70], v[103:104], v[71:72], v[69:70]
	s_waitcnt vmcnt(10) lgkmcnt(0)
	v_fma_f64 v[69:70], v[101:102], v[73:74], v[69:70]
	s_waitcnt vmcnt(5)
	v_fma_f64 v[73:74], v[77:78], v[75:76], v[69:70]
	ds_read_b128 v[69:72], v68 offset:512
	ds_read_b64 v[75:76], v68 offset:528
	s_waitcnt vmcnt(4) lgkmcnt(1)
	v_fma_f64 v[69:70], v[111:112], v[69:70], v[73:74]
	s_waitcnt vmcnt(3)
	v_fma_f64 v[69:70], v[109:110], v[71:72], v[69:70]
	s_waitcnt vmcnt(2) lgkmcnt(0)
	v_fma_f64 v[69:70], v[107:108], v[75:76], v[69:70]
	s_waitcnt vmcnt(0)
	v_add_f64 v[69:70], v[79:80], -v[69:70]
	buffer_store_dword v70, off, s[0:3], 0 offset:108
	buffer_store_dword v69, off, s[0:3], 0 offset:104
	v_cmpx_lt_u32_e32 12, v0
	s_cbranch_execz .LBB96_183
; %bb.182:
	s_clause 0x1
	buffer_load_dword v69, off, s[0:3], 0 offset:96
	buffer_load_dword v70, off, s[0:3], 0 offset:100
	buffer_store_dword v68, off, s[0:3], 0 offset:96
	buffer_store_dword v68, off, s[0:3], 0 offset:100
	s_waitcnt vmcnt(0)
	ds_write_b64 v67, v[69:70]
.LBB96_183:
	s_or_b32 exec_lo, exec_lo, s4
	s_waitcnt lgkmcnt(0)
	s_waitcnt_vscnt null, 0x0
	s_barrier
	buffer_gl0_inv
	s_clause 0x1c
	buffer_load_dword v77, off, s[0:3], 0 offset:104
	buffer_load_dword v78, off, s[0:3], 0 offset:108
	buffer_load_dword v79, off, s[0:3], 0 offset:112
	buffer_load_dword v80, off, s[0:3], 0 offset:116
	buffer_load_dword v81, off, s[0:3], 0 offset:120
	buffer_load_dword v82, off, s[0:3], 0 offset:124
	buffer_load_dword v83, off, s[0:3], 0 offset:128
	buffer_load_dword v84, off, s[0:3], 0 offset:132
	buffer_load_dword v85, off, s[0:3], 0 offset:136
	buffer_load_dword v86, off, s[0:3], 0 offset:140
	buffer_load_dword v87, off, s[0:3], 0 offset:144
	buffer_load_dword v88, off, s[0:3], 0 offset:148
	buffer_load_dword v89, off, s[0:3], 0 offset:152
	buffer_load_dword v90, off, s[0:3], 0 offset:156
	buffer_load_dword v92, off, s[0:3], 0 offset:164
	buffer_load_dword v93, off, s[0:3], 0 offset:184
	buffer_load_dword v95, off, s[0:3], 0 offset:176
	buffer_load_dword v97, off, s[0:3], 0 offset:168
	buffer_load_dword v91, off, s[0:3], 0 offset:160
	buffer_load_dword v98, off, s[0:3], 0 offset:172
	buffer_load_dword v96, off, s[0:3], 0 offset:180
	buffer_load_dword v94, off, s[0:3], 0 offset:188
	buffer_load_dword v100, off, s[0:3], 0 offset:196
	buffer_load_dword v101, off, s[0:3], 0 offset:216
	buffer_load_dword v103, off, s[0:3], 0 offset:208
	buffer_load_dword v105, off, s[0:3], 0 offset:200
	buffer_load_dword v99, off, s[0:3], 0 offset:192
	buffer_load_dword v106, off, s[0:3], 0 offset:204
	buffer_load_dword v104, off, s[0:3], 0 offset:212
	ds_read2_b64 v[69:72], v68 offset0:47 offset1:48
	ds_read2_b64 v[73:76], v68 offset0:49 offset1:50
	buffer_load_dword v102, off, s[0:3], 0 offset:220
	s_mov_b32 s4, exec_lo
	s_waitcnt vmcnt(28) lgkmcnt(1)
	v_fma_f64 v[69:70], v[77:78], v[69:70], 0
	s_clause 0x7
	buffer_load_dword v78, off, s[0:3], 0 offset:228
	buffer_load_dword v107, off, s[0:3], 0 offset:248
	;; [unrolled: 1-line block ×8, first 2 shown]
	s_waitcnt vmcnt(34)
	v_fma_f64 v[69:70], v[79:80], v[71:72], v[69:70]
	s_waitcnt vmcnt(32) lgkmcnt(0)
	v_fma_f64 v[69:70], v[81:82], v[73:74], v[69:70]
	s_waitcnt vmcnt(30)
	v_fma_f64 v[79:80], v[83:84], v[75:76], v[69:70]
	ds_read2_b64 v[69:72], v68 offset0:51 offset1:52
	ds_read2_b64 v[73:76], v68 offset0:53 offset1:54
	s_waitcnt vmcnt(28) lgkmcnt(1)
	v_fma_f64 v[69:70], v[85:86], v[69:70], v[79:80]
	s_clause 0x3
	buffer_load_dword v80, off, s[0:3], 0 offset:260
	buffer_load_dword v79, off, s[0:3], 0 offset:256
	;; [unrolled: 1-line block ×4, first 2 shown]
	s_waitcnt vmcnt(30)
	v_fma_f64 v[69:70], v[87:88], v[71:72], v[69:70]
	s_waitcnt vmcnt(28) lgkmcnt(0)
	v_fma_f64 v[69:70], v[89:90], v[73:74], v[69:70]
	s_waitcnt vmcnt(23)
	v_fma_f64 v[83:84], v[91:92], v[75:76], v[69:70]
	ds_read2_b64 v[69:72], v68 offset0:55 offset1:56
	ds_read2_b64 v[73:76], v68 offset0:57 offset1:58
	s_waitcnt vmcnt(22) lgkmcnt(1)
	v_fma_f64 v[69:70], v[97:98], v[69:70], v[83:84]
	s_waitcnt vmcnt(21)
	v_fma_f64 v[69:70], v[95:96], v[71:72], v[69:70]
	s_waitcnt vmcnt(20) lgkmcnt(0)
	v_fma_f64 v[69:70], v[93:94], v[73:74], v[69:70]
	s_waitcnt vmcnt(15)
	v_fma_f64 v[83:84], v[99:100], v[75:76], v[69:70]
	ds_read2_b64 v[69:72], v68 offset0:59 offset1:60
	ds_read2_b64 v[73:76], v68 offset0:61 offset1:62
	s_waitcnt vmcnt(14) lgkmcnt(1)
	v_fma_f64 v[69:70], v[105:106], v[69:70], v[83:84]
	;; [unrolled: 10-line block ×3, first 2 shown]
	s_waitcnt vmcnt(5)
	v_fma_f64 v[68:69], v[109:110], v[71:72], v[68:69]
	s_waitcnt vmcnt(4) lgkmcnt(0)
	v_fma_f64 v[68:69], v[107:108], v[73:74], v[68:69]
	s_waitcnt vmcnt(2)
	v_fma_f64 v[68:69], v[79:80], v[75:76], v[68:69]
	s_waitcnt vmcnt(0)
	v_add_f64 v[68:69], v[81:82], -v[68:69]
	buffer_store_dword v69, off, s[0:3], 0 offset:100
	buffer_store_dword v68, off, s[0:3], 0 offset:96
	v_cmpx_lt_u32_e32 11, v0
	s_cbranch_execz .LBB96_185
; %bb.184:
	s_clause 0x1
	buffer_load_dword v68, off, s[0:3], 0 offset:88
	buffer_load_dword v69, off, s[0:3], 0 offset:92
	v_mov_b32_e32 v70, 0
	buffer_store_dword v70, off, s[0:3], 0 offset:88
	buffer_store_dword v70, off, s[0:3], 0 offset:92
	s_waitcnt vmcnt(0)
	ds_write_b64 v67, v[68:69]
.LBB96_185:
	s_or_b32 exec_lo, exec_lo, s4
	s_waitcnt lgkmcnt(0)
	s_waitcnt_vscnt null, 0x0
	s_barrier
	buffer_gl0_inv
	s_clause 0x1c
	buffer_load_dword v77, off, s[0:3], 0 offset:96
	buffer_load_dword v78, off, s[0:3], 0 offset:100
	;; [unrolled: 1-line block ×29, first 2 shown]
	v_mov_b32_e32 v68, 0
	buffer_load_dword v102, off, s[0:3], 0 offset:212
	s_mov_b32 s4, exec_lo
	ds_read_b128 v[69:72], v68 offset:368
	ds_read_b128 v[73:76], v68 offset:384
	s_waitcnt vmcnt(28) lgkmcnt(1)
	v_fma_f64 v[69:70], v[77:78], v[69:70], 0
	s_clause 0x7
	buffer_load_dword v78, off, s[0:3], 0 offset:220
	buffer_load_dword v107, off, s[0:3], 0 offset:240
	;; [unrolled: 1-line block ×8, first 2 shown]
	s_waitcnt vmcnt(34)
	v_fma_f64 v[69:70], v[79:80], v[71:72], v[69:70]
	s_waitcnt vmcnt(32) lgkmcnt(0)
	v_fma_f64 v[69:70], v[81:82], v[73:74], v[69:70]
	s_waitcnt vmcnt(30)
	v_fma_f64 v[79:80], v[83:84], v[75:76], v[69:70]
	ds_read_b128 v[69:72], v68 offset:400
	ds_read_b128 v[73:76], v68 offset:416
	s_waitcnt vmcnt(28) lgkmcnt(1)
	v_fma_f64 v[69:70], v[85:86], v[69:70], v[79:80]
	s_clause 0x5
	buffer_load_dword v80, off, s[0:3], 0 offset:252
	buffer_load_dword v81, off, s[0:3], 0 offset:256
	;; [unrolled: 1-line block ×6, first 2 shown]
	s_waitcnt vmcnt(32)
	v_fma_f64 v[69:70], v[87:88], v[71:72], v[69:70]
	s_waitcnt vmcnt(30) lgkmcnt(0)
	v_fma_f64 v[69:70], v[89:90], v[73:74], v[69:70]
	s_waitcnt vmcnt(25)
	v_fma_f64 v[85:86], v[91:92], v[75:76], v[69:70]
	ds_read_b128 v[69:72], v68 offset:432
	ds_read_b128 v[73:76], v68 offset:448
	s_waitcnt vmcnt(24) lgkmcnt(1)
	v_fma_f64 v[69:70], v[97:98], v[69:70], v[85:86]
	s_waitcnt vmcnt(23)
	v_fma_f64 v[69:70], v[95:96], v[71:72], v[69:70]
	s_waitcnt vmcnt(22) lgkmcnt(0)
	v_fma_f64 v[69:70], v[93:94], v[73:74], v[69:70]
	s_waitcnt vmcnt(17)
	v_fma_f64 v[85:86], v[99:100], v[75:76], v[69:70]
	ds_read_b128 v[69:72], v68 offset:464
	ds_read_b128 v[73:76], v68 offset:480
	s_waitcnt vmcnt(16) lgkmcnt(1)
	v_fma_f64 v[69:70], v[105:106], v[69:70], v[85:86]
	;; [unrolled: 10-line block ×3, first 2 shown]
	s_waitcnt vmcnt(7)
	v_fma_f64 v[69:70], v[109:110], v[71:72], v[69:70]
	ds_read_b64 v[71:72], v68 offset:528
	s_waitcnt vmcnt(6) lgkmcnt(1)
	v_fma_f64 v[69:70], v[107:108], v[73:74], v[69:70]
	s_waitcnt vmcnt(3)
	v_fma_f64 v[69:70], v[79:80], v[75:76], v[69:70]
	s_waitcnt vmcnt(2) lgkmcnt(0)
	v_fma_f64 v[69:70], v[81:82], v[71:72], v[69:70]
	s_waitcnt vmcnt(0)
	v_add_f64 v[69:70], v[83:84], -v[69:70]
	buffer_store_dword v70, off, s[0:3], 0 offset:92
	buffer_store_dword v69, off, s[0:3], 0 offset:88
	v_cmpx_lt_u32_e32 10, v0
	s_cbranch_execz .LBB96_187
; %bb.186:
	s_clause 0x1
	buffer_load_dword v69, off, s[0:3], 0 offset:80
	buffer_load_dword v70, off, s[0:3], 0 offset:84
	buffer_store_dword v68, off, s[0:3], 0 offset:80
	buffer_store_dword v68, off, s[0:3], 0 offset:84
	s_waitcnt vmcnt(0)
	ds_write_b64 v67, v[69:70]
.LBB96_187:
	s_or_b32 exec_lo, exec_lo, s4
	s_waitcnt lgkmcnt(0)
	s_waitcnt_vscnt null, 0x0
	s_barrier
	buffer_gl0_inv
	s_clause 0x1c
	buffer_load_dword v77, off, s[0:3], 0 offset:88
	buffer_load_dword v78, off, s[0:3], 0 offset:92
	buffer_load_dword v79, off, s[0:3], 0 offset:96
	buffer_load_dword v80, off, s[0:3], 0 offset:100
	buffer_load_dword v81, off, s[0:3], 0 offset:104
	buffer_load_dword v82, off, s[0:3], 0 offset:108
	buffer_load_dword v83, off, s[0:3], 0 offset:112
	buffer_load_dword v84, off, s[0:3], 0 offset:116
	buffer_load_dword v85, off, s[0:3], 0 offset:120
	buffer_load_dword v86, off, s[0:3], 0 offset:124
	buffer_load_dword v87, off, s[0:3], 0 offset:128
	buffer_load_dword v88, off, s[0:3], 0 offset:132
	buffer_load_dword v89, off, s[0:3], 0 offset:136
	buffer_load_dword v90, off, s[0:3], 0 offset:140
	buffer_load_dword v92, off, s[0:3], 0 offset:148
	buffer_load_dword v93, off, s[0:3], 0 offset:168
	buffer_load_dword v95, off, s[0:3], 0 offset:160
	buffer_load_dword v97, off, s[0:3], 0 offset:152
	buffer_load_dword v91, off, s[0:3], 0 offset:144
	buffer_load_dword v98, off, s[0:3], 0 offset:156
	buffer_load_dword v96, off, s[0:3], 0 offset:164
	buffer_load_dword v94, off, s[0:3], 0 offset:172
	buffer_load_dword v100, off, s[0:3], 0 offset:180
	buffer_load_dword v101, off, s[0:3], 0 offset:200
	buffer_load_dword v103, off, s[0:3], 0 offset:192
	buffer_load_dword v105, off, s[0:3], 0 offset:184
	buffer_load_dword v99, off, s[0:3], 0 offset:176
	buffer_load_dword v106, off, s[0:3], 0 offset:188
	buffer_load_dword v104, off, s[0:3], 0 offset:196
	ds_read2_b64 v[69:72], v68 offset0:45 offset1:46
	ds_read2_b64 v[73:76], v68 offset0:47 offset1:48
	buffer_load_dword v102, off, s[0:3], 0 offset:204
	s_mov_b32 s4, exec_lo
	s_waitcnt vmcnt(28) lgkmcnt(1)
	v_fma_f64 v[69:70], v[77:78], v[69:70], 0
	s_clause 0x7
	buffer_load_dword v78, off, s[0:3], 0 offset:212
	buffer_load_dword v107, off, s[0:3], 0 offset:232
	;; [unrolled: 1-line block ×8, first 2 shown]
	s_waitcnt vmcnt(34)
	v_fma_f64 v[69:70], v[79:80], v[71:72], v[69:70]
	s_waitcnt vmcnt(32) lgkmcnt(0)
	v_fma_f64 v[69:70], v[81:82], v[73:74], v[69:70]
	s_waitcnt vmcnt(30)
	v_fma_f64 v[79:80], v[83:84], v[75:76], v[69:70]
	ds_read2_b64 v[69:72], v68 offset0:49 offset1:50
	ds_read2_b64 v[73:76], v68 offset0:51 offset1:52
	s_waitcnt vmcnt(28) lgkmcnt(1)
	v_fma_f64 v[69:70], v[85:86], v[69:70], v[79:80]
	s_clause 0x5
	buffer_load_dword v80, off, s[0:3], 0 offset:244
	buffer_load_dword v81, off, s[0:3], 0 offset:256
	;; [unrolled: 1-line block ×6, first 2 shown]
	s_waitcnt vmcnt(32)
	v_fma_f64 v[69:70], v[87:88], v[71:72], v[69:70]
	s_waitcnt vmcnt(30) lgkmcnt(0)
	v_fma_f64 v[69:70], v[89:90], v[73:74], v[69:70]
	s_waitcnt vmcnt(25)
	v_fma_f64 v[85:86], v[91:92], v[75:76], v[69:70]
	ds_read2_b64 v[69:72], v68 offset0:53 offset1:54
	s_clause 0x1
	buffer_load_dword v87, off, s[0:3], 0 offset:80
	buffer_load_dword v88, off, s[0:3], 0 offset:84
	ds_read2_b64 v[73:76], v68 offset0:55 offset1:56
	s_waitcnt vmcnt(26) lgkmcnt(1)
	v_fma_f64 v[69:70], v[97:98], v[69:70], v[85:86]
	s_waitcnt vmcnt(25)
	v_fma_f64 v[69:70], v[95:96], v[71:72], v[69:70]
	s_waitcnt vmcnt(24) lgkmcnt(0)
	v_fma_f64 v[69:70], v[93:94], v[73:74], v[69:70]
	s_waitcnt vmcnt(19)
	v_fma_f64 v[85:86], v[99:100], v[75:76], v[69:70]
	ds_read2_b64 v[69:72], v68 offset0:57 offset1:58
	ds_read2_b64 v[73:76], v68 offset0:59 offset1:60
	s_waitcnt vmcnt(18) lgkmcnt(1)
	v_fma_f64 v[69:70], v[105:106], v[69:70], v[85:86]
	s_waitcnt vmcnt(17)
	v_fma_f64 v[69:70], v[103:104], v[71:72], v[69:70]
	s_waitcnt vmcnt(16) lgkmcnt(0)
	v_fma_f64 v[69:70], v[101:102], v[73:74], v[69:70]
	s_waitcnt vmcnt(11)
	v_fma_f64 v[77:78], v[77:78], v[75:76], v[69:70]
	ds_read2_b64 v[69:72], v68 offset0:61 offset1:62
	;; [unrolled: 10-line block ×3, first 2 shown]
	s_waitcnt vmcnt(3) lgkmcnt(0)
	v_fma_f64 v[68:69], v[83:84], v[68:69], v[72:73]
	s_waitcnt vmcnt(2)
	v_fma_f64 v[68:69], v[81:82], v[70:71], v[68:69]
	s_waitcnt vmcnt(0)
	v_add_f64 v[68:69], v[87:88], -v[68:69]
	buffer_store_dword v69, off, s[0:3], 0 offset:84
	buffer_store_dword v68, off, s[0:3], 0 offset:80
	v_cmpx_lt_u32_e32 9, v0
	s_cbranch_execz .LBB96_189
; %bb.188:
	s_clause 0x1
	buffer_load_dword v68, off, s[0:3], 0 offset:72
	buffer_load_dword v69, off, s[0:3], 0 offset:76
	v_mov_b32_e32 v70, 0
	buffer_store_dword v70, off, s[0:3], 0 offset:72
	buffer_store_dword v70, off, s[0:3], 0 offset:76
	s_waitcnt vmcnt(0)
	ds_write_b64 v67, v[68:69]
.LBB96_189:
	s_or_b32 exec_lo, exec_lo, s4
	s_waitcnt lgkmcnt(0)
	s_waitcnt_vscnt null, 0x0
	s_barrier
	buffer_gl0_inv
	s_clause 0x1c
	buffer_load_dword v77, off, s[0:3], 0 offset:80
	buffer_load_dword v78, off, s[0:3], 0 offset:84
	;; [unrolled: 1-line block ×29, first 2 shown]
	v_mov_b32_e32 v68, 0
	buffer_load_dword v102, off, s[0:3], 0 offset:196
	s_mov_b32 s4, exec_lo
	ds_read_b128 v[69:72], v68 offset:352
	ds_read_b128 v[73:76], v68 offset:368
	s_waitcnt vmcnt(28) lgkmcnt(1)
	v_fma_f64 v[69:70], v[77:78], v[69:70], 0
	s_clause 0x7
	buffer_load_dword v78, off, s[0:3], 0 offset:204
	buffer_load_dword v107, off, s[0:3], 0 offset:224
	;; [unrolled: 1-line block ×8, first 2 shown]
	s_waitcnt vmcnt(34)
	v_fma_f64 v[69:70], v[79:80], v[71:72], v[69:70]
	s_waitcnt vmcnt(32) lgkmcnt(0)
	v_fma_f64 v[69:70], v[81:82], v[73:74], v[69:70]
	s_waitcnt vmcnt(30)
	v_fma_f64 v[79:80], v[83:84], v[75:76], v[69:70]
	ds_read_b128 v[69:72], v68 offset:384
	ds_read_b128 v[73:76], v68 offset:400
	s_waitcnt vmcnt(28) lgkmcnt(1)
	v_fma_f64 v[69:70], v[85:86], v[69:70], v[79:80]
	s_clause 0x7
	buffer_load_dword v80, off, s[0:3], 0 offset:236
	buffer_load_dword v81, off, s[0:3], 0 offset:256
	;; [unrolled: 1-line block ×8, first 2 shown]
	s_waitcnt vmcnt(34)
	v_fma_f64 v[69:70], v[87:88], v[71:72], v[69:70]
	s_waitcnt vmcnt(32) lgkmcnt(0)
	v_fma_f64 v[69:70], v[89:90], v[73:74], v[69:70]
	s_waitcnt vmcnt(27)
	v_fma_f64 v[87:88], v[91:92], v[75:76], v[69:70]
	ds_read_b128 v[69:72], v68 offset:416
	ds_read_b128 v[73:76], v68 offset:432
	s_waitcnt vmcnt(26) lgkmcnt(1)
	v_fma_f64 v[69:70], v[97:98], v[69:70], v[87:88]
	s_clause 0x1
	buffer_load_dword v87, off, s[0:3], 0 offset:72
	buffer_load_dword v88, off, s[0:3], 0 offset:76
	s_waitcnt vmcnt(27)
	v_fma_f64 v[69:70], v[95:96], v[71:72], v[69:70]
	s_waitcnt vmcnt(26) lgkmcnt(0)
	v_fma_f64 v[69:70], v[93:94], v[73:74], v[69:70]
	s_waitcnt vmcnt(21)
	v_fma_f64 v[89:90], v[99:100], v[75:76], v[69:70]
	ds_read_b128 v[69:72], v68 offset:448
	ds_read_b128 v[73:76], v68 offset:464
	s_waitcnt vmcnt(20) lgkmcnt(1)
	v_fma_f64 v[69:70], v[105:106], v[69:70], v[89:90]
	s_waitcnt vmcnt(19)
	v_fma_f64 v[69:70], v[103:104], v[71:72], v[69:70]
	s_waitcnt vmcnt(18) lgkmcnt(0)
	v_fma_f64 v[69:70], v[101:102], v[73:74], v[69:70]
	s_waitcnt vmcnt(13)
	v_fma_f64 v[77:78], v[77:78], v[75:76], v[69:70]
	ds_read_b128 v[69:72], v68 offset:480
	ds_read_b128 v[73:76], v68 offset:496
	s_waitcnt vmcnt(12) lgkmcnt(1)
	v_fma_f64 v[69:70], v[111:112], v[69:70], v[77:78]
	s_waitcnt vmcnt(11)
	v_fma_f64 v[69:70], v[109:110], v[71:72], v[69:70]
	s_waitcnt vmcnt(10) lgkmcnt(0)
	v_fma_f64 v[69:70], v[107:108], v[73:74], v[69:70]
	s_waitcnt vmcnt(5)
	v_fma_f64 v[73:74], v[79:80], v[75:76], v[69:70]
	ds_read_b128 v[69:72], v68 offset:512
	ds_read_b64 v[75:76], v68 offset:528
	s_waitcnt vmcnt(4) lgkmcnt(1)
	v_fma_f64 v[69:70], v[85:86], v[69:70], v[73:74]
	s_waitcnt vmcnt(3)
	v_fma_f64 v[69:70], v[83:84], v[71:72], v[69:70]
	s_waitcnt vmcnt(2) lgkmcnt(0)
	v_fma_f64 v[69:70], v[81:82], v[75:76], v[69:70]
	s_waitcnt vmcnt(0)
	v_add_f64 v[69:70], v[87:88], -v[69:70]
	buffer_store_dword v70, off, s[0:3], 0 offset:76
	buffer_store_dword v69, off, s[0:3], 0 offset:72
	v_cmpx_lt_u32_e32 8, v0
	s_cbranch_execz .LBB96_191
; %bb.190:
	s_clause 0x1
	buffer_load_dword v69, off, s[0:3], 0 offset:64
	buffer_load_dword v70, off, s[0:3], 0 offset:68
	buffer_store_dword v68, off, s[0:3], 0 offset:64
	buffer_store_dword v68, off, s[0:3], 0 offset:68
	s_waitcnt vmcnt(0)
	ds_write_b64 v67, v[69:70]
.LBB96_191:
	s_or_b32 exec_lo, exec_lo, s4
	s_waitcnt lgkmcnt(0)
	s_waitcnt_vscnt null, 0x0
	s_barrier
	buffer_gl0_inv
	s_clause 0x1c
	buffer_load_dword v77, off, s[0:3], 0 offset:72
	buffer_load_dword v78, off, s[0:3], 0 offset:76
	buffer_load_dword v79, off, s[0:3], 0 offset:80
	buffer_load_dword v80, off, s[0:3], 0 offset:84
	buffer_load_dword v81, off, s[0:3], 0 offset:88
	buffer_load_dword v82, off, s[0:3], 0 offset:92
	buffer_load_dword v83, off, s[0:3], 0 offset:96
	buffer_load_dword v84, off, s[0:3], 0 offset:100
	buffer_load_dword v85, off, s[0:3], 0 offset:104
	buffer_load_dword v86, off, s[0:3], 0 offset:108
	buffer_load_dword v87, off, s[0:3], 0 offset:112
	buffer_load_dword v88, off, s[0:3], 0 offset:116
	buffer_load_dword v89, off, s[0:3], 0 offset:120
	buffer_load_dword v90, off, s[0:3], 0 offset:124
	buffer_load_dword v92, off, s[0:3], 0 offset:132
	buffer_load_dword v93, off, s[0:3], 0 offset:152
	buffer_load_dword v95, off, s[0:3], 0 offset:144
	buffer_load_dword v97, off, s[0:3], 0 offset:136
	buffer_load_dword v91, off, s[0:3], 0 offset:128
	buffer_load_dword v98, off, s[0:3], 0 offset:140
	buffer_load_dword v96, off, s[0:3], 0 offset:148
	buffer_load_dword v94, off, s[0:3], 0 offset:156
	buffer_load_dword v100, off, s[0:3], 0 offset:164
	buffer_load_dword v101, off, s[0:3], 0 offset:184
	buffer_load_dword v103, off, s[0:3], 0 offset:176
	buffer_load_dword v105, off, s[0:3], 0 offset:168
	buffer_load_dword v99, off, s[0:3], 0 offset:160
	buffer_load_dword v106, off, s[0:3], 0 offset:172
	buffer_load_dword v104, off, s[0:3], 0 offset:180
	ds_read2_b64 v[69:72], v68 offset0:43 offset1:44
	ds_read2_b64 v[73:76], v68 offset0:45 offset1:46
	buffer_load_dword v102, off, s[0:3], 0 offset:188
	s_mov_b32 s4, exec_lo
	s_waitcnt vmcnt(28) lgkmcnt(1)
	v_fma_f64 v[69:70], v[77:78], v[69:70], 0
	s_clause 0x7
	buffer_load_dword v78, off, s[0:3], 0 offset:196
	buffer_load_dword v107, off, s[0:3], 0 offset:216
	;; [unrolled: 1-line block ×8, first 2 shown]
	s_waitcnt vmcnt(34)
	v_fma_f64 v[69:70], v[79:80], v[71:72], v[69:70]
	s_waitcnt vmcnt(32) lgkmcnt(0)
	v_fma_f64 v[69:70], v[81:82], v[73:74], v[69:70]
	s_waitcnt vmcnt(30)
	v_fma_f64 v[79:80], v[83:84], v[75:76], v[69:70]
	ds_read2_b64 v[69:72], v68 offset0:47 offset1:48
	ds_read2_b64 v[73:76], v68 offset0:49 offset1:50
	s_waitcnt vmcnt(28) lgkmcnt(1)
	v_fma_f64 v[69:70], v[85:86], v[69:70], v[79:80]
	s_clause 0x7
	buffer_load_dword v80, off, s[0:3], 0 offset:228
	buffer_load_dword v81, off, s[0:3], 0 offset:248
	buffer_load_dword v83, off, s[0:3], 0 offset:240
	buffer_load_dword v85, off, s[0:3], 0 offset:232
	buffer_load_dword v79, off, s[0:3], 0 offset:224
	buffer_load_dword v86, off, s[0:3], 0 offset:236
	buffer_load_dword v84, off, s[0:3], 0 offset:244
	buffer_load_dword v82, off, s[0:3], 0 offset:252
	s_waitcnt vmcnt(34)
	v_fma_f64 v[69:70], v[87:88], v[71:72], v[69:70]
	s_waitcnt vmcnt(32) lgkmcnt(0)
	v_fma_f64 v[69:70], v[89:90], v[73:74], v[69:70]
	s_waitcnt vmcnt(27)
	v_fma_f64 v[87:88], v[91:92], v[75:76], v[69:70]
	ds_read2_b64 v[69:72], v68 offset0:51 offset1:52
	ds_read2_b64 v[73:76], v68 offset0:53 offset1:54
	s_waitcnt vmcnt(26) lgkmcnt(1)
	v_fma_f64 v[69:70], v[97:98], v[69:70], v[87:88]
	s_clause 0x3
	buffer_load_dword v88, off, s[0:3], 0 offset:260
	buffer_load_dword v87, off, s[0:3], 0 offset:256
	;; [unrolled: 1-line block ×4, first 2 shown]
	s_waitcnt vmcnt(29)
	v_fma_f64 v[69:70], v[95:96], v[71:72], v[69:70]
	s_waitcnt vmcnt(28) lgkmcnt(0)
	v_fma_f64 v[69:70], v[93:94], v[73:74], v[69:70]
	s_waitcnt vmcnt(23)
	v_fma_f64 v[91:92], v[99:100], v[75:76], v[69:70]
	ds_read2_b64 v[69:72], v68 offset0:55 offset1:56
	ds_read2_b64 v[73:76], v68 offset0:57 offset1:58
	s_waitcnt vmcnt(22) lgkmcnt(1)
	v_fma_f64 v[69:70], v[105:106], v[69:70], v[91:92]
	s_waitcnt vmcnt(21)
	v_fma_f64 v[69:70], v[103:104], v[71:72], v[69:70]
	s_waitcnt vmcnt(20) lgkmcnt(0)
	v_fma_f64 v[69:70], v[101:102], v[73:74], v[69:70]
	s_waitcnt vmcnt(15)
	v_fma_f64 v[77:78], v[77:78], v[75:76], v[69:70]
	ds_read2_b64 v[69:72], v68 offset0:59 offset1:60
	ds_read2_b64 v[73:76], v68 offset0:61 offset1:62
	s_waitcnt vmcnt(14) lgkmcnt(1)
	v_fma_f64 v[69:70], v[111:112], v[69:70], v[77:78]
	;; [unrolled: 10-line block ×3, first 2 shown]
	s_waitcnt vmcnt(5)
	v_fma_f64 v[68:69], v[83:84], v[71:72], v[68:69]
	s_waitcnt vmcnt(4) lgkmcnt(0)
	v_fma_f64 v[68:69], v[81:82], v[73:74], v[68:69]
	s_waitcnt vmcnt(2)
	v_fma_f64 v[68:69], v[87:88], v[75:76], v[68:69]
	s_waitcnt vmcnt(0)
	v_add_f64 v[68:69], v[89:90], -v[68:69]
	buffer_store_dword v69, off, s[0:3], 0 offset:68
	buffer_store_dword v68, off, s[0:3], 0 offset:64
	v_cmpx_lt_u32_e32 7, v0
	s_cbranch_execz .LBB96_193
; %bb.192:
	s_clause 0x1
	buffer_load_dword v68, off, s[0:3], 0 offset:56
	buffer_load_dword v69, off, s[0:3], 0 offset:60
	v_mov_b32_e32 v70, 0
	buffer_store_dword v70, off, s[0:3], 0 offset:56
	buffer_store_dword v70, off, s[0:3], 0 offset:60
	s_waitcnt vmcnt(0)
	ds_write_b64 v67, v[68:69]
.LBB96_193:
	s_or_b32 exec_lo, exec_lo, s4
	s_waitcnt lgkmcnt(0)
	s_waitcnt_vscnt null, 0x0
	s_barrier
	buffer_gl0_inv
	s_clause 0x1c
	buffer_load_dword v77, off, s[0:3], 0 offset:64
	buffer_load_dword v78, off, s[0:3], 0 offset:68
	;; [unrolled: 1-line block ×29, first 2 shown]
	v_mov_b32_e32 v68, 0
	buffer_load_dword v102, off, s[0:3], 0 offset:180
	s_mov_b32 s4, exec_lo
	ds_read_b128 v[69:72], v68 offset:336
	ds_read_b128 v[73:76], v68 offset:352
	s_waitcnt vmcnt(28) lgkmcnt(1)
	v_fma_f64 v[69:70], v[77:78], v[69:70], 0
	s_clause 0x7
	buffer_load_dword v78, off, s[0:3], 0 offset:188
	buffer_load_dword v107, off, s[0:3], 0 offset:208
	;; [unrolled: 1-line block ×8, first 2 shown]
	s_waitcnt vmcnt(34)
	v_fma_f64 v[69:70], v[79:80], v[71:72], v[69:70]
	s_waitcnt vmcnt(32) lgkmcnt(0)
	v_fma_f64 v[69:70], v[81:82], v[73:74], v[69:70]
	s_waitcnt vmcnt(30)
	v_fma_f64 v[79:80], v[83:84], v[75:76], v[69:70]
	ds_read_b128 v[69:72], v68 offset:368
	ds_read_b128 v[73:76], v68 offset:384
	s_waitcnt vmcnt(28) lgkmcnt(1)
	v_fma_f64 v[69:70], v[85:86], v[69:70], v[79:80]
	s_clause 0x7
	buffer_load_dword v80, off, s[0:3], 0 offset:220
	buffer_load_dword v81, off, s[0:3], 0 offset:240
	;; [unrolled: 1-line block ×8, first 2 shown]
	s_waitcnt vmcnt(34)
	v_fma_f64 v[69:70], v[87:88], v[71:72], v[69:70]
	s_waitcnt vmcnt(32) lgkmcnt(0)
	v_fma_f64 v[69:70], v[89:90], v[73:74], v[69:70]
	s_waitcnt vmcnt(27)
	v_fma_f64 v[87:88], v[91:92], v[75:76], v[69:70]
	ds_read_b128 v[69:72], v68 offset:400
	ds_read_b128 v[73:76], v68 offset:416
	s_waitcnt vmcnt(26) lgkmcnt(1)
	v_fma_f64 v[69:70], v[97:98], v[69:70], v[87:88]
	s_clause 0x5
	buffer_load_dword v88, off, s[0:3], 0 offset:252
	buffer_load_dword v89, off, s[0:3], 0 offset:256
	;; [unrolled: 1-line block ×6, first 2 shown]
	s_waitcnt vmcnt(31)
	v_fma_f64 v[69:70], v[95:96], v[71:72], v[69:70]
	s_waitcnt vmcnt(30) lgkmcnt(0)
	v_fma_f64 v[69:70], v[93:94], v[73:74], v[69:70]
	s_waitcnt vmcnt(25)
	v_fma_f64 v[93:94], v[99:100], v[75:76], v[69:70]
	ds_read_b128 v[69:72], v68 offset:432
	ds_read_b128 v[73:76], v68 offset:448
	s_waitcnt vmcnt(24) lgkmcnt(1)
	v_fma_f64 v[69:70], v[105:106], v[69:70], v[93:94]
	s_waitcnt vmcnt(23)
	v_fma_f64 v[69:70], v[103:104], v[71:72], v[69:70]
	s_waitcnt vmcnt(22) lgkmcnt(0)
	v_fma_f64 v[69:70], v[101:102], v[73:74], v[69:70]
	s_waitcnt vmcnt(17)
	v_fma_f64 v[77:78], v[77:78], v[75:76], v[69:70]
	ds_read_b128 v[69:72], v68 offset:464
	ds_read_b128 v[73:76], v68 offset:480
	s_waitcnt vmcnt(16) lgkmcnt(1)
	v_fma_f64 v[69:70], v[111:112], v[69:70], v[77:78]
	;; [unrolled: 10-line block ×3, first 2 shown]
	s_waitcnt vmcnt(7)
	v_fma_f64 v[69:70], v[83:84], v[71:72], v[69:70]
	ds_read_b64 v[71:72], v68 offset:528
	s_waitcnt vmcnt(6) lgkmcnt(1)
	v_fma_f64 v[69:70], v[81:82], v[73:74], v[69:70]
	s_waitcnt vmcnt(3)
	v_fma_f64 v[69:70], v[87:88], v[75:76], v[69:70]
	s_waitcnt vmcnt(2) lgkmcnt(0)
	v_fma_f64 v[69:70], v[89:90], v[71:72], v[69:70]
	s_waitcnt vmcnt(0)
	v_add_f64 v[69:70], v[91:92], -v[69:70]
	buffer_store_dword v70, off, s[0:3], 0 offset:60
	buffer_store_dword v69, off, s[0:3], 0 offset:56
	v_cmpx_lt_u32_e32 6, v0
	s_cbranch_execz .LBB96_195
; %bb.194:
	s_clause 0x1
	buffer_load_dword v69, off, s[0:3], 0 offset:48
	buffer_load_dword v70, off, s[0:3], 0 offset:52
	buffer_store_dword v68, off, s[0:3], 0 offset:48
	buffer_store_dword v68, off, s[0:3], 0 offset:52
	s_waitcnt vmcnt(0)
	ds_write_b64 v67, v[69:70]
.LBB96_195:
	s_or_b32 exec_lo, exec_lo, s4
	s_waitcnt lgkmcnt(0)
	s_waitcnt_vscnt null, 0x0
	s_barrier
	buffer_gl0_inv
	s_clause 0x1c
	buffer_load_dword v77, off, s[0:3], 0 offset:56
	buffer_load_dword v78, off, s[0:3], 0 offset:60
	;; [unrolled: 1-line block ×29, first 2 shown]
	ds_read2_b64 v[69:72], v68 offset0:41 offset1:42
	ds_read2_b64 v[73:76], v68 offset0:43 offset1:44
	buffer_load_dword v102, off, s[0:3], 0 offset:172
	s_mov_b32 s4, exec_lo
	s_waitcnt vmcnt(28) lgkmcnt(1)
	v_fma_f64 v[69:70], v[77:78], v[69:70], 0
	s_clause 0x7
	buffer_load_dword v78, off, s[0:3], 0 offset:180
	buffer_load_dword v107, off, s[0:3], 0 offset:200
	;; [unrolled: 1-line block ×8, first 2 shown]
	s_waitcnt vmcnt(34)
	v_fma_f64 v[69:70], v[79:80], v[71:72], v[69:70]
	s_waitcnt vmcnt(32) lgkmcnt(0)
	v_fma_f64 v[69:70], v[81:82], v[73:74], v[69:70]
	s_waitcnt vmcnt(30)
	v_fma_f64 v[79:80], v[83:84], v[75:76], v[69:70]
	ds_read2_b64 v[69:72], v68 offset0:45 offset1:46
	ds_read2_b64 v[73:76], v68 offset0:47 offset1:48
	s_waitcnt vmcnt(28) lgkmcnt(1)
	v_fma_f64 v[69:70], v[85:86], v[69:70], v[79:80]
	s_clause 0x7
	buffer_load_dword v80, off, s[0:3], 0 offset:212
	buffer_load_dword v81, off, s[0:3], 0 offset:232
	;; [unrolled: 1-line block ×8, first 2 shown]
	s_waitcnt vmcnt(34)
	v_fma_f64 v[69:70], v[87:88], v[71:72], v[69:70]
	s_waitcnt vmcnt(32) lgkmcnt(0)
	v_fma_f64 v[69:70], v[89:90], v[73:74], v[69:70]
	s_waitcnt vmcnt(27)
	v_fma_f64 v[87:88], v[91:92], v[75:76], v[69:70]
	ds_read2_b64 v[69:72], v68 offset0:49 offset1:50
	ds_read2_b64 v[73:76], v68 offset0:51 offset1:52
	s_waitcnt vmcnt(26) lgkmcnt(1)
	v_fma_f64 v[69:70], v[97:98], v[69:70], v[87:88]
	s_clause 0x5
	buffer_load_dword v88, off, s[0:3], 0 offset:244
	buffer_load_dword v89, off, s[0:3], 0 offset:256
	;; [unrolled: 1-line block ×6, first 2 shown]
	s_waitcnt vmcnt(31)
	v_fma_f64 v[69:70], v[95:96], v[71:72], v[69:70]
	s_waitcnt vmcnt(30) lgkmcnt(0)
	v_fma_f64 v[69:70], v[93:94], v[73:74], v[69:70]
	s_waitcnt vmcnt(25)
	v_fma_f64 v[93:94], v[99:100], v[75:76], v[69:70]
	ds_read2_b64 v[69:72], v68 offset0:53 offset1:54
	s_clause 0x1
	buffer_load_dword v95, off, s[0:3], 0 offset:48
	buffer_load_dword v96, off, s[0:3], 0 offset:52
	ds_read2_b64 v[73:76], v68 offset0:55 offset1:56
	s_waitcnt vmcnt(26) lgkmcnt(1)
	v_fma_f64 v[69:70], v[105:106], v[69:70], v[93:94]
	s_waitcnt vmcnt(25)
	v_fma_f64 v[69:70], v[103:104], v[71:72], v[69:70]
	s_waitcnt vmcnt(24) lgkmcnt(0)
	v_fma_f64 v[69:70], v[101:102], v[73:74], v[69:70]
	s_waitcnt vmcnt(19)
	v_fma_f64 v[77:78], v[77:78], v[75:76], v[69:70]
	ds_read2_b64 v[69:72], v68 offset0:57 offset1:58
	ds_read2_b64 v[73:76], v68 offset0:59 offset1:60
	s_waitcnt vmcnt(18) lgkmcnt(1)
	v_fma_f64 v[69:70], v[111:112], v[69:70], v[77:78]
	s_waitcnt vmcnt(17)
	v_fma_f64 v[69:70], v[109:110], v[71:72], v[69:70]
	s_waitcnt vmcnt(16) lgkmcnt(0)
	v_fma_f64 v[69:70], v[107:108], v[73:74], v[69:70]
	s_waitcnt vmcnt(11)
	v_fma_f64 v[77:78], v[79:80], v[75:76], v[69:70]
	ds_read2_b64 v[69:72], v68 offset0:61 offset1:62
	;; [unrolled: 10-line block ×3, first 2 shown]
	s_waitcnt vmcnt(3) lgkmcnt(0)
	v_fma_f64 v[68:69], v[91:92], v[68:69], v[72:73]
	s_waitcnt vmcnt(2)
	v_fma_f64 v[68:69], v[89:90], v[70:71], v[68:69]
	s_waitcnt vmcnt(0)
	v_add_f64 v[68:69], v[95:96], -v[68:69]
	buffer_store_dword v69, off, s[0:3], 0 offset:52
	buffer_store_dword v68, off, s[0:3], 0 offset:48
	v_cmpx_lt_u32_e32 5, v0
	s_cbranch_execz .LBB96_197
; %bb.196:
	s_clause 0x1
	buffer_load_dword v68, off, s[0:3], 0 offset:40
	buffer_load_dword v69, off, s[0:3], 0 offset:44
	v_mov_b32_e32 v70, 0
	buffer_store_dword v70, off, s[0:3], 0 offset:40
	buffer_store_dword v70, off, s[0:3], 0 offset:44
	s_waitcnt vmcnt(0)
	ds_write_b64 v67, v[68:69]
.LBB96_197:
	s_or_b32 exec_lo, exec_lo, s4
	s_waitcnt lgkmcnt(0)
	s_waitcnt_vscnt null, 0x0
	s_barrier
	buffer_gl0_inv
	s_clause 0x1c
	buffer_load_dword v77, off, s[0:3], 0 offset:48
	buffer_load_dword v78, off, s[0:3], 0 offset:52
	;; [unrolled: 1-line block ×29, first 2 shown]
	v_mov_b32_e32 v68, 0
	buffer_load_dword v102, off, s[0:3], 0 offset:164
	s_mov_b32 s4, exec_lo
	ds_read_b128 v[69:72], v68 offset:320
	ds_read_b128 v[73:76], v68 offset:336
	s_waitcnt vmcnt(28) lgkmcnt(1)
	v_fma_f64 v[69:70], v[77:78], v[69:70], 0
	s_clause 0x7
	buffer_load_dword v78, off, s[0:3], 0 offset:172
	buffer_load_dword v107, off, s[0:3], 0 offset:192
	buffer_load_dword v109, off, s[0:3], 0 offset:184
	buffer_load_dword v111, off, s[0:3], 0 offset:176
	buffer_load_dword v77, off, s[0:3], 0 offset:168
	buffer_load_dword v112, off, s[0:3], 0 offset:180
	buffer_load_dword v110, off, s[0:3], 0 offset:188
	buffer_load_dword v108, off, s[0:3], 0 offset:196
	s_waitcnt vmcnt(34)
	v_fma_f64 v[69:70], v[79:80], v[71:72], v[69:70]
	s_waitcnt vmcnt(32) lgkmcnt(0)
	v_fma_f64 v[69:70], v[81:82], v[73:74], v[69:70]
	s_waitcnt vmcnt(30)
	v_fma_f64 v[79:80], v[83:84], v[75:76], v[69:70]
	ds_read_b128 v[69:72], v68 offset:352
	ds_read_b128 v[73:76], v68 offset:368
	s_waitcnt vmcnt(28) lgkmcnt(1)
	v_fma_f64 v[69:70], v[85:86], v[69:70], v[79:80]
	s_clause 0x7
	buffer_load_dword v80, off, s[0:3], 0 offset:204
	buffer_load_dword v81, off, s[0:3], 0 offset:224
	buffer_load_dword v83, off, s[0:3], 0 offset:216
	buffer_load_dword v85, off, s[0:3], 0 offset:208
	buffer_load_dword v79, off, s[0:3], 0 offset:200
	buffer_load_dword v86, off, s[0:3], 0 offset:212
	buffer_load_dword v84, off, s[0:3], 0 offset:220
	buffer_load_dword v82, off, s[0:3], 0 offset:228
	s_waitcnt vmcnt(34)
	v_fma_f64 v[69:70], v[87:88], v[71:72], v[69:70]
	s_waitcnt vmcnt(32) lgkmcnt(0)
	v_fma_f64 v[69:70], v[89:90], v[73:74], v[69:70]
	s_waitcnt vmcnt(27)
	v_fma_f64 v[87:88], v[91:92], v[75:76], v[69:70]
	ds_read_b128 v[69:72], v68 offset:384
	ds_read_b128 v[73:76], v68 offset:400
	s_waitcnt vmcnt(26) lgkmcnt(1)
	v_fma_f64 v[69:70], v[97:98], v[69:70], v[87:88]
	s_clause 0x7
	buffer_load_dword v88, off, s[0:3], 0 offset:236
	buffer_load_dword v89, off, s[0:3], 0 offset:256
	buffer_load_dword v91, off, s[0:3], 0 offset:248
	buffer_load_dword v97, off, s[0:3], 0 offset:240
	buffer_load_dword v87, off, s[0:3], 0 offset:232
	buffer_load_dword v98, off, s[0:3], 0 offset:244
	buffer_load_dword v92, off, s[0:3], 0 offset:252
	buffer_load_dword v90, off, s[0:3], 0 offset:260
	s_waitcnt vmcnt(33)
	v_fma_f64 v[69:70], v[95:96], v[71:72], v[69:70]
	s_waitcnt vmcnt(32) lgkmcnt(0)
	v_fma_f64 v[69:70], v[93:94], v[73:74], v[69:70]
	s_waitcnt vmcnt(27)
	v_fma_f64 v[93:94], v[99:100], v[75:76], v[69:70]
	ds_read_b128 v[69:72], v68 offset:416
	ds_read_b128 v[73:76], v68 offset:432
	s_waitcnt vmcnt(26) lgkmcnt(1)
	v_fma_f64 v[69:70], v[105:106], v[69:70], v[93:94]
	s_clause 0x1
	buffer_load_dword v93, off, s[0:3], 0 offset:40
	buffer_load_dword v94, off, s[0:3], 0 offset:44
	s_waitcnt vmcnt(27)
	v_fma_f64 v[69:70], v[103:104], v[71:72], v[69:70]
	s_waitcnt vmcnt(26) lgkmcnt(0)
	v_fma_f64 v[69:70], v[101:102], v[73:74], v[69:70]
	s_waitcnt vmcnt(21)
	v_fma_f64 v[77:78], v[77:78], v[75:76], v[69:70]
	ds_read_b128 v[69:72], v68 offset:448
	ds_read_b128 v[73:76], v68 offset:464
	s_waitcnt vmcnt(20) lgkmcnt(1)
	v_fma_f64 v[69:70], v[111:112], v[69:70], v[77:78]
	s_waitcnt vmcnt(19)
	v_fma_f64 v[69:70], v[109:110], v[71:72], v[69:70]
	s_waitcnt vmcnt(18) lgkmcnt(0)
	v_fma_f64 v[69:70], v[107:108], v[73:74], v[69:70]
	s_waitcnt vmcnt(13)
	v_fma_f64 v[77:78], v[79:80], v[75:76], v[69:70]
	ds_read_b128 v[69:72], v68 offset:480
	ds_read_b128 v[73:76], v68 offset:496
	s_waitcnt vmcnt(12) lgkmcnt(1)
	v_fma_f64 v[69:70], v[85:86], v[69:70], v[77:78]
	s_waitcnt vmcnt(11)
	v_fma_f64 v[69:70], v[83:84], v[71:72], v[69:70]
	s_waitcnt vmcnt(10) lgkmcnt(0)
	v_fma_f64 v[69:70], v[81:82], v[73:74], v[69:70]
	s_waitcnt vmcnt(5)
	v_fma_f64 v[73:74], v[87:88], v[75:76], v[69:70]
	ds_read_b128 v[69:72], v68 offset:512
	ds_read_b64 v[75:76], v68 offset:528
	s_waitcnt vmcnt(4) lgkmcnt(1)
	v_fma_f64 v[69:70], v[97:98], v[69:70], v[73:74]
	s_waitcnt vmcnt(3)
	v_fma_f64 v[69:70], v[91:92], v[71:72], v[69:70]
	s_waitcnt vmcnt(2) lgkmcnt(0)
	v_fma_f64 v[69:70], v[89:90], v[75:76], v[69:70]
	s_waitcnt vmcnt(0)
	v_add_f64 v[69:70], v[93:94], -v[69:70]
	buffer_store_dword v70, off, s[0:3], 0 offset:44
	buffer_store_dword v69, off, s[0:3], 0 offset:40
	v_cmpx_lt_u32_e32 4, v0
	s_cbranch_execz .LBB96_199
; %bb.198:
	s_clause 0x1
	buffer_load_dword v69, off, s[0:3], 0 offset:32
	buffer_load_dword v70, off, s[0:3], 0 offset:36
	buffer_store_dword v68, off, s[0:3], 0 offset:32
	buffer_store_dword v68, off, s[0:3], 0 offset:36
	s_waitcnt vmcnt(0)
	ds_write_b64 v67, v[69:70]
.LBB96_199:
	s_or_b32 exec_lo, exec_lo, s4
	s_waitcnt lgkmcnt(0)
	s_waitcnt_vscnt null, 0x0
	s_barrier
	buffer_gl0_inv
	s_clause 0x1c
	buffer_load_dword v77, off, s[0:3], 0 offset:40
	buffer_load_dword v78, off, s[0:3], 0 offset:44
	;; [unrolled: 1-line block ×29, first 2 shown]
	ds_read2_b64 v[69:72], v68 offset0:39 offset1:40
	ds_read2_b64 v[73:76], v68 offset0:41 offset1:42
	buffer_load_dword v102, off, s[0:3], 0 offset:156
	s_mov_b32 s4, exec_lo
	s_waitcnt vmcnt(28) lgkmcnt(1)
	v_fma_f64 v[69:70], v[77:78], v[69:70], 0
	s_clause 0x7
	buffer_load_dword v78, off, s[0:3], 0 offset:164
	buffer_load_dword v107, off, s[0:3], 0 offset:184
	buffer_load_dword v109, off, s[0:3], 0 offset:176
	buffer_load_dword v111, off, s[0:3], 0 offset:168
	buffer_load_dword v77, off, s[0:3], 0 offset:160
	buffer_load_dword v112, off, s[0:3], 0 offset:172
	buffer_load_dword v110, off, s[0:3], 0 offset:180
	buffer_load_dword v108, off, s[0:3], 0 offset:188
	s_waitcnt vmcnt(34)
	v_fma_f64 v[69:70], v[79:80], v[71:72], v[69:70]
	s_waitcnt vmcnt(32) lgkmcnt(0)
	v_fma_f64 v[69:70], v[81:82], v[73:74], v[69:70]
	s_waitcnt vmcnt(30)
	v_fma_f64 v[79:80], v[83:84], v[75:76], v[69:70]
	ds_read2_b64 v[69:72], v68 offset0:43 offset1:44
	ds_read2_b64 v[73:76], v68 offset0:45 offset1:46
	s_waitcnt vmcnt(28) lgkmcnt(1)
	v_fma_f64 v[69:70], v[85:86], v[69:70], v[79:80]
	s_clause 0x7
	buffer_load_dword v80, off, s[0:3], 0 offset:196
	buffer_load_dword v81, off, s[0:3], 0 offset:216
	buffer_load_dword v83, off, s[0:3], 0 offset:208
	buffer_load_dword v85, off, s[0:3], 0 offset:200
	buffer_load_dword v79, off, s[0:3], 0 offset:192
	buffer_load_dword v86, off, s[0:3], 0 offset:204
	buffer_load_dword v84, off, s[0:3], 0 offset:212
	buffer_load_dword v82, off, s[0:3], 0 offset:220
	s_waitcnt vmcnt(34)
	v_fma_f64 v[69:70], v[87:88], v[71:72], v[69:70]
	s_waitcnt vmcnt(32) lgkmcnt(0)
	v_fma_f64 v[69:70], v[89:90], v[73:74], v[69:70]
	s_waitcnt vmcnt(27)
	v_fma_f64 v[87:88], v[91:92], v[75:76], v[69:70]
	ds_read2_b64 v[69:72], v68 offset0:47 offset1:48
	ds_read2_b64 v[73:76], v68 offset0:49 offset1:50
	;; [unrolled: 19-line block ×3, first 2 shown]
	s_waitcnt vmcnt(26) lgkmcnt(1)
	v_fma_f64 v[69:70], v[105:106], v[69:70], v[93:94]
	s_clause 0x3
	buffer_load_dword v94, off, s[0:3], 0 offset:260
	buffer_load_dword v93, off, s[0:3], 0 offset:256
	buffer_load_dword v95, off, s[0:3], 0 offset:32
	buffer_load_dword v96, off, s[0:3], 0 offset:36
	s_waitcnt vmcnt(29)
	v_fma_f64 v[69:70], v[103:104], v[71:72], v[69:70]
	s_waitcnt vmcnt(28) lgkmcnt(0)
	v_fma_f64 v[69:70], v[101:102], v[73:74], v[69:70]
	s_waitcnt vmcnt(23)
	v_fma_f64 v[77:78], v[77:78], v[75:76], v[69:70]
	ds_read2_b64 v[69:72], v68 offset0:55 offset1:56
	ds_read2_b64 v[73:76], v68 offset0:57 offset1:58
	s_waitcnt vmcnt(22) lgkmcnt(1)
	v_fma_f64 v[69:70], v[111:112], v[69:70], v[77:78]
	s_waitcnt vmcnt(21)
	v_fma_f64 v[69:70], v[109:110], v[71:72], v[69:70]
	s_waitcnt vmcnt(20) lgkmcnt(0)
	v_fma_f64 v[69:70], v[107:108], v[73:74], v[69:70]
	s_waitcnt vmcnt(15)
	v_fma_f64 v[77:78], v[79:80], v[75:76], v[69:70]
	ds_read2_b64 v[69:72], v68 offset0:59 offset1:60
	ds_read2_b64 v[73:76], v68 offset0:61 offset1:62
	s_waitcnt vmcnt(14) lgkmcnt(1)
	v_fma_f64 v[69:70], v[85:86], v[69:70], v[77:78]
	;; [unrolled: 10-line block ×3, first 2 shown]
	s_waitcnt vmcnt(5)
	v_fma_f64 v[68:69], v[91:92], v[71:72], v[68:69]
	s_waitcnt vmcnt(4) lgkmcnt(0)
	v_fma_f64 v[68:69], v[89:90], v[73:74], v[68:69]
	s_waitcnt vmcnt(2)
	v_fma_f64 v[68:69], v[93:94], v[75:76], v[68:69]
	s_waitcnt vmcnt(0)
	v_add_f64 v[68:69], v[95:96], -v[68:69]
	buffer_store_dword v69, off, s[0:3], 0 offset:36
	buffer_store_dword v68, off, s[0:3], 0 offset:32
	v_cmpx_lt_u32_e32 3, v0
	s_cbranch_execz .LBB96_201
; %bb.200:
	s_clause 0x1
	buffer_load_dword v68, off, s[0:3], 0 offset:24
	buffer_load_dword v69, off, s[0:3], 0 offset:28
	v_mov_b32_e32 v70, 0
	buffer_store_dword v70, off, s[0:3], 0 offset:24
	buffer_store_dword v70, off, s[0:3], 0 offset:28
	s_waitcnt vmcnt(0)
	ds_write_b64 v67, v[68:69]
.LBB96_201:
	s_or_b32 exec_lo, exec_lo, s4
	s_waitcnt lgkmcnt(0)
	s_waitcnt_vscnt null, 0x0
	s_barrier
	buffer_gl0_inv
	s_clause 0x1c
	buffer_load_dword v77, off, s[0:3], 0 offset:32
	buffer_load_dword v78, off, s[0:3], 0 offset:36
	;; [unrolled: 1-line block ×29, first 2 shown]
	v_mov_b32_e32 v68, 0
	buffer_load_dword v102, off, s[0:3], 0 offset:148
	s_mov_b32 s4, exec_lo
	ds_read_b128 v[69:72], v68 offset:304
	ds_read_b128 v[73:76], v68 offset:320
	s_waitcnt vmcnt(28) lgkmcnt(1)
	v_fma_f64 v[69:70], v[77:78], v[69:70], 0
	s_clause 0x7
	buffer_load_dword v78, off, s[0:3], 0 offset:156
	buffer_load_dword v107, off, s[0:3], 0 offset:176
	buffer_load_dword v109, off, s[0:3], 0 offset:168
	buffer_load_dword v111, off, s[0:3], 0 offset:160
	buffer_load_dword v77, off, s[0:3], 0 offset:152
	buffer_load_dword v112, off, s[0:3], 0 offset:164
	buffer_load_dword v110, off, s[0:3], 0 offset:172
	buffer_load_dword v108, off, s[0:3], 0 offset:180
	s_waitcnt vmcnt(34)
	v_fma_f64 v[69:70], v[79:80], v[71:72], v[69:70]
	s_waitcnt vmcnt(32) lgkmcnt(0)
	v_fma_f64 v[69:70], v[81:82], v[73:74], v[69:70]
	s_waitcnt vmcnt(30)
	v_fma_f64 v[79:80], v[83:84], v[75:76], v[69:70]
	ds_read_b128 v[69:72], v68 offset:336
	ds_read_b128 v[73:76], v68 offset:352
	s_waitcnt vmcnt(28) lgkmcnt(1)
	v_fma_f64 v[69:70], v[85:86], v[69:70], v[79:80]
	s_clause 0x7
	buffer_load_dword v80, off, s[0:3], 0 offset:188
	buffer_load_dword v81, off, s[0:3], 0 offset:208
	buffer_load_dword v83, off, s[0:3], 0 offset:200
	buffer_load_dword v85, off, s[0:3], 0 offset:192
	buffer_load_dword v79, off, s[0:3], 0 offset:184
	buffer_load_dword v86, off, s[0:3], 0 offset:196
	buffer_load_dword v84, off, s[0:3], 0 offset:204
	buffer_load_dword v82, off, s[0:3], 0 offset:212
	s_waitcnt vmcnt(34)
	v_fma_f64 v[69:70], v[87:88], v[71:72], v[69:70]
	s_waitcnt vmcnt(32) lgkmcnt(0)
	v_fma_f64 v[69:70], v[89:90], v[73:74], v[69:70]
	s_waitcnt vmcnt(27)
	v_fma_f64 v[87:88], v[91:92], v[75:76], v[69:70]
	ds_read_b128 v[69:72], v68 offset:368
	ds_read_b128 v[73:76], v68 offset:384
	s_waitcnt vmcnt(26) lgkmcnt(1)
	v_fma_f64 v[69:70], v[97:98], v[69:70], v[87:88]
	s_clause 0x7
	buffer_load_dword v88, off, s[0:3], 0 offset:220
	buffer_load_dword v89, off, s[0:3], 0 offset:240
	buffer_load_dword v91, off, s[0:3], 0 offset:232
	buffer_load_dword v97, off, s[0:3], 0 offset:224
	buffer_load_dword v87, off, s[0:3], 0 offset:216
	buffer_load_dword v98, off, s[0:3], 0 offset:228
	buffer_load_dword v92, off, s[0:3], 0 offset:236
	buffer_load_dword v90, off, s[0:3], 0 offset:244
	s_waitcnt vmcnt(33)
	v_fma_f64 v[69:70], v[95:96], v[71:72], v[69:70]
	s_waitcnt vmcnt(32) lgkmcnt(0)
	v_fma_f64 v[69:70], v[93:94], v[73:74], v[69:70]
	s_waitcnt vmcnt(27)
	v_fma_f64 v[93:94], v[99:100], v[75:76], v[69:70]
	ds_read_b128 v[69:72], v68 offset:400
	ds_read_b128 v[73:76], v68 offset:416
	s_waitcnt vmcnt(26) lgkmcnt(1)
	v_fma_f64 v[69:70], v[105:106], v[69:70], v[93:94]
	s_clause 0x5
	buffer_load_dword v94, off, s[0:3], 0 offset:252
	buffer_load_dword v95, off, s[0:3], 0 offset:256
	;; [unrolled: 1-line block ×6, first 2 shown]
	s_waitcnt vmcnt(31)
	v_fma_f64 v[69:70], v[103:104], v[71:72], v[69:70]
	s_waitcnt vmcnt(30) lgkmcnt(0)
	v_fma_f64 v[69:70], v[101:102], v[73:74], v[69:70]
	s_waitcnt vmcnt(25)
	v_fma_f64 v[77:78], v[77:78], v[75:76], v[69:70]
	ds_read_b128 v[69:72], v68 offset:432
	ds_read_b128 v[73:76], v68 offset:448
	s_waitcnt vmcnt(24) lgkmcnt(1)
	v_fma_f64 v[69:70], v[111:112], v[69:70], v[77:78]
	s_waitcnt vmcnt(23)
	v_fma_f64 v[69:70], v[109:110], v[71:72], v[69:70]
	s_waitcnt vmcnt(22) lgkmcnt(0)
	v_fma_f64 v[69:70], v[107:108], v[73:74], v[69:70]
	s_waitcnt vmcnt(17)
	v_fma_f64 v[77:78], v[79:80], v[75:76], v[69:70]
	ds_read_b128 v[69:72], v68 offset:464
	ds_read_b128 v[73:76], v68 offset:480
	s_waitcnt vmcnt(16) lgkmcnt(1)
	v_fma_f64 v[69:70], v[85:86], v[69:70], v[77:78]
	;; [unrolled: 10-line block ×3, first 2 shown]
	s_waitcnt vmcnt(7)
	v_fma_f64 v[69:70], v[91:92], v[71:72], v[69:70]
	ds_read_b64 v[71:72], v68 offset:528
	s_waitcnt vmcnt(6) lgkmcnt(1)
	v_fma_f64 v[69:70], v[89:90], v[73:74], v[69:70]
	s_waitcnt vmcnt(3)
	v_fma_f64 v[69:70], v[93:94], v[75:76], v[69:70]
	s_waitcnt vmcnt(2) lgkmcnt(0)
	v_fma_f64 v[69:70], v[95:96], v[71:72], v[69:70]
	s_waitcnt vmcnt(0)
	v_add_f64 v[69:70], v[99:100], -v[69:70]
	buffer_store_dword v70, off, s[0:3], 0 offset:28
	buffer_store_dword v69, off, s[0:3], 0 offset:24
	v_cmpx_lt_u32_e32 2, v0
	s_cbranch_execz .LBB96_203
; %bb.202:
	s_clause 0x1
	buffer_load_dword v69, off, s[0:3], 0 offset:16
	buffer_load_dword v70, off, s[0:3], 0 offset:20
	buffer_store_dword v68, off, s[0:3], 0 offset:16
	buffer_store_dword v68, off, s[0:3], 0 offset:20
	s_waitcnt vmcnt(0)
	ds_write_b64 v67, v[69:70]
.LBB96_203:
	s_or_b32 exec_lo, exec_lo, s4
	s_waitcnt lgkmcnt(0)
	s_waitcnt_vscnt null, 0x0
	s_barrier
	buffer_gl0_inv
	s_clause 0x1c
	buffer_load_dword v77, off, s[0:3], 0 offset:24
	buffer_load_dword v78, off, s[0:3], 0 offset:28
	;; [unrolled: 1-line block ×29, first 2 shown]
	ds_read2_b64 v[69:72], v68 offset0:37 offset1:38
	ds_read2_b64 v[73:76], v68 offset0:39 offset1:40
	buffer_load_dword v102, off, s[0:3], 0 offset:140
	s_mov_b32 s4, exec_lo
	s_waitcnt vmcnt(28) lgkmcnt(1)
	v_fma_f64 v[69:70], v[77:78], v[69:70], 0
	s_clause 0x7
	buffer_load_dword v78, off, s[0:3], 0 offset:148
	buffer_load_dword v107, off, s[0:3], 0 offset:168
	buffer_load_dword v109, off, s[0:3], 0 offset:160
	buffer_load_dword v111, off, s[0:3], 0 offset:152
	buffer_load_dword v77, off, s[0:3], 0 offset:144
	buffer_load_dword v112, off, s[0:3], 0 offset:156
	buffer_load_dword v110, off, s[0:3], 0 offset:164
	buffer_load_dword v108, off, s[0:3], 0 offset:172
	s_waitcnt vmcnt(34)
	v_fma_f64 v[69:70], v[79:80], v[71:72], v[69:70]
	s_waitcnt vmcnt(32) lgkmcnt(0)
	v_fma_f64 v[69:70], v[81:82], v[73:74], v[69:70]
	s_waitcnt vmcnt(30)
	v_fma_f64 v[79:80], v[83:84], v[75:76], v[69:70]
	ds_read2_b64 v[69:72], v68 offset0:41 offset1:42
	ds_read2_b64 v[73:76], v68 offset0:43 offset1:44
	s_waitcnt vmcnt(28) lgkmcnt(1)
	v_fma_f64 v[69:70], v[85:86], v[69:70], v[79:80]
	s_clause 0x7
	buffer_load_dword v80, off, s[0:3], 0 offset:180
	buffer_load_dword v81, off, s[0:3], 0 offset:200
	buffer_load_dword v83, off, s[0:3], 0 offset:192
	buffer_load_dword v85, off, s[0:3], 0 offset:184
	buffer_load_dword v79, off, s[0:3], 0 offset:176
	buffer_load_dword v86, off, s[0:3], 0 offset:188
	buffer_load_dword v84, off, s[0:3], 0 offset:196
	buffer_load_dword v82, off, s[0:3], 0 offset:204
	s_waitcnt vmcnt(34)
	v_fma_f64 v[69:70], v[87:88], v[71:72], v[69:70]
	s_waitcnt vmcnt(32) lgkmcnt(0)
	v_fma_f64 v[69:70], v[89:90], v[73:74], v[69:70]
	s_waitcnt vmcnt(27)
	v_fma_f64 v[87:88], v[91:92], v[75:76], v[69:70]
	ds_read2_b64 v[69:72], v68 offset0:45 offset1:46
	ds_read2_b64 v[73:76], v68 offset0:47 offset1:48
	;; [unrolled: 19-line block ×3, first 2 shown]
	s_waitcnt vmcnt(26) lgkmcnt(1)
	v_fma_f64 v[69:70], v[105:106], v[69:70], v[93:94]
	s_clause 0x5
	buffer_load_dword v94, off, s[0:3], 0 offset:244
	buffer_load_dword v95, off, s[0:3], 0 offset:256
	;; [unrolled: 1-line block ×6, first 2 shown]
	s_waitcnt vmcnt(31)
	v_fma_f64 v[69:70], v[103:104], v[71:72], v[69:70]
	s_waitcnt vmcnt(30) lgkmcnt(0)
	v_fma_f64 v[69:70], v[101:102], v[73:74], v[69:70]
	s_waitcnt vmcnt(25)
	v_fma_f64 v[77:78], v[77:78], v[75:76], v[69:70]
	ds_read2_b64 v[69:72], v68 offset0:53 offset1:54
	s_clause 0x1
	buffer_load_dword v101, off, s[0:3], 0 offset:16
	buffer_load_dword v102, off, s[0:3], 0 offset:20
	ds_read2_b64 v[73:76], v68 offset0:55 offset1:56
	s_waitcnt vmcnt(26) lgkmcnt(1)
	v_fma_f64 v[69:70], v[111:112], v[69:70], v[77:78]
	s_waitcnt vmcnt(25)
	v_fma_f64 v[69:70], v[109:110], v[71:72], v[69:70]
	s_waitcnt vmcnt(24) lgkmcnt(0)
	v_fma_f64 v[69:70], v[107:108], v[73:74], v[69:70]
	s_waitcnt vmcnt(19)
	v_fma_f64 v[77:78], v[79:80], v[75:76], v[69:70]
	ds_read2_b64 v[69:72], v68 offset0:57 offset1:58
	ds_read2_b64 v[73:76], v68 offset0:59 offset1:60
	s_waitcnt vmcnt(18) lgkmcnt(1)
	v_fma_f64 v[69:70], v[85:86], v[69:70], v[77:78]
	s_waitcnt vmcnt(17)
	v_fma_f64 v[69:70], v[83:84], v[71:72], v[69:70]
	s_waitcnt vmcnt(16) lgkmcnt(0)
	v_fma_f64 v[69:70], v[81:82], v[73:74], v[69:70]
	s_waitcnt vmcnt(11)
	v_fma_f64 v[77:78], v[87:88], v[75:76], v[69:70]
	ds_read2_b64 v[69:72], v68 offset0:61 offset1:62
	;; [unrolled: 10-line block ×3, first 2 shown]
	s_waitcnt vmcnt(3) lgkmcnt(0)
	v_fma_f64 v[68:69], v[99:100], v[68:69], v[72:73]
	s_waitcnt vmcnt(2)
	v_fma_f64 v[68:69], v[95:96], v[70:71], v[68:69]
	s_waitcnt vmcnt(0)
	v_add_f64 v[68:69], v[101:102], -v[68:69]
	buffer_store_dword v69, off, s[0:3], 0 offset:20
	buffer_store_dword v68, off, s[0:3], 0 offset:16
	v_cmpx_lt_u32_e32 1, v0
	s_cbranch_execz .LBB96_205
; %bb.204:
	s_clause 0x1
	buffer_load_dword v68, off, s[0:3], 0 offset:8
	buffer_load_dword v69, off, s[0:3], 0 offset:12
	v_mov_b32_e32 v70, 0
	buffer_store_dword v70, off, s[0:3], 0 offset:8
	buffer_store_dword v70, off, s[0:3], 0 offset:12
	s_waitcnt vmcnt(0)
	ds_write_b64 v67, v[68:69]
.LBB96_205:
	s_or_b32 exec_lo, exec_lo, s4
	s_waitcnt lgkmcnt(0)
	s_waitcnt_vscnt null, 0x0
	s_barrier
	buffer_gl0_inv
	s_clause 0x1c
	buffer_load_dword v78, off, s[0:3], 0 offset:16
	buffer_load_dword v79, off, s[0:3], 0 offset:20
	;; [unrolled: 1-line block ×29, first 2 shown]
	v_mov_b32_e32 v69, 0
	buffer_load_dword v103, off, s[0:3], 0 offset:132
	s_mov_b32 s4, exec_lo
	ds_read_b128 v[70:73], v69 offset:288
	ds_read_b128 v[74:77], v69 offset:304
	s_waitcnt vmcnt(28) lgkmcnt(1)
	v_fma_f64 v[70:71], v[78:79], v[70:71], 0
	s_clause 0x7
	buffer_load_dword v79, off, s[0:3], 0 offset:140
	buffer_load_dword v108, off, s[0:3], 0 offset:160
	buffer_load_dword v110, off, s[0:3], 0 offset:152
	buffer_load_dword v112, off, s[0:3], 0 offset:144
	buffer_load_dword v78, off, s[0:3], 0 offset:136
	buffer_load_dword v113, off, s[0:3], 0 offset:148
	buffer_load_dword v111, off, s[0:3], 0 offset:156
	buffer_load_dword v109, off, s[0:3], 0 offset:164
	s_waitcnt vmcnt(34)
	v_fma_f64 v[70:71], v[80:81], v[72:73], v[70:71]
	s_waitcnt vmcnt(32) lgkmcnt(0)
	v_fma_f64 v[70:71], v[82:83], v[74:75], v[70:71]
	s_waitcnt vmcnt(30)
	v_fma_f64 v[80:81], v[84:85], v[76:77], v[70:71]
	ds_read_b128 v[70:73], v69 offset:320
	ds_read_b128 v[74:77], v69 offset:336
	s_waitcnt vmcnt(28) lgkmcnt(1)
	v_fma_f64 v[70:71], v[86:87], v[70:71], v[80:81]
	s_clause 0x7
	buffer_load_dword v81, off, s[0:3], 0 offset:172
	buffer_load_dword v82, off, s[0:3], 0 offset:192
	buffer_load_dword v84, off, s[0:3], 0 offset:184
	buffer_load_dword v86, off, s[0:3], 0 offset:176
	buffer_load_dword v80, off, s[0:3], 0 offset:168
	buffer_load_dword v87, off, s[0:3], 0 offset:180
	buffer_load_dword v85, off, s[0:3], 0 offset:188
	buffer_load_dword v83, off, s[0:3], 0 offset:196
	s_waitcnt vmcnt(34)
	v_fma_f64 v[70:71], v[88:89], v[72:73], v[70:71]
	s_waitcnt vmcnt(32) lgkmcnt(0)
	v_fma_f64 v[70:71], v[90:91], v[74:75], v[70:71]
	s_waitcnt vmcnt(27)
	v_fma_f64 v[88:89], v[92:93], v[76:77], v[70:71]
	;; [unrolled: 19-line block ×4, first 2 shown]
	ds_read_b128 v[70:73], v69 offset:416
	ds_read_b128 v[74:77], v69 offset:432
	s_waitcnt vmcnt(26) lgkmcnt(1)
	v_fma_f64 v[70:71], v[112:113], v[70:71], v[78:79]
	s_clause 0x1
	buffer_load_dword v78, off, s[0:3], 0 offset:8
	buffer_load_dword v79, off, s[0:3], 0 offset:12
	s_waitcnt vmcnt(27)
	v_fma_f64 v[70:71], v[110:111], v[72:73], v[70:71]
	s_waitcnt vmcnt(26) lgkmcnt(0)
	v_fma_f64 v[70:71], v[108:109], v[74:75], v[70:71]
	s_waitcnt vmcnt(21)
	v_fma_f64 v[80:81], v[80:81], v[76:77], v[70:71]
	ds_read_b128 v[70:73], v69 offset:448
	ds_read_b128 v[74:77], v69 offset:464
	s_waitcnt vmcnt(20) lgkmcnt(1)
	v_fma_f64 v[70:71], v[86:87], v[70:71], v[80:81]
	s_waitcnt vmcnt(19)
	v_fma_f64 v[70:71], v[84:85], v[72:73], v[70:71]
	s_waitcnt vmcnt(18) lgkmcnt(0)
	v_fma_f64 v[70:71], v[82:83], v[74:75], v[70:71]
	s_waitcnt vmcnt(13)
	v_fma_f64 v[80:81], v[88:89], v[76:77], v[70:71]
	ds_read_b128 v[70:73], v69 offset:480
	ds_read_b128 v[74:77], v69 offset:496
	s_waitcnt vmcnt(12) lgkmcnt(1)
	v_fma_f64 v[70:71], v[98:99], v[70:71], v[80:81]
	s_waitcnt vmcnt(11)
	v_fma_f64 v[70:71], v[92:93], v[72:73], v[70:71]
	s_waitcnt vmcnt(10) lgkmcnt(0)
	v_fma_f64 v[70:71], v[90:91], v[74:75], v[70:71]
	s_waitcnt vmcnt(5)
	v_fma_f64 v[74:75], v[94:95], v[76:77], v[70:71]
	ds_read_b128 v[70:73], v69 offset:512
	ds_read_b64 v[76:77], v69 offset:528
	s_waitcnt vmcnt(4) lgkmcnt(1)
	v_fma_f64 v[70:71], v[106:107], v[70:71], v[74:75]
	s_waitcnt vmcnt(3)
	v_fma_f64 v[70:71], v[100:101], v[72:73], v[70:71]
	s_waitcnt vmcnt(2) lgkmcnt(0)
	v_fma_f64 v[70:71], v[96:97], v[76:77], v[70:71]
	s_waitcnt vmcnt(0)
	v_add_f64 v[70:71], v[78:79], -v[70:71]
	buffer_store_dword v71, off, s[0:3], 0 offset:12
	buffer_store_dword v70, off, s[0:3], 0 offset:8
	v_cmpx_ne_u32_e32 0, v0
	s_cbranch_execz .LBB96_207
; %bb.206:
	s_clause 0x1
	buffer_load_dword v70, off, s[0:3], 0
	buffer_load_dword v71, off, s[0:3], 0 offset:4
	buffer_store_dword v69, off, s[0:3], 0
	buffer_store_dword v69, off, s[0:3], 0 offset:4
	s_waitcnt vmcnt(0)
	ds_write_b64 v67, v[70:71]
.LBB96_207:
	s_or_b32 exec_lo, exec_lo, s4
	s_waitcnt lgkmcnt(0)
	s_waitcnt_vscnt null, 0x0
	s_barrier
	buffer_gl0_inv
	s_clause 0x1c
	buffer_load_dword v67, off, s[0:3], 0 offset:8
	buffer_load_dword v68, off, s[0:3], 0 offset:12
	;; [unrolled: 1-line block ×29, first 2 shown]
	ds_read2_b64 v[70:73], v69 offset0:35 offset1:36
	ds_read2_b64 v[74:77], v69 offset0:37 offset1:38
	s_clause 0x8
	buffer_load_dword v101, off, s[0:3], 0 offset:124
	buffer_load_dword v107, off, s[0:3], 0 offset:132
	;; [unrolled: 1-line block ×9, first 2 shown]
	s_and_b32 vcc_lo, exec_lo, s16
	s_waitcnt vmcnt(36) lgkmcnt(1)
	v_fma_f64 v[67:68], v[67:68], v[70:71], 0
	s_waitcnt vmcnt(34)
	v_fma_f64 v[67:68], v[78:79], v[72:73], v[67:68]
	ds_read2_b64 v[70:73], v69 offset0:39 offset1:40
	s_waitcnt vmcnt(32) lgkmcnt(1)
	v_fma_f64 v[67:68], v[80:81], v[74:75], v[67:68]
	s_waitcnt vmcnt(30)
	v_fma_f64 v[67:68], v[82:83], v[76:77], v[67:68]
	ds_read2_b64 v[74:77], v69 offset0:41 offset1:42
	s_waitcnt vmcnt(28) lgkmcnt(1)
	v_fma_f64 v[67:68], v[84:85], v[70:71], v[67:68]
	s_clause 0x7
	buffer_load_dword v79, off, s[0:3], 0 offset:164
	buffer_load_dword v80, off, s[0:3], 0 offset:184
	buffer_load_dword v82, off, s[0:3], 0 offset:176
	buffer_load_dword v84, off, s[0:3], 0 offset:168
	buffer_load_dword v78, off, s[0:3], 0 offset:160
	buffer_load_dword v85, off, s[0:3], 0 offset:172
	buffer_load_dword v83, off, s[0:3], 0 offset:180
	buffer_load_dword v81, off, s[0:3], 0 offset:188
	s_waitcnt vmcnt(34)
	v_fma_f64 v[67:68], v[86:87], v[72:73], v[67:68]
	ds_read2_b64 v[70:73], v69 offset0:43 offset1:44
	s_waitcnt vmcnt(32) lgkmcnt(1)
	v_fma_f64 v[67:68], v[88:89], v[74:75], v[67:68]
	s_waitcnt vmcnt(27)
	v_fma_f64 v[67:68], v[90:91], v[76:77], v[67:68]
	ds_read2_b64 v[74:77], v69 offset0:45 offset1:46
	s_waitcnt vmcnt(26) lgkmcnt(1)
	v_fma_f64 v[67:68], v[96:97], v[70:71], v[67:68]
	s_clause 0x7
	buffer_load_dword v87, off, s[0:3], 0 offset:196
	buffer_load_dword v88, off, s[0:3], 0 offset:216
	buffer_load_dword v90, off, s[0:3], 0 offset:208
	buffer_load_dword v96, off, s[0:3], 0 offset:200
	buffer_load_dword v86, off, s[0:3], 0 offset:192
	buffer_load_dword v97, off, s[0:3], 0 offset:204
	buffer_load_dword v91, off, s[0:3], 0 offset:212
	buffer_load_dword v89, off, s[0:3], 0 offset:220
	;; [unrolled: 19-line block ×3, first 2 shown]
	s_waitcnt vmcnt(33)
	v_fma_f64 v[70:71], v[102:103], v[72:73], v[70:71]
	s_waitcnt vmcnt(32) lgkmcnt(0)
	v_fma_f64 v[70:71], v[100:101], v[74:75], v[70:71]
	s_waitcnt vmcnt(27)
	v_fma_f64 v[100:101], v[106:107], v[76:77], v[70:71]
	ds_read2_b64 v[70:73], v69 offset0:51 offset1:52
	ds_read2_b64 v[74:77], v69 offset0:53 offset1:54
	s_waitcnt vmcnt(26) lgkmcnt(1)
	v_fma_f64 v[70:71], v[112:113], v[70:71], v[100:101]
	s_clause 0x3
	buffer_load_dword v101, off, s[0:3], 0 offset:260
	buffer_load_dword v100, off, s[0:3], 0 offset:256
	buffer_load_dword v102, off, s[0:3], 0
	buffer_load_dword v103, off, s[0:3], 0 offset:4
	s_waitcnt vmcnt(29)
	v_fma_f64 v[70:71], v[110:111], v[72:73], v[70:71]
	s_waitcnt vmcnt(28) lgkmcnt(0)
	v_fma_f64 v[70:71], v[108:109], v[74:75], v[70:71]
	s_waitcnt vmcnt(23)
	v_fma_f64 v[78:79], v[78:79], v[76:77], v[70:71]
	ds_read2_b64 v[70:73], v69 offset0:55 offset1:56
	ds_read2_b64 v[74:77], v69 offset0:57 offset1:58
	s_waitcnt vmcnt(22) lgkmcnt(1)
	v_fma_f64 v[70:71], v[84:85], v[70:71], v[78:79]
	s_waitcnt vmcnt(21)
	v_fma_f64 v[70:71], v[82:83], v[72:73], v[70:71]
	s_waitcnt vmcnt(20) lgkmcnt(0)
	v_fma_f64 v[70:71], v[80:81], v[74:75], v[70:71]
	s_waitcnt vmcnt(15)
	v_fma_f64 v[78:79], v[86:87], v[76:77], v[70:71]
	ds_read2_b64 v[70:73], v69 offset0:59 offset1:60
	ds_read2_b64 v[74:77], v69 offset0:61 offset1:62
	s_waitcnt vmcnt(14) lgkmcnt(1)
	v_fma_f64 v[70:71], v[96:97], v[70:71], v[78:79]
	;; [unrolled: 10-line block ×3, first 2 shown]
	s_waitcnt vmcnt(5)
	v_fma_f64 v[69:70], v[94:95], v[72:73], v[69:70]
	s_waitcnt vmcnt(4) lgkmcnt(0)
	v_fma_f64 v[69:70], v[67:68], v[74:75], v[69:70]
	s_waitcnt vmcnt(2)
	v_fma_f64 v[69:70], v[100:101], v[76:77], v[69:70]
	s_waitcnt vmcnt(0)
	v_add_f64 v[69:70], v[102:103], -v[69:70]
	buffer_store_dword v70, off, s[0:3], 0 offset:4
	buffer_store_dword v69, off, s[0:3], 0
	s_cbranch_vccz .LBB96_272
; %bb.208:
	v_mov_b32_e32 v0, 0
	global_load_dword v69, v0, s[12:13] offset:124
	s_waitcnt vmcnt(0)
	v_add_nc_u32_e32 v69, -1, v69
	v_cmp_ne_u32_e32 vcc_lo, 31, v69
	s_cbranch_vccz .LBB96_210
; %bb.209:
	v_lshlrev_b32_e32 v69, 3, v69
	s_clause 0x1
	buffer_load_dword v70, v69, s[0:3], 0 offen
	buffer_load_dword v71, v69, s[0:3], 0 offen offset:4
	s_waitcnt vmcnt(1)
	buffer_store_dword v70, off, s[0:3], 0 offset:248
	s_waitcnt vmcnt(0)
	buffer_store_dword v71, off, s[0:3], 0 offset:252
	buffer_store_dword v67, v69, s[0:3], 0 offen
	buffer_store_dword v68, v69, s[0:3], 0 offen offset:4
.LBB96_210:
	global_load_dword v0, v0, s[12:13] offset:120
	s_waitcnt vmcnt(0)
	v_add_nc_u32_e32 v0, -1, v0
	v_cmp_eq_u32_e32 vcc_lo, 30, v0
	s_cbranch_vccnz .LBB96_212
; %bb.211:
	v_lshlrev_b32_e32 v0, 3, v0
	s_clause 0x3
	buffer_load_dword v67, v0, s[0:3], 0 offen
	buffer_load_dword v68, v0, s[0:3], 0 offen offset:4
	buffer_load_dword v69, off, s[0:3], 0 offset:244
	buffer_load_dword v70, off, s[0:3], 0 offset:240
	s_waitcnt vmcnt(3)
	buffer_store_dword v67, off, s[0:3], 0 offset:240
	s_waitcnt vmcnt(2)
	buffer_store_dword v68, off, s[0:3], 0 offset:244
	s_waitcnt vmcnt(1)
	buffer_store_dword v69, v0, s[0:3], 0 offen offset:4
	s_waitcnt vmcnt(0)
	buffer_store_dword v70, v0, s[0:3], 0 offen
.LBB96_212:
	v_mov_b32_e32 v0, 0
	global_load_dword v67, v0, s[12:13] offset:116
	s_waitcnt vmcnt(0)
	v_add_nc_u32_e32 v67, -1, v67
	v_cmp_eq_u32_e32 vcc_lo, 29, v67
	s_cbranch_vccnz .LBB96_214
; %bb.213:
	v_lshlrev_b32_e32 v67, 3, v67
	s_clause 0x3
	buffer_load_dword v68, v67, s[0:3], 0 offen
	buffer_load_dword v69, v67, s[0:3], 0 offen offset:4
	buffer_load_dword v70, off, s[0:3], 0 offset:232
	buffer_load_dword v71, off, s[0:3], 0 offset:236
	s_waitcnt vmcnt(3)
	buffer_store_dword v68, off, s[0:3], 0 offset:232
	s_waitcnt vmcnt(2)
	buffer_store_dword v69, off, s[0:3], 0 offset:236
	s_waitcnt vmcnt(1)
	buffer_store_dword v70, v67, s[0:3], 0 offen
	s_waitcnt vmcnt(0)
	buffer_store_dword v71, v67, s[0:3], 0 offen offset:4
.LBB96_214:
	global_load_dword v0, v0, s[12:13] offset:112
	s_waitcnt vmcnt(0)
	v_add_nc_u32_e32 v0, -1, v0
	v_cmp_eq_u32_e32 vcc_lo, 28, v0
	s_cbranch_vccnz .LBB96_216
; %bb.215:
	v_lshlrev_b32_e32 v0, 3, v0
	s_clause 0x3
	buffer_load_dword v67, v0, s[0:3], 0 offen
	buffer_load_dword v68, v0, s[0:3], 0 offen offset:4
	buffer_load_dword v69, off, s[0:3], 0 offset:228
	buffer_load_dword v70, off, s[0:3], 0 offset:224
	s_waitcnt vmcnt(3)
	buffer_store_dword v67, off, s[0:3], 0 offset:224
	s_waitcnt vmcnt(2)
	buffer_store_dword v68, off, s[0:3], 0 offset:228
	s_waitcnt vmcnt(1)
	buffer_store_dword v69, v0, s[0:3], 0 offen offset:4
	s_waitcnt vmcnt(0)
	buffer_store_dword v70, v0, s[0:3], 0 offen
.LBB96_216:
	v_mov_b32_e32 v0, 0
	global_load_dword v67, v0, s[12:13] offset:108
	s_waitcnt vmcnt(0)
	v_add_nc_u32_e32 v67, -1, v67
	v_cmp_eq_u32_e32 vcc_lo, 27, v67
	s_cbranch_vccnz .LBB96_218
; %bb.217:
	v_lshlrev_b32_e32 v67, 3, v67
	s_clause 0x3
	buffer_load_dword v68, v67, s[0:3], 0 offen
	buffer_load_dword v69, v67, s[0:3], 0 offen offset:4
	buffer_load_dword v70, off, s[0:3], 0 offset:216
	buffer_load_dword v71, off, s[0:3], 0 offset:220
	s_waitcnt vmcnt(3)
	buffer_store_dword v68, off, s[0:3], 0 offset:216
	s_waitcnt vmcnt(2)
	buffer_store_dword v69, off, s[0:3], 0 offset:220
	s_waitcnt vmcnt(1)
	buffer_store_dword v70, v67, s[0:3], 0 offen
	s_waitcnt vmcnt(0)
	buffer_store_dword v71, v67, s[0:3], 0 offen offset:4
.LBB96_218:
	;; [unrolled: 43-line block ×15, first 2 shown]
	global_load_dword v0, v0, s[12:13]
	s_clause 0x1
	buffer_load_dword v69, off, s[0:3], 0
	buffer_load_dword v70, off, s[0:3], 0 offset:4
	s_waitcnt vmcnt(2)
	v_add_nc_u32_e32 v0, -1, v0
	v_cmp_eq_u32_e32 vcc_lo, 0, v0
	s_cbranch_vccnz .LBB96_272
; %bb.271:
	v_lshlrev_b32_e32 v0, 3, v0
	s_clause 0x1
	buffer_load_dword v67, v0, s[0:3], 0 offen offset:4
	buffer_load_dword v68, v0, s[0:3], 0 offen
	s_waitcnt vmcnt(1)
	buffer_store_dword v67, off, s[0:3], 0 offset:4
	s_waitcnt vmcnt(0)
	buffer_store_dword v68, off, s[0:3], 0
	buffer_store_dword v70, v0, s[0:3], 0 offen offset:4
	buffer_store_dword v69, v0, s[0:3], 0 offen
	s_clause 0x1
	buffer_load_dword v69, off, s[0:3], 0
	buffer_load_dword v70, off, s[0:3], 0 offset:4
.LBB96_272:
	s_waitcnt vmcnt(0)
	flat_store_dwordx2 v[1:2], v[69:70]
	s_clause 0x1
	buffer_load_dword v0, off, s[0:3], 0 offset:8
	buffer_load_dword v1, off, s[0:3], 0 offset:12
	s_waitcnt vmcnt(0)
	flat_store_dwordx2 v[3:4], v[0:1]
	s_clause 0x1
	buffer_load_dword v0, off, s[0:3], 0 offset:16
	buffer_load_dword v1, off, s[0:3], 0 offset:20
	;; [unrolled: 5-line block ×32, first 2 shown]
	s_waitcnt vmcnt(0)
	flat_store_dwordx2 v[65:66], v[0:1]
	s_endpgm
	.section	.rodata,"a",@progbits
	.p2align	6, 0x0
	.amdhsa_kernel _ZN9rocsolver6v33100L18getri_kernel_smallILi33EdPKPdEEvT1_iilPiilS6_bb
		.amdhsa_group_segment_fixed_size 536
		.amdhsa_private_segment_fixed_size 272
		.amdhsa_kernarg_size 60
		.amdhsa_user_sgpr_count 6
		.amdhsa_user_sgpr_private_segment_buffer 1
		.amdhsa_user_sgpr_dispatch_ptr 0
		.amdhsa_user_sgpr_queue_ptr 0
		.amdhsa_user_sgpr_kernarg_segment_ptr 1
		.amdhsa_user_sgpr_dispatch_id 0
		.amdhsa_user_sgpr_flat_scratch_init 0
		.amdhsa_user_sgpr_private_segment_size 0
		.amdhsa_wavefront_size32 1
		.amdhsa_uses_dynamic_stack 0
		.amdhsa_system_sgpr_private_segment_wavefront_offset 1
		.amdhsa_system_sgpr_workgroup_id_x 1
		.amdhsa_system_sgpr_workgroup_id_y 0
		.amdhsa_system_sgpr_workgroup_id_z 0
		.amdhsa_system_sgpr_workgroup_info 0
		.amdhsa_system_vgpr_workitem_id 0
		.amdhsa_next_free_vgpr 114
		.amdhsa_next_free_sgpr 20
		.amdhsa_reserve_vcc 1
		.amdhsa_reserve_flat_scratch 0
		.amdhsa_float_round_mode_32 0
		.amdhsa_float_round_mode_16_64 0
		.amdhsa_float_denorm_mode_32 3
		.amdhsa_float_denorm_mode_16_64 3
		.amdhsa_dx10_clamp 1
		.amdhsa_ieee_mode 1
		.amdhsa_fp16_overflow 0
		.amdhsa_workgroup_processor_mode 1
		.amdhsa_memory_ordered 1
		.amdhsa_forward_progress 1
		.amdhsa_shared_vgpr_count 0
		.amdhsa_exception_fp_ieee_invalid_op 0
		.amdhsa_exception_fp_denorm_src 0
		.amdhsa_exception_fp_ieee_div_zero 0
		.amdhsa_exception_fp_ieee_overflow 0
		.amdhsa_exception_fp_ieee_underflow 0
		.amdhsa_exception_fp_ieee_inexact 0
		.amdhsa_exception_int_div_zero 0
	.end_amdhsa_kernel
	.section	.text._ZN9rocsolver6v33100L18getri_kernel_smallILi33EdPKPdEEvT1_iilPiilS6_bb,"axG",@progbits,_ZN9rocsolver6v33100L18getri_kernel_smallILi33EdPKPdEEvT1_iilPiilS6_bb,comdat
.Lfunc_end96:
	.size	_ZN9rocsolver6v33100L18getri_kernel_smallILi33EdPKPdEEvT1_iilPiilS6_bb, .Lfunc_end96-_ZN9rocsolver6v33100L18getri_kernel_smallILi33EdPKPdEEvT1_iilPiilS6_bb
                                        ; -- End function
	.set _ZN9rocsolver6v33100L18getri_kernel_smallILi33EdPKPdEEvT1_iilPiilS6_bb.num_vgpr, 114
	.set _ZN9rocsolver6v33100L18getri_kernel_smallILi33EdPKPdEEvT1_iilPiilS6_bb.num_agpr, 0
	.set _ZN9rocsolver6v33100L18getri_kernel_smallILi33EdPKPdEEvT1_iilPiilS6_bb.numbered_sgpr, 20
	.set _ZN9rocsolver6v33100L18getri_kernel_smallILi33EdPKPdEEvT1_iilPiilS6_bb.num_named_barrier, 0
	.set _ZN9rocsolver6v33100L18getri_kernel_smallILi33EdPKPdEEvT1_iilPiilS6_bb.private_seg_size, 272
	.set _ZN9rocsolver6v33100L18getri_kernel_smallILi33EdPKPdEEvT1_iilPiilS6_bb.uses_vcc, 1
	.set _ZN9rocsolver6v33100L18getri_kernel_smallILi33EdPKPdEEvT1_iilPiilS6_bb.uses_flat_scratch, 0
	.set _ZN9rocsolver6v33100L18getri_kernel_smallILi33EdPKPdEEvT1_iilPiilS6_bb.has_dyn_sized_stack, 0
	.set _ZN9rocsolver6v33100L18getri_kernel_smallILi33EdPKPdEEvT1_iilPiilS6_bb.has_recursion, 0
	.set _ZN9rocsolver6v33100L18getri_kernel_smallILi33EdPKPdEEvT1_iilPiilS6_bb.has_indirect_call, 0
	.section	.AMDGPU.csdata,"",@progbits
; Kernel info:
; codeLenInByte = 35868
; TotalNumSgprs: 22
; NumVgprs: 114
; ScratchSize: 272
; MemoryBound: 0
; FloatMode: 240
; IeeeMode: 1
; LDSByteSize: 536 bytes/workgroup (compile time only)
; SGPRBlocks: 0
; VGPRBlocks: 14
; NumSGPRsForWavesPerEU: 22
; NumVGPRsForWavesPerEU: 114
; Occupancy: 8
; WaveLimiterHint : 1
; COMPUTE_PGM_RSRC2:SCRATCH_EN: 1
; COMPUTE_PGM_RSRC2:USER_SGPR: 6
; COMPUTE_PGM_RSRC2:TRAP_HANDLER: 0
; COMPUTE_PGM_RSRC2:TGID_X_EN: 1
; COMPUTE_PGM_RSRC2:TGID_Y_EN: 0
; COMPUTE_PGM_RSRC2:TGID_Z_EN: 0
; COMPUTE_PGM_RSRC2:TIDIG_COMP_CNT: 0
	.section	.text._ZN9rocsolver6v33100L18getri_kernel_smallILi34EdPKPdEEvT1_iilPiilS6_bb,"axG",@progbits,_ZN9rocsolver6v33100L18getri_kernel_smallILi34EdPKPdEEvT1_iilPiilS6_bb,comdat
	.globl	_ZN9rocsolver6v33100L18getri_kernel_smallILi34EdPKPdEEvT1_iilPiilS6_bb ; -- Begin function _ZN9rocsolver6v33100L18getri_kernel_smallILi34EdPKPdEEvT1_iilPiilS6_bb
	.p2align	8
	.type	_ZN9rocsolver6v33100L18getri_kernel_smallILi34EdPKPdEEvT1_iilPiilS6_bb,@function
_ZN9rocsolver6v33100L18getri_kernel_smallILi34EdPKPdEEvT1_iilPiilS6_bb: ; @_ZN9rocsolver6v33100L18getri_kernel_smallILi34EdPKPdEEvT1_iilPiilS6_bb
; %bb.0:
	s_add_u32 s0, s0, s7
	s_addc_u32 s1, s1, 0
	s_mov_b32 s7, exec_lo
	v_cmpx_gt_u32_e32 34, v0
	s_cbranch_execz .LBB97_146
; %bb.1:
	s_clause 0x2
	s_load_dword s17, s[4:5], 0x38
	s_load_dwordx2 s[12:13], s[4:5], 0x0
	s_load_dwordx4 s[8:11], s[4:5], 0x28
	s_waitcnt lgkmcnt(0)
	s_bitcmp1_b32 s17, 8
	s_cselect_b32 s16, -1, 0
	s_ashr_i32 s7, s6, 31
	s_lshl_b64 s[14:15], s[6:7], 3
	s_add_u32 s12, s12, s14
	s_addc_u32 s13, s13, s15
	s_load_dwordx2 s[14:15], s[12:13], 0x0
	s_bfe_u32 s12, s17, 0x10008
	s_cmp_eq_u32 s12, 0
                                        ; implicit-def: $sgpr12_sgpr13
	s_cbranch_scc1 .LBB97_3
; %bb.2:
	s_clause 0x1
	s_load_dword s12, s[4:5], 0x20
	s_load_dwordx2 s[18:19], s[4:5], 0x18
	s_mul_i32 s13, s8, s7
	s_mul_hi_u32 s17, s8, s6
	s_mul_i32 s9, s9, s6
	s_add_i32 s13, s17, s13
	s_mul_i32 s8, s8, s6
	s_add_i32 s9, s13, s9
	s_lshl_b64 s[8:9], s[8:9], 2
	s_waitcnt lgkmcnt(0)
	s_ashr_i32 s13, s12, 31
	s_add_u32 s17, s18, s8
	s_addc_u32 s18, s19, s9
	s_lshl_b64 s[8:9], s[12:13], 2
	s_add_u32 s12, s17, s8
	s_addc_u32 s13, s18, s9
.LBB97_3:
	s_clause 0x1
	s_load_dwordx2 s[8:9], s[4:5], 0x8
	s_load_dword s17, s[4:5], 0x38
	v_lshlrev_b32_e32 v71, 3, v0
	s_waitcnt lgkmcnt(0)
	s_ashr_i32 s5, s8, 31
	s_mov_b32 s4, s8
	v_add3_u32 v9, s9, s9, v0
	s_lshl_b64 s[4:5], s[4:5], 3
	s_add_u32 s4, s14, s4
	s_addc_u32 s5, s15, s5
	v_add_co_u32 v1, s8, s4, v71
	v_add_co_ci_u32_e64 v2, null, s5, 0, s8
	s_mov_b32 s14, s9
	s_ashr_i32 s15, s9, 31
	v_ashrrev_i32_e32 v10, 31, v9
	flat_load_dwordx2 v[5:6], v[1:2]
	s_lshl_b64 s[14:15], s[14:15], 3
	v_add_nc_u32_e32 v12, s9, v9
	v_add_co_u32 v3, vcc_lo, v1, s14
	v_add_co_ci_u32_e64 v4, null, s15, v2, vcc_lo
	v_ashrrev_i32_e32 v13, 31, v12
	s_bitcmp0_b32 s17, 0
	s_waitcnt vmcnt(0) lgkmcnt(0)
	buffer_store_dword v6, off, s[0:3], 0 offset:4
	buffer_store_dword v5, off, s[0:3], 0
	flat_load_dwordx2 v[7:8], v[3:4]
	v_lshlrev_b64 v[5:6], 3, v[9:10]
	s_waitcnt vmcnt(0) lgkmcnt(0)
	buffer_store_dword v8, off, s[0:3], 0 offset:12
	buffer_store_dword v7, off, s[0:3], 0 offset:8
	v_add_co_u32 v5, vcc_lo, s4, v5
	v_add_co_ci_u32_e64 v6, null, s5, v6, vcc_lo
	v_lshlrev_b64 v[7:8], 3, v[12:13]
	flat_load_dwordx2 v[10:11], v[5:6]
	s_waitcnt vmcnt(0) lgkmcnt(0)
	buffer_store_dword v11, off, s[0:3], 0 offset:20
	buffer_store_dword v10, off, s[0:3], 0 offset:16
	v_add_co_u32 v7, vcc_lo, s4, v7
	v_add_co_ci_u32_e64 v8, null, s5, v8, vcc_lo
	v_add_nc_u32_e32 v11, s9, v12
	flat_load_dwordx2 v[13:14], v[7:8]
	s_waitcnt vmcnt(0) lgkmcnt(0)
	buffer_store_dword v14, off, s[0:3], 0 offset:28
	buffer_store_dword v13, off, s[0:3], 0 offset:24
	v_ashrrev_i32_e32 v12, 31, v11
	v_add_nc_u32_e32 v15, s9, v11
	v_lshlrev_b64 v[9:10], 3, v[11:12]
	v_ashrrev_i32_e32 v16, 31, v15
	v_add_nc_u32_e32 v18, s9, v15
	v_add_co_u32 v9, vcc_lo, s4, v9
	v_add_co_ci_u32_e64 v10, null, s5, v10, vcc_lo
	v_lshlrev_b64 v[11:12], 3, v[15:16]
	v_ashrrev_i32_e32 v19, 31, v18
	flat_load_dwordx2 v[13:14], v[9:10]
	s_waitcnt vmcnt(0) lgkmcnt(0)
	buffer_store_dword v14, off, s[0:3], 0 offset:36
	buffer_store_dword v13, off, s[0:3], 0 offset:32
	v_add_co_u32 v11, vcc_lo, s4, v11
	v_add_co_ci_u32_e64 v12, null, s5, v12, vcc_lo
	v_lshlrev_b64 v[13:14], 3, v[18:19]
	flat_load_dwordx2 v[16:17], v[11:12]
	s_waitcnt vmcnt(0) lgkmcnt(0)
	buffer_store_dword v17, off, s[0:3], 0 offset:44
	buffer_store_dword v16, off, s[0:3], 0 offset:40
	v_add_co_u32 v13, vcc_lo, s4, v13
	v_add_co_ci_u32_e64 v14, null, s5, v14, vcc_lo
	v_add_nc_u32_e32 v17, s9, v18
	flat_load_dwordx2 v[19:20], v[13:14]
	s_waitcnt vmcnt(0) lgkmcnt(0)
	buffer_store_dword v20, off, s[0:3], 0 offset:52
	buffer_store_dword v19, off, s[0:3], 0 offset:48
	v_ashrrev_i32_e32 v18, 31, v17
	v_add_nc_u32_e32 v21, s9, v17
	v_lshlrev_b64 v[15:16], 3, v[17:18]
	v_ashrrev_i32_e32 v22, 31, v21
	v_add_nc_u32_e32 v24, s9, v21
	v_add_co_u32 v15, vcc_lo, s4, v15
	v_add_co_ci_u32_e64 v16, null, s5, v16, vcc_lo
	v_lshlrev_b64 v[17:18], 3, v[21:22]
	v_ashrrev_i32_e32 v25, 31, v24
	flat_load_dwordx2 v[19:20], v[15:16]
	;; [unrolled: 27-line block ×9, first 2 shown]
	s_waitcnt vmcnt(0) lgkmcnt(0)
	buffer_store_dword v62, off, s[0:3], 0 offset:228
	buffer_store_dword v61, off, s[0:3], 0 offset:224
	v_add_co_u32 v59, vcc_lo, s4, v59
	v_add_co_ci_u32_e64 v60, null, s5, v60, vcc_lo
	v_lshlrev_b64 v[61:62], 3, v[66:67]
	flat_load_dwordx2 v[64:65], v[59:60]
	s_waitcnt vmcnt(0) lgkmcnt(0)
	buffer_store_dword v65, off, s[0:3], 0 offset:236
	buffer_store_dword v64, off, s[0:3], 0 offset:232
	v_add_co_u32 v61, vcc_lo, s4, v61
	v_add_co_ci_u32_e64 v62, null, s5, v62, vcc_lo
	v_add_nc_u32_e32 v65, s9, v66
	flat_load_dwordx2 v[67:68], v[61:62]
	s_waitcnt vmcnt(0) lgkmcnt(0)
	buffer_store_dword v68, off, s[0:3], 0 offset:244
	buffer_store_dword v67, off, s[0:3], 0 offset:240
	v_ashrrev_i32_e32 v66, 31, v65
	v_add_nc_u32_e32 v69, s9, v65
	v_lshlrev_b64 v[63:64], 3, v[65:66]
	v_ashrrev_i32_e32 v70, 31, v69
	v_add_co_u32 v63, vcc_lo, s4, v63
	v_add_co_ci_u32_e64 v64, null, s5, v64, vcc_lo
	v_lshlrev_b64 v[65:66], 3, v[69:70]
	flat_load_dwordx2 v[67:68], v[63:64]
	s_waitcnt vmcnt(0) lgkmcnt(0)
	buffer_store_dword v68, off, s[0:3], 0 offset:252
	buffer_store_dword v67, off, s[0:3], 0 offset:248
	v_add_co_u32 v65, vcc_lo, s4, v65
	v_add_co_ci_u32_e64 v66, null, s5, v66, vcc_lo
	v_add_nc_u32_e32 v67, s9, v69
	flat_load_dwordx2 v[72:73], v[65:66]
	s_waitcnt vmcnt(0) lgkmcnt(0)
	buffer_store_dword v73, off, s[0:3], 0 offset:260
	buffer_store_dword v72, off, s[0:3], 0 offset:256
	v_ashrrev_i32_e32 v68, 31, v67
	v_lshlrev_b64 v[67:68], 3, v[67:68]
	v_add_co_u32 v67, vcc_lo, s4, v67
	v_add_co_ci_u32_e64 v68, null, s5, v68, vcc_lo
	s_mov_b32 s5, -1
	flat_load_dwordx2 v[69:70], v[67:68]
	s_waitcnt vmcnt(0) lgkmcnt(0)
	buffer_store_dword v70, off, s[0:3], 0 offset:268
	buffer_store_dword v69, off, s[0:3], 0 offset:264
	s_cbranch_scc1 .LBB97_144
; %bb.4:
	v_cmp_eq_u32_e64 s4, 0, v0
	s_and_saveexec_b32 s5, s4
; %bb.5:
	v_mov_b32_e32 v69, 0
	ds_write_b32 v69, v69 offset:544
; %bb.6:
	s_or_b32 exec_lo, exec_lo, s5
	v_lshl_add_u32 v69, v0, 3, 0
	s_waitcnt lgkmcnt(0)
	s_waitcnt_vscnt null, 0x0
	s_barrier
	buffer_gl0_inv
	s_mov_b32 s8, exec_lo
	s_clause 0x1
	buffer_load_dword v72, v69, s[0:3], 0 offen
	buffer_load_dword v73, v69, s[0:3], 0 offen offset:4
	s_waitcnt vmcnt(0)
	v_cmpx_eq_f64_e32 0, v[72:73]
	s_cbranch_execz .LBB97_10
; %bb.7:
	v_mov_b32_e32 v70, 0
	s_mov_b32 s9, 0
	ds_read_b32 v72, v70 offset:544
	s_waitcnt lgkmcnt(0)
	v_readfirstlane_b32 s5, v72
	v_add_nc_u32_e32 v72, 1, v0
	s_cmp_eq_u32 s5, 0
	v_cmp_gt_i32_e32 vcc_lo, s5, v72
	s_cselect_b32 s14, -1, 0
	s_or_b32 s14, s14, vcc_lo
	s_and_b32 exec_lo, exec_lo, s14
	s_cbranch_execz .LBB97_10
; %bb.8:
	v_mov_b32_e32 v73, s5
.LBB97_9:                               ; =>This Inner Loop Header: Depth=1
	ds_cmpst_rtn_b32 v73, v70, v73, v72 offset:544
	s_waitcnt lgkmcnt(0)
	v_cmp_ne_u32_e32 vcc_lo, 0, v73
	v_cmp_le_i32_e64 s5, v73, v72
	s_and_b32 s5, vcc_lo, s5
	s_and_b32 s5, exec_lo, s5
	s_or_b32 s9, s5, s9
	s_andn2_b32 exec_lo, exec_lo, s9
	s_cbranch_execnz .LBB97_9
.LBB97_10:
	s_or_b32 exec_lo, exec_lo, s8
	v_mov_b32_e32 v70, 0
	s_barrier
	buffer_gl0_inv
	ds_read_b32 v72, v70 offset:544
	s_and_saveexec_b32 s5, s4
	s_cbranch_execz .LBB97_12
; %bb.11:
	s_lshl_b64 s[8:9], s[6:7], 2
	s_add_u32 s8, s10, s8
	s_addc_u32 s9, s11, s9
	s_waitcnt lgkmcnt(0)
	global_store_dword v70, v72, s[8:9]
.LBB97_12:
	s_or_b32 exec_lo, exec_lo, s5
	s_waitcnt lgkmcnt(0)
	v_cmp_ne_u32_e32 vcc_lo, 0, v72
	s_mov_b32 s5, 0
	s_cbranch_vccnz .LBB97_144
; %bb.13:
	s_clause 0x1
	buffer_load_dword v72, v69, s[0:3], 0 offen
	buffer_load_dword v73, v69, s[0:3], 0 offen offset:4
	s_waitcnt vmcnt(0)
	v_div_scale_f64 v[74:75], null, v[72:73], v[72:73], 1.0
	v_div_scale_f64 v[80:81], vcc_lo, 1.0, v[72:73], 1.0
	v_rcp_f64_e32 v[76:77], v[74:75]
	v_fma_f64 v[78:79], -v[74:75], v[76:77], 1.0
	v_fma_f64 v[76:77], v[76:77], v[78:79], v[76:77]
	v_fma_f64 v[78:79], -v[74:75], v[76:77], 1.0
	v_fma_f64 v[76:77], v[76:77], v[78:79], v[76:77]
	v_mul_f64 v[78:79], v[80:81], v[76:77]
	v_fma_f64 v[74:75], -v[74:75], v[78:79], v[80:81]
	v_div_fmas_f64 v[74:75], v[74:75], v[76:77], v[78:79]
	v_div_fixup_f64 v[73:74], v[74:75], v[72:73], 1.0
	v_add_nc_u32_e32 v72, 0x110, v71
	buffer_store_dword v74, v69, s[0:3], 0 offen offset:4
	buffer_store_dword v73, v69, s[0:3], 0 offen
	s_clause 0x1
	buffer_load_dword v76, off, s[0:3], 0 offset:12
	buffer_load_dword v75, off, s[0:3], 0 offset:8
	v_xor_b32_e32 v74, 0x80000000, v74
	s_waitcnt vmcnt(0)
	ds_write2_b64 v71, v[73:74], v[75:76] offset1:34
	s_waitcnt lgkmcnt(0)
	s_waitcnt_vscnt null, 0x0
	s_barrier
	buffer_gl0_inv
	s_and_saveexec_b32 s5, s4
	s_cbranch_execz .LBB97_15
; %bb.14:
	s_clause 0x1
	buffer_load_dword v73, v69, s[0:3], 0 offen
	buffer_load_dword v74, v69, s[0:3], 0 offen offset:4
	ds_read_b64 v[75:76], v72
	v_mov_b32_e32 v70, 0
	ds_read_b64 v[77:78], v70 offset:8
	s_waitcnt vmcnt(0) lgkmcnt(1)
	v_fma_f64 v[73:74], v[73:74], v[75:76], 0
	s_waitcnt lgkmcnt(0)
	v_mul_f64 v[73:74], v[73:74], v[77:78]
	buffer_store_dword v73, off, s[0:3], 0 offset:8
	buffer_store_dword v74, off, s[0:3], 0 offset:12
.LBB97_15:
	s_or_b32 exec_lo, exec_lo, s5
	s_waitcnt_vscnt null, 0x0
	s_barrier
	buffer_gl0_inv
	s_clause 0x1
	buffer_load_dword v73, off, s[0:3], 0 offset:16
	buffer_load_dword v74, off, s[0:3], 0 offset:20
	s_mov_b32 s5, exec_lo
	s_waitcnt vmcnt(0)
	ds_write_b64 v72, v[73:74]
	s_waitcnt lgkmcnt(0)
	s_barrier
	buffer_gl0_inv
	v_cmpx_gt_u32_e32 2, v0
	s_cbranch_execz .LBB97_19
; %bb.16:
	s_clause 0x1
	buffer_load_dword v73, v69, s[0:3], 0 offen
	buffer_load_dword v74, v69, s[0:3], 0 offen offset:4
	ds_read_b64 v[69:70], v72
	s_waitcnt vmcnt(0) lgkmcnt(0)
	v_fma_f64 v[69:70], v[73:74], v[69:70], 0
	s_and_saveexec_b32 s8, s4
	s_cbranch_execz .LBB97_18
; %bb.17:
	s_clause 0x1
	buffer_load_dword v73, off, s[0:3], 0 offset:8
	buffer_load_dword v74, off, s[0:3], 0 offset:12
	v_mov_b32_e32 v75, 0
	ds_read_b64 v[75:76], v75 offset:280
	s_waitcnt vmcnt(0) lgkmcnt(0)
	v_fma_f64 v[69:70], v[73:74], v[75:76], v[69:70]
.LBB97_18:
	s_or_b32 exec_lo, exec_lo, s8
	v_mov_b32_e32 v73, 0
	ds_read_b64 v[73:74], v73 offset:16
	s_waitcnt lgkmcnt(0)
	v_mul_f64 v[69:70], v[69:70], v[73:74]
	buffer_store_dword v70, off, s[0:3], 0 offset:20
	buffer_store_dword v69, off, s[0:3], 0 offset:16
.LBB97_19:
	s_or_b32 exec_lo, exec_lo, s5
	s_waitcnt_vscnt null, 0x0
	s_barrier
	buffer_gl0_inv
	s_clause 0x1
	buffer_load_dword v69, off, s[0:3], 0 offset:24
	buffer_load_dword v70, off, s[0:3], 0 offset:28
	v_add_nc_u32_e32 v73, -1, v0
	s_mov_b32 s4, exec_lo
	s_waitcnt vmcnt(0)
	ds_write_b64 v72, v[69:70]
	s_waitcnt lgkmcnt(0)
	s_barrier
	buffer_gl0_inv
	v_cmpx_gt_u32_e32 3, v0
	s_cbranch_execz .LBB97_23
; %bb.20:
	v_mov_b32_e32 v69, 0
	v_add_nc_u32_e32 v74, -1, v0
	v_add_nc_u32_e32 v75, 0x110, v71
	v_mov_b32_e32 v70, 0
	v_mov_b32_e32 v76, v71
	s_mov_b32 s5, 0
.LBB97_21:                              ; =>This Inner Loop Header: Depth=1
	s_clause 0x1
	buffer_load_dword v77, v76, s[0:3], 0 offen
	buffer_load_dword v78, v76, s[0:3], 0 offen offset:4
	ds_read_b64 v[79:80], v75
	v_add_nc_u32_e32 v74, 1, v74
	v_add_nc_u32_e32 v75, 8, v75
	v_add_nc_u32_e32 v76, 8, v76
	v_cmp_lt_u32_e32 vcc_lo, 1, v74
	s_or_b32 s5, vcc_lo, s5
	s_waitcnt vmcnt(0) lgkmcnt(0)
	v_fma_f64 v[69:70], v[77:78], v[79:80], v[69:70]
	s_andn2_b32 exec_lo, exec_lo, s5
	s_cbranch_execnz .LBB97_21
; %bb.22:
	s_or_b32 exec_lo, exec_lo, s5
	v_mov_b32_e32 v74, 0
	ds_read_b64 v[74:75], v74 offset:24
	s_waitcnt lgkmcnt(0)
	v_mul_f64 v[69:70], v[69:70], v[74:75]
	buffer_store_dword v70, off, s[0:3], 0 offset:28
	buffer_store_dword v69, off, s[0:3], 0 offset:24
.LBB97_23:
	s_or_b32 exec_lo, exec_lo, s4
	s_waitcnt_vscnt null, 0x0
	s_barrier
	buffer_gl0_inv
	s_clause 0x1
	buffer_load_dword v69, off, s[0:3], 0 offset:32
	buffer_load_dword v70, off, s[0:3], 0 offset:36
	s_mov_b32 s4, exec_lo
	s_waitcnt vmcnt(0)
	ds_write_b64 v72, v[69:70]
	s_waitcnt lgkmcnt(0)
	s_barrier
	buffer_gl0_inv
	v_cmpx_gt_u32_e32 4, v0
	s_cbranch_execz .LBB97_27
; %bb.24:
	v_mov_b32_e32 v69, 0
	v_add_nc_u32_e32 v74, -1, v0
	v_add_nc_u32_e32 v75, 0x110, v71
	v_mov_b32_e32 v70, 0
	v_mov_b32_e32 v76, v71
	s_mov_b32 s5, 0
.LBB97_25:                              ; =>This Inner Loop Header: Depth=1
	s_clause 0x1
	buffer_load_dword v77, v76, s[0:3], 0 offen
	buffer_load_dword v78, v76, s[0:3], 0 offen offset:4
	ds_read_b64 v[79:80], v75
	v_add_nc_u32_e32 v74, 1, v74
	v_add_nc_u32_e32 v75, 8, v75
	v_add_nc_u32_e32 v76, 8, v76
	v_cmp_lt_u32_e32 vcc_lo, 2, v74
	s_or_b32 s5, vcc_lo, s5
	s_waitcnt vmcnt(0) lgkmcnt(0)
	v_fma_f64 v[69:70], v[77:78], v[79:80], v[69:70]
	s_andn2_b32 exec_lo, exec_lo, s5
	s_cbranch_execnz .LBB97_25
; %bb.26:
	s_or_b32 exec_lo, exec_lo, s5
	v_mov_b32_e32 v74, 0
	ds_read_b64 v[74:75], v74 offset:32
	s_waitcnt lgkmcnt(0)
	v_mul_f64 v[69:70], v[69:70], v[74:75]
	buffer_store_dword v70, off, s[0:3], 0 offset:36
	buffer_store_dword v69, off, s[0:3], 0 offset:32
.LBB97_27:
	s_or_b32 exec_lo, exec_lo, s4
	s_waitcnt_vscnt null, 0x0
	s_barrier
	buffer_gl0_inv
	s_clause 0x1
	buffer_load_dword v69, off, s[0:3], 0 offset:40
	buffer_load_dword v70, off, s[0:3], 0 offset:44
	;; [unrolled: 45-line block ×20, first 2 shown]
	s_mov_b32 s4, exec_lo
	s_waitcnt vmcnt(0)
	ds_write_b64 v72, v[69:70]
	s_waitcnt lgkmcnt(0)
	s_barrier
	buffer_gl0_inv
	v_cmpx_gt_u32_e32 23, v0
	s_cbranch_execz .LBB97_103
; %bb.100:
	v_mov_b32_e32 v69, 0
	v_add_nc_u32_e32 v74, -1, v0
	v_add_nc_u32_e32 v75, 0x110, v71
	v_mov_b32_e32 v70, 0
	v_mov_b32_e32 v76, v71
	s_mov_b32 s5, 0
.LBB97_101:                             ; =>This Inner Loop Header: Depth=1
	s_clause 0x1
	buffer_load_dword v77, v76, s[0:3], 0 offen
	buffer_load_dword v78, v76, s[0:3], 0 offen offset:4
	ds_read_b64 v[79:80], v75
	v_add_nc_u32_e32 v74, 1, v74
	v_add_nc_u32_e32 v75, 8, v75
	v_add_nc_u32_e32 v76, 8, v76
	v_cmp_lt_u32_e32 vcc_lo, 21, v74
	s_or_b32 s5, vcc_lo, s5
	s_waitcnt vmcnt(0) lgkmcnt(0)
	v_fma_f64 v[69:70], v[77:78], v[79:80], v[69:70]
	s_andn2_b32 exec_lo, exec_lo, s5
	s_cbranch_execnz .LBB97_101
; %bb.102:
	s_or_b32 exec_lo, exec_lo, s5
	v_mov_b32_e32 v74, 0
	ds_read_b64 v[74:75], v74 offset:184
	s_waitcnt lgkmcnt(0)
	v_mul_f64 v[69:70], v[69:70], v[74:75]
	buffer_store_dword v70, off, s[0:3], 0 offset:188
	buffer_store_dword v69, off, s[0:3], 0 offset:184
.LBB97_103:
	s_or_b32 exec_lo, exec_lo, s4
	s_waitcnt_vscnt null, 0x0
	s_barrier
	buffer_gl0_inv
	s_clause 0x1
	buffer_load_dword v69, off, s[0:3], 0 offset:192
	buffer_load_dword v70, off, s[0:3], 0 offset:196
	s_mov_b32 s4, exec_lo
	s_waitcnt vmcnt(0)
	ds_write_b64 v72, v[69:70]
	s_waitcnt lgkmcnt(0)
	s_barrier
	buffer_gl0_inv
	v_cmpx_gt_u32_e32 24, v0
	s_cbranch_execz .LBB97_107
; %bb.104:
	v_mov_b32_e32 v69, 0
	v_add_nc_u32_e32 v74, -1, v0
	v_add_nc_u32_e32 v75, 0x110, v71
	v_mov_b32_e32 v70, 0
	v_mov_b32_e32 v76, v71
	s_mov_b32 s5, 0
.LBB97_105:                             ; =>This Inner Loop Header: Depth=1
	s_clause 0x1
	buffer_load_dword v77, v76, s[0:3], 0 offen
	buffer_load_dword v78, v76, s[0:3], 0 offen offset:4
	ds_read_b64 v[79:80], v75
	v_add_nc_u32_e32 v74, 1, v74
	v_add_nc_u32_e32 v75, 8, v75
	v_add_nc_u32_e32 v76, 8, v76
	v_cmp_lt_u32_e32 vcc_lo, 22, v74
	s_or_b32 s5, vcc_lo, s5
	s_waitcnt vmcnt(0) lgkmcnt(0)
	v_fma_f64 v[69:70], v[77:78], v[79:80], v[69:70]
	s_andn2_b32 exec_lo, exec_lo, s5
	s_cbranch_execnz .LBB97_105
; %bb.106:
	s_or_b32 exec_lo, exec_lo, s5
	v_mov_b32_e32 v74, 0
	ds_read_b64 v[74:75], v74 offset:192
	s_waitcnt lgkmcnt(0)
	v_mul_f64 v[69:70], v[69:70], v[74:75]
	buffer_store_dword v70, off, s[0:3], 0 offset:196
	buffer_store_dword v69, off, s[0:3], 0 offset:192
.LBB97_107:
	s_or_b32 exec_lo, exec_lo, s4
	s_waitcnt_vscnt null, 0x0
	s_barrier
	buffer_gl0_inv
	s_clause 0x1
	buffer_load_dword v69, off, s[0:3], 0 offset:200
	buffer_load_dword v70, off, s[0:3], 0 offset:204
	;; [unrolled: 45-line block ×10, first 2 shown]
	s_mov_b32 s4, exec_lo
	s_waitcnt vmcnt(0)
	ds_write_b64 v72, v[69:70]
	s_waitcnt lgkmcnt(0)
	s_barrier
	buffer_gl0_inv
	v_cmpx_ne_u32_e32 33, v0
	s_cbranch_execz .LBB97_143
; %bb.140:
	v_mov_b32_e32 v69, 0
	v_mov_b32_e32 v70, 0
	s_mov_b32 s5, 0
.LBB97_141:                             ; =>This Inner Loop Header: Depth=1
	s_clause 0x1
	buffer_load_dword v74, v71, s[0:3], 0 offen
	buffer_load_dword v75, v71, s[0:3], 0 offen offset:4
	ds_read_b64 v[76:77], v72
	v_add_nc_u32_e32 v73, 1, v73
	v_add_nc_u32_e32 v72, 8, v72
	;; [unrolled: 1-line block ×3, first 2 shown]
	v_cmp_lt_u32_e32 vcc_lo, 31, v73
	s_or_b32 s5, vcc_lo, s5
	s_waitcnt vmcnt(0) lgkmcnt(0)
	v_fma_f64 v[69:70], v[74:75], v[76:77], v[69:70]
	s_andn2_b32 exec_lo, exec_lo, s5
	s_cbranch_execnz .LBB97_141
; %bb.142:
	s_or_b32 exec_lo, exec_lo, s5
	v_mov_b32_e32 v71, 0
	ds_read_b64 v[71:72], v71 offset:264
	s_waitcnt lgkmcnt(0)
	v_mul_f64 v[69:70], v[69:70], v[71:72]
	buffer_store_dword v70, off, s[0:3], 0 offset:268
	buffer_store_dword v69, off, s[0:3], 0 offset:264
.LBB97_143:
	s_or_b32 exec_lo, exec_lo, s4
	s_mov_b32 s5, -1
	s_waitcnt_vscnt null, 0x0
	s_barrier
	buffer_gl0_inv
.LBB97_144:
	s_and_b32 vcc_lo, exec_lo, s5
	s_cbranch_vccz .LBB97_146
; %bb.145:
	s_lshl_b64 s[4:5], s[6:7], 2
	v_mov_b32_e32 v69, 0
	s_add_u32 s4, s10, s4
	s_addc_u32 s5, s11, s5
	global_load_dword v69, v69, s[4:5]
	s_waitcnt vmcnt(0)
	v_cmp_ne_u32_e32 vcc_lo, 0, v69
	s_cbranch_vccz .LBB97_147
.LBB97_146:
	s_endpgm
.LBB97_147:
	v_lshl_add_u32 v69, v0, 3, 0x110
	s_mov_b32 s4, exec_lo
	v_cmpx_eq_u32_e32 33, v0
	s_cbranch_execz .LBB97_149
; %bb.148:
	s_clause 0x1
	buffer_load_dword v70, off, s[0:3], 0 offset:256
	buffer_load_dword v71, off, s[0:3], 0 offset:260
	v_mov_b32_e32 v72, 0
	buffer_store_dword v72, off, s[0:3], 0 offset:256
	buffer_store_dword v72, off, s[0:3], 0 offset:260
	s_waitcnt vmcnt(0)
	ds_write_b64 v69, v[70:71]
.LBB97_149:
	s_or_b32 exec_lo, exec_lo, s4
	s_waitcnt lgkmcnt(0)
	s_waitcnt_vscnt null, 0x0
	s_barrier
	buffer_gl0_inv
	s_clause 0x3
	buffer_load_dword v71, off, s[0:3], 0 offset:264
	buffer_load_dword v72, off, s[0:3], 0 offset:268
	;; [unrolled: 1-line block ×4, first 2 shown]
	v_mov_b32_e32 v70, 0
	s_mov_b32 s4, exec_lo
	ds_read_b64 v[75:76], v70 offset:536
	s_waitcnt vmcnt(2) lgkmcnt(0)
	v_fma_f64 v[71:72], v[71:72], v[75:76], 0
	s_waitcnt vmcnt(0)
	v_add_f64 v[71:72], v[73:74], -v[71:72]
	buffer_store_dword v71, off, s[0:3], 0 offset:256
	buffer_store_dword v72, off, s[0:3], 0 offset:260
	v_cmpx_lt_u32_e32 31, v0
	s_cbranch_execz .LBB97_151
; %bb.150:
	s_clause 0x1
	buffer_load_dword v71, off, s[0:3], 0 offset:248
	buffer_load_dword v72, off, s[0:3], 0 offset:252
	buffer_store_dword v70, off, s[0:3], 0 offset:248
	buffer_store_dword v70, off, s[0:3], 0 offset:252
	s_waitcnt vmcnt(0)
	ds_write_b64 v69, v[71:72]
.LBB97_151:
	s_or_b32 exec_lo, exec_lo, s4
	s_waitcnt lgkmcnt(0)
	s_waitcnt_vscnt null, 0x0
	s_barrier
	buffer_gl0_inv
	s_clause 0x5
	buffer_load_dword v74, off, s[0:3], 0 offset:256
	buffer_load_dword v75, off, s[0:3], 0 offset:260
	;; [unrolled: 1-line block ×6, first 2 shown]
	ds_read_b128 v[70:73], v70 offset:528
	s_mov_b32 s4, exec_lo
	s_waitcnt vmcnt(4) lgkmcnt(0)
	v_fma_f64 v[70:71], v[74:75], v[70:71], 0
	s_waitcnt vmcnt(2)
	v_fma_f64 v[70:71], v[76:77], v[72:73], v[70:71]
	s_waitcnt vmcnt(0)
	v_add_f64 v[70:71], v[78:79], -v[70:71]
	buffer_store_dword v70, off, s[0:3], 0 offset:248
	buffer_store_dword v71, off, s[0:3], 0 offset:252
	v_cmpx_lt_u32_e32 30, v0
	s_cbranch_execz .LBB97_153
; %bb.152:
	s_clause 0x1
	buffer_load_dword v70, off, s[0:3], 0 offset:240
	buffer_load_dword v71, off, s[0:3], 0 offset:244
	v_mov_b32_e32 v72, 0
	buffer_store_dword v72, off, s[0:3], 0 offset:240
	buffer_store_dword v72, off, s[0:3], 0 offset:244
	s_waitcnt vmcnt(0)
	ds_write_b64 v69, v[70:71]
.LBB97_153:
	s_or_b32 exec_lo, exec_lo, s4
	s_waitcnt lgkmcnt(0)
	s_waitcnt_vscnt null, 0x0
	s_barrier
	buffer_gl0_inv
	s_clause 0x7
	buffer_load_dword v75, off, s[0:3], 0 offset:248
	buffer_load_dword v76, off, s[0:3], 0 offset:252
	;; [unrolled: 1-line block ×8, first 2 shown]
	v_mov_b32_e32 v70, 0
	ds_read2_b64 v[71:74], v70 offset0:65 offset1:66
	ds_read_b64 v[83:84], v70 offset:536
	s_mov_b32 s4, exec_lo
	s_waitcnt vmcnt(6) lgkmcnt(1)
	v_fma_f64 v[71:72], v[75:76], v[71:72], 0
	s_waitcnt vmcnt(4)
	v_fma_f64 v[71:72], v[77:78], v[73:74], v[71:72]
	s_waitcnt vmcnt(2) lgkmcnt(0)
	v_fma_f64 v[71:72], v[79:80], v[83:84], v[71:72]
	s_waitcnt vmcnt(0)
	v_add_f64 v[71:72], v[81:82], -v[71:72]
	buffer_store_dword v71, off, s[0:3], 0 offset:240
	buffer_store_dword v72, off, s[0:3], 0 offset:244
	v_cmpx_lt_u32_e32 29, v0
	s_cbranch_execz .LBB97_155
; %bb.154:
	s_clause 0x1
	buffer_load_dword v71, off, s[0:3], 0 offset:232
	buffer_load_dword v72, off, s[0:3], 0 offset:236
	buffer_store_dword v70, off, s[0:3], 0 offset:232
	buffer_store_dword v70, off, s[0:3], 0 offset:236
	s_waitcnt vmcnt(0)
	ds_write_b64 v69, v[71:72]
.LBB97_155:
	s_or_b32 exec_lo, exec_lo, s4
	s_waitcnt lgkmcnt(0)
	s_waitcnt_vscnt null, 0x0
	s_barrier
	buffer_gl0_inv
	s_clause 0x9
	buffer_load_dword v79, off, s[0:3], 0 offset:240
	buffer_load_dword v80, off, s[0:3], 0 offset:244
	;; [unrolled: 1-line block ×10, first 2 shown]
	ds_read_b128 v[71:74], v70 offset:512
	ds_read_b128 v[75:78], v70 offset:528
	s_mov_b32 s4, exec_lo
	s_waitcnt vmcnt(8) lgkmcnt(1)
	v_fma_f64 v[70:71], v[79:80], v[71:72], 0
	s_waitcnt vmcnt(6)
	v_fma_f64 v[70:71], v[81:82], v[73:74], v[70:71]
	s_waitcnt vmcnt(4) lgkmcnt(0)
	v_fma_f64 v[70:71], v[83:84], v[75:76], v[70:71]
	s_waitcnt vmcnt(2)
	v_fma_f64 v[70:71], v[85:86], v[77:78], v[70:71]
	s_waitcnt vmcnt(0)
	v_add_f64 v[70:71], v[87:88], -v[70:71]
	buffer_store_dword v70, off, s[0:3], 0 offset:232
	buffer_store_dword v71, off, s[0:3], 0 offset:236
	v_cmpx_lt_u32_e32 28, v0
	s_cbranch_execz .LBB97_157
; %bb.156:
	s_clause 0x1
	buffer_load_dword v70, off, s[0:3], 0 offset:224
	buffer_load_dword v71, off, s[0:3], 0 offset:228
	v_mov_b32_e32 v72, 0
	buffer_store_dword v72, off, s[0:3], 0 offset:224
	buffer_store_dword v72, off, s[0:3], 0 offset:228
	s_waitcnt vmcnt(0)
	ds_write_b64 v69, v[70:71]
.LBB97_157:
	s_or_b32 exec_lo, exec_lo, s4
	s_waitcnt lgkmcnt(0)
	s_waitcnt_vscnt null, 0x0
	s_barrier
	buffer_gl0_inv
	s_clause 0xb
	buffer_load_dword v79, off, s[0:3], 0 offset:232
	buffer_load_dword v80, off, s[0:3], 0 offset:236
	;; [unrolled: 1-line block ×12, first 2 shown]
	v_mov_b32_e32 v70, 0
	ds_read2_b64 v[71:74], v70 offset0:63 offset1:64
	ds_read2_b64 v[75:78], v70 offset0:65 offset1:66
	s_mov_b32 s4, exec_lo
	s_waitcnt vmcnt(10) lgkmcnt(1)
	v_fma_f64 v[71:72], v[79:80], v[71:72], 0
	s_waitcnt vmcnt(8)
	v_fma_f64 v[71:72], v[81:82], v[73:74], v[71:72]
	ds_read_b64 v[73:74], v70 offset:536
	s_waitcnt vmcnt(6) lgkmcnt(1)
	v_fma_f64 v[71:72], v[83:84], v[75:76], v[71:72]
	s_waitcnt vmcnt(4)
	v_fma_f64 v[71:72], v[85:86], v[77:78], v[71:72]
	s_waitcnt vmcnt(2) lgkmcnt(0)
	v_fma_f64 v[71:72], v[87:88], v[73:74], v[71:72]
	s_waitcnt vmcnt(0)
	v_add_f64 v[71:72], v[89:90], -v[71:72]
	buffer_store_dword v71, off, s[0:3], 0 offset:224
	buffer_store_dword v72, off, s[0:3], 0 offset:228
	v_cmpx_lt_u32_e32 27, v0
	s_cbranch_execz .LBB97_159
; %bb.158:
	s_clause 0x1
	buffer_load_dword v71, off, s[0:3], 0 offset:216
	buffer_load_dword v72, off, s[0:3], 0 offset:220
	buffer_store_dword v70, off, s[0:3], 0 offset:216
	buffer_store_dword v70, off, s[0:3], 0 offset:220
	s_waitcnt vmcnt(0)
	ds_write_b64 v69, v[71:72]
.LBB97_159:
	s_or_b32 exec_lo, exec_lo, s4
	s_waitcnt lgkmcnt(0)
	s_waitcnt_vscnt null, 0x0
	s_barrier
	buffer_gl0_inv
	s_clause 0xd
	buffer_load_dword v79, off, s[0:3], 0 offset:224
	buffer_load_dword v80, off, s[0:3], 0 offset:228
	;; [unrolled: 1-line block ×14, first 2 shown]
	ds_read_b128 v[71:74], v70 offset:496
	ds_read_b128 v[75:78], v70 offset:512
	s_mov_b32 s4, exec_lo
	s_waitcnt vmcnt(12) lgkmcnt(1)
	v_fma_f64 v[71:72], v[79:80], v[71:72], 0
	s_waitcnt vmcnt(10)
	v_fma_f64 v[71:72], v[81:82], v[73:74], v[71:72]
	s_waitcnt vmcnt(8) lgkmcnt(0)
	v_fma_f64 v[71:72], v[83:84], v[75:76], v[71:72]
	s_waitcnt vmcnt(6)
	v_fma_f64 v[74:75], v[85:86], v[77:78], v[71:72]
	ds_read_b128 v[70:73], v70 offset:528
	s_waitcnt vmcnt(4) lgkmcnt(0)
	v_fma_f64 v[70:71], v[87:88], v[70:71], v[74:75]
	s_waitcnt vmcnt(2)
	v_fma_f64 v[70:71], v[89:90], v[72:73], v[70:71]
	s_waitcnt vmcnt(0)
	v_add_f64 v[70:71], v[91:92], -v[70:71]
	buffer_store_dword v70, off, s[0:3], 0 offset:216
	buffer_store_dword v71, off, s[0:3], 0 offset:220
	v_cmpx_lt_u32_e32 26, v0
	s_cbranch_execz .LBB97_161
; %bb.160:
	s_clause 0x1
	buffer_load_dword v70, off, s[0:3], 0 offset:208
	buffer_load_dword v71, off, s[0:3], 0 offset:212
	v_mov_b32_e32 v72, 0
	buffer_store_dword v72, off, s[0:3], 0 offset:208
	buffer_store_dword v72, off, s[0:3], 0 offset:212
	s_waitcnt vmcnt(0)
	ds_write_b64 v69, v[70:71]
.LBB97_161:
	s_or_b32 exec_lo, exec_lo, s4
	s_waitcnt lgkmcnt(0)
	s_waitcnt_vscnt null, 0x0
	s_barrier
	buffer_gl0_inv
	s_clause 0xf
	buffer_load_dword v79, off, s[0:3], 0 offset:216
	buffer_load_dword v80, off, s[0:3], 0 offset:220
	;; [unrolled: 1-line block ×16, first 2 shown]
	v_mov_b32_e32 v70, 0
	ds_read2_b64 v[71:74], v70 offset0:61 offset1:62
	ds_read2_b64 v[75:78], v70 offset0:63 offset1:64
	s_mov_b32 s4, exec_lo
	s_waitcnt vmcnt(14) lgkmcnt(1)
	v_fma_f64 v[71:72], v[79:80], v[71:72], 0
	s_waitcnt vmcnt(12)
	v_fma_f64 v[71:72], v[81:82], v[73:74], v[71:72]
	s_waitcnt vmcnt(10) lgkmcnt(0)
	v_fma_f64 v[71:72], v[83:84], v[75:76], v[71:72]
	s_waitcnt vmcnt(8)
	v_fma_f64 v[75:76], v[85:86], v[77:78], v[71:72]
	ds_read2_b64 v[71:74], v70 offset0:65 offset1:66
	ds_read_b64 v[77:78], v70 offset:536
	s_waitcnt vmcnt(6) lgkmcnt(1)
	v_fma_f64 v[71:72], v[87:88], v[71:72], v[75:76]
	s_waitcnt vmcnt(4)
	v_fma_f64 v[71:72], v[89:90], v[73:74], v[71:72]
	s_waitcnt vmcnt(2) lgkmcnt(0)
	v_fma_f64 v[71:72], v[91:92], v[77:78], v[71:72]
	s_waitcnt vmcnt(0)
	v_add_f64 v[71:72], v[93:94], -v[71:72]
	buffer_store_dword v71, off, s[0:3], 0 offset:208
	buffer_store_dword v72, off, s[0:3], 0 offset:212
	v_cmpx_lt_u32_e32 25, v0
	s_cbranch_execz .LBB97_163
; %bb.162:
	s_clause 0x1
	buffer_load_dword v71, off, s[0:3], 0 offset:200
	buffer_load_dword v72, off, s[0:3], 0 offset:204
	buffer_store_dword v70, off, s[0:3], 0 offset:200
	buffer_store_dword v70, off, s[0:3], 0 offset:204
	s_waitcnt vmcnt(0)
	ds_write_b64 v69, v[71:72]
.LBB97_163:
	s_or_b32 exec_lo, exec_lo, s4
	s_waitcnt lgkmcnt(0)
	s_waitcnt_vscnt null, 0x0
	s_barrier
	buffer_gl0_inv
	s_clause 0x11
	buffer_load_dword v79, off, s[0:3], 0 offset:208
	buffer_load_dword v80, off, s[0:3], 0 offset:212
	;; [unrolled: 1-line block ×18, first 2 shown]
	ds_read_b128 v[71:74], v70 offset:480
	ds_read_b128 v[75:78], v70 offset:496
	s_mov_b32 s4, exec_lo
	s_waitcnt vmcnt(16) lgkmcnt(1)
	v_fma_f64 v[71:72], v[79:80], v[71:72], 0
	s_waitcnt vmcnt(14)
	v_fma_f64 v[71:72], v[81:82], v[73:74], v[71:72]
	s_waitcnt vmcnt(12) lgkmcnt(0)
	v_fma_f64 v[71:72], v[83:84], v[75:76], v[71:72]
	s_waitcnt vmcnt(10)
	v_fma_f64 v[79:80], v[85:86], v[77:78], v[71:72]
	ds_read_b128 v[71:74], v70 offset:512
	ds_read_b128 v[75:78], v70 offset:528
	s_waitcnt vmcnt(8) lgkmcnt(1)
	v_fma_f64 v[70:71], v[87:88], v[71:72], v[79:80]
	s_waitcnt vmcnt(6)
	v_fma_f64 v[70:71], v[89:90], v[73:74], v[70:71]
	s_waitcnt vmcnt(4) lgkmcnt(0)
	v_fma_f64 v[70:71], v[91:92], v[75:76], v[70:71]
	s_waitcnt vmcnt(2)
	v_fma_f64 v[70:71], v[93:94], v[77:78], v[70:71]
	s_waitcnt vmcnt(0)
	v_add_f64 v[70:71], v[95:96], -v[70:71]
	buffer_store_dword v70, off, s[0:3], 0 offset:200
	buffer_store_dword v71, off, s[0:3], 0 offset:204
	v_cmpx_lt_u32_e32 24, v0
	s_cbranch_execz .LBB97_165
; %bb.164:
	s_clause 0x1
	buffer_load_dword v70, off, s[0:3], 0 offset:192
	buffer_load_dword v71, off, s[0:3], 0 offset:196
	v_mov_b32_e32 v72, 0
	buffer_store_dword v72, off, s[0:3], 0 offset:192
	buffer_store_dword v72, off, s[0:3], 0 offset:196
	s_waitcnt vmcnt(0)
	ds_write_b64 v69, v[70:71]
.LBB97_165:
	s_or_b32 exec_lo, exec_lo, s4
	s_waitcnt lgkmcnt(0)
	s_waitcnt_vscnt null, 0x0
	s_barrier
	buffer_gl0_inv
	s_clause 0x13
	buffer_load_dword v79, off, s[0:3], 0 offset:200
	buffer_load_dword v80, off, s[0:3], 0 offset:204
	;; [unrolled: 1-line block ×20, first 2 shown]
	v_mov_b32_e32 v70, 0
	ds_read2_b64 v[71:74], v70 offset0:59 offset1:60
	ds_read2_b64 v[75:78], v70 offset0:61 offset1:62
	s_mov_b32 s4, exec_lo
	s_waitcnt vmcnt(18) lgkmcnt(1)
	v_fma_f64 v[71:72], v[79:80], v[71:72], 0
	s_waitcnt vmcnt(16)
	v_fma_f64 v[71:72], v[81:82], v[73:74], v[71:72]
	s_waitcnt vmcnt(14) lgkmcnt(0)
	v_fma_f64 v[71:72], v[83:84], v[75:76], v[71:72]
	s_waitcnt vmcnt(12)
	v_fma_f64 v[79:80], v[85:86], v[77:78], v[71:72]
	ds_read2_b64 v[71:74], v70 offset0:63 offset1:64
	ds_read2_b64 v[75:78], v70 offset0:65 offset1:66
	s_waitcnt vmcnt(10) lgkmcnt(1)
	v_fma_f64 v[71:72], v[87:88], v[71:72], v[79:80]
	s_waitcnt vmcnt(8)
	v_fma_f64 v[71:72], v[89:90], v[73:74], v[71:72]
	ds_read_b64 v[73:74], v70 offset:536
	s_waitcnt vmcnt(6) lgkmcnt(1)
	v_fma_f64 v[71:72], v[91:92], v[75:76], v[71:72]
	s_waitcnt vmcnt(3)
	v_fma_f64 v[71:72], v[93:94], v[77:78], v[71:72]
	s_waitcnt vmcnt(2) lgkmcnt(0)
	v_fma_f64 v[71:72], v[95:96], v[73:74], v[71:72]
	s_waitcnt vmcnt(0)
	v_add_f64 v[71:72], v[97:98], -v[71:72]
	buffer_store_dword v71, off, s[0:3], 0 offset:192
	buffer_store_dword v72, off, s[0:3], 0 offset:196
	v_cmpx_lt_u32_e32 23, v0
	s_cbranch_execz .LBB97_167
; %bb.166:
	s_clause 0x1
	buffer_load_dword v71, off, s[0:3], 0 offset:184
	buffer_load_dword v72, off, s[0:3], 0 offset:188
	buffer_store_dword v70, off, s[0:3], 0 offset:184
	buffer_store_dword v70, off, s[0:3], 0 offset:188
	s_waitcnt vmcnt(0)
	ds_write_b64 v69, v[71:72]
.LBB97_167:
	s_or_b32 exec_lo, exec_lo, s4
	s_waitcnt lgkmcnt(0)
	s_waitcnt_vscnt null, 0x0
	s_barrier
	buffer_gl0_inv
	s_clause 0x15
	buffer_load_dword v79, off, s[0:3], 0 offset:192
	buffer_load_dword v80, off, s[0:3], 0 offset:196
	;; [unrolled: 1-line block ×22, first 2 shown]
	ds_read_b128 v[71:74], v70 offset:464
	ds_read_b128 v[75:78], v70 offset:480
	s_mov_b32 s4, exec_lo
	s_waitcnt vmcnt(20) lgkmcnt(1)
	v_fma_f64 v[71:72], v[79:80], v[71:72], 0
	s_waitcnt vmcnt(18)
	v_fma_f64 v[71:72], v[81:82], v[73:74], v[71:72]
	s_waitcnt vmcnt(16) lgkmcnt(0)
	v_fma_f64 v[71:72], v[83:84], v[75:76], v[71:72]
	s_waitcnt vmcnt(14)
	v_fma_f64 v[79:80], v[85:86], v[77:78], v[71:72]
	ds_read_b128 v[71:74], v70 offset:496
	ds_read_b128 v[75:78], v70 offset:512
	s_waitcnt vmcnt(12) lgkmcnt(1)
	v_fma_f64 v[71:72], v[87:88], v[71:72], v[79:80]
	s_waitcnt vmcnt(10)
	v_fma_f64 v[71:72], v[89:90], v[73:74], v[71:72]
	s_waitcnt vmcnt(8) lgkmcnt(0)
	v_fma_f64 v[71:72], v[91:92], v[75:76], v[71:72]
	s_waitcnt vmcnt(4)
	v_fma_f64 v[74:75], v[93:94], v[77:78], v[71:72]
	ds_read_b128 v[70:73], v70 offset:528
	s_waitcnt vmcnt(3) lgkmcnt(0)
	v_fma_f64 v[70:71], v[97:98], v[70:71], v[74:75]
	s_waitcnt vmcnt(2)
	v_fma_f64 v[70:71], v[95:96], v[72:73], v[70:71]
	s_waitcnt vmcnt(0)
	v_add_f64 v[70:71], v[99:100], -v[70:71]
	buffer_store_dword v70, off, s[0:3], 0 offset:184
	buffer_store_dword v71, off, s[0:3], 0 offset:188
	v_cmpx_lt_u32_e32 22, v0
	s_cbranch_execz .LBB97_169
; %bb.168:
	s_clause 0x1
	buffer_load_dword v70, off, s[0:3], 0 offset:176
	buffer_load_dword v71, off, s[0:3], 0 offset:180
	v_mov_b32_e32 v72, 0
	buffer_store_dword v72, off, s[0:3], 0 offset:176
	buffer_store_dword v72, off, s[0:3], 0 offset:180
	s_waitcnt vmcnt(0)
	ds_write_b64 v69, v[70:71]
.LBB97_169:
	s_or_b32 exec_lo, exec_lo, s4
	s_waitcnt lgkmcnt(0)
	s_waitcnt_vscnt null, 0x0
	s_barrier
	buffer_gl0_inv
	s_clause 0x17
	buffer_load_dword v79, off, s[0:3], 0 offset:184
	buffer_load_dword v80, off, s[0:3], 0 offset:188
	buffer_load_dword v81, off, s[0:3], 0 offset:192
	buffer_load_dword v82, off, s[0:3], 0 offset:196
	buffer_load_dword v83, off, s[0:3], 0 offset:200
	buffer_load_dword v84, off, s[0:3], 0 offset:204
	buffer_load_dword v85, off, s[0:3], 0 offset:208
	buffer_load_dword v86, off, s[0:3], 0 offset:212
	buffer_load_dword v87, off, s[0:3], 0 offset:216
	buffer_load_dword v88, off, s[0:3], 0 offset:220
	buffer_load_dword v89, off, s[0:3], 0 offset:224
	buffer_load_dword v90, off, s[0:3], 0 offset:228
	buffer_load_dword v91, off, s[0:3], 0 offset:232
	buffer_load_dword v92, off, s[0:3], 0 offset:236
	buffer_load_dword v94, off, s[0:3], 0 offset:244
	buffer_load_dword v95, off, s[0:3], 0 offset:264
	buffer_load_dword v97, off, s[0:3], 0 offset:256
	buffer_load_dword v99, off, s[0:3], 0 offset:248
	buffer_load_dword v93, off, s[0:3], 0 offset:240
	buffer_load_dword v100, off, s[0:3], 0 offset:252
	buffer_load_dword v98, off, s[0:3], 0 offset:260
	buffer_load_dword v96, off, s[0:3], 0 offset:268
	buffer_load_dword v101, off, s[0:3], 0 offset:176
	buffer_load_dword v102, off, s[0:3], 0 offset:180
	v_mov_b32_e32 v70, 0
	ds_read2_b64 v[71:74], v70 offset0:57 offset1:58
	ds_read2_b64 v[75:78], v70 offset0:59 offset1:60
	s_mov_b32 s4, exec_lo
	s_waitcnt vmcnt(22) lgkmcnt(1)
	v_fma_f64 v[71:72], v[79:80], v[71:72], 0
	s_waitcnt vmcnt(20)
	v_fma_f64 v[71:72], v[81:82], v[73:74], v[71:72]
	s_waitcnt vmcnt(18) lgkmcnt(0)
	v_fma_f64 v[71:72], v[83:84], v[75:76], v[71:72]
	s_waitcnt vmcnt(16)
	v_fma_f64 v[79:80], v[85:86], v[77:78], v[71:72]
	ds_read2_b64 v[71:74], v70 offset0:61 offset1:62
	ds_read2_b64 v[75:78], v70 offset0:63 offset1:64
	s_waitcnt vmcnt(14) lgkmcnt(1)
	v_fma_f64 v[71:72], v[87:88], v[71:72], v[79:80]
	s_waitcnt vmcnt(12)
	v_fma_f64 v[71:72], v[89:90], v[73:74], v[71:72]
	s_waitcnt vmcnt(10) lgkmcnt(0)
	v_fma_f64 v[71:72], v[91:92], v[75:76], v[71:72]
	s_waitcnt vmcnt(5)
	v_fma_f64 v[75:76], v[93:94], v[77:78], v[71:72]
	ds_read2_b64 v[71:74], v70 offset0:65 offset1:66
	ds_read_b64 v[77:78], v70 offset:536
	s_waitcnt vmcnt(4) lgkmcnt(1)
	v_fma_f64 v[71:72], v[99:100], v[71:72], v[75:76]
	s_waitcnt vmcnt(3)
	v_fma_f64 v[71:72], v[97:98], v[73:74], v[71:72]
	s_waitcnt vmcnt(2) lgkmcnt(0)
	v_fma_f64 v[71:72], v[95:96], v[77:78], v[71:72]
	s_waitcnt vmcnt(0)
	v_add_f64 v[71:72], v[101:102], -v[71:72]
	buffer_store_dword v72, off, s[0:3], 0 offset:180
	buffer_store_dword v71, off, s[0:3], 0 offset:176
	v_cmpx_lt_u32_e32 21, v0
	s_cbranch_execz .LBB97_171
; %bb.170:
	s_clause 0x1
	buffer_load_dword v71, off, s[0:3], 0 offset:168
	buffer_load_dword v72, off, s[0:3], 0 offset:172
	buffer_store_dword v70, off, s[0:3], 0 offset:168
	buffer_store_dword v70, off, s[0:3], 0 offset:172
	s_waitcnt vmcnt(0)
	ds_write_b64 v69, v[71:72]
.LBB97_171:
	s_or_b32 exec_lo, exec_lo, s4
	s_waitcnt lgkmcnt(0)
	s_waitcnt_vscnt null, 0x0
	s_barrier
	buffer_gl0_inv
	s_clause 0x19
	buffer_load_dword v79, off, s[0:3], 0 offset:176
	buffer_load_dword v80, off, s[0:3], 0 offset:180
	;; [unrolled: 1-line block ×26, first 2 shown]
	ds_read_b128 v[71:74], v70 offset:448
	ds_read_b128 v[75:78], v70 offset:464
	s_mov_b32 s4, exec_lo
	s_waitcnt vmcnt(24) lgkmcnt(1)
	v_fma_f64 v[71:72], v[79:80], v[71:72], 0
	s_waitcnt vmcnt(22)
	v_fma_f64 v[71:72], v[81:82], v[73:74], v[71:72]
	s_waitcnt vmcnt(20) lgkmcnt(0)
	v_fma_f64 v[71:72], v[83:84], v[75:76], v[71:72]
	s_waitcnt vmcnt(18)
	v_fma_f64 v[79:80], v[85:86], v[77:78], v[71:72]
	ds_read_b128 v[71:74], v70 offset:480
	ds_read_b128 v[75:78], v70 offset:496
	s_waitcnt vmcnt(16) lgkmcnt(1)
	v_fma_f64 v[71:72], v[87:88], v[71:72], v[79:80]
	s_waitcnt vmcnt(14)
	v_fma_f64 v[71:72], v[89:90], v[73:74], v[71:72]
	s_waitcnt vmcnt(12) lgkmcnt(0)
	v_fma_f64 v[71:72], v[91:92], v[75:76], v[71:72]
	s_waitcnt vmcnt(7)
	v_fma_f64 v[79:80], v[93:94], v[77:78], v[71:72]
	ds_read_b128 v[71:74], v70 offset:512
	ds_read_b128 v[75:78], v70 offset:528
	s_waitcnt vmcnt(6) lgkmcnt(1)
	v_fma_f64 v[70:71], v[99:100], v[71:72], v[79:80]
	s_waitcnt vmcnt(5)
	v_fma_f64 v[70:71], v[97:98], v[73:74], v[70:71]
	s_waitcnt vmcnt(4) lgkmcnt(0)
	v_fma_f64 v[70:71], v[95:96], v[75:76], v[70:71]
	s_waitcnt vmcnt(2)
	v_fma_f64 v[70:71], v[101:102], v[77:78], v[70:71]
	s_waitcnt vmcnt(0)
	v_add_f64 v[70:71], v[103:104], -v[70:71]
	buffer_store_dword v71, off, s[0:3], 0 offset:172
	buffer_store_dword v70, off, s[0:3], 0 offset:168
	v_cmpx_lt_u32_e32 20, v0
	s_cbranch_execz .LBB97_173
; %bb.172:
	s_clause 0x1
	buffer_load_dword v70, off, s[0:3], 0 offset:160
	buffer_load_dword v71, off, s[0:3], 0 offset:164
	v_mov_b32_e32 v72, 0
	buffer_store_dword v72, off, s[0:3], 0 offset:160
	buffer_store_dword v72, off, s[0:3], 0 offset:164
	s_waitcnt vmcnt(0)
	ds_write_b64 v69, v[70:71]
.LBB97_173:
	s_or_b32 exec_lo, exec_lo, s4
	s_waitcnt lgkmcnt(0)
	s_waitcnt_vscnt null, 0x0
	s_barrier
	buffer_gl0_inv
	s_clause 0x1b
	buffer_load_dword v79, off, s[0:3], 0 offset:168
	buffer_load_dword v80, off, s[0:3], 0 offset:172
	;; [unrolled: 1-line block ×28, first 2 shown]
	v_mov_b32_e32 v70, 0
	ds_read2_b64 v[71:74], v70 offset0:55 offset1:56
	ds_read2_b64 v[75:78], v70 offset0:57 offset1:58
	s_mov_b32 s4, exec_lo
	s_waitcnt vmcnt(26) lgkmcnt(1)
	v_fma_f64 v[71:72], v[79:80], v[71:72], 0
	s_waitcnt vmcnt(24)
	v_fma_f64 v[71:72], v[81:82], v[73:74], v[71:72]
	s_waitcnt vmcnt(22) lgkmcnt(0)
	v_fma_f64 v[71:72], v[83:84], v[75:76], v[71:72]
	s_waitcnt vmcnt(20)
	v_fma_f64 v[79:80], v[85:86], v[77:78], v[71:72]
	ds_read2_b64 v[71:74], v70 offset0:59 offset1:60
	ds_read2_b64 v[75:78], v70 offset0:61 offset1:62
	s_waitcnt vmcnt(18) lgkmcnt(1)
	v_fma_f64 v[71:72], v[87:88], v[71:72], v[79:80]
	s_waitcnt vmcnt(16)
	v_fma_f64 v[71:72], v[89:90], v[73:74], v[71:72]
	s_waitcnt vmcnt(14) lgkmcnt(0)
	v_fma_f64 v[71:72], v[91:92], v[75:76], v[71:72]
	s_waitcnt vmcnt(9)
	v_fma_f64 v[79:80], v[93:94], v[77:78], v[71:72]
	ds_read2_b64 v[71:74], v70 offset0:63 offset1:64
	ds_read2_b64 v[75:78], v70 offset0:65 offset1:66
	s_waitcnt vmcnt(8) lgkmcnt(1)
	v_fma_f64 v[71:72], v[99:100], v[71:72], v[79:80]
	s_waitcnt vmcnt(7)
	v_fma_f64 v[71:72], v[97:98], v[73:74], v[71:72]
	ds_read_b64 v[73:74], v70 offset:536
	s_waitcnt vmcnt(6) lgkmcnt(1)
	v_fma_f64 v[71:72], v[95:96], v[75:76], v[71:72]
	s_waitcnt vmcnt(3)
	v_fma_f64 v[71:72], v[101:102], v[77:78], v[71:72]
	s_waitcnt vmcnt(2) lgkmcnt(0)
	v_fma_f64 v[71:72], v[103:104], v[73:74], v[71:72]
	s_waitcnt vmcnt(0)
	v_add_f64 v[71:72], v[105:106], -v[71:72]
	buffer_store_dword v72, off, s[0:3], 0 offset:164
	buffer_store_dword v71, off, s[0:3], 0 offset:160
	v_cmpx_lt_u32_e32 19, v0
	s_cbranch_execz .LBB97_175
; %bb.174:
	s_clause 0x1
	buffer_load_dword v71, off, s[0:3], 0 offset:152
	buffer_load_dword v72, off, s[0:3], 0 offset:156
	buffer_store_dword v70, off, s[0:3], 0 offset:152
	buffer_store_dword v70, off, s[0:3], 0 offset:156
	s_waitcnt vmcnt(0)
	ds_write_b64 v69, v[71:72]
.LBB97_175:
	s_or_b32 exec_lo, exec_lo, s4
	s_waitcnt lgkmcnt(0)
	s_waitcnt_vscnt null, 0x0
	s_barrier
	buffer_gl0_inv
	s_clause 0x1b
	buffer_load_dword v79, off, s[0:3], 0 offset:160
	buffer_load_dword v80, off, s[0:3], 0 offset:164
	;; [unrolled: 1-line block ×28, first 2 shown]
	ds_read_b128 v[71:74], v70 offset:432
	s_clause 0x1
	buffer_load_dword v107, off, s[0:3], 0 offset:152
	buffer_load_dword v108, off, s[0:3], 0 offset:156
	ds_read_b128 v[75:78], v70 offset:448
	s_mov_b32 s4, exec_lo
	s_waitcnt vmcnt(28) lgkmcnt(1)
	v_fma_f64 v[71:72], v[79:80], v[71:72], 0
	s_waitcnt vmcnt(26)
	v_fma_f64 v[71:72], v[81:82], v[73:74], v[71:72]
	s_waitcnt vmcnt(24) lgkmcnt(0)
	v_fma_f64 v[71:72], v[83:84], v[75:76], v[71:72]
	s_waitcnt vmcnt(22)
	v_fma_f64 v[79:80], v[85:86], v[77:78], v[71:72]
	ds_read_b128 v[71:74], v70 offset:464
	ds_read_b128 v[75:78], v70 offset:480
	s_waitcnt vmcnt(20) lgkmcnt(1)
	v_fma_f64 v[71:72], v[87:88], v[71:72], v[79:80]
	s_waitcnt vmcnt(18)
	v_fma_f64 v[71:72], v[89:90], v[73:74], v[71:72]
	s_waitcnt vmcnt(16) lgkmcnt(0)
	v_fma_f64 v[71:72], v[91:92], v[75:76], v[71:72]
	s_waitcnt vmcnt(11)
	v_fma_f64 v[79:80], v[93:94], v[77:78], v[71:72]
	ds_read_b128 v[71:74], v70 offset:496
	ds_read_b128 v[75:78], v70 offset:512
	s_waitcnt vmcnt(10) lgkmcnt(1)
	v_fma_f64 v[71:72], v[99:100], v[71:72], v[79:80]
	s_waitcnt vmcnt(9)
	v_fma_f64 v[71:72], v[97:98], v[73:74], v[71:72]
	s_waitcnt vmcnt(8) lgkmcnt(0)
	v_fma_f64 v[71:72], v[95:96], v[75:76], v[71:72]
	s_waitcnt vmcnt(4)
	v_fma_f64 v[74:75], v[101:102], v[77:78], v[71:72]
	ds_read_b128 v[70:73], v70 offset:528
	s_waitcnt vmcnt(3) lgkmcnt(0)
	v_fma_f64 v[70:71], v[105:106], v[70:71], v[74:75]
	s_waitcnt vmcnt(2)
	v_fma_f64 v[70:71], v[103:104], v[72:73], v[70:71]
	s_waitcnt vmcnt(0)
	v_add_f64 v[70:71], v[107:108], -v[70:71]
	buffer_store_dword v71, off, s[0:3], 0 offset:156
	buffer_store_dword v70, off, s[0:3], 0 offset:152
	v_cmpx_lt_u32_e32 18, v0
	s_cbranch_execz .LBB97_177
; %bb.176:
	s_clause 0x1
	buffer_load_dword v70, off, s[0:3], 0 offset:144
	buffer_load_dword v71, off, s[0:3], 0 offset:148
	v_mov_b32_e32 v72, 0
	buffer_store_dword v72, off, s[0:3], 0 offset:144
	buffer_store_dword v72, off, s[0:3], 0 offset:148
	s_waitcnt vmcnt(0)
	ds_write_b64 v69, v[70:71]
.LBB97_177:
	s_or_b32 exec_lo, exec_lo, s4
	s_waitcnt lgkmcnt(0)
	s_waitcnt_vscnt null, 0x0
	s_barrier
	buffer_gl0_inv
	s_clause 0x1c
	buffer_load_dword v79, off, s[0:3], 0 offset:152
	buffer_load_dword v80, off, s[0:3], 0 offset:156
	;; [unrolled: 1-line block ×29, first 2 shown]
	v_mov_b32_e32 v70, 0
	buffer_load_dword v104, off, s[0:3], 0 offset:268
	s_mov_b32 s4, exec_lo
	ds_read2_b64 v[71:74], v70 offset0:53 offset1:54
	ds_read2_b64 v[75:78], v70 offset0:55 offset1:56
	s_waitcnt vmcnt(28) lgkmcnt(1)
	v_fma_f64 v[71:72], v[79:80], v[71:72], 0
	s_clause 0x1
	buffer_load_dword v79, off, s[0:3], 0 offset:144
	buffer_load_dword v80, off, s[0:3], 0 offset:148
	s_waitcnt vmcnt(28)
	v_fma_f64 v[71:72], v[81:82], v[73:74], v[71:72]
	s_waitcnt vmcnt(26) lgkmcnt(0)
	v_fma_f64 v[71:72], v[83:84], v[75:76], v[71:72]
	s_waitcnt vmcnt(24)
	v_fma_f64 v[81:82], v[85:86], v[77:78], v[71:72]
	ds_read2_b64 v[71:74], v70 offset0:57 offset1:58
	ds_read2_b64 v[75:78], v70 offset0:59 offset1:60
	s_waitcnt vmcnt(22) lgkmcnt(1)
	v_fma_f64 v[71:72], v[87:88], v[71:72], v[81:82]
	s_waitcnt vmcnt(20)
	v_fma_f64 v[71:72], v[89:90], v[73:74], v[71:72]
	s_waitcnt vmcnt(18) lgkmcnt(0)
	v_fma_f64 v[71:72], v[91:92], v[75:76], v[71:72]
	s_waitcnt vmcnt(13)
	v_fma_f64 v[81:82], v[93:94], v[77:78], v[71:72]
	ds_read2_b64 v[71:74], v70 offset0:61 offset1:62
	ds_read2_b64 v[75:78], v70 offset0:63 offset1:64
	s_waitcnt vmcnt(12) lgkmcnt(1)
	v_fma_f64 v[71:72], v[99:100], v[71:72], v[81:82]
	s_waitcnt vmcnt(11)
	v_fma_f64 v[71:72], v[97:98], v[73:74], v[71:72]
	s_waitcnt vmcnt(10) lgkmcnt(0)
	v_fma_f64 v[71:72], v[95:96], v[75:76], v[71:72]
	s_waitcnt vmcnt(5)
	v_fma_f64 v[75:76], v[101:102], v[77:78], v[71:72]
	ds_read2_b64 v[71:74], v70 offset0:65 offset1:66
	ds_read_b64 v[77:78], v70 offset:536
	s_waitcnt vmcnt(4) lgkmcnt(1)
	v_fma_f64 v[71:72], v[107:108], v[71:72], v[75:76]
	s_waitcnt vmcnt(3)
	v_fma_f64 v[71:72], v[105:106], v[73:74], v[71:72]
	s_waitcnt vmcnt(2) lgkmcnt(0)
	v_fma_f64 v[71:72], v[103:104], v[77:78], v[71:72]
	s_waitcnt vmcnt(0)
	v_add_f64 v[71:72], v[79:80], -v[71:72]
	buffer_store_dword v72, off, s[0:3], 0 offset:148
	buffer_store_dword v71, off, s[0:3], 0 offset:144
	v_cmpx_lt_u32_e32 17, v0
	s_cbranch_execz .LBB97_179
; %bb.178:
	s_clause 0x1
	buffer_load_dword v71, off, s[0:3], 0 offset:136
	buffer_load_dword v72, off, s[0:3], 0 offset:140
	buffer_store_dword v70, off, s[0:3], 0 offset:136
	buffer_store_dword v70, off, s[0:3], 0 offset:140
	s_waitcnt vmcnt(0)
	ds_write_b64 v69, v[71:72]
.LBB97_179:
	s_or_b32 exec_lo, exec_lo, s4
	s_waitcnt lgkmcnt(0)
	s_waitcnt_vscnt null, 0x0
	s_barrier
	buffer_gl0_inv
	s_clause 0x1c
	buffer_load_dword v79, off, s[0:3], 0 offset:144
	buffer_load_dword v80, off, s[0:3], 0 offset:148
	;; [unrolled: 1-line block ×29, first 2 shown]
	ds_read_b128 v[71:74], v70 offset:416
	ds_read_b128 v[75:78], v70 offset:432
	buffer_load_dword v104, off, s[0:3], 0 offset:260
	s_mov_b32 s4, exec_lo
	s_waitcnt vmcnt(28) lgkmcnt(1)
	v_fma_f64 v[71:72], v[79:80], v[71:72], 0
	s_clause 0x1
	buffer_load_dword v80, off, s[0:3], 0 offset:268
	buffer_load_dword v79, off, s[0:3], 0 offset:264
	s_waitcnt vmcnt(28)
	v_fma_f64 v[71:72], v[81:82], v[73:74], v[71:72]
	s_clause 0x1
	buffer_load_dword v81, off, s[0:3], 0 offset:136
	buffer_load_dword v82, off, s[0:3], 0 offset:140
	s_waitcnt vmcnt(28) lgkmcnt(0)
	v_fma_f64 v[71:72], v[83:84], v[75:76], v[71:72]
	s_waitcnt vmcnt(26)
	v_fma_f64 v[83:84], v[85:86], v[77:78], v[71:72]
	ds_read_b128 v[71:74], v70 offset:448
	ds_read_b128 v[75:78], v70 offset:464
	s_waitcnt vmcnt(24) lgkmcnt(1)
	v_fma_f64 v[71:72], v[87:88], v[71:72], v[83:84]
	s_waitcnt vmcnt(22)
	v_fma_f64 v[71:72], v[89:90], v[73:74], v[71:72]
	s_waitcnt vmcnt(20) lgkmcnt(0)
	v_fma_f64 v[71:72], v[91:92], v[75:76], v[71:72]
	s_waitcnt vmcnt(15)
	v_fma_f64 v[83:84], v[93:94], v[77:78], v[71:72]
	ds_read_b128 v[71:74], v70 offset:480
	ds_read_b128 v[75:78], v70 offset:496
	s_waitcnt vmcnt(14) lgkmcnt(1)
	v_fma_f64 v[71:72], v[99:100], v[71:72], v[83:84]
	s_waitcnt vmcnt(13)
	v_fma_f64 v[71:72], v[97:98], v[73:74], v[71:72]
	;; [unrolled: 10-line block ×3, first 2 shown]
	s_waitcnt vmcnt(4) lgkmcnt(0)
	v_fma_f64 v[70:71], v[103:104], v[75:76], v[70:71]
	s_waitcnt vmcnt(2)
	v_fma_f64 v[70:71], v[79:80], v[77:78], v[70:71]
	s_waitcnt vmcnt(0)
	v_add_f64 v[70:71], v[81:82], -v[70:71]
	buffer_store_dword v71, off, s[0:3], 0 offset:140
	buffer_store_dword v70, off, s[0:3], 0 offset:136
	v_cmpx_lt_u32_e32 16, v0
	s_cbranch_execz .LBB97_181
; %bb.180:
	s_clause 0x1
	buffer_load_dword v70, off, s[0:3], 0 offset:128
	buffer_load_dword v71, off, s[0:3], 0 offset:132
	v_mov_b32_e32 v72, 0
	buffer_store_dword v72, off, s[0:3], 0 offset:128
	buffer_store_dword v72, off, s[0:3], 0 offset:132
	s_waitcnt vmcnt(0)
	ds_write_b64 v69, v[70:71]
.LBB97_181:
	s_or_b32 exec_lo, exec_lo, s4
	s_waitcnt lgkmcnt(0)
	s_waitcnt_vscnt null, 0x0
	s_barrier
	buffer_gl0_inv
	s_clause 0x1c
	buffer_load_dword v79, off, s[0:3], 0 offset:136
	buffer_load_dword v80, off, s[0:3], 0 offset:140
	;; [unrolled: 1-line block ×29, first 2 shown]
	v_mov_b32_e32 v70, 0
	buffer_load_dword v104, off, s[0:3], 0 offset:252
	s_mov_b32 s4, exec_lo
	ds_read2_b64 v[71:74], v70 offset0:51 offset1:52
	ds_read2_b64 v[75:78], v70 offset0:53 offset1:54
	s_waitcnt vmcnt(28) lgkmcnt(1)
	v_fma_f64 v[71:72], v[79:80], v[71:72], 0
	s_clause 0x3
	buffer_load_dword v80, off, s[0:3], 0 offset:260
	buffer_load_dword v109, off, s[0:3], 0 offset:264
	;; [unrolled: 1-line block ×4, first 2 shown]
	s_waitcnt vmcnt(30)
	v_fma_f64 v[71:72], v[81:82], v[73:74], v[71:72]
	s_clause 0x1
	buffer_load_dword v81, off, s[0:3], 0 offset:128
	buffer_load_dword v82, off, s[0:3], 0 offset:132
	s_waitcnt vmcnt(30) lgkmcnt(0)
	v_fma_f64 v[71:72], v[83:84], v[75:76], v[71:72]
	s_waitcnt vmcnt(28)
	v_fma_f64 v[83:84], v[85:86], v[77:78], v[71:72]
	ds_read2_b64 v[71:74], v70 offset0:55 offset1:56
	ds_read2_b64 v[75:78], v70 offset0:57 offset1:58
	s_waitcnt vmcnt(26) lgkmcnt(1)
	v_fma_f64 v[71:72], v[87:88], v[71:72], v[83:84]
	s_waitcnt vmcnt(24)
	v_fma_f64 v[71:72], v[89:90], v[73:74], v[71:72]
	s_waitcnt vmcnt(22) lgkmcnt(0)
	v_fma_f64 v[71:72], v[91:92], v[75:76], v[71:72]
	s_waitcnt vmcnt(17)
	v_fma_f64 v[83:84], v[93:94], v[77:78], v[71:72]
	ds_read2_b64 v[71:74], v70 offset0:59 offset1:60
	ds_read2_b64 v[75:78], v70 offset0:61 offset1:62
	s_waitcnt vmcnt(16) lgkmcnt(1)
	v_fma_f64 v[71:72], v[99:100], v[71:72], v[83:84]
	s_waitcnt vmcnt(15)
	v_fma_f64 v[71:72], v[97:98], v[73:74], v[71:72]
	;; [unrolled: 10-line block ×3, first 2 shown]
	ds_read_b64 v[73:74], v70 offset:536
	s_waitcnt vmcnt(6) lgkmcnt(1)
	v_fma_f64 v[71:72], v[103:104], v[75:76], v[71:72]
	s_waitcnt vmcnt(3)
	v_fma_f64 v[71:72], v[79:80], v[77:78], v[71:72]
	s_waitcnt vmcnt(2) lgkmcnt(0)
	v_fma_f64 v[71:72], v[109:110], v[73:74], v[71:72]
	s_waitcnt vmcnt(0)
	v_add_f64 v[71:72], v[81:82], -v[71:72]
	buffer_store_dword v72, off, s[0:3], 0 offset:132
	buffer_store_dword v71, off, s[0:3], 0 offset:128
	v_cmpx_lt_u32_e32 15, v0
	s_cbranch_execz .LBB97_183
; %bb.182:
	s_clause 0x1
	buffer_load_dword v71, off, s[0:3], 0 offset:120
	buffer_load_dword v72, off, s[0:3], 0 offset:124
	buffer_store_dword v70, off, s[0:3], 0 offset:120
	buffer_store_dword v70, off, s[0:3], 0 offset:124
	s_waitcnt vmcnt(0)
	ds_write_b64 v69, v[71:72]
.LBB97_183:
	s_or_b32 exec_lo, exec_lo, s4
	s_waitcnt lgkmcnt(0)
	s_waitcnt_vscnt null, 0x0
	s_barrier
	buffer_gl0_inv
	s_clause 0x1b
	buffer_load_dword v75, off, s[0:3], 0 offset:128
	buffer_load_dword v76, off, s[0:3], 0 offset:132
	;; [unrolled: 1-line block ×28, first 2 shown]
	ds_read_b128 v[71:74], v70 offset:400
	s_clause 0x1
	buffer_load_dword v103, off, s[0:3], 0 offset:240
	buffer_load_dword v104, off, s[0:3], 0 offset:244
	s_mov_b32 s4, exec_lo
	s_waitcnt vmcnt(28) lgkmcnt(0)
	v_fma_f64 v[71:72], v[75:76], v[71:72], 0
	s_clause 0x1
	buffer_load_dword v76, off, s[0:3], 0 offset:252
	buffer_load_dword v75, off, s[0:3], 0 offset:248
	s_waitcnt vmcnt(28)
	v_fma_f64 v[77:78], v[77:78], v[73:74], v[71:72]
	ds_read_b128 v[71:74], v70 offset:416
	s_clause 0x1
	buffer_load_dword v105, off, s[0:3], 0 offset:256
	buffer_load_dword v106, off, s[0:3], 0 offset:260
	s_waitcnt vmcnt(28) lgkmcnt(0)
	v_fma_f64 v[71:72], v[79:80], v[71:72], v[77:78]
	s_clause 0x1
	buffer_load_dword v77, off, s[0:3], 0 offset:264
	buffer_load_dword v78, off, s[0:3], 0 offset:268
	s_waitcnt vmcnt(28)
	v_fma_f64 v[79:80], v[81:82], v[73:74], v[71:72]
	ds_read_b128 v[71:74], v70 offset:432
	s_clause 0x1
	buffer_load_dword v81, off, s[0:3], 0 offset:120
	buffer_load_dword v82, off, s[0:3], 0 offset:124
	s_waitcnt vmcnt(28) lgkmcnt(0)
	v_fma_f64 v[71:72], v[83:84], v[71:72], v[79:80]
	s_waitcnt vmcnt(26)
	v_fma_f64 v[79:80], v[85:86], v[73:74], v[71:72]
	ds_read_b128 v[71:74], v70 offset:448
	s_waitcnt vmcnt(24) lgkmcnt(0)
	v_fma_f64 v[71:72], v[87:88], v[71:72], v[79:80]
	s_waitcnt vmcnt(22)
	v_fma_f64 v[79:80], v[89:90], v[73:74], v[71:72]
	ds_read_b128 v[71:74], v70 offset:464
	;; [unrolled: 5-line block ×6, first 2 shown]
	s_waitcnt vmcnt(4) lgkmcnt(0)
	v_fma_f64 v[70:71], v[105:106], v[70:71], v[74:75]
	s_waitcnt vmcnt(2)
	v_fma_f64 v[70:71], v[77:78], v[72:73], v[70:71]
	s_waitcnt vmcnt(0)
	v_add_f64 v[70:71], v[81:82], -v[70:71]
	buffer_store_dword v71, off, s[0:3], 0 offset:124
	buffer_store_dword v70, off, s[0:3], 0 offset:120
	v_cmpx_lt_u32_e32 14, v0
	s_cbranch_execz .LBB97_185
; %bb.184:
	s_clause 0x1
	buffer_load_dword v70, off, s[0:3], 0 offset:112
	buffer_load_dword v71, off, s[0:3], 0 offset:116
	v_mov_b32_e32 v72, 0
	buffer_store_dword v72, off, s[0:3], 0 offset:112
	buffer_store_dword v72, off, s[0:3], 0 offset:116
	s_waitcnt vmcnt(0)
	ds_write_b64 v69, v[70:71]
.LBB97_185:
	s_or_b32 exec_lo, exec_lo, s4
	s_waitcnt lgkmcnt(0)
	s_waitcnt_vscnt null, 0x0
	s_barrier
	buffer_gl0_inv
	s_clause 0x1b
	buffer_load_dword v75, off, s[0:3], 0 offset:120
	buffer_load_dword v76, off, s[0:3], 0 offset:124
	;; [unrolled: 1-line block ×28, first 2 shown]
	v_mov_b32_e32 v70, 0
	s_mov_b32 s4, exec_lo
	ds_read2_b64 v[71:74], v70 offset0:49 offset1:50
	s_clause 0x1
	buffer_load_dword v103, off, s[0:3], 0 offset:232
	buffer_load_dword v104, off, s[0:3], 0 offset:236
	s_waitcnt vmcnt(28) lgkmcnt(0)
	v_fma_f64 v[71:72], v[75:76], v[71:72], 0
	s_clause 0x1
	buffer_load_dword v76, off, s[0:3], 0 offset:244
	buffer_load_dword v75, off, s[0:3], 0 offset:240
	s_waitcnt vmcnt(28)
	v_fma_f64 v[77:78], v[77:78], v[73:74], v[71:72]
	ds_read2_b64 v[71:74], v70 offset0:51 offset1:52
	s_clause 0x1
	buffer_load_dword v105, off, s[0:3], 0 offset:248
	buffer_load_dword v106, off, s[0:3], 0 offset:252
	s_waitcnt vmcnt(28) lgkmcnt(0)
	v_fma_f64 v[71:72], v[79:80], v[71:72], v[77:78]
	s_clause 0x1
	buffer_load_dword v77, off, s[0:3], 0 offset:256
	buffer_load_dword v78, off, s[0:3], 0 offset:260
	s_waitcnt vmcnt(28)
	v_fma_f64 v[79:80], v[81:82], v[73:74], v[71:72]
	;; [unrolled: 11-line block ×3, first 2 shown]
	ds_read2_b64 v[71:74], v70 offset0:55 offset1:56
	s_waitcnt vmcnt(26) lgkmcnt(0)
	v_fma_f64 v[71:72], v[87:88], v[71:72], v[83:84]
	s_waitcnt vmcnt(24)
	v_fma_f64 v[83:84], v[89:90], v[73:74], v[71:72]
	ds_read2_b64 v[71:74], v70 offset0:57 offset1:58
	s_waitcnt vmcnt(22) lgkmcnt(0)
	v_fma_f64 v[71:72], v[91:92], v[71:72], v[83:84]
	s_waitcnt vmcnt(20)
	v_fma_f64 v[83:84], v[93:94], v[73:74], v[71:72]
	;; [unrolled: 5-line block ×6, first 2 shown]
	ds_read_b64 v[73:74], v70 offset:536
	s_waitcnt vmcnt(2) lgkmcnt(0)
	v_fma_f64 v[71:72], v[81:82], v[73:74], v[71:72]
	s_waitcnt vmcnt(0)
	v_add_f64 v[71:72], v[79:80], -v[71:72]
	buffer_store_dword v72, off, s[0:3], 0 offset:116
	buffer_store_dword v71, off, s[0:3], 0 offset:112
	v_cmpx_lt_u32_e32 13, v0
	s_cbranch_execz .LBB97_187
; %bb.186:
	s_clause 0x1
	buffer_load_dword v71, off, s[0:3], 0 offset:104
	buffer_load_dword v72, off, s[0:3], 0 offset:108
	buffer_store_dword v70, off, s[0:3], 0 offset:104
	buffer_store_dword v70, off, s[0:3], 0 offset:108
	s_waitcnt vmcnt(0)
	ds_write_b64 v69, v[71:72]
.LBB97_187:
	s_or_b32 exec_lo, exec_lo, s4
	s_waitcnt lgkmcnt(0)
	s_waitcnt_vscnt null, 0x0
	s_barrier
	buffer_gl0_inv
	s_clause 0x1b
	buffer_load_dword v75, off, s[0:3], 0 offset:112
	buffer_load_dword v76, off, s[0:3], 0 offset:116
	;; [unrolled: 1-line block ×28, first 2 shown]
	ds_read_b128 v[71:74], v70 offset:384
	s_clause 0x1
	buffer_load_dword v103, off, s[0:3], 0 offset:224
	buffer_load_dword v104, off, s[0:3], 0 offset:228
	s_mov_b32 s4, exec_lo
	s_waitcnt vmcnt(28) lgkmcnt(0)
	v_fma_f64 v[71:72], v[75:76], v[71:72], 0
	s_clause 0x1
	buffer_load_dword v76, off, s[0:3], 0 offset:236
	buffer_load_dword v75, off, s[0:3], 0 offset:232
	s_waitcnt vmcnt(28)
	v_fma_f64 v[77:78], v[77:78], v[73:74], v[71:72]
	ds_read_b128 v[71:74], v70 offset:400
	s_clause 0x1
	buffer_load_dword v105, off, s[0:3], 0 offset:240
	buffer_load_dword v106, off, s[0:3], 0 offset:244
	s_waitcnt vmcnt(28) lgkmcnt(0)
	v_fma_f64 v[71:72], v[79:80], v[71:72], v[77:78]
	s_clause 0x1
	buffer_load_dword v77, off, s[0:3], 0 offset:248
	buffer_load_dword v78, off, s[0:3], 0 offset:252
	s_waitcnt vmcnt(28)
	v_fma_f64 v[79:80], v[81:82], v[73:74], v[71:72]
	ds_read_b128 v[71:74], v70 offset:416
	s_clause 0x1
	buffer_load_dword v81, off, s[0:3], 0 offset:256
	buffer_load_dword v82, off, s[0:3], 0 offset:260
	;; [unrolled: 11-line block ×3, first 2 shown]
	s_waitcnt vmcnt(28) lgkmcnt(0)
	v_fma_f64 v[71:72], v[87:88], v[71:72], v[83:84]
	s_waitcnt vmcnt(26)
	v_fma_f64 v[83:84], v[89:90], v[73:74], v[71:72]
	ds_read_b128 v[71:74], v70 offset:448
	s_waitcnt vmcnt(24) lgkmcnt(0)
	v_fma_f64 v[71:72], v[91:92], v[71:72], v[83:84]
	s_waitcnt vmcnt(22)
	v_fma_f64 v[83:84], v[93:94], v[73:74], v[71:72]
	ds_read_b128 v[71:74], v70 offset:464
	;; [unrolled: 5-line block ×6, first 2 shown]
	s_waitcnt vmcnt(4) lgkmcnt(0)
	v_fma_f64 v[70:71], v[81:82], v[70:71], v[74:75]
	s_waitcnt vmcnt(2)
	v_fma_f64 v[70:71], v[79:80], v[72:73], v[70:71]
	s_waitcnt vmcnt(0)
	v_add_f64 v[70:71], v[85:86], -v[70:71]
	buffer_store_dword v71, off, s[0:3], 0 offset:108
	buffer_store_dword v70, off, s[0:3], 0 offset:104
	v_cmpx_lt_u32_e32 12, v0
	s_cbranch_execz .LBB97_189
; %bb.188:
	s_clause 0x1
	buffer_load_dword v70, off, s[0:3], 0 offset:96
	buffer_load_dword v71, off, s[0:3], 0 offset:100
	v_mov_b32_e32 v72, 0
	buffer_store_dword v72, off, s[0:3], 0 offset:96
	buffer_store_dword v72, off, s[0:3], 0 offset:100
	s_waitcnt vmcnt(0)
	ds_write_b64 v69, v[70:71]
.LBB97_189:
	s_or_b32 exec_lo, exec_lo, s4
	s_waitcnt lgkmcnt(0)
	s_waitcnt_vscnt null, 0x0
	s_barrier
	buffer_gl0_inv
	s_clause 0x1b
	buffer_load_dword v75, off, s[0:3], 0 offset:104
	buffer_load_dword v76, off, s[0:3], 0 offset:108
	;; [unrolled: 1-line block ×28, first 2 shown]
	v_mov_b32_e32 v70, 0
	s_mov_b32 s4, exec_lo
	ds_read2_b64 v[71:74], v70 offset0:47 offset1:48
	s_clause 0x1
	buffer_load_dword v103, off, s[0:3], 0 offset:216
	buffer_load_dword v104, off, s[0:3], 0 offset:220
	s_waitcnt vmcnt(28) lgkmcnt(0)
	v_fma_f64 v[71:72], v[75:76], v[71:72], 0
	s_clause 0x1
	buffer_load_dword v76, off, s[0:3], 0 offset:228
	buffer_load_dword v75, off, s[0:3], 0 offset:224
	s_waitcnt vmcnt(28)
	v_fma_f64 v[77:78], v[77:78], v[73:74], v[71:72]
	ds_read2_b64 v[71:74], v70 offset0:49 offset1:50
	s_clause 0x1
	buffer_load_dword v105, off, s[0:3], 0 offset:232
	buffer_load_dword v106, off, s[0:3], 0 offset:236
	s_waitcnt vmcnt(28) lgkmcnt(0)
	v_fma_f64 v[71:72], v[79:80], v[71:72], v[77:78]
	s_clause 0x1
	buffer_load_dword v77, off, s[0:3], 0 offset:240
	buffer_load_dword v78, off, s[0:3], 0 offset:244
	s_waitcnt vmcnt(28)
	v_fma_f64 v[79:80], v[81:82], v[73:74], v[71:72]
	;; [unrolled: 11-line block ×4, first 2 shown]
	ds_read2_b64 v[71:74], v70 offset0:55 offset1:56
	s_waitcnt vmcnt(26) lgkmcnt(0)
	v_fma_f64 v[71:72], v[91:92], v[71:72], v[87:88]
	s_waitcnt vmcnt(24)
	v_fma_f64 v[87:88], v[93:94], v[73:74], v[71:72]
	ds_read2_b64 v[71:74], v70 offset0:57 offset1:58
	s_waitcnt vmcnt(22) lgkmcnt(0)
	v_fma_f64 v[71:72], v[95:96], v[71:72], v[87:88]
	s_waitcnt vmcnt(20)
	v_fma_f64 v[87:88], v[97:98], v[73:74], v[71:72]
	;; [unrolled: 5-line block ×6, first 2 shown]
	ds_read_b64 v[73:74], v70 offset:536
	s_waitcnt vmcnt(2) lgkmcnt(0)
	v_fma_f64 v[71:72], v[85:86], v[73:74], v[71:72]
	s_waitcnt vmcnt(0)
	v_add_f64 v[71:72], v[83:84], -v[71:72]
	buffer_store_dword v72, off, s[0:3], 0 offset:100
	buffer_store_dword v71, off, s[0:3], 0 offset:96
	v_cmpx_lt_u32_e32 11, v0
	s_cbranch_execz .LBB97_191
; %bb.190:
	s_clause 0x1
	buffer_load_dword v71, off, s[0:3], 0 offset:88
	buffer_load_dword v72, off, s[0:3], 0 offset:92
	buffer_store_dword v70, off, s[0:3], 0 offset:88
	buffer_store_dword v70, off, s[0:3], 0 offset:92
	s_waitcnt vmcnt(0)
	ds_write_b64 v69, v[71:72]
.LBB97_191:
	s_or_b32 exec_lo, exec_lo, s4
	s_waitcnt lgkmcnt(0)
	s_waitcnt_vscnt null, 0x0
	s_barrier
	buffer_gl0_inv
	s_clause 0x1b
	buffer_load_dword v75, off, s[0:3], 0 offset:96
	buffer_load_dword v76, off, s[0:3], 0 offset:100
	buffer_load_dword v77, off, s[0:3], 0 offset:104
	buffer_load_dword v78, off, s[0:3], 0 offset:108
	buffer_load_dword v79, off, s[0:3], 0 offset:112
	buffer_load_dword v80, off, s[0:3], 0 offset:116
	buffer_load_dword v81, off, s[0:3], 0 offset:120
	buffer_load_dword v82, off, s[0:3], 0 offset:124
	buffer_load_dword v83, off, s[0:3], 0 offset:128
	buffer_load_dword v84, off, s[0:3], 0 offset:132
	buffer_load_dword v85, off, s[0:3], 0 offset:136
	buffer_load_dword v86, off, s[0:3], 0 offset:140
	buffer_load_dword v87, off, s[0:3], 0 offset:144
	buffer_load_dword v88, off, s[0:3], 0 offset:148
	buffer_load_dword v90, off, s[0:3], 0 offset:156
	buffer_load_dword v89, off, s[0:3], 0 offset:152
	buffer_load_dword v91, off, s[0:3], 0 offset:160
	buffer_load_dword v92, off, s[0:3], 0 offset:164
	buffer_load_dword v93, off, s[0:3], 0 offset:168
	buffer_load_dword v94, off, s[0:3], 0 offset:172
	buffer_load_dword v95, off, s[0:3], 0 offset:176
	buffer_load_dword v96, off, s[0:3], 0 offset:180
	buffer_load_dword v98, off, s[0:3], 0 offset:188
	buffer_load_dword v97, off, s[0:3], 0 offset:184
	buffer_load_dword v99, off, s[0:3], 0 offset:192
	buffer_load_dword v100, off, s[0:3], 0 offset:196
	buffer_load_dword v101, off, s[0:3], 0 offset:200
	buffer_load_dword v102, off, s[0:3], 0 offset:204
	ds_read_b128 v[71:74], v70 offset:368
	s_clause 0x1
	buffer_load_dword v103, off, s[0:3], 0 offset:208
	buffer_load_dword v104, off, s[0:3], 0 offset:212
	s_mov_b32 s4, exec_lo
	s_waitcnt vmcnt(28) lgkmcnt(0)
	v_fma_f64 v[71:72], v[75:76], v[71:72], 0
	s_clause 0x1
	buffer_load_dword v76, off, s[0:3], 0 offset:220
	buffer_load_dword v75, off, s[0:3], 0 offset:216
	s_waitcnt vmcnt(28)
	v_fma_f64 v[77:78], v[77:78], v[73:74], v[71:72]
	ds_read_b128 v[71:74], v70 offset:384
	s_clause 0x1
	buffer_load_dword v105, off, s[0:3], 0 offset:224
	buffer_load_dword v106, off, s[0:3], 0 offset:228
	s_waitcnt vmcnt(28) lgkmcnt(0)
	v_fma_f64 v[71:72], v[79:80], v[71:72], v[77:78]
	s_clause 0x1
	buffer_load_dword v77, off, s[0:3], 0 offset:232
	buffer_load_dword v78, off, s[0:3], 0 offset:236
	s_waitcnt vmcnt(28)
	v_fma_f64 v[79:80], v[81:82], v[73:74], v[71:72]
	ds_read_b128 v[71:74], v70 offset:400
	s_clause 0x1
	buffer_load_dword v81, off, s[0:3], 0 offset:240
	buffer_load_dword v82, off, s[0:3], 0 offset:244
	;; [unrolled: 11-line block ×4, first 2 shown]
	s_waitcnt vmcnt(28) lgkmcnt(0)
	v_fma_f64 v[71:72], v[91:92], v[71:72], v[87:88]
	s_waitcnt vmcnt(26)
	v_fma_f64 v[87:88], v[93:94], v[73:74], v[71:72]
	ds_read_b128 v[71:74], v70 offset:448
	s_waitcnt vmcnt(24) lgkmcnt(0)
	v_fma_f64 v[71:72], v[95:96], v[71:72], v[87:88]
	s_waitcnt vmcnt(22)
	v_fma_f64 v[87:88], v[97:98], v[73:74], v[71:72]
	ds_read_b128 v[71:74], v70 offset:464
	;; [unrolled: 5-line block ×6, first 2 shown]
	s_waitcnt vmcnt(4) lgkmcnt(0)
	v_fma_f64 v[70:71], v[85:86], v[70:71], v[74:75]
	s_waitcnt vmcnt(2)
	v_fma_f64 v[70:71], v[83:84], v[72:73], v[70:71]
	s_waitcnt vmcnt(0)
	v_add_f64 v[70:71], v[89:90], -v[70:71]
	buffer_store_dword v71, off, s[0:3], 0 offset:92
	buffer_store_dword v70, off, s[0:3], 0 offset:88
	v_cmpx_lt_u32_e32 10, v0
	s_cbranch_execz .LBB97_193
; %bb.192:
	s_clause 0x1
	buffer_load_dword v70, off, s[0:3], 0 offset:80
	buffer_load_dword v71, off, s[0:3], 0 offset:84
	v_mov_b32_e32 v72, 0
	buffer_store_dword v72, off, s[0:3], 0 offset:80
	buffer_store_dword v72, off, s[0:3], 0 offset:84
	s_waitcnt vmcnt(0)
	ds_write_b64 v69, v[70:71]
.LBB97_193:
	s_or_b32 exec_lo, exec_lo, s4
	s_waitcnt lgkmcnt(0)
	s_waitcnt_vscnt null, 0x0
	s_barrier
	buffer_gl0_inv
	s_clause 0x1b
	buffer_load_dword v75, off, s[0:3], 0 offset:88
	buffer_load_dword v76, off, s[0:3], 0 offset:92
	;; [unrolled: 1-line block ×28, first 2 shown]
	v_mov_b32_e32 v70, 0
	s_mov_b32 s4, exec_lo
	ds_read2_b64 v[71:74], v70 offset0:45 offset1:46
	s_clause 0x1
	buffer_load_dword v103, off, s[0:3], 0 offset:200
	buffer_load_dword v104, off, s[0:3], 0 offset:204
	s_waitcnt vmcnt(28) lgkmcnt(0)
	v_fma_f64 v[71:72], v[75:76], v[71:72], 0
	s_clause 0x1
	buffer_load_dword v76, off, s[0:3], 0 offset:212
	buffer_load_dword v75, off, s[0:3], 0 offset:208
	s_waitcnt vmcnt(28)
	v_fma_f64 v[77:78], v[77:78], v[73:74], v[71:72]
	ds_read2_b64 v[71:74], v70 offset0:47 offset1:48
	s_clause 0x1
	buffer_load_dword v105, off, s[0:3], 0 offset:216
	buffer_load_dword v106, off, s[0:3], 0 offset:220
	s_waitcnt vmcnt(28) lgkmcnt(0)
	v_fma_f64 v[71:72], v[79:80], v[71:72], v[77:78]
	s_clause 0x1
	buffer_load_dword v77, off, s[0:3], 0 offset:224
	buffer_load_dword v78, off, s[0:3], 0 offset:228
	s_waitcnt vmcnt(28)
	v_fma_f64 v[79:80], v[81:82], v[73:74], v[71:72]
	;; [unrolled: 11-line block ×5, first 2 shown]
	ds_read2_b64 v[71:74], v70 offset0:55 offset1:56
	s_waitcnt vmcnt(26) lgkmcnt(0)
	v_fma_f64 v[71:72], v[95:96], v[71:72], v[91:92]
	s_waitcnt vmcnt(24)
	v_fma_f64 v[91:92], v[97:98], v[73:74], v[71:72]
	ds_read2_b64 v[71:74], v70 offset0:57 offset1:58
	s_waitcnt vmcnt(22) lgkmcnt(0)
	v_fma_f64 v[71:72], v[99:100], v[71:72], v[91:92]
	s_waitcnt vmcnt(20)
	v_fma_f64 v[91:92], v[101:102], v[73:74], v[71:72]
	;; [unrolled: 5-line block ×6, first 2 shown]
	ds_read_b64 v[73:74], v70 offset:536
	s_waitcnt vmcnt(2) lgkmcnt(0)
	v_fma_f64 v[71:72], v[89:90], v[73:74], v[71:72]
	s_waitcnt vmcnt(0)
	v_add_f64 v[71:72], v[87:88], -v[71:72]
	buffer_store_dword v72, off, s[0:3], 0 offset:84
	buffer_store_dword v71, off, s[0:3], 0 offset:80
	v_cmpx_lt_u32_e32 9, v0
	s_cbranch_execz .LBB97_195
; %bb.194:
	s_clause 0x1
	buffer_load_dword v71, off, s[0:3], 0 offset:72
	buffer_load_dword v72, off, s[0:3], 0 offset:76
	buffer_store_dword v70, off, s[0:3], 0 offset:72
	buffer_store_dword v70, off, s[0:3], 0 offset:76
	s_waitcnt vmcnt(0)
	ds_write_b64 v69, v[71:72]
.LBB97_195:
	s_or_b32 exec_lo, exec_lo, s4
	s_waitcnt lgkmcnt(0)
	s_waitcnt_vscnt null, 0x0
	s_barrier
	buffer_gl0_inv
	s_clause 0x1b
	buffer_load_dword v75, off, s[0:3], 0 offset:80
	buffer_load_dword v76, off, s[0:3], 0 offset:84
	buffer_load_dword v77, off, s[0:3], 0 offset:88
	buffer_load_dword v78, off, s[0:3], 0 offset:92
	buffer_load_dword v79, off, s[0:3], 0 offset:96
	buffer_load_dword v80, off, s[0:3], 0 offset:100
	buffer_load_dword v81, off, s[0:3], 0 offset:104
	buffer_load_dword v82, off, s[0:3], 0 offset:108
	buffer_load_dword v83, off, s[0:3], 0 offset:112
	buffer_load_dword v84, off, s[0:3], 0 offset:116
	buffer_load_dword v85, off, s[0:3], 0 offset:120
	buffer_load_dword v86, off, s[0:3], 0 offset:124
	buffer_load_dword v87, off, s[0:3], 0 offset:128
	buffer_load_dword v88, off, s[0:3], 0 offset:132
	buffer_load_dword v90, off, s[0:3], 0 offset:140
	buffer_load_dword v89, off, s[0:3], 0 offset:136
	buffer_load_dword v91, off, s[0:3], 0 offset:144
	buffer_load_dword v92, off, s[0:3], 0 offset:148
	buffer_load_dword v93, off, s[0:3], 0 offset:152
	buffer_load_dword v94, off, s[0:3], 0 offset:156
	buffer_load_dword v95, off, s[0:3], 0 offset:160
	buffer_load_dword v96, off, s[0:3], 0 offset:164
	buffer_load_dword v98, off, s[0:3], 0 offset:172
	buffer_load_dword v97, off, s[0:3], 0 offset:168
	buffer_load_dword v99, off, s[0:3], 0 offset:176
	buffer_load_dword v100, off, s[0:3], 0 offset:180
	buffer_load_dword v101, off, s[0:3], 0 offset:184
	buffer_load_dword v102, off, s[0:3], 0 offset:188
	ds_read_b128 v[71:74], v70 offset:352
	s_clause 0x1
	buffer_load_dword v103, off, s[0:3], 0 offset:192
	buffer_load_dword v104, off, s[0:3], 0 offset:196
	s_mov_b32 s4, exec_lo
	s_waitcnt vmcnt(28) lgkmcnt(0)
	v_fma_f64 v[71:72], v[75:76], v[71:72], 0
	s_clause 0x1
	buffer_load_dword v76, off, s[0:3], 0 offset:204
	buffer_load_dword v75, off, s[0:3], 0 offset:200
	s_waitcnt vmcnt(28)
	v_fma_f64 v[77:78], v[77:78], v[73:74], v[71:72]
	ds_read_b128 v[71:74], v70 offset:368
	s_clause 0x1
	buffer_load_dword v105, off, s[0:3], 0 offset:208
	buffer_load_dword v106, off, s[0:3], 0 offset:212
	s_waitcnt vmcnt(28) lgkmcnt(0)
	v_fma_f64 v[71:72], v[79:80], v[71:72], v[77:78]
	s_clause 0x1
	buffer_load_dword v77, off, s[0:3], 0 offset:216
	buffer_load_dword v78, off, s[0:3], 0 offset:220
	s_waitcnt vmcnt(28)
	v_fma_f64 v[79:80], v[81:82], v[73:74], v[71:72]
	ds_read_b128 v[71:74], v70 offset:384
	s_clause 0x1
	buffer_load_dword v81, off, s[0:3], 0 offset:224
	buffer_load_dword v82, off, s[0:3], 0 offset:228
	;; [unrolled: 11-line block ×5, first 2 shown]
	s_waitcnt vmcnt(28) lgkmcnt(0)
	v_fma_f64 v[71:72], v[95:96], v[71:72], v[91:92]
	s_waitcnt vmcnt(26)
	v_fma_f64 v[91:92], v[97:98], v[73:74], v[71:72]
	ds_read_b128 v[71:74], v70 offset:448
	s_waitcnt vmcnt(24) lgkmcnt(0)
	v_fma_f64 v[71:72], v[99:100], v[71:72], v[91:92]
	s_waitcnt vmcnt(22)
	v_fma_f64 v[91:92], v[101:102], v[73:74], v[71:72]
	ds_read_b128 v[71:74], v70 offset:464
	;; [unrolled: 5-line block ×6, first 2 shown]
	s_waitcnt vmcnt(4) lgkmcnt(0)
	v_fma_f64 v[70:71], v[89:90], v[70:71], v[74:75]
	s_waitcnt vmcnt(2)
	v_fma_f64 v[70:71], v[87:88], v[72:73], v[70:71]
	s_waitcnt vmcnt(0)
	v_add_f64 v[70:71], v[93:94], -v[70:71]
	buffer_store_dword v71, off, s[0:3], 0 offset:76
	buffer_store_dword v70, off, s[0:3], 0 offset:72
	v_cmpx_lt_u32_e32 8, v0
	s_cbranch_execz .LBB97_197
; %bb.196:
	s_clause 0x1
	buffer_load_dword v70, off, s[0:3], 0 offset:64
	buffer_load_dword v71, off, s[0:3], 0 offset:68
	v_mov_b32_e32 v72, 0
	buffer_store_dword v72, off, s[0:3], 0 offset:64
	buffer_store_dword v72, off, s[0:3], 0 offset:68
	s_waitcnt vmcnt(0)
	ds_write_b64 v69, v[70:71]
.LBB97_197:
	s_or_b32 exec_lo, exec_lo, s4
	s_waitcnt lgkmcnt(0)
	s_waitcnt_vscnt null, 0x0
	s_barrier
	buffer_gl0_inv
	s_clause 0x1b
	buffer_load_dword v75, off, s[0:3], 0 offset:72
	buffer_load_dword v76, off, s[0:3], 0 offset:76
	;; [unrolled: 1-line block ×28, first 2 shown]
	v_mov_b32_e32 v70, 0
	s_mov_b32 s4, exec_lo
	ds_read2_b64 v[71:74], v70 offset0:43 offset1:44
	s_clause 0x1
	buffer_load_dword v103, off, s[0:3], 0 offset:184
	buffer_load_dword v104, off, s[0:3], 0 offset:188
	s_waitcnt vmcnt(28) lgkmcnt(0)
	v_fma_f64 v[71:72], v[75:76], v[71:72], 0
	s_clause 0x1
	buffer_load_dword v76, off, s[0:3], 0 offset:196
	buffer_load_dword v75, off, s[0:3], 0 offset:192
	s_waitcnt vmcnt(28)
	v_fma_f64 v[77:78], v[77:78], v[73:74], v[71:72]
	ds_read2_b64 v[71:74], v70 offset0:45 offset1:46
	s_clause 0x1
	buffer_load_dword v105, off, s[0:3], 0 offset:200
	buffer_load_dword v106, off, s[0:3], 0 offset:204
	s_waitcnt vmcnt(28) lgkmcnt(0)
	v_fma_f64 v[71:72], v[79:80], v[71:72], v[77:78]
	s_clause 0x1
	buffer_load_dword v77, off, s[0:3], 0 offset:208
	buffer_load_dword v78, off, s[0:3], 0 offset:212
	s_waitcnt vmcnt(28)
	v_fma_f64 v[79:80], v[81:82], v[73:74], v[71:72]
	;; [unrolled: 11-line block ×6, first 2 shown]
	ds_read2_b64 v[71:74], v70 offset0:55 offset1:56
	s_waitcnt vmcnt(26) lgkmcnt(0)
	v_fma_f64 v[71:72], v[99:100], v[71:72], v[95:96]
	s_waitcnt vmcnt(24)
	v_fma_f64 v[95:96], v[101:102], v[73:74], v[71:72]
	ds_read2_b64 v[71:74], v70 offset0:57 offset1:58
	s_waitcnt vmcnt(22) lgkmcnt(0)
	v_fma_f64 v[71:72], v[103:104], v[71:72], v[95:96]
	s_waitcnt vmcnt(20)
	v_fma_f64 v[75:76], v[75:76], v[73:74], v[71:72]
	;; [unrolled: 5-line block ×6, first 2 shown]
	ds_read_b64 v[73:74], v70 offset:536
	s_waitcnt vmcnt(2) lgkmcnt(0)
	v_fma_f64 v[71:72], v[93:94], v[73:74], v[71:72]
	s_waitcnt vmcnt(0)
	v_add_f64 v[71:72], v[91:92], -v[71:72]
	buffer_store_dword v72, off, s[0:3], 0 offset:68
	buffer_store_dword v71, off, s[0:3], 0 offset:64
	v_cmpx_lt_u32_e32 7, v0
	s_cbranch_execz .LBB97_199
; %bb.198:
	s_clause 0x1
	buffer_load_dword v71, off, s[0:3], 0 offset:56
	buffer_load_dword v72, off, s[0:3], 0 offset:60
	buffer_store_dword v70, off, s[0:3], 0 offset:56
	buffer_store_dword v70, off, s[0:3], 0 offset:60
	s_waitcnt vmcnt(0)
	ds_write_b64 v69, v[71:72]
.LBB97_199:
	s_or_b32 exec_lo, exec_lo, s4
	s_waitcnt lgkmcnt(0)
	s_waitcnt_vscnt null, 0x0
	s_barrier
	buffer_gl0_inv
	s_clause 0x1b
	buffer_load_dword v75, off, s[0:3], 0 offset:64
	buffer_load_dword v76, off, s[0:3], 0 offset:68
	;; [unrolled: 1-line block ×28, first 2 shown]
	ds_read_b128 v[71:74], v70 offset:336
	s_clause 0x1
	buffer_load_dword v103, off, s[0:3], 0 offset:176
	buffer_load_dword v104, off, s[0:3], 0 offset:180
	s_mov_b32 s4, exec_lo
	s_waitcnt vmcnt(28) lgkmcnt(0)
	v_fma_f64 v[71:72], v[75:76], v[71:72], 0
	s_clause 0x1
	buffer_load_dword v76, off, s[0:3], 0 offset:188
	buffer_load_dword v75, off, s[0:3], 0 offset:184
	s_waitcnt vmcnt(28)
	v_fma_f64 v[77:78], v[77:78], v[73:74], v[71:72]
	ds_read_b128 v[71:74], v70 offset:352
	s_clause 0x1
	buffer_load_dword v105, off, s[0:3], 0 offset:192
	buffer_load_dword v106, off, s[0:3], 0 offset:196
	s_waitcnt vmcnt(28) lgkmcnt(0)
	v_fma_f64 v[71:72], v[79:80], v[71:72], v[77:78]
	s_clause 0x1
	buffer_load_dword v77, off, s[0:3], 0 offset:200
	buffer_load_dword v78, off, s[0:3], 0 offset:204
	s_waitcnt vmcnt(28)
	v_fma_f64 v[79:80], v[81:82], v[73:74], v[71:72]
	ds_read_b128 v[71:74], v70 offset:368
	s_clause 0x1
	buffer_load_dword v81, off, s[0:3], 0 offset:208
	buffer_load_dword v82, off, s[0:3], 0 offset:212
	;; [unrolled: 11-line block ×6, first 2 shown]
	s_waitcnt vmcnt(28) lgkmcnt(0)
	v_fma_f64 v[71:72], v[99:100], v[71:72], v[95:96]
	s_waitcnt vmcnt(26)
	v_fma_f64 v[95:96], v[101:102], v[73:74], v[71:72]
	ds_read_b128 v[71:74], v70 offset:448
	s_waitcnt vmcnt(24) lgkmcnt(0)
	v_fma_f64 v[71:72], v[103:104], v[71:72], v[95:96]
	s_waitcnt vmcnt(22)
	v_fma_f64 v[75:76], v[75:76], v[73:74], v[71:72]
	ds_read_b128 v[71:74], v70 offset:464
	;; [unrolled: 5-line block ×6, first 2 shown]
	s_waitcnt vmcnt(4) lgkmcnt(0)
	v_fma_f64 v[70:71], v[93:94], v[70:71], v[74:75]
	s_waitcnt vmcnt(2)
	v_fma_f64 v[70:71], v[91:92], v[72:73], v[70:71]
	s_waitcnt vmcnt(0)
	v_add_f64 v[70:71], v[97:98], -v[70:71]
	buffer_store_dword v71, off, s[0:3], 0 offset:60
	buffer_store_dword v70, off, s[0:3], 0 offset:56
	v_cmpx_lt_u32_e32 6, v0
	s_cbranch_execz .LBB97_201
; %bb.200:
	s_clause 0x1
	buffer_load_dword v70, off, s[0:3], 0 offset:48
	buffer_load_dword v71, off, s[0:3], 0 offset:52
	v_mov_b32_e32 v72, 0
	buffer_store_dword v72, off, s[0:3], 0 offset:48
	buffer_store_dword v72, off, s[0:3], 0 offset:52
	s_waitcnt vmcnt(0)
	ds_write_b64 v69, v[70:71]
.LBB97_201:
	s_or_b32 exec_lo, exec_lo, s4
	s_waitcnt lgkmcnt(0)
	s_waitcnt_vscnt null, 0x0
	s_barrier
	buffer_gl0_inv
	s_clause 0x1b
	buffer_load_dword v75, off, s[0:3], 0 offset:56
	buffer_load_dword v76, off, s[0:3], 0 offset:60
	;; [unrolled: 1-line block ×28, first 2 shown]
	v_mov_b32_e32 v70, 0
	s_mov_b32 s4, exec_lo
	ds_read2_b64 v[71:74], v70 offset0:41 offset1:42
	s_clause 0x1
	buffer_load_dword v103, off, s[0:3], 0 offset:168
	buffer_load_dword v104, off, s[0:3], 0 offset:172
	s_waitcnt vmcnt(28) lgkmcnt(0)
	v_fma_f64 v[71:72], v[75:76], v[71:72], 0
	s_clause 0x1
	buffer_load_dword v76, off, s[0:3], 0 offset:180
	buffer_load_dword v75, off, s[0:3], 0 offset:176
	s_waitcnt vmcnt(28)
	v_fma_f64 v[77:78], v[77:78], v[73:74], v[71:72]
	ds_read2_b64 v[71:74], v70 offset0:43 offset1:44
	s_clause 0x1
	buffer_load_dword v105, off, s[0:3], 0 offset:184
	buffer_load_dword v106, off, s[0:3], 0 offset:188
	s_waitcnt vmcnt(28) lgkmcnt(0)
	v_fma_f64 v[71:72], v[79:80], v[71:72], v[77:78]
	s_clause 0x1
	buffer_load_dword v77, off, s[0:3], 0 offset:192
	buffer_load_dword v78, off, s[0:3], 0 offset:196
	s_waitcnt vmcnt(28)
	v_fma_f64 v[79:80], v[81:82], v[73:74], v[71:72]
	;; [unrolled: 11-line block ×7, first 2 shown]
	ds_read2_b64 v[71:74], v70 offset0:55 offset1:56
	s_waitcnt vmcnt(26) lgkmcnt(0)
	v_fma_f64 v[71:72], v[103:104], v[71:72], v[99:100]
	s_waitcnt vmcnt(24)
	v_fma_f64 v[75:76], v[75:76], v[73:74], v[71:72]
	ds_read2_b64 v[71:74], v70 offset0:57 offset1:58
	s_waitcnt vmcnt(22) lgkmcnt(0)
	v_fma_f64 v[71:72], v[105:106], v[71:72], v[75:76]
	s_waitcnt vmcnt(20)
	v_fma_f64 v[75:76], v[77:78], v[73:74], v[71:72]
	;; [unrolled: 5-line block ×6, first 2 shown]
	ds_read_b64 v[73:74], v70 offset:536
	s_waitcnt vmcnt(2) lgkmcnt(0)
	v_fma_f64 v[71:72], v[97:98], v[73:74], v[71:72]
	s_waitcnt vmcnt(0)
	v_add_f64 v[71:72], v[95:96], -v[71:72]
	buffer_store_dword v72, off, s[0:3], 0 offset:52
	buffer_store_dword v71, off, s[0:3], 0 offset:48
	v_cmpx_lt_u32_e32 5, v0
	s_cbranch_execz .LBB97_203
; %bb.202:
	s_clause 0x1
	buffer_load_dword v71, off, s[0:3], 0 offset:40
	buffer_load_dword v72, off, s[0:3], 0 offset:44
	buffer_store_dword v70, off, s[0:3], 0 offset:40
	buffer_store_dword v70, off, s[0:3], 0 offset:44
	s_waitcnt vmcnt(0)
	ds_write_b64 v69, v[71:72]
.LBB97_203:
	s_or_b32 exec_lo, exec_lo, s4
	s_waitcnt lgkmcnt(0)
	s_waitcnt_vscnt null, 0x0
	s_barrier
	buffer_gl0_inv
	s_clause 0x1b
	buffer_load_dword v75, off, s[0:3], 0 offset:48
	buffer_load_dword v76, off, s[0:3], 0 offset:52
	;; [unrolled: 1-line block ×28, first 2 shown]
	ds_read_b128 v[71:74], v70 offset:320
	s_clause 0x1
	buffer_load_dword v103, off, s[0:3], 0 offset:160
	buffer_load_dword v104, off, s[0:3], 0 offset:164
	s_mov_b32 s4, exec_lo
	s_waitcnt vmcnt(28) lgkmcnt(0)
	v_fma_f64 v[71:72], v[75:76], v[71:72], 0
	s_clause 0x1
	buffer_load_dword v76, off, s[0:3], 0 offset:172
	buffer_load_dword v75, off, s[0:3], 0 offset:168
	s_waitcnt vmcnt(28)
	v_fma_f64 v[77:78], v[77:78], v[73:74], v[71:72]
	ds_read_b128 v[71:74], v70 offset:336
	s_clause 0x1
	buffer_load_dword v105, off, s[0:3], 0 offset:176
	buffer_load_dword v106, off, s[0:3], 0 offset:180
	s_waitcnt vmcnt(28) lgkmcnt(0)
	v_fma_f64 v[71:72], v[79:80], v[71:72], v[77:78]
	s_clause 0x1
	buffer_load_dword v77, off, s[0:3], 0 offset:184
	buffer_load_dword v78, off, s[0:3], 0 offset:188
	s_waitcnt vmcnt(28)
	v_fma_f64 v[79:80], v[81:82], v[73:74], v[71:72]
	ds_read_b128 v[71:74], v70 offset:352
	s_clause 0x1
	buffer_load_dword v81, off, s[0:3], 0 offset:192
	buffer_load_dword v82, off, s[0:3], 0 offset:196
	;; [unrolled: 11-line block ×7, first 2 shown]
	s_waitcnt vmcnt(28) lgkmcnt(0)
	v_fma_f64 v[71:72], v[103:104], v[71:72], v[99:100]
	s_waitcnt vmcnt(26)
	v_fma_f64 v[75:76], v[75:76], v[73:74], v[71:72]
	ds_read_b128 v[71:74], v70 offset:448
	s_waitcnt vmcnt(24) lgkmcnt(0)
	v_fma_f64 v[71:72], v[105:106], v[71:72], v[75:76]
	s_waitcnt vmcnt(22)
	v_fma_f64 v[75:76], v[77:78], v[73:74], v[71:72]
	ds_read_b128 v[71:74], v70 offset:464
	;; [unrolled: 5-line block ×6, first 2 shown]
	s_waitcnt vmcnt(4) lgkmcnt(0)
	v_fma_f64 v[70:71], v[97:98], v[70:71], v[74:75]
	s_waitcnt vmcnt(2)
	v_fma_f64 v[70:71], v[95:96], v[72:73], v[70:71]
	s_waitcnt vmcnt(0)
	v_add_f64 v[70:71], v[101:102], -v[70:71]
	buffer_store_dword v71, off, s[0:3], 0 offset:44
	buffer_store_dword v70, off, s[0:3], 0 offset:40
	v_cmpx_lt_u32_e32 4, v0
	s_cbranch_execz .LBB97_205
; %bb.204:
	s_clause 0x1
	buffer_load_dword v70, off, s[0:3], 0 offset:32
	buffer_load_dword v71, off, s[0:3], 0 offset:36
	v_mov_b32_e32 v72, 0
	buffer_store_dword v72, off, s[0:3], 0 offset:32
	buffer_store_dword v72, off, s[0:3], 0 offset:36
	s_waitcnt vmcnt(0)
	ds_write_b64 v69, v[70:71]
.LBB97_205:
	s_or_b32 exec_lo, exec_lo, s4
	s_waitcnt lgkmcnt(0)
	s_waitcnt_vscnt null, 0x0
	s_barrier
	buffer_gl0_inv
	s_clause 0x1b
	buffer_load_dword v75, off, s[0:3], 0 offset:40
	buffer_load_dword v76, off, s[0:3], 0 offset:44
	;; [unrolled: 1-line block ×28, first 2 shown]
	v_mov_b32_e32 v70, 0
	s_mov_b32 s4, exec_lo
	ds_read2_b64 v[71:74], v70 offset0:39 offset1:40
	s_clause 0x1
	buffer_load_dword v103, off, s[0:3], 0 offset:152
	buffer_load_dword v104, off, s[0:3], 0 offset:156
	s_waitcnt vmcnt(28) lgkmcnt(0)
	v_fma_f64 v[71:72], v[75:76], v[71:72], 0
	s_clause 0x1
	buffer_load_dword v76, off, s[0:3], 0 offset:164
	buffer_load_dword v75, off, s[0:3], 0 offset:160
	s_waitcnt vmcnt(28)
	v_fma_f64 v[77:78], v[77:78], v[73:74], v[71:72]
	ds_read2_b64 v[71:74], v70 offset0:41 offset1:42
	s_clause 0x1
	buffer_load_dword v105, off, s[0:3], 0 offset:168
	buffer_load_dword v106, off, s[0:3], 0 offset:172
	s_waitcnt vmcnt(28) lgkmcnt(0)
	v_fma_f64 v[71:72], v[79:80], v[71:72], v[77:78]
	s_clause 0x1
	buffer_load_dword v77, off, s[0:3], 0 offset:176
	buffer_load_dword v78, off, s[0:3], 0 offset:180
	s_waitcnt vmcnt(28)
	v_fma_f64 v[79:80], v[81:82], v[73:74], v[71:72]
	;; [unrolled: 11-line block ×8, first 2 shown]
	ds_read2_b64 v[71:74], v70 offset0:55 offset1:56
	s_waitcnt vmcnt(26) lgkmcnt(0)
	v_fma_f64 v[71:72], v[105:106], v[71:72], v[75:76]
	s_waitcnt vmcnt(24)
	v_fma_f64 v[75:76], v[77:78], v[73:74], v[71:72]
	ds_read2_b64 v[71:74], v70 offset0:57 offset1:58
	s_waitcnt vmcnt(22) lgkmcnt(0)
	v_fma_f64 v[71:72], v[81:82], v[71:72], v[75:76]
	s_waitcnt vmcnt(20)
	v_fma_f64 v[75:76], v[79:80], v[73:74], v[71:72]
	;; [unrolled: 5-line block ×6, first 2 shown]
	ds_read_b64 v[73:74], v70 offset:536
	s_waitcnt vmcnt(2) lgkmcnt(0)
	v_fma_f64 v[71:72], v[101:102], v[73:74], v[71:72]
	s_waitcnt vmcnt(0)
	v_add_f64 v[71:72], v[99:100], -v[71:72]
	buffer_store_dword v72, off, s[0:3], 0 offset:36
	buffer_store_dword v71, off, s[0:3], 0 offset:32
	v_cmpx_lt_u32_e32 3, v0
	s_cbranch_execz .LBB97_207
; %bb.206:
	s_clause 0x1
	buffer_load_dword v71, off, s[0:3], 0 offset:24
	buffer_load_dword v72, off, s[0:3], 0 offset:28
	buffer_store_dword v70, off, s[0:3], 0 offset:24
	buffer_store_dword v70, off, s[0:3], 0 offset:28
	s_waitcnt vmcnt(0)
	ds_write_b64 v69, v[71:72]
.LBB97_207:
	s_or_b32 exec_lo, exec_lo, s4
	s_waitcnt lgkmcnt(0)
	s_waitcnt_vscnt null, 0x0
	s_barrier
	buffer_gl0_inv
	s_clause 0x1b
	buffer_load_dword v75, off, s[0:3], 0 offset:32
	buffer_load_dword v76, off, s[0:3], 0 offset:36
	;; [unrolled: 1-line block ×28, first 2 shown]
	ds_read_b128 v[71:74], v70 offset:304
	s_clause 0x1
	buffer_load_dword v103, off, s[0:3], 0 offset:144
	buffer_load_dword v104, off, s[0:3], 0 offset:148
	s_mov_b32 s4, exec_lo
	s_waitcnt vmcnt(28) lgkmcnt(0)
	v_fma_f64 v[71:72], v[75:76], v[71:72], 0
	s_clause 0x1
	buffer_load_dword v76, off, s[0:3], 0 offset:156
	buffer_load_dword v75, off, s[0:3], 0 offset:152
	s_waitcnt vmcnt(28)
	v_fma_f64 v[77:78], v[77:78], v[73:74], v[71:72]
	ds_read_b128 v[71:74], v70 offset:320
	s_clause 0x1
	buffer_load_dword v105, off, s[0:3], 0 offset:160
	buffer_load_dword v106, off, s[0:3], 0 offset:164
	s_waitcnt vmcnt(28) lgkmcnt(0)
	v_fma_f64 v[71:72], v[79:80], v[71:72], v[77:78]
	s_clause 0x1
	buffer_load_dword v77, off, s[0:3], 0 offset:168
	buffer_load_dword v78, off, s[0:3], 0 offset:172
	s_waitcnt vmcnt(28)
	v_fma_f64 v[79:80], v[81:82], v[73:74], v[71:72]
	ds_read_b128 v[71:74], v70 offset:336
	s_clause 0x1
	buffer_load_dword v81, off, s[0:3], 0 offset:176
	buffer_load_dword v82, off, s[0:3], 0 offset:180
	;; [unrolled: 11-line block ×8, first 2 shown]
	s_waitcnt vmcnt(28) lgkmcnt(0)
	v_fma_f64 v[71:72], v[105:106], v[71:72], v[75:76]
	s_waitcnt vmcnt(26)
	v_fma_f64 v[75:76], v[77:78], v[73:74], v[71:72]
	ds_read_b128 v[71:74], v70 offset:448
	s_waitcnt vmcnt(24) lgkmcnt(0)
	v_fma_f64 v[71:72], v[81:82], v[71:72], v[75:76]
	s_waitcnt vmcnt(22)
	v_fma_f64 v[75:76], v[79:80], v[73:74], v[71:72]
	ds_read_b128 v[71:74], v70 offset:464
	;; [unrolled: 5-line block ×6, first 2 shown]
	s_waitcnt vmcnt(4) lgkmcnt(0)
	v_fma_f64 v[70:71], v[101:102], v[70:71], v[74:75]
	s_waitcnt vmcnt(2)
	v_fma_f64 v[70:71], v[99:100], v[72:73], v[70:71]
	s_waitcnt vmcnt(0)
	v_add_f64 v[70:71], v[103:104], -v[70:71]
	buffer_store_dword v71, off, s[0:3], 0 offset:28
	buffer_store_dword v70, off, s[0:3], 0 offset:24
	v_cmpx_lt_u32_e32 2, v0
	s_cbranch_execz .LBB97_209
; %bb.208:
	s_clause 0x1
	buffer_load_dword v70, off, s[0:3], 0 offset:16
	buffer_load_dword v71, off, s[0:3], 0 offset:20
	v_mov_b32_e32 v72, 0
	buffer_store_dword v72, off, s[0:3], 0 offset:16
	buffer_store_dword v72, off, s[0:3], 0 offset:20
	s_waitcnt vmcnt(0)
	ds_write_b64 v69, v[70:71]
.LBB97_209:
	s_or_b32 exec_lo, exec_lo, s4
	s_waitcnt lgkmcnt(0)
	s_waitcnt_vscnt null, 0x0
	s_barrier
	buffer_gl0_inv
	s_clause 0x1b
	buffer_load_dword v75, off, s[0:3], 0 offset:24
	buffer_load_dword v76, off, s[0:3], 0 offset:28
	;; [unrolled: 1-line block ×28, first 2 shown]
	v_mov_b32_e32 v70, 0
	s_mov_b32 s4, exec_lo
	ds_read2_b64 v[71:74], v70 offset0:37 offset1:38
	s_clause 0x1
	buffer_load_dword v103, off, s[0:3], 0 offset:136
	buffer_load_dword v104, off, s[0:3], 0 offset:140
	s_waitcnt vmcnt(28) lgkmcnt(0)
	v_fma_f64 v[71:72], v[75:76], v[71:72], 0
	s_clause 0x1
	buffer_load_dword v76, off, s[0:3], 0 offset:148
	buffer_load_dword v75, off, s[0:3], 0 offset:144
	s_waitcnt vmcnt(28)
	v_fma_f64 v[77:78], v[77:78], v[73:74], v[71:72]
	ds_read2_b64 v[71:74], v70 offset0:39 offset1:40
	s_clause 0x1
	buffer_load_dword v105, off, s[0:3], 0 offset:152
	buffer_load_dword v106, off, s[0:3], 0 offset:156
	s_waitcnt vmcnt(28) lgkmcnt(0)
	v_fma_f64 v[71:72], v[79:80], v[71:72], v[77:78]
	s_clause 0x1
	buffer_load_dword v77, off, s[0:3], 0 offset:160
	buffer_load_dword v78, off, s[0:3], 0 offset:164
	s_waitcnt vmcnt(28)
	v_fma_f64 v[79:80], v[81:82], v[73:74], v[71:72]
	;; [unrolled: 11-line block ×9, first 2 shown]
	ds_read2_b64 v[71:74], v70 offset0:55 offset1:56
	s_waitcnt vmcnt(26) lgkmcnt(0)
	v_fma_f64 v[71:72], v[81:82], v[71:72], v[77:78]
	s_waitcnt vmcnt(24)
	v_fma_f64 v[77:78], v[79:80], v[73:74], v[71:72]
	ds_read2_b64 v[71:74], v70 offset0:57 offset1:58
	s_waitcnt vmcnt(22) lgkmcnt(0)
	v_fma_f64 v[71:72], v[85:86], v[71:72], v[77:78]
	s_waitcnt vmcnt(20)
	v_fma_f64 v[77:78], v[83:84], v[73:74], v[71:72]
	;; [unrolled: 5-line block ×6, first 2 shown]
	ds_read_b64 v[73:74], v70 offset:536
	s_waitcnt vmcnt(2) lgkmcnt(0)
	v_fma_f64 v[71:72], v[103:104], v[73:74], v[71:72]
	s_waitcnt vmcnt(0)
	v_add_f64 v[71:72], v[75:76], -v[71:72]
	buffer_store_dword v72, off, s[0:3], 0 offset:20
	buffer_store_dword v71, off, s[0:3], 0 offset:16
	v_cmpx_lt_u32_e32 1, v0
	s_cbranch_execz .LBB97_211
; %bb.210:
	s_clause 0x1
	buffer_load_dword v71, off, s[0:3], 0 offset:8
	buffer_load_dword v72, off, s[0:3], 0 offset:12
	buffer_store_dword v70, off, s[0:3], 0 offset:8
	buffer_store_dword v70, off, s[0:3], 0 offset:12
	s_waitcnt vmcnt(0)
	ds_write_b64 v69, v[71:72]
.LBB97_211:
	s_or_b32 exec_lo, exec_lo, s4
	s_waitcnt lgkmcnt(0)
	s_waitcnt_vscnt null, 0x0
	s_barrier
	buffer_gl0_inv
	s_clause 0x1b
	buffer_load_dword v75, off, s[0:3], 0 offset:16
	buffer_load_dword v76, off, s[0:3], 0 offset:20
	;; [unrolled: 1-line block ×28, first 2 shown]
	ds_read_b128 v[71:74], v70 offset:288
	s_clause 0x1
	buffer_load_dword v103, off, s[0:3], 0 offset:128
	buffer_load_dword v104, off, s[0:3], 0 offset:132
	s_mov_b32 s4, exec_lo
	s_waitcnt vmcnt(28) lgkmcnt(0)
	v_fma_f64 v[71:72], v[75:76], v[71:72], 0
	s_clause 0x1
	buffer_load_dword v76, off, s[0:3], 0 offset:140
	buffer_load_dword v75, off, s[0:3], 0 offset:136
	s_waitcnt vmcnt(28)
	v_fma_f64 v[77:78], v[77:78], v[73:74], v[71:72]
	ds_read_b128 v[71:74], v70 offset:304
	s_clause 0x1
	buffer_load_dword v105, off, s[0:3], 0 offset:144
	buffer_load_dword v106, off, s[0:3], 0 offset:148
	s_waitcnt vmcnt(28) lgkmcnt(0)
	v_fma_f64 v[71:72], v[79:80], v[71:72], v[77:78]
	s_clause 0x1
	buffer_load_dword v77, off, s[0:3], 0 offset:152
	buffer_load_dword v78, off, s[0:3], 0 offset:156
	s_waitcnt vmcnt(28)
	v_fma_f64 v[79:80], v[81:82], v[73:74], v[71:72]
	ds_read_b128 v[71:74], v70 offset:320
	s_clause 0x1
	buffer_load_dword v81, off, s[0:3], 0 offset:160
	buffer_load_dword v82, off, s[0:3], 0 offset:164
	;; [unrolled: 11-line block ×9, first 2 shown]
	s_waitcnt vmcnt(28) lgkmcnt(0)
	v_fma_f64 v[71:72], v[81:82], v[71:72], v[77:78]
	s_waitcnt vmcnt(26)
	v_fma_f64 v[77:78], v[79:80], v[73:74], v[71:72]
	ds_read_b128 v[71:74], v70 offset:448
	s_waitcnt vmcnt(24) lgkmcnt(0)
	v_fma_f64 v[71:72], v[85:86], v[71:72], v[77:78]
	s_waitcnt vmcnt(22)
	v_fma_f64 v[77:78], v[83:84], v[73:74], v[71:72]
	ds_read_b128 v[71:74], v70 offset:464
	;; [unrolled: 5-line block ×6, first 2 shown]
	s_waitcnt vmcnt(4) lgkmcnt(0)
	v_fma_f64 v[70:71], v[103:104], v[70:71], v[77:78]
	s_waitcnt vmcnt(2)
	v_fma_f64 v[70:71], v[75:76], v[72:73], v[70:71]
	s_waitcnt vmcnt(0)
	v_add_f64 v[70:71], v[105:106], -v[70:71]
	buffer_store_dword v71, off, s[0:3], 0 offset:12
	buffer_store_dword v70, off, s[0:3], 0 offset:8
	v_cmpx_ne_u32_e32 0, v0
	s_cbranch_execz .LBB97_213
; %bb.212:
	s_clause 0x1
	buffer_load_dword v70, off, s[0:3], 0
	buffer_load_dword v71, off, s[0:3], 0 offset:4
	v_mov_b32_e32 v0, 0
	buffer_store_dword v0, off, s[0:3], 0
	buffer_store_dword v0, off, s[0:3], 0 offset:4
	s_waitcnt vmcnt(0)
	ds_write_b64 v69, v[70:71]
.LBB97_213:
	s_or_b32 exec_lo, exec_lo, s4
	s_waitcnt lgkmcnt(0)
	s_waitcnt_vscnt null, 0x0
	s_barrier
	buffer_gl0_inv
	s_clause 0x1c
	buffer_load_dword v77, off, s[0:3], 0 offset:8
	buffer_load_dword v78, off, s[0:3], 0 offset:12
	;; [unrolled: 1-line block ×29, first 2 shown]
	v_mov_b32_e32 v0, 0
	buffer_load_dword v102, off, s[0:3], 0 offset:124
	s_and_b32 vcc_lo, exec_lo, s16
	ds_read2_b64 v[69:72], v0 offset0:35 offset1:36
	ds_read2_b64 v[73:76], v0 offset0:37 offset1:38
	s_waitcnt vmcnt(28) lgkmcnt(1)
	v_fma_f64 v[69:70], v[77:78], v[69:70], 0
	s_clause 0x7
	buffer_load_dword v78, off, s[0:3], 0 offset:132
	buffer_load_dword v107, off, s[0:3], 0 offset:152
	buffer_load_dword v109, off, s[0:3], 0 offset:144
	buffer_load_dword v111, off, s[0:3], 0 offset:136
	buffer_load_dword v77, off, s[0:3], 0 offset:128
	buffer_load_dword v112, off, s[0:3], 0 offset:140
	buffer_load_dword v110, off, s[0:3], 0 offset:148
	buffer_load_dword v108, off, s[0:3], 0 offset:156
	s_waitcnt vmcnt(34)
	v_fma_f64 v[69:70], v[79:80], v[71:72], v[69:70]
	s_waitcnt vmcnt(32) lgkmcnt(0)
	v_fma_f64 v[69:70], v[81:82], v[73:74], v[69:70]
	s_waitcnt vmcnt(30)
	v_fma_f64 v[79:80], v[83:84], v[75:76], v[69:70]
	ds_read2_b64 v[69:72], v0 offset0:39 offset1:40
	ds_read2_b64 v[73:76], v0 offset0:41 offset1:42
	s_waitcnt vmcnt(28) lgkmcnt(1)
	v_fma_f64 v[69:70], v[85:86], v[69:70], v[79:80]
	s_clause 0x7
	buffer_load_dword v80, off, s[0:3], 0 offset:164
	buffer_load_dword v81, off, s[0:3], 0 offset:184
	buffer_load_dword v83, off, s[0:3], 0 offset:176
	buffer_load_dword v85, off, s[0:3], 0 offset:168
	buffer_load_dword v79, off, s[0:3], 0 offset:160
	buffer_load_dword v86, off, s[0:3], 0 offset:172
	buffer_load_dword v84, off, s[0:3], 0 offset:180
	buffer_load_dword v82, off, s[0:3], 0 offset:188
	s_waitcnt vmcnt(34)
	v_fma_f64 v[69:70], v[87:88], v[71:72], v[69:70]
	s_waitcnt vmcnt(32) lgkmcnt(0)
	v_fma_f64 v[69:70], v[89:90], v[73:74], v[69:70]
	s_waitcnt vmcnt(27)
	v_fma_f64 v[87:88], v[91:92], v[75:76], v[69:70]
	;; [unrolled: 19-line block ×4, first 2 shown]
	ds_read2_b64 v[69:72], v0 offset0:51 offset1:52
	ds_read2_b64 v[73:76], v0 offset0:53 offset1:54
	s_waitcnt vmcnt(26) lgkmcnt(1)
	v_fma_f64 v[77:78], v[111:112], v[69:70], v[77:78]
	s_clause 0x5
	buffer_load_dword v70, off, s[0:3], 0 offset:260
	buffer_load_dword v101, off, s[0:3], 0 offset:264
	;; [unrolled: 1-line block ×4, first 2 shown]
	buffer_load_dword v103, off, s[0:3], 0
	buffer_load_dword v104, off, s[0:3], 0 offset:4
	s_waitcnt vmcnt(31)
	v_fma_f64 v[71:72], v[109:110], v[71:72], v[77:78]
	s_waitcnt vmcnt(30) lgkmcnt(0)
	v_fma_f64 v[71:72], v[107:108], v[73:74], v[71:72]
	s_waitcnt vmcnt(25)
	v_fma_f64 v[79:80], v[79:80], v[75:76], v[71:72]
	ds_read2_b64 v[71:74], v0 offset0:55 offset1:56
	ds_read2_b64 v[75:78], v0 offset0:57 offset1:58
	s_waitcnt vmcnt(24) lgkmcnt(1)
	v_fma_f64 v[71:72], v[85:86], v[71:72], v[79:80]
	s_waitcnt vmcnt(23)
	v_fma_f64 v[71:72], v[83:84], v[73:74], v[71:72]
	s_waitcnt vmcnt(22) lgkmcnt(0)
	v_fma_f64 v[71:72], v[81:82], v[75:76], v[71:72]
	s_waitcnt vmcnt(17)
	v_fma_f64 v[79:80], v[87:88], v[77:78], v[71:72]
	ds_read2_b64 v[71:74], v0 offset0:59 offset1:60
	ds_read2_b64 v[75:78], v0 offset0:61 offset1:62
	s_waitcnt vmcnt(16) lgkmcnt(1)
	v_fma_f64 v[71:72], v[97:98], v[71:72], v[79:80]
	;; [unrolled: 10-line block ×3, first 2 shown]
	s_waitcnt vmcnt(7)
	v_fma_f64 v[71:72], v[99:100], v[73:74], v[71:72]
	ds_read_b64 v[73:74], v0 offset:536
	s_waitcnt vmcnt(6) lgkmcnt(1)
	v_fma_f64 v[71:72], v[95:96], v[75:76], v[71:72]
	s_waitcnt vmcnt(3)
	v_fma_f64 v[71:72], v[69:70], v[77:78], v[71:72]
	s_waitcnt vmcnt(2) lgkmcnt(0)
	v_fma_f64 v[71:72], v[101:102], v[73:74], v[71:72]
	s_waitcnt vmcnt(0)
	v_add_f64 v[71:72], v[103:104], -v[71:72]
	buffer_store_dword v72, off, s[0:3], 0 offset:4
	buffer_store_dword v71, off, s[0:3], 0
	s_cbranch_vccz .LBB97_280
; %bb.214:
	global_load_dword v0, v0, s[12:13] offset:128
	s_waitcnt vmcnt(0)
	v_add_nc_u32_e32 v0, -1, v0
	v_cmp_ne_u32_e32 vcc_lo, 32, v0
	s_cbranch_vccz .LBB97_216
; %bb.215:
	v_lshlrev_b32_e32 v0, 3, v0
	s_clause 0x1
	buffer_load_dword v71, v0, s[0:3], 0 offen offset:4
	buffer_load_dword v72, v0, s[0:3], 0 offen
	s_waitcnt vmcnt(1)
	buffer_store_dword v71, off, s[0:3], 0 offset:260
	s_waitcnt vmcnt(0)
	buffer_store_dword v72, off, s[0:3], 0 offset:256
	buffer_store_dword v70, v0, s[0:3], 0 offen offset:4
	buffer_store_dword v69, v0, s[0:3], 0 offen
.LBB97_216:
	v_mov_b32_e32 v0, 0
	global_load_dword v69, v0, s[12:13] offset:124
	s_waitcnt vmcnt(0)
	v_add_nc_u32_e32 v69, -1, v69
	v_cmp_eq_u32_e32 vcc_lo, 31, v69
	s_cbranch_vccnz .LBB97_218
; %bb.217:
	v_lshlrev_b32_e32 v69, 3, v69
	s_clause 0x3
	buffer_load_dword v70, v69, s[0:3], 0 offen
	buffer_load_dword v71, v69, s[0:3], 0 offen offset:4
	buffer_load_dword v72, off, s[0:3], 0 offset:248
	buffer_load_dword v73, off, s[0:3], 0 offset:252
	s_waitcnt vmcnt(3)
	buffer_store_dword v70, off, s[0:3], 0 offset:248
	s_waitcnt vmcnt(2)
	buffer_store_dword v71, off, s[0:3], 0 offset:252
	s_waitcnt vmcnt(1)
	buffer_store_dword v72, v69, s[0:3], 0 offen
	s_waitcnt vmcnt(0)
	buffer_store_dword v73, v69, s[0:3], 0 offen offset:4
.LBB97_218:
	global_load_dword v0, v0, s[12:13] offset:120
	s_waitcnt vmcnt(0)
	v_add_nc_u32_e32 v0, -1, v0
	v_cmp_eq_u32_e32 vcc_lo, 30, v0
	s_cbranch_vccnz .LBB97_220
; %bb.219:
	v_lshlrev_b32_e32 v0, 3, v0
	s_clause 0x3
	buffer_load_dword v69, v0, s[0:3], 0 offen
	buffer_load_dword v70, v0, s[0:3], 0 offen offset:4
	buffer_load_dword v71, off, s[0:3], 0 offset:244
	buffer_load_dword v72, off, s[0:3], 0 offset:240
	s_waitcnt vmcnt(3)
	buffer_store_dword v69, off, s[0:3], 0 offset:240
	s_waitcnt vmcnt(2)
	buffer_store_dword v70, off, s[0:3], 0 offset:244
	s_waitcnt vmcnt(1)
	buffer_store_dword v71, v0, s[0:3], 0 offen offset:4
	s_waitcnt vmcnt(0)
	buffer_store_dword v72, v0, s[0:3], 0 offen
.LBB97_220:
	v_mov_b32_e32 v0, 0
	global_load_dword v69, v0, s[12:13] offset:116
	s_waitcnt vmcnt(0)
	v_add_nc_u32_e32 v69, -1, v69
	v_cmp_eq_u32_e32 vcc_lo, 29, v69
	s_cbranch_vccnz .LBB97_222
; %bb.221:
	v_lshlrev_b32_e32 v69, 3, v69
	s_clause 0x3
	buffer_load_dword v70, v69, s[0:3], 0 offen
	buffer_load_dword v71, v69, s[0:3], 0 offen offset:4
	buffer_load_dword v72, off, s[0:3], 0 offset:232
	buffer_load_dword v73, off, s[0:3], 0 offset:236
	s_waitcnt vmcnt(3)
	buffer_store_dword v70, off, s[0:3], 0 offset:232
	s_waitcnt vmcnt(2)
	buffer_store_dword v71, off, s[0:3], 0 offset:236
	s_waitcnt vmcnt(1)
	buffer_store_dword v72, v69, s[0:3], 0 offen
	s_waitcnt vmcnt(0)
	buffer_store_dword v73, v69, s[0:3], 0 offen offset:4
.LBB97_222:
	global_load_dword v0, v0, s[12:13] offset:112
	s_waitcnt vmcnt(0)
	v_add_nc_u32_e32 v0, -1, v0
	v_cmp_eq_u32_e32 vcc_lo, 28, v0
	s_cbranch_vccnz .LBB97_224
; %bb.223:
	v_lshlrev_b32_e32 v0, 3, v0
	s_clause 0x3
	buffer_load_dword v69, v0, s[0:3], 0 offen
	buffer_load_dword v70, v0, s[0:3], 0 offen offset:4
	buffer_load_dword v71, off, s[0:3], 0 offset:228
	buffer_load_dword v72, off, s[0:3], 0 offset:224
	s_waitcnt vmcnt(3)
	buffer_store_dword v69, off, s[0:3], 0 offset:224
	s_waitcnt vmcnt(2)
	buffer_store_dword v70, off, s[0:3], 0 offset:228
	s_waitcnt vmcnt(1)
	buffer_store_dword v71, v0, s[0:3], 0 offen offset:4
	s_waitcnt vmcnt(0)
	buffer_store_dword v72, v0, s[0:3], 0 offen
.LBB97_224:
	;; [unrolled: 43-line block ×15, first 2 shown]
	v_mov_b32_e32 v0, 0
	global_load_dword v69, v0, s[12:13] offset:4
	s_waitcnt vmcnt(0)
	v_add_nc_u32_e32 v69, -1, v69
	v_cmp_eq_u32_e32 vcc_lo, 1, v69
	s_cbranch_vccnz .LBB97_278
; %bb.277:
	v_lshlrev_b32_e32 v69, 3, v69
	s_clause 0x3
	buffer_load_dword v70, v69, s[0:3], 0 offen
	buffer_load_dword v71, v69, s[0:3], 0 offen offset:4
	buffer_load_dword v72, off, s[0:3], 0 offset:8
	buffer_load_dword v73, off, s[0:3], 0 offset:12
	s_waitcnt vmcnt(3)
	buffer_store_dword v70, off, s[0:3], 0 offset:8
	s_waitcnt vmcnt(2)
	buffer_store_dword v71, off, s[0:3], 0 offset:12
	s_waitcnt vmcnt(1)
	buffer_store_dword v72, v69, s[0:3], 0 offen
	s_waitcnt vmcnt(0)
	buffer_store_dword v73, v69, s[0:3], 0 offen offset:4
.LBB97_278:
	global_load_dword v0, v0, s[12:13]
	s_clause 0x1
	buffer_load_dword v71, off, s[0:3], 0
	buffer_load_dword v72, off, s[0:3], 0 offset:4
	s_waitcnt vmcnt(2)
	v_add_nc_u32_e32 v0, -1, v0
	v_cmp_eq_u32_e32 vcc_lo, 0, v0
	s_cbranch_vccnz .LBB97_280
; %bb.279:
	v_lshlrev_b32_e32 v0, 3, v0
	s_clause 0x1
	buffer_load_dword v69, v0, s[0:3], 0 offen offset:4
	buffer_load_dword v70, v0, s[0:3], 0 offen
	s_waitcnt vmcnt(1)
	buffer_store_dword v69, off, s[0:3], 0 offset:4
	s_waitcnt vmcnt(0)
	buffer_store_dword v70, off, s[0:3], 0
	buffer_store_dword v72, v0, s[0:3], 0 offen offset:4
	buffer_store_dword v71, v0, s[0:3], 0 offen
	s_clause 0x1
	buffer_load_dword v71, off, s[0:3], 0
	buffer_load_dword v72, off, s[0:3], 0 offset:4
.LBB97_280:
	s_waitcnt vmcnt(0)
	flat_store_dwordx2 v[1:2], v[71:72]
	s_clause 0x1
	buffer_load_dword v0, off, s[0:3], 0 offset:8
	buffer_load_dword v1, off, s[0:3], 0 offset:12
	s_waitcnt vmcnt(0)
	flat_store_dwordx2 v[3:4], v[0:1]
	s_clause 0x1
	buffer_load_dword v0, off, s[0:3], 0 offset:16
	buffer_load_dword v1, off, s[0:3], 0 offset:20
	;; [unrolled: 5-line block ×33, first 2 shown]
	s_waitcnt vmcnt(0)
	flat_store_dwordx2 v[67:68], v[0:1]
	s_endpgm
	.section	.rodata,"a",@progbits
	.p2align	6, 0x0
	.amdhsa_kernel _ZN9rocsolver6v33100L18getri_kernel_smallILi34EdPKPdEEvT1_iilPiilS6_bb
		.amdhsa_group_segment_fixed_size 552
		.amdhsa_private_segment_fixed_size 288
		.amdhsa_kernarg_size 60
		.amdhsa_user_sgpr_count 6
		.amdhsa_user_sgpr_private_segment_buffer 1
		.amdhsa_user_sgpr_dispatch_ptr 0
		.amdhsa_user_sgpr_queue_ptr 0
		.amdhsa_user_sgpr_kernarg_segment_ptr 1
		.amdhsa_user_sgpr_dispatch_id 0
		.amdhsa_user_sgpr_flat_scratch_init 0
		.amdhsa_user_sgpr_private_segment_size 0
		.amdhsa_wavefront_size32 1
		.amdhsa_uses_dynamic_stack 0
		.amdhsa_system_sgpr_private_segment_wavefront_offset 1
		.amdhsa_system_sgpr_workgroup_id_x 1
		.amdhsa_system_sgpr_workgroup_id_y 0
		.amdhsa_system_sgpr_workgroup_id_z 0
		.amdhsa_system_sgpr_workgroup_info 0
		.amdhsa_system_vgpr_workitem_id 0
		.amdhsa_next_free_vgpr 113
		.amdhsa_next_free_sgpr 20
		.amdhsa_reserve_vcc 1
		.amdhsa_reserve_flat_scratch 0
		.amdhsa_float_round_mode_32 0
		.amdhsa_float_round_mode_16_64 0
		.amdhsa_float_denorm_mode_32 3
		.amdhsa_float_denorm_mode_16_64 3
		.amdhsa_dx10_clamp 1
		.amdhsa_ieee_mode 1
		.amdhsa_fp16_overflow 0
		.amdhsa_workgroup_processor_mode 1
		.amdhsa_memory_ordered 1
		.amdhsa_forward_progress 1
		.amdhsa_shared_vgpr_count 0
		.amdhsa_exception_fp_ieee_invalid_op 0
		.amdhsa_exception_fp_denorm_src 0
		.amdhsa_exception_fp_ieee_div_zero 0
		.amdhsa_exception_fp_ieee_overflow 0
		.amdhsa_exception_fp_ieee_underflow 0
		.amdhsa_exception_fp_ieee_inexact 0
		.amdhsa_exception_int_div_zero 0
	.end_amdhsa_kernel
	.section	.text._ZN9rocsolver6v33100L18getri_kernel_smallILi34EdPKPdEEvT1_iilPiilS6_bb,"axG",@progbits,_ZN9rocsolver6v33100L18getri_kernel_smallILi34EdPKPdEEvT1_iilPiilS6_bb,comdat
.Lfunc_end97:
	.size	_ZN9rocsolver6v33100L18getri_kernel_smallILi34EdPKPdEEvT1_iilPiilS6_bb, .Lfunc_end97-_ZN9rocsolver6v33100L18getri_kernel_smallILi34EdPKPdEEvT1_iilPiilS6_bb
                                        ; -- End function
	.set _ZN9rocsolver6v33100L18getri_kernel_smallILi34EdPKPdEEvT1_iilPiilS6_bb.num_vgpr, 113
	.set _ZN9rocsolver6v33100L18getri_kernel_smallILi34EdPKPdEEvT1_iilPiilS6_bb.num_agpr, 0
	.set _ZN9rocsolver6v33100L18getri_kernel_smallILi34EdPKPdEEvT1_iilPiilS6_bb.numbered_sgpr, 20
	.set _ZN9rocsolver6v33100L18getri_kernel_smallILi34EdPKPdEEvT1_iilPiilS6_bb.num_named_barrier, 0
	.set _ZN9rocsolver6v33100L18getri_kernel_smallILi34EdPKPdEEvT1_iilPiilS6_bb.private_seg_size, 288
	.set _ZN9rocsolver6v33100L18getri_kernel_smallILi34EdPKPdEEvT1_iilPiilS6_bb.uses_vcc, 1
	.set _ZN9rocsolver6v33100L18getri_kernel_smallILi34EdPKPdEEvT1_iilPiilS6_bb.uses_flat_scratch, 0
	.set _ZN9rocsolver6v33100L18getri_kernel_smallILi34EdPKPdEEvT1_iilPiilS6_bb.has_dyn_sized_stack, 0
	.set _ZN9rocsolver6v33100L18getri_kernel_smallILi34EdPKPdEEvT1_iilPiilS6_bb.has_recursion, 0
	.set _ZN9rocsolver6v33100L18getri_kernel_smallILi34EdPKPdEEvT1_iilPiilS6_bb.has_indirect_call, 0
	.section	.AMDGPU.csdata,"",@progbits
; Kernel info:
; codeLenInByte = 38028
; TotalNumSgprs: 22
; NumVgprs: 113
; ScratchSize: 288
; MemoryBound: 1
; FloatMode: 240
; IeeeMode: 1
; LDSByteSize: 552 bytes/workgroup (compile time only)
; SGPRBlocks: 0
; VGPRBlocks: 14
; NumSGPRsForWavesPerEU: 22
; NumVGPRsForWavesPerEU: 113
; Occupancy: 8
; WaveLimiterHint : 1
; COMPUTE_PGM_RSRC2:SCRATCH_EN: 1
; COMPUTE_PGM_RSRC2:USER_SGPR: 6
; COMPUTE_PGM_RSRC2:TRAP_HANDLER: 0
; COMPUTE_PGM_RSRC2:TGID_X_EN: 1
; COMPUTE_PGM_RSRC2:TGID_Y_EN: 0
; COMPUTE_PGM_RSRC2:TGID_Z_EN: 0
; COMPUTE_PGM_RSRC2:TIDIG_COMP_CNT: 0
	.section	.text._ZN9rocsolver6v33100L18getri_kernel_smallILi35EdPKPdEEvT1_iilPiilS6_bb,"axG",@progbits,_ZN9rocsolver6v33100L18getri_kernel_smallILi35EdPKPdEEvT1_iilPiilS6_bb,comdat
	.globl	_ZN9rocsolver6v33100L18getri_kernel_smallILi35EdPKPdEEvT1_iilPiilS6_bb ; -- Begin function _ZN9rocsolver6v33100L18getri_kernel_smallILi35EdPKPdEEvT1_iilPiilS6_bb
	.p2align	8
	.type	_ZN9rocsolver6v33100L18getri_kernel_smallILi35EdPKPdEEvT1_iilPiilS6_bb,@function
_ZN9rocsolver6v33100L18getri_kernel_smallILi35EdPKPdEEvT1_iilPiilS6_bb: ; @_ZN9rocsolver6v33100L18getri_kernel_smallILi35EdPKPdEEvT1_iilPiilS6_bb
; %bb.0:
	s_add_u32 s0, s0, s7
	s_addc_u32 s1, s1, 0
	s_mov_b32 s7, exec_lo
	v_cmpx_gt_u32_e32 35, v0
	s_cbranch_execz .LBB98_150
; %bb.1:
	s_clause 0x2
	s_load_dword s17, s[4:5], 0x38
	s_load_dwordx2 s[12:13], s[4:5], 0x0
	s_load_dwordx4 s[8:11], s[4:5], 0x28
	s_waitcnt lgkmcnt(0)
	s_bitcmp1_b32 s17, 8
	s_cselect_b32 s16, -1, 0
	s_ashr_i32 s7, s6, 31
	s_lshl_b64 s[14:15], s[6:7], 3
	s_add_u32 s12, s12, s14
	s_addc_u32 s13, s13, s15
	s_load_dwordx2 s[14:15], s[12:13], 0x0
	s_bfe_u32 s12, s17, 0x10008
	s_cmp_eq_u32 s12, 0
                                        ; implicit-def: $sgpr12_sgpr13
	s_cbranch_scc1 .LBB98_3
; %bb.2:
	s_clause 0x1
	s_load_dword s12, s[4:5], 0x20
	s_load_dwordx2 s[18:19], s[4:5], 0x18
	s_mul_i32 s13, s8, s7
	s_mul_hi_u32 s17, s8, s6
	s_mul_i32 s9, s9, s6
	s_add_i32 s13, s17, s13
	s_mul_i32 s8, s8, s6
	s_add_i32 s9, s13, s9
	s_lshl_b64 s[8:9], s[8:9], 2
	s_waitcnt lgkmcnt(0)
	s_ashr_i32 s13, s12, 31
	s_add_u32 s17, s18, s8
	s_addc_u32 s18, s19, s9
	s_lshl_b64 s[8:9], s[12:13], 2
	s_add_u32 s12, s17, s8
	s_addc_u32 s13, s18, s9
.LBB98_3:
	s_clause 0x1
	s_load_dwordx2 s[8:9], s[4:5], 0x8
	s_load_dword s17, s[4:5], 0x38
	v_lshlrev_b32_e32 v73, 3, v0
	s_waitcnt lgkmcnt(0)
	s_ashr_i32 s5, s8, 31
	s_mov_b32 s4, s8
	v_add3_u32 v9, s9, s9, v0
	s_lshl_b64 s[4:5], s[4:5], 3
	s_add_u32 s4, s14, s4
	s_addc_u32 s5, s15, s5
	v_add_co_u32 v1, s8, s4, v73
	v_add_co_ci_u32_e64 v2, null, s5, 0, s8
	s_mov_b32 s14, s9
	s_ashr_i32 s15, s9, 31
	v_ashrrev_i32_e32 v10, 31, v9
	flat_load_dwordx2 v[5:6], v[1:2]
	s_lshl_b64 s[14:15], s[14:15], 3
	v_add_nc_u32_e32 v12, s9, v9
	v_add_co_u32 v3, vcc_lo, v1, s14
	v_add_co_ci_u32_e64 v4, null, s15, v2, vcc_lo
	v_ashrrev_i32_e32 v13, 31, v12
	s_bitcmp0_b32 s17, 0
	s_waitcnt vmcnt(0) lgkmcnt(0)
	buffer_store_dword v6, off, s[0:3], 0 offset:4
	buffer_store_dword v5, off, s[0:3], 0
	flat_load_dwordx2 v[7:8], v[3:4]
	v_lshlrev_b64 v[5:6], 3, v[9:10]
	s_waitcnt vmcnt(0) lgkmcnt(0)
	buffer_store_dword v8, off, s[0:3], 0 offset:12
	buffer_store_dword v7, off, s[0:3], 0 offset:8
	v_add_co_u32 v5, vcc_lo, s4, v5
	v_add_co_ci_u32_e64 v6, null, s5, v6, vcc_lo
	v_lshlrev_b64 v[7:8], 3, v[12:13]
	flat_load_dwordx2 v[10:11], v[5:6]
	s_waitcnt vmcnt(0) lgkmcnt(0)
	buffer_store_dword v11, off, s[0:3], 0 offset:20
	buffer_store_dword v10, off, s[0:3], 0 offset:16
	v_add_co_u32 v7, vcc_lo, s4, v7
	v_add_co_ci_u32_e64 v8, null, s5, v8, vcc_lo
	v_add_nc_u32_e32 v11, s9, v12
	flat_load_dwordx2 v[13:14], v[7:8]
	s_waitcnt vmcnt(0) lgkmcnt(0)
	buffer_store_dword v14, off, s[0:3], 0 offset:28
	buffer_store_dword v13, off, s[0:3], 0 offset:24
	v_ashrrev_i32_e32 v12, 31, v11
	v_add_nc_u32_e32 v15, s9, v11
	v_lshlrev_b64 v[9:10], 3, v[11:12]
	v_ashrrev_i32_e32 v16, 31, v15
	v_add_nc_u32_e32 v18, s9, v15
	v_add_co_u32 v9, vcc_lo, s4, v9
	v_add_co_ci_u32_e64 v10, null, s5, v10, vcc_lo
	v_lshlrev_b64 v[11:12], 3, v[15:16]
	v_ashrrev_i32_e32 v19, 31, v18
	flat_load_dwordx2 v[13:14], v[9:10]
	s_waitcnt vmcnt(0) lgkmcnt(0)
	buffer_store_dword v14, off, s[0:3], 0 offset:36
	buffer_store_dword v13, off, s[0:3], 0 offset:32
	v_add_co_u32 v11, vcc_lo, s4, v11
	v_add_co_ci_u32_e64 v12, null, s5, v12, vcc_lo
	v_lshlrev_b64 v[13:14], 3, v[18:19]
	flat_load_dwordx2 v[16:17], v[11:12]
	s_waitcnt vmcnt(0) lgkmcnt(0)
	buffer_store_dword v17, off, s[0:3], 0 offset:44
	buffer_store_dword v16, off, s[0:3], 0 offset:40
	v_add_co_u32 v13, vcc_lo, s4, v13
	v_add_co_ci_u32_e64 v14, null, s5, v14, vcc_lo
	v_add_nc_u32_e32 v17, s9, v18
	flat_load_dwordx2 v[19:20], v[13:14]
	s_waitcnt vmcnt(0) lgkmcnt(0)
	buffer_store_dword v20, off, s[0:3], 0 offset:52
	buffer_store_dword v19, off, s[0:3], 0 offset:48
	v_ashrrev_i32_e32 v18, 31, v17
	v_add_nc_u32_e32 v21, s9, v17
	v_lshlrev_b64 v[15:16], 3, v[17:18]
	v_ashrrev_i32_e32 v22, 31, v21
	v_add_nc_u32_e32 v24, s9, v21
	v_add_co_u32 v15, vcc_lo, s4, v15
	v_add_co_ci_u32_e64 v16, null, s5, v16, vcc_lo
	v_lshlrev_b64 v[17:18], 3, v[21:22]
	v_ashrrev_i32_e32 v25, 31, v24
	flat_load_dwordx2 v[19:20], v[15:16]
	s_waitcnt vmcnt(0) lgkmcnt(0)
	buffer_store_dword v20, off, s[0:3], 0 offset:60
	buffer_store_dword v19, off, s[0:3], 0 offset:56
	v_add_co_u32 v17, vcc_lo, s4, v17
	v_add_co_ci_u32_e64 v18, null, s5, v18, vcc_lo
	v_lshlrev_b64 v[19:20], 3, v[24:25]
	flat_load_dwordx2 v[22:23], v[17:18]
	s_waitcnt vmcnt(0) lgkmcnt(0)
	buffer_store_dword v23, off, s[0:3], 0 offset:68
	buffer_store_dword v22, off, s[0:3], 0 offset:64
	v_add_co_u32 v19, vcc_lo, s4, v19
	v_add_co_ci_u32_e64 v20, null, s5, v20, vcc_lo
	v_add_nc_u32_e32 v23, s9, v24
	flat_load_dwordx2 v[25:26], v[19:20]
	s_waitcnt vmcnt(0) lgkmcnt(0)
	buffer_store_dword v26, off, s[0:3], 0 offset:76
	buffer_store_dword v25, off, s[0:3], 0 offset:72
	v_ashrrev_i32_e32 v24, 31, v23
	v_add_nc_u32_e32 v27, s9, v23
	v_lshlrev_b64 v[21:22], 3, v[23:24]
	v_ashrrev_i32_e32 v28, 31, v27
	v_add_nc_u32_e32 v30, s9, v27
	v_add_co_u32 v21, vcc_lo, s4, v21
	v_add_co_ci_u32_e64 v22, null, s5, v22, vcc_lo
	v_lshlrev_b64 v[23:24], 3, v[27:28]
	v_ashrrev_i32_e32 v31, 31, v30
	flat_load_dwordx2 v[25:26], v[21:22]
	s_waitcnt vmcnt(0) lgkmcnt(0)
	buffer_store_dword v26, off, s[0:3], 0 offset:84
	buffer_store_dword v25, off, s[0:3], 0 offset:80
	v_add_co_u32 v23, vcc_lo, s4, v23
	v_add_co_ci_u32_e64 v24, null, s5, v24, vcc_lo
	v_lshlrev_b64 v[25:26], 3, v[30:31]
	flat_load_dwordx2 v[28:29], v[23:24]
	s_waitcnt vmcnt(0) lgkmcnt(0)
	buffer_store_dword v29, off, s[0:3], 0 offset:92
	buffer_store_dword v28, off, s[0:3], 0 offset:88
	v_add_co_u32 v25, vcc_lo, s4, v25
	v_add_co_ci_u32_e64 v26, null, s5, v26, vcc_lo
	v_add_nc_u32_e32 v29, s9, v30
	flat_load_dwordx2 v[31:32], v[25:26]
	s_waitcnt vmcnt(0) lgkmcnt(0)
	buffer_store_dword v32, off, s[0:3], 0 offset:100
	buffer_store_dword v31, off, s[0:3], 0 offset:96
	v_ashrrev_i32_e32 v30, 31, v29
	v_add_nc_u32_e32 v33, s9, v29
	v_lshlrev_b64 v[27:28], 3, v[29:30]
	v_ashrrev_i32_e32 v34, 31, v33
	v_add_nc_u32_e32 v36, s9, v33
	v_add_co_u32 v27, vcc_lo, s4, v27
	v_add_co_ci_u32_e64 v28, null, s5, v28, vcc_lo
	v_lshlrev_b64 v[29:30], 3, v[33:34]
	v_ashrrev_i32_e32 v37, 31, v36
	flat_load_dwordx2 v[31:32], v[27:28]
	s_waitcnt vmcnt(0) lgkmcnt(0)
	buffer_store_dword v32, off, s[0:3], 0 offset:108
	buffer_store_dword v31, off, s[0:3], 0 offset:104
	v_add_co_u32 v29, vcc_lo, s4, v29
	v_add_co_ci_u32_e64 v30, null, s5, v30, vcc_lo
	v_lshlrev_b64 v[31:32], 3, v[36:37]
	flat_load_dwordx2 v[34:35], v[29:30]
	s_waitcnt vmcnt(0) lgkmcnt(0)
	buffer_store_dword v35, off, s[0:3], 0 offset:116
	buffer_store_dword v34, off, s[0:3], 0 offset:112
	v_add_co_u32 v31, vcc_lo, s4, v31
	v_add_co_ci_u32_e64 v32, null, s5, v32, vcc_lo
	v_add_nc_u32_e32 v35, s9, v36
	flat_load_dwordx2 v[37:38], v[31:32]
	s_waitcnt vmcnt(0) lgkmcnt(0)
	buffer_store_dword v38, off, s[0:3], 0 offset:124
	buffer_store_dword v37, off, s[0:3], 0 offset:120
	v_ashrrev_i32_e32 v36, 31, v35
	v_add_nc_u32_e32 v39, s9, v35
	v_lshlrev_b64 v[33:34], 3, v[35:36]
	v_ashrrev_i32_e32 v40, 31, v39
	v_add_nc_u32_e32 v42, s9, v39
	v_add_co_u32 v33, vcc_lo, s4, v33
	v_add_co_ci_u32_e64 v34, null, s5, v34, vcc_lo
	v_lshlrev_b64 v[35:36], 3, v[39:40]
	v_ashrrev_i32_e32 v43, 31, v42
	flat_load_dwordx2 v[37:38], v[33:34]
	s_waitcnt vmcnt(0) lgkmcnt(0)
	buffer_store_dword v38, off, s[0:3], 0 offset:132
	buffer_store_dword v37, off, s[0:3], 0 offset:128
	v_add_co_u32 v35, vcc_lo, s4, v35
	v_add_co_ci_u32_e64 v36, null, s5, v36, vcc_lo
	v_lshlrev_b64 v[37:38], 3, v[42:43]
	flat_load_dwordx2 v[40:41], v[35:36]
	s_waitcnt vmcnt(0) lgkmcnt(0)
	buffer_store_dword v41, off, s[0:3], 0 offset:140
	buffer_store_dword v40, off, s[0:3], 0 offset:136
	v_add_co_u32 v37, vcc_lo, s4, v37
	v_add_co_ci_u32_e64 v38, null, s5, v38, vcc_lo
	v_add_nc_u32_e32 v41, s9, v42
	flat_load_dwordx2 v[43:44], v[37:38]
	s_waitcnt vmcnt(0) lgkmcnt(0)
	buffer_store_dword v44, off, s[0:3], 0 offset:148
	buffer_store_dword v43, off, s[0:3], 0 offset:144
	v_ashrrev_i32_e32 v42, 31, v41
	v_add_nc_u32_e32 v45, s9, v41
	v_lshlrev_b64 v[39:40], 3, v[41:42]
	v_ashrrev_i32_e32 v46, 31, v45
	v_add_nc_u32_e32 v48, s9, v45
	v_add_co_u32 v39, vcc_lo, s4, v39
	v_add_co_ci_u32_e64 v40, null, s5, v40, vcc_lo
	v_lshlrev_b64 v[41:42], 3, v[45:46]
	v_ashrrev_i32_e32 v49, 31, v48
	flat_load_dwordx2 v[43:44], v[39:40]
	s_waitcnt vmcnt(0) lgkmcnt(0)
	buffer_store_dword v44, off, s[0:3], 0 offset:156
	buffer_store_dword v43, off, s[0:3], 0 offset:152
	v_add_co_u32 v41, vcc_lo, s4, v41
	v_add_co_ci_u32_e64 v42, null, s5, v42, vcc_lo
	v_lshlrev_b64 v[43:44], 3, v[48:49]
	flat_load_dwordx2 v[46:47], v[41:42]
	s_waitcnt vmcnt(0) lgkmcnt(0)
	buffer_store_dword v47, off, s[0:3], 0 offset:164
	buffer_store_dword v46, off, s[0:3], 0 offset:160
	v_add_co_u32 v43, vcc_lo, s4, v43
	v_add_co_ci_u32_e64 v44, null, s5, v44, vcc_lo
	v_add_nc_u32_e32 v47, s9, v48
	flat_load_dwordx2 v[49:50], v[43:44]
	s_waitcnt vmcnt(0) lgkmcnt(0)
	buffer_store_dword v50, off, s[0:3], 0 offset:172
	buffer_store_dword v49, off, s[0:3], 0 offset:168
	v_ashrrev_i32_e32 v48, 31, v47
	v_add_nc_u32_e32 v51, s9, v47
	v_lshlrev_b64 v[45:46], 3, v[47:48]
	v_ashrrev_i32_e32 v52, 31, v51
	v_add_nc_u32_e32 v54, s9, v51
	v_add_co_u32 v45, vcc_lo, s4, v45
	v_add_co_ci_u32_e64 v46, null, s5, v46, vcc_lo
	v_lshlrev_b64 v[47:48], 3, v[51:52]
	v_ashrrev_i32_e32 v55, 31, v54
	flat_load_dwordx2 v[49:50], v[45:46]
	s_waitcnt vmcnt(0) lgkmcnt(0)
	buffer_store_dword v50, off, s[0:3], 0 offset:180
	buffer_store_dword v49, off, s[0:3], 0 offset:176
	v_add_co_u32 v47, vcc_lo, s4, v47
	v_add_co_ci_u32_e64 v48, null, s5, v48, vcc_lo
	v_lshlrev_b64 v[49:50], 3, v[54:55]
	flat_load_dwordx2 v[52:53], v[47:48]
	s_waitcnt vmcnt(0) lgkmcnt(0)
	buffer_store_dword v53, off, s[0:3], 0 offset:188
	buffer_store_dword v52, off, s[0:3], 0 offset:184
	v_add_co_u32 v49, vcc_lo, s4, v49
	v_add_co_ci_u32_e64 v50, null, s5, v50, vcc_lo
	v_add_nc_u32_e32 v53, s9, v54
	flat_load_dwordx2 v[55:56], v[49:50]
	s_waitcnt vmcnt(0) lgkmcnt(0)
	buffer_store_dword v56, off, s[0:3], 0 offset:196
	buffer_store_dword v55, off, s[0:3], 0 offset:192
	v_ashrrev_i32_e32 v54, 31, v53
	v_add_nc_u32_e32 v57, s9, v53
	v_lshlrev_b64 v[51:52], 3, v[53:54]
	v_ashrrev_i32_e32 v58, 31, v57
	v_add_nc_u32_e32 v60, s9, v57
	v_add_co_u32 v51, vcc_lo, s4, v51
	v_add_co_ci_u32_e64 v52, null, s5, v52, vcc_lo
	v_lshlrev_b64 v[53:54], 3, v[57:58]
	v_ashrrev_i32_e32 v61, 31, v60
	flat_load_dwordx2 v[55:56], v[51:52]
	s_waitcnt vmcnt(0) lgkmcnt(0)
	buffer_store_dword v56, off, s[0:3], 0 offset:204
	buffer_store_dword v55, off, s[0:3], 0 offset:200
	v_add_co_u32 v53, vcc_lo, s4, v53
	v_add_co_ci_u32_e64 v54, null, s5, v54, vcc_lo
	v_lshlrev_b64 v[55:56], 3, v[60:61]
	flat_load_dwordx2 v[58:59], v[53:54]
	s_waitcnt vmcnt(0) lgkmcnt(0)
	buffer_store_dword v59, off, s[0:3], 0 offset:212
	buffer_store_dword v58, off, s[0:3], 0 offset:208
	v_add_co_u32 v55, vcc_lo, s4, v55
	v_add_co_ci_u32_e64 v56, null, s5, v56, vcc_lo
	v_add_nc_u32_e32 v59, s9, v60
	flat_load_dwordx2 v[61:62], v[55:56]
	s_waitcnt vmcnt(0) lgkmcnt(0)
	buffer_store_dword v62, off, s[0:3], 0 offset:220
	buffer_store_dword v61, off, s[0:3], 0 offset:216
	v_ashrrev_i32_e32 v60, 31, v59
	v_add_nc_u32_e32 v63, s9, v59
	v_lshlrev_b64 v[57:58], 3, v[59:60]
	v_ashrrev_i32_e32 v64, 31, v63
	v_add_nc_u32_e32 v66, s9, v63
	v_add_co_u32 v57, vcc_lo, s4, v57
	v_add_co_ci_u32_e64 v58, null, s5, v58, vcc_lo
	v_lshlrev_b64 v[59:60], 3, v[63:64]
	v_ashrrev_i32_e32 v67, 31, v66
	flat_load_dwordx2 v[61:62], v[57:58]
	s_waitcnt vmcnt(0) lgkmcnt(0)
	buffer_store_dword v62, off, s[0:3], 0 offset:228
	buffer_store_dword v61, off, s[0:3], 0 offset:224
	v_add_co_u32 v59, vcc_lo, s4, v59
	v_add_co_ci_u32_e64 v60, null, s5, v60, vcc_lo
	v_lshlrev_b64 v[61:62], 3, v[66:67]
	flat_load_dwordx2 v[64:65], v[59:60]
	s_waitcnt vmcnt(0) lgkmcnt(0)
	buffer_store_dword v65, off, s[0:3], 0 offset:236
	buffer_store_dword v64, off, s[0:3], 0 offset:232
	v_add_co_u32 v61, vcc_lo, s4, v61
	v_add_co_ci_u32_e64 v62, null, s5, v62, vcc_lo
	v_add_nc_u32_e32 v65, s9, v66
	flat_load_dwordx2 v[67:68], v[61:62]
	s_waitcnt vmcnt(0) lgkmcnt(0)
	buffer_store_dword v68, off, s[0:3], 0 offset:244
	buffer_store_dword v67, off, s[0:3], 0 offset:240
	v_ashrrev_i32_e32 v66, 31, v65
	v_add_nc_u32_e32 v69, s9, v65
	v_lshlrev_b64 v[63:64], 3, v[65:66]
	v_ashrrev_i32_e32 v70, 31, v69
	v_add_nc_u32_e32 v74, s9, v69
	v_add_co_u32 v63, vcc_lo, s4, v63
	v_add_co_ci_u32_e64 v64, null, s5, v64, vcc_lo
	v_lshlrev_b64 v[65:66], 3, v[69:70]
	v_ashrrev_i32_e32 v75, 31, v74
	v_add_nc_u32_e32 v69, s9, v74
	flat_load_dwordx2 v[67:68], v[63:64]
	s_waitcnt vmcnt(0) lgkmcnt(0)
	buffer_store_dword v68, off, s[0:3], 0 offset:252
	buffer_store_dword v67, off, s[0:3], 0 offset:248
	v_add_co_u32 v65, vcc_lo, s4, v65
	v_add_co_ci_u32_e64 v66, null, s5, v66, vcc_lo
	v_lshlrev_b64 v[67:68], 3, v[74:75]
	flat_load_dwordx2 v[70:71], v[65:66]
	s_waitcnt vmcnt(0) lgkmcnt(0)
	buffer_store_dword v71, off, s[0:3], 0 offset:260
	buffer_store_dword v70, off, s[0:3], 0 offset:256
	v_add_co_u32 v67, vcc_lo, s4, v67
	v_add_co_ci_u32_e64 v68, null, s5, v68, vcc_lo
	v_ashrrev_i32_e32 v70, 31, v69
	flat_load_dwordx2 v[71:72], v[67:68]
	s_waitcnt vmcnt(0) lgkmcnt(0)
	buffer_store_dword v72, off, s[0:3], 0 offset:268
	buffer_store_dword v71, off, s[0:3], 0 offset:264
	v_lshlrev_b64 v[69:70], 3, v[69:70]
	v_add_co_u32 v69, vcc_lo, s4, v69
	v_add_co_ci_u32_e64 v70, null, s5, v70, vcc_lo
	s_mov_b32 s5, -1
	flat_load_dwordx2 v[71:72], v[69:70]
	s_waitcnt vmcnt(0) lgkmcnt(0)
	buffer_store_dword v72, off, s[0:3], 0 offset:276
	buffer_store_dword v71, off, s[0:3], 0 offset:272
	s_cbranch_scc1 .LBB98_148
; %bb.4:
	v_cmp_eq_u32_e64 s4, 0, v0
	s_and_saveexec_b32 s5, s4
; %bb.5:
	v_mov_b32_e32 v71, 0
	ds_write_b32 v71, v71 offset:280
; %bb.6:
	s_or_b32 exec_lo, exec_lo, s5
	v_lshl_add_u32 v71, v0, 3, 0
	s_waitcnt lgkmcnt(0)
	s_waitcnt_vscnt null, 0x0
	s_barrier
	buffer_gl0_inv
	s_mov_b32 s8, exec_lo
	s_clause 0x1
	buffer_load_dword v74, v71, s[0:3], 0 offen
	buffer_load_dword v75, v71, s[0:3], 0 offen offset:4
	s_waitcnt vmcnt(0)
	v_cmpx_eq_f64_e32 0, v[74:75]
	s_cbranch_execz .LBB98_10
; %bb.7:
	v_mov_b32_e32 v72, 0
	s_mov_b32 s9, 0
	ds_read_b32 v74, v72 offset:280
	s_waitcnt lgkmcnt(0)
	v_readfirstlane_b32 s5, v74
	v_add_nc_u32_e32 v74, 1, v0
	s_cmp_eq_u32 s5, 0
	v_cmp_gt_i32_e32 vcc_lo, s5, v74
	s_cselect_b32 s14, -1, 0
	s_or_b32 s14, s14, vcc_lo
	s_and_b32 exec_lo, exec_lo, s14
	s_cbranch_execz .LBB98_10
; %bb.8:
	v_mov_b32_e32 v75, s5
.LBB98_9:                               ; =>This Inner Loop Header: Depth=1
	ds_cmpst_rtn_b32 v75, v72, v75, v74 offset:280
	s_waitcnt lgkmcnt(0)
	v_cmp_ne_u32_e32 vcc_lo, 0, v75
	v_cmp_le_i32_e64 s5, v75, v74
	s_and_b32 s5, vcc_lo, s5
	s_and_b32 s5, exec_lo, s5
	s_or_b32 s9, s5, s9
	s_andn2_b32 exec_lo, exec_lo, s9
	s_cbranch_execnz .LBB98_9
.LBB98_10:
	s_or_b32 exec_lo, exec_lo, s8
	v_mov_b32_e32 v72, 0
	s_barrier
	buffer_gl0_inv
	ds_read_b32 v74, v72 offset:280
	s_and_saveexec_b32 s5, s4
	s_cbranch_execz .LBB98_12
; %bb.11:
	s_lshl_b64 s[8:9], s[6:7], 2
	s_add_u32 s8, s10, s8
	s_addc_u32 s9, s11, s9
	s_waitcnt lgkmcnt(0)
	global_store_dword v72, v74, s[8:9]
.LBB98_12:
	s_or_b32 exec_lo, exec_lo, s5
	s_waitcnt lgkmcnt(0)
	v_cmp_ne_u32_e32 vcc_lo, 0, v74
	s_mov_b32 s5, 0
	s_cbranch_vccnz .LBB98_148
; %bb.13:
	s_clause 0x1
	buffer_load_dword v74, v71, s[0:3], 0 offen
	buffer_load_dword v75, v71, s[0:3], 0 offen offset:4
	s_waitcnt vmcnt(0)
	v_div_scale_f64 v[76:77], null, v[74:75], v[74:75], 1.0
	v_div_scale_f64 v[82:83], vcc_lo, 1.0, v[74:75], 1.0
	v_rcp_f64_e32 v[78:79], v[76:77]
	v_fma_f64 v[80:81], -v[76:77], v[78:79], 1.0
	v_fma_f64 v[78:79], v[78:79], v[80:81], v[78:79]
	v_fma_f64 v[80:81], -v[76:77], v[78:79], 1.0
	v_fma_f64 v[78:79], v[78:79], v[80:81], v[78:79]
	v_mul_f64 v[80:81], v[82:83], v[78:79]
	v_fma_f64 v[76:77], -v[76:77], v[80:81], v[82:83]
	v_div_fmas_f64 v[76:77], v[76:77], v[78:79], v[80:81]
	v_div_fixup_f64 v[75:76], v[76:77], v[74:75], 1.0
	v_add_nc_u32_e32 v74, 0x120, v73
	buffer_store_dword v76, v71, s[0:3], 0 offen offset:4
	buffer_store_dword v75, v71, s[0:3], 0 offen
	s_clause 0x1
	buffer_load_dword v78, off, s[0:3], 0 offset:12
	buffer_load_dword v77, off, s[0:3], 0 offset:8
	v_xor_b32_e32 v76, 0x80000000, v76
	s_waitcnt vmcnt(0)
	ds_write2_b64 v73, v[75:76], v[77:78] offset1:36
	s_waitcnt lgkmcnt(0)
	s_waitcnt_vscnt null, 0x0
	s_barrier
	buffer_gl0_inv
	s_and_saveexec_b32 s5, s4
	s_cbranch_execz .LBB98_15
; %bb.14:
	s_clause 0x1
	buffer_load_dword v75, v71, s[0:3], 0 offen
	buffer_load_dword v76, v71, s[0:3], 0 offen offset:4
	ds_read_b64 v[77:78], v74
	v_mov_b32_e32 v72, 0
	ds_read_b64 v[79:80], v72 offset:8
	s_waitcnt vmcnt(0) lgkmcnt(1)
	v_fma_f64 v[75:76], v[75:76], v[77:78], 0
	s_waitcnt lgkmcnt(0)
	v_mul_f64 v[75:76], v[75:76], v[79:80]
	buffer_store_dword v75, off, s[0:3], 0 offset:8
	buffer_store_dword v76, off, s[0:3], 0 offset:12
.LBB98_15:
	s_or_b32 exec_lo, exec_lo, s5
	s_waitcnt_vscnt null, 0x0
	s_barrier
	buffer_gl0_inv
	s_clause 0x1
	buffer_load_dword v75, off, s[0:3], 0 offset:16
	buffer_load_dword v76, off, s[0:3], 0 offset:20
	s_mov_b32 s5, exec_lo
	s_waitcnt vmcnt(0)
	ds_write_b64 v74, v[75:76]
	s_waitcnt lgkmcnt(0)
	s_barrier
	buffer_gl0_inv
	v_cmpx_gt_u32_e32 2, v0
	s_cbranch_execz .LBB98_19
; %bb.16:
	s_clause 0x1
	buffer_load_dword v75, v71, s[0:3], 0 offen
	buffer_load_dword v76, v71, s[0:3], 0 offen offset:4
	ds_read_b64 v[71:72], v74
	s_waitcnt vmcnt(0) lgkmcnt(0)
	v_fma_f64 v[71:72], v[75:76], v[71:72], 0
	s_and_saveexec_b32 s8, s4
	s_cbranch_execz .LBB98_18
; %bb.17:
	s_clause 0x1
	buffer_load_dword v75, off, s[0:3], 0 offset:8
	buffer_load_dword v76, off, s[0:3], 0 offset:12
	v_mov_b32_e32 v77, 0
	ds_read_b64 v[77:78], v77 offset:296
	s_waitcnt vmcnt(0) lgkmcnt(0)
	v_fma_f64 v[71:72], v[75:76], v[77:78], v[71:72]
.LBB98_18:
	s_or_b32 exec_lo, exec_lo, s8
	v_mov_b32_e32 v75, 0
	ds_read_b64 v[75:76], v75 offset:16
	s_waitcnt lgkmcnt(0)
	v_mul_f64 v[71:72], v[71:72], v[75:76]
	buffer_store_dword v72, off, s[0:3], 0 offset:20
	buffer_store_dword v71, off, s[0:3], 0 offset:16
.LBB98_19:
	s_or_b32 exec_lo, exec_lo, s5
	s_waitcnt_vscnt null, 0x0
	s_barrier
	buffer_gl0_inv
	s_clause 0x1
	buffer_load_dword v71, off, s[0:3], 0 offset:24
	buffer_load_dword v72, off, s[0:3], 0 offset:28
	v_add_nc_u32_e32 v75, -1, v0
	s_mov_b32 s4, exec_lo
	s_waitcnt vmcnt(0)
	ds_write_b64 v74, v[71:72]
	s_waitcnt lgkmcnt(0)
	s_barrier
	buffer_gl0_inv
	v_cmpx_gt_u32_e32 3, v0
	s_cbranch_execz .LBB98_23
; %bb.20:
	v_mov_b32_e32 v71, 0
	v_add_nc_u32_e32 v76, -1, v0
	v_add_nc_u32_e32 v77, 0x120, v73
	v_mov_b32_e32 v72, 0
	v_mov_b32_e32 v78, v73
	s_mov_b32 s5, 0
.LBB98_21:                              ; =>This Inner Loop Header: Depth=1
	s_clause 0x1
	buffer_load_dword v79, v78, s[0:3], 0 offen
	buffer_load_dword v80, v78, s[0:3], 0 offen offset:4
	ds_read_b64 v[81:82], v77
	v_add_nc_u32_e32 v76, 1, v76
	v_add_nc_u32_e32 v77, 8, v77
	v_add_nc_u32_e32 v78, 8, v78
	v_cmp_lt_u32_e32 vcc_lo, 1, v76
	s_or_b32 s5, vcc_lo, s5
	s_waitcnt vmcnt(0) lgkmcnt(0)
	v_fma_f64 v[71:72], v[79:80], v[81:82], v[71:72]
	s_andn2_b32 exec_lo, exec_lo, s5
	s_cbranch_execnz .LBB98_21
; %bb.22:
	s_or_b32 exec_lo, exec_lo, s5
	v_mov_b32_e32 v76, 0
	ds_read_b64 v[76:77], v76 offset:24
	s_waitcnt lgkmcnt(0)
	v_mul_f64 v[71:72], v[71:72], v[76:77]
	buffer_store_dword v72, off, s[0:3], 0 offset:28
	buffer_store_dword v71, off, s[0:3], 0 offset:24
.LBB98_23:
	s_or_b32 exec_lo, exec_lo, s4
	s_waitcnt_vscnt null, 0x0
	s_barrier
	buffer_gl0_inv
	s_clause 0x1
	buffer_load_dword v71, off, s[0:3], 0 offset:32
	buffer_load_dword v72, off, s[0:3], 0 offset:36
	s_mov_b32 s4, exec_lo
	s_waitcnt vmcnt(0)
	ds_write_b64 v74, v[71:72]
	s_waitcnt lgkmcnt(0)
	s_barrier
	buffer_gl0_inv
	v_cmpx_gt_u32_e32 4, v0
	s_cbranch_execz .LBB98_27
; %bb.24:
	v_mov_b32_e32 v71, 0
	v_add_nc_u32_e32 v76, -1, v0
	v_add_nc_u32_e32 v77, 0x120, v73
	v_mov_b32_e32 v72, 0
	v_mov_b32_e32 v78, v73
	s_mov_b32 s5, 0
.LBB98_25:                              ; =>This Inner Loop Header: Depth=1
	s_clause 0x1
	buffer_load_dword v79, v78, s[0:3], 0 offen
	buffer_load_dword v80, v78, s[0:3], 0 offen offset:4
	ds_read_b64 v[81:82], v77
	v_add_nc_u32_e32 v76, 1, v76
	v_add_nc_u32_e32 v77, 8, v77
	v_add_nc_u32_e32 v78, 8, v78
	v_cmp_lt_u32_e32 vcc_lo, 2, v76
	s_or_b32 s5, vcc_lo, s5
	s_waitcnt vmcnt(0) lgkmcnt(0)
	v_fma_f64 v[71:72], v[79:80], v[81:82], v[71:72]
	s_andn2_b32 exec_lo, exec_lo, s5
	s_cbranch_execnz .LBB98_25
; %bb.26:
	s_or_b32 exec_lo, exec_lo, s5
	v_mov_b32_e32 v76, 0
	ds_read_b64 v[76:77], v76 offset:32
	s_waitcnt lgkmcnt(0)
	v_mul_f64 v[71:72], v[71:72], v[76:77]
	buffer_store_dword v72, off, s[0:3], 0 offset:36
	buffer_store_dword v71, off, s[0:3], 0 offset:32
.LBB98_27:
	s_or_b32 exec_lo, exec_lo, s4
	s_waitcnt_vscnt null, 0x0
	s_barrier
	buffer_gl0_inv
	s_clause 0x1
	buffer_load_dword v71, off, s[0:3], 0 offset:40
	buffer_load_dword v72, off, s[0:3], 0 offset:44
	;; [unrolled: 45-line block ×20, first 2 shown]
	s_mov_b32 s4, exec_lo
	s_waitcnt vmcnt(0)
	ds_write_b64 v74, v[71:72]
	s_waitcnt lgkmcnt(0)
	s_barrier
	buffer_gl0_inv
	v_cmpx_gt_u32_e32 23, v0
	s_cbranch_execz .LBB98_103
; %bb.100:
	v_mov_b32_e32 v71, 0
	v_add_nc_u32_e32 v76, -1, v0
	v_add_nc_u32_e32 v77, 0x120, v73
	v_mov_b32_e32 v72, 0
	v_mov_b32_e32 v78, v73
	s_mov_b32 s5, 0
.LBB98_101:                             ; =>This Inner Loop Header: Depth=1
	s_clause 0x1
	buffer_load_dword v79, v78, s[0:3], 0 offen
	buffer_load_dword v80, v78, s[0:3], 0 offen offset:4
	ds_read_b64 v[81:82], v77
	v_add_nc_u32_e32 v76, 1, v76
	v_add_nc_u32_e32 v77, 8, v77
	v_add_nc_u32_e32 v78, 8, v78
	v_cmp_lt_u32_e32 vcc_lo, 21, v76
	s_or_b32 s5, vcc_lo, s5
	s_waitcnt vmcnt(0) lgkmcnt(0)
	v_fma_f64 v[71:72], v[79:80], v[81:82], v[71:72]
	s_andn2_b32 exec_lo, exec_lo, s5
	s_cbranch_execnz .LBB98_101
; %bb.102:
	s_or_b32 exec_lo, exec_lo, s5
	v_mov_b32_e32 v76, 0
	ds_read_b64 v[76:77], v76 offset:184
	s_waitcnt lgkmcnt(0)
	v_mul_f64 v[71:72], v[71:72], v[76:77]
	buffer_store_dword v72, off, s[0:3], 0 offset:188
	buffer_store_dword v71, off, s[0:3], 0 offset:184
.LBB98_103:
	s_or_b32 exec_lo, exec_lo, s4
	s_waitcnt_vscnt null, 0x0
	s_barrier
	buffer_gl0_inv
	s_clause 0x1
	buffer_load_dword v71, off, s[0:3], 0 offset:192
	buffer_load_dword v72, off, s[0:3], 0 offset:196
	s_mov_b32 s4, exec_lo
	s_waitcnt vmcnt(0)
	ds_write_b64 v74, v[71:72]
	s_waitcnt lgkmcnt(0)
	s_barrier
	buffer_gl0_inv
	v_cmpx_gt_u32_e32 24, v0
	s_cbranch_execz .LBB98_107
; %bb.104:
	v_mov_b32_e32 v71, 0
	v_add_nc_u32_e32 v76, -1, v0
	v_add_nc_u32_e32 v77, 0x120, v73
	v_mov_b32_e32 v72, 0
	v_mov_b32_e32 v78, v73
	s_mov_b32 s5, 0
.LBB98_105:                             ; =>This Inner Loop Header: Depth=1
	s_clause 0x1
	buffer_load_dword v79, v78, s[0:3], 0 offen
	buffer_load_dword v80, v78, s[0:3], 0 offen offset:4
	ds_read_b64 v[81:82], v77
	v_add_nc_u32_e32 v76, 1, v76
	v_add_nc_u32_e32 v77, 8, v77
	v_add_nc_u32_e32 v78, 8, v78
	v_cmp_lt_u32_e32 vcc_lo, 22, v76
	s_or_b32 s5, vcc_lo, s5
	s_waitcnt vmcnt(0) lgkmcnt(0)
	v_fma_f64 v[71:72], v[79:80], v[81:82], v[71:72]
	s_andn2_b32 exec_lo, exec_lo, s5
	s_cbranch_execnz .LBB98_105
; %bb.106:
	s_or_b32 exec_lo, exec_lo, s5
	v_mov_b32_e32 v76, 0
	ds_read_b64 v[76:77], v76 offset:192
	s_waitcnt lgkmcnt(0)
	v_mul_f64 v[71:72], v[71:72], v[76:77]
	buffer_store_dword v72, off, s[0:3], 0 offset:196
	buffer_store_dword v71, off, s[0:3], 0 offset:192
.LBB98_107:
	s_or_b32 exec_lo, exec_lo, s4
	s_waitcnt_vscnt null, 0x0
	s_barrier
	buffer_gl0_inv
	s_clause 0x1
	buffer_load_dword v71, off, s[0:3], 0 offset:200
	buffer_load_dword v72, off, s[0:3], 0 offset:204
	;; [unrolled: 45-line block ×11, first 2 shown]
	s_mov_b32 s4, exec_lo
	s_waitcnt vmcnt(0)
	ds_write_b64 v74, v[71:72]
	s_waitcnt lgkmcnt(0)
	s_barrier
	buffer_gl0_inv
	v_cmpx_ne_u32_e32 34, v0
	s_cbranch_execz .LBB98_147
; %bb.144:
	v_mov_b32_e32 v71, 0
	v_mov_b32_e32 v72, 0
	s_mov_b32 s5, 0
.LBB98_145:                             ; =>This Inner Loop Header: Depth=1
	s_clause 0x1
	buffer_load_dword v76, v73, s[0:3], 0 offen
	buffer_load_dword v77, v73, s[0:3], 0 offen offset:4
	ds_read_b64 v[78:79], v74
	v_add_nc_u32_e32 v75, 1, v75
	v_add_nc_u32_e32 v74, 8, v74
	;; [unrolled: 1-line block ×3, first 2 shown]
	v_cmp_lt_u32_e32 vcc_lo, 32, v75
	s_or_b32 s5, vcc_lo, s5
	s_waitcnt vmcnt(0) lgkmcnt(0)
	v_fma_f64 v[71:72], v[76:77], v[78:79], v[71:72]
	s_andn2_b32 exec_lo, exec_lo, s5
	s_cbranch_execnz .LBB98_145
; %bb.146:
	s_or_b32 exec_lo, exec_lo, s5
	v_mov_b32_e32 v73, 0
	ds_read_b64 v[73:74], v73 offset:272
	s_waitcnt lgkmcnt(0)
	v_mul_f64 v[71:72], v[71:72], v[73:74]
	buffer_store_dword v72, off, s[0:3], 0 offset:276
	buffer_store_dword v71, off, s[0:3], 0 offset:272
.LBB98_147:
	s_or_b32 exec_lo, exec_lo, s4
	s_mov_b32 s5, -1
	s_waitcnt_vscnt null, 0x0
	s_barrier
	buffer_gl0_inv
.LBB98_148:
	s_and_b32 vcc_lo, exec_lo, s5
	s_cbranch_vccz .LBB98_150
; %bb.149:
	s_lshl_b64 s[4:5], s[6:7], 2
	v_mov_b32_e32 v71, 0
	s_add_u32 s4, s10, s4
	s_addc_u32 s5, s11, s5
	global_load_dword v71, v71, s[4:5]
	s_waitcnt vmcnt(0)
	v_cmp_ne_u32_e32 vcc_lo, 0, v71
	s_cbranch_vccz .LBB98_151
.LBB98_150:
	s_endpgm
.LBB98_151:
	v_lshl_add_u32 v71, v0, 3, 0x120
	s_mov_b32 s4, exec_lo
	v_cmpx_eq_u32_e32 34, v0
	s_cbranch_execz .LBB98_153
; %bb.152:
	s_clause 0x1
	buffer_load_dword v72, off, s[0:3], 0 offset:264
	buffer_load_dword v73, off, s[0:3], 0 offset:268
	v_mov_b32_e32 v74, 0
	buffer_store_dword v74, off, s[0:3], 0 offset:264
	buffer_store_dword v74, off, s[0:3], 0 offset:268
	s_waitcnt vmcnt(0)
	ds_write_b64 v71, v[72:73]
.LBB98_153:
	s_or_b32 exec_lo, exec_lo, s4
	s_waitcnt lgkmcnt(0)
	s_waitcnt_vscnt null, 0x0
	s_barrier
	buffer_gl0_inv
	s_clause 0x3
	buffer_load_dword v73, off, s[0:3], 0 offset:272
	buffer_load_dword v74, off, s[0:3], 0 offset:276
	buffer_load_dword v75, off, s[0:3], 0 offset:264
	buffer_load_dword v76, off, s[0:3], 0 offset:268
	v_mov_b32_e32 v72, 0
	s_mov_b32 s4, exec_lo
	ds_read_b64 v[77:78], v72 offset:560
	s_waitcnt vmcnt(2) lgkmcnt(0)
	v_fma_f64 v[73:74], v[73:74], v[77:78], 0
	s_waitcnt vmcnt(0)
	v_add_f64 v[73:74], v[75:76], -v[73:74]
	buffer_store_dword v73, off, s[0:3], 0 offset:264
	buffer_store_dword v74, off, s[0:3], 0 offset:268
	v_cmpx_lt_u32_e32 32, v0
	s_cbranch_execz .LBB98_155
; %bb.154:
	s_clause 0x1
	buffer_load_dword v73, off, s[0:3], 0 offset:256
	buffer_load_dword v74, off, s[0:3], 0 offset:260
	buffer_store_dword v72, off, s[0:3], 0 offset:256
	buffer_store_dword v72, off, s[0:3], 0 offset:260
	s_waitcnt vmcnt(0)
	ds_write_b64 v71, v[73:74]
.LBB98_155:
	s_or_b32 exec_lo, exec_lo, s4
	s_waitcnt lgkmcnt(0)
	s_waitcnt_vscnt null, 0x0
	s_barrier
	buffer_gl0_inv
	s_clause 0x5
	buffer_load_dword v76, off, s[0:3], 0 offset:264
	buffer_load_dword v77, off, s[0:3], 0 offset:268
	;; [unrolled: 1-line block ×6, first 2 shown]
	ds_read2_b64 v[72:75], v72 offset0:69 offset1:70
	s_mov_b32 s4, exec_lo
	s_waitcnt vmcnt(4) lgkmcnt(0)
	v_fma_f64 v[72:73], v[76:77], v[72:73], 0
	s_waitcnt vmcnt(2)
	v_fma_f64 v[72:73], v[78:79], v[74:75], v[72:73]
	s_waitcnt vmcnt(0)
	v_add_f64 v[72:73], v[80:81], -v[72:73]
	buffer_store_dword v72, off, s[0:3], 0 offset:256
	buffer_store_dword v73, off, s[0:3], 0 offset:260
	v_cmpx_lt_u32_e32 31, v0
	s_cbranch_execz .LBB98_157
; %bb.156:
	s_clause 0x1
	buffer_load_dword v72, off, s[0:3], 0 offset:248
	buffer_load_dword v73, off, s[0:3], 0 offset:252
	v_mov_b32_e32 v74, 0
	buffer_store_dword v74, off, s[0:3], 0 offset:248
	buffer_store_dword v74, off, s[0:3], 0 offset:252
	s_waitcnt vmcnt(0)
	ds_write_b64 v71, v[72:73]
.LBB98_157:
	s_or_b32 exec_lo, exec_lo, s4
	s_waitcnt lgkmcnt(0)
	s_waitcnt_vscnt null, 0x0
	s_barrier
	buffer_gl0_inv
	s_clause 0x7
	buffer_load_dword v77, off, s[0:3], 0 offset:256
	buffer_load_dword v78, off, s[0:3], 0 offset:260
	;; [unrolled: 1-line block ×8, first 2 shown]
	v_mov_b32_e32 v72, 0
	ds_read_b128 v[73:76], v72 offset:544
	ds_read_b64 v[85:86], v72 offset:560
	s_mov_b32 s4, exec_lo
	s_waitcnt vmcnt(6) lgkmcnt(1)
	v_fma_f64 v[73:74], v[77:78], v[73:74], 0
	s_waitcnt vmcnt(4)
	v_fma_f64 v[73:74], v[79:80], v[75:76], v[73:74]
	s_waitcnt vmcnt(2) lgkmcnt(0)
	v_fma_f64 v[73:74], v[81:82], v[85:86], v[73:74]
	s_waitcnt vmcnt(0)
	v_add_f64 v[73:74], v[83:84], -v[73:74]
	buffer_store_dword v73, off, s[0:3], 0 offset:248
	buffer_store_dword v74, off, s[0:3], 0 offset:252
	v_cmpx_lt_u32_e32 30, v0
	s_cbranch_execz .LBB98_159
; %bb.158:
	s_clause 0x1
	buffer_load_dword v73, off, s[0:3], 0 offset:240
	buffer_load_dword v74, off, s[0:3], 0 offset:244
	buffer_store_dword v72, off, s[0:3], 0 offset:240
	buffer_store_dword v72, off, s[0:3], 0 offset:244
	s_waitcnt vmcnt(0)
	ds_write_b64 v71, v[73:74]
.LBB98_159:
	s_or_b32 exec_lo, exec_lo, s4
	s_waitcnt lgkmcnt(0)
	s_waitcnt_vscnt null, 0x0
	s_barrier
	buffer_gl0_inv
	s_clause 0x9
	buffer_load_dword v81, off, s[0:3], 0 offset:248
	buffer_load_dword v82, off, s[0:3], 0 offset:252
	;; [unrolled: 1-line block ×10, first 2 shown]
	ds_read2_b64 v[73:76], v72 offset0:67 offset1:68
	ds_read2_b64 v[77:80], v72 offset0:69 offset1:70
	s_mov_b32 s4, exec_lo
	s_waitcnt vmcnt(8) lgkmcnt(1)
	v_fma_f64 v[72:73], v[81:82], v[73:74], 0
	s_waitcnt vmcnt(6)
	v_fma_f64 v[72:73], v[83:84], v[75:76], v[72:73]
	s_waitcnt vmcnt(4) lgkmcnt(0)
	v_fma_f64 v[72:73], v[85:86], v[77:78], v[72:73]
	s_waitcnt vmcnt(2)
	v_fma_f64 v[72:73], v[87:88], v[79:80], v[72:73]
	s_waitcnt vmcnt(0)
	v_add_f64 v[72:73], v[89:90], -v[72:73]
	buffer_store_dword v72, off, s[0:3], 0 offset:240
	buffer_store_dword v73, off, s[0:3], 0 offset:244
	v_cmpx_lt_u32_e32 29, v0
	s_cbranch_execz .LBB98_161
; %bb.160:
	s_clause 0x1
	buffer_load_dword v72, off, s[0:3], 0 offset:232
	buffer_load_dword v73, off, s[0:3], 0 offset:236
	v_mov_b32_e32 v74, 0
	buffer_store_dword v74, off, s[0:3], 0 offset:232
	buffer_store_dword v74, off, s[0:3], 0 offset:236
	s_waitcnt vmcnt(0)
	ds_write_b64 v71, v[72:73]
.LBB98_161:
	s_or_b32 exec_lo, exec_lo, s4
	s_waitcnt lgkmcnt(0)
	s_waitcnt_vscnt null, 0x0
	s_barrier
	buffer_gl0_inv
	s_clause 0xb
	buffer_load_dword v81, off, s[0:3], 0 offset:240
	buffer_load_dword v82, off, s[0:3], 0 offset:244
	;; [unrolled: 1-line block ×12, first 2 shown]
	v_mov_b32_e32 v72, 0
	ds_read_b128 v[73:76], v72 offset:528
	ds_read_b128 v[77:80], v72 offset:544
	s_mov_b32 s4, exec_lo
	s_waitcnt vmcnt(10) lgkmcnt(1)
	v_fma_f64 v[73:74], v[81:82], v[73:74], 0
	s_waitcnt vmcnt(8)
	v_fma_f64 v[73:74], v[83:84], v[75:76], v[73:74]
	ds_read_b64 v[75:76], v72 offset:560
	s_waitcnt vmcnt(6) lgkmcnt(1)
	v_fma_f64 v[73:74], v[85:86], v[77:78], v[73:74]
	s_waitcnt vmcnt(4)
	v_fma_f64 v[73:74], v[87:88], v[79:80], v[73:74]
	s_waitcnt vmcnt(2) lgkmcnt(0)
	v_fma_f64 v[73:74], v[89:90], v[75:76], v[73:74]
	s_waitcnt vmcnt(0)
	v_add_f64 v[73:74], v[91:92], -v[73:74]
	buffer_store_dword v73, off, s[0:3], 0 offset:232
	buffer_store_dword v74, off, s[0:3], 0 offset:236
	v_cmpx_lt_u32_e32 28, v0
	s_cbranch_execz .LBB98_163
; %bb.162:
	s_clause 0x1
	buffer_load_dword v73, off, s[0:3], 0 offset:224
	buffer_load_dword v74, off, s[0:3], 0 offset:228
	buffer_store_dword v72, off, s[0:3], 0 offset:224
	buffer_store_dword v72, off, s[0:3], 0 offset:228
	s_waitcnt vmcnt(0)
	ds_write_b64 v71, v[73:74]
.LBB98_163:
	s_or_b32 exec_lo, exec_lo, s4
	s_waitcnt lgkmcnt(0)
	s_waitcnt_vscnt null, 0x0
	s_barrier
	buffer_gl0_inv
	s_clause 0xd
	buffer_load_dword v81, off, s[0:3], 0 offset:232
	buffer_load_dword v82, off, s[0:3], 0 offset:236
	;; [unrolled: 1-line block ×14, first 2 shown]
	ds_read2_b64 v[73:76], v72 offset0:65 offset1:66
	ds_read2_b64 v[77:80], v72 offset0:67 offset1:68
	s_mov_b32 s4, exec_lo
	s_waitcnt vmcnt(12) lgkmcnt(1)
	v_fma_f64 v[73:74], v[81:82], v[73:74], 0
	s_waitcnt vmcnt(10)
	v_fma_f64 v[73:74], v[83:84], v[75:76], v[73:74]
	s_waitcnt vmcnt(8) lgkmcnt(0)
	v_fma_f64 v[73:74], v[85:86], v[77:78], v[73:74]
	s_waitcnt vmcnt(6)
	v_fma_f64 v[76:77], v[87:88], v[79:80], v[73:74]
	ds_read2_b64 v[72:75], v72 offset0:69 offset1:70
	s_waitcnt vmcnt(4) lgkmcnt(0)
	v_fma_f64 v[72:73], v[89:90], v[72:73], v[76:77]
	s_waitcnt vmcnt(2)
	v_fma_f64 v[72:73], v[91:92], v[74:75], v[72:73]
	s_waitcnt vmcnt(0)
	v_add_f64 v[72:73], v[93:94], -v[72:73]
	buffer_store_dword v72, off, s[0:3], 0 offset:224
	buffer_store_dword v73, off, s[0:3], 0 offset:228
	v_cmpx_lt_u32_e32 27, v0
	s_cbranch_execz .LBB98_165
; %bb.164:
	s_clause 0x1
	buffer_load_dword v72, off, s[0:3], 0 offset:216
	buffer_load_dword v73, off, s[0:3], 0 offset:220
	v_mov_b32_e32 v74, 0
	buffer_store_dword v74, off, s[0:3], 0 offset:216
	buffer_store_dword v74, off, s[0:3], 0 offset:220
	s_waitcnt vmcnt(0)
	ds_write_b64 v71, v[72:73]
.LBB98_165:
	s_or_b32 exec_lo, exec_lo, s4
	s_waitcnt lgkmcnt(0)
	s_waitcnt_vscnt null, 0x0
	s_barrier
	buffer_gl0_inv
	s_clause 0xf
	buffer_load_dword v81, off, s[0:3], 0 offset:224
	buffer_load_dword v82, off, s[0:3], 0 offset:228
	;; [unrolled: 1-line block ×16, first 2 shown]
	v_mov_b32_e32 v72, 0
	ds_read_b128 v[73:76], v72 offset:512
	ds_read_b128 v[77:80], v72 offset:528
	s_mov_b32 s4, exec_lo
	s_waitcnt vmcnt(14) lgkmcnt(1)
	v_fma_f64 v[73:74], v[81:82], v[73:74], 0
	s_waitcnt vmcnt(12)
	v_fma_f64 v[73:74], v[83:84], v[75:76], v[73:74]
	s_waitcnt vmcnt(10) lgkmcnt(0)
	v_fma_f64 v[73:74], v[85:86], v[77:78], v[73:74]
	s_waitcnt vmcnt(8)
	v_fma_f64 v[77:78], v[87:88], v[79:80], v[73:74]
	ds_read_b128 v[73:76], v72 offset:544
	ds_read_b64 v[79:80], v72 offset:560
	s_waitcnt vmcnt(6) lgkmcnt(1)
	v_fma_f64 v[73:74], v[89:90], v[73:74], v[77:78]
	s_waitcnt vmcnt(4)
	v_fma_f64 v[73:74], v[91:92], v[75:76], v[73:74]
	s_waitcnt vmcnt(2) lgkmcnt(0)
	v_fma_f64 v[73:74], v[93:94], v[79:80], v[73:74]
	s_waitcnt vmcnt(0)
	v_add_f64 v[73:74], v[95:96], -v[73:74]
	buffer_store_dword v73, off, s[0:3], 0 offset:216
	buffer_store_dword v74, off, s[0:3], 0 offset:220
	v_cmpx_lt_u32_e32 26, v0
	s_cbranch_execz .LBB98_167
; %bb.166:
	s_clause 0x1
	buffer_load_dword v73, off, s[0:3], 0 offset:208
	buffer_load_dword v74, off, s[0:3], 0 offset:212
	buffer_store_dword v72, off, s[0:3], 0 offset:208
	buffer_store_dword v72, off, s[0:3], 0 offset:212
	s_waitcnt vmcnt(0)
	ds_write_b64 v71, v[73:74]
.LBB98_167:
	s_or_b32 exec_lo, exec_lo, s4
	s_waitcnt lgkmcnt(0)
	s_waitcnt_vscnt null, 0x0
	s_barrier
	buffer_gl0_inv
	s_clause 0x11
	buffer_load_dword v81, off, s[0:3], 0 offset:216
	buffer_load_dword v82, off, s[0:3], 0 offset:220
	;; [unrolled: 1-line block ×18, first 2 shown]
	ds_read2_b64 v[73:76], v72 offset0:63 offset1:64
	ds_read2_b64 v[77:80], v72 offset0:65 offset1:66
	s_mov_b32 s4, exec_lo
	s_waitcnt vmcnt(16) lgkmcnt(1)
	v_fma_f64 v[73:74], v[81:82], v[73:74], 0
	s_waitcnt vmcnt(14)
	v_fma_f64 v[73:74], v[83:84], v[75:76], v[73:74]
	s_waitcnt vmcnt(12) lgkmcnt(0)
	v_fma_f64 v[73:74], v[85:86], v[77:78], v[73:74]
	s_waitcnt vmcnt(10)
	v_fma_f64 v[81:82], v[87:88], v[79:80], v[73:74]
	ds_read2_b64 v[73:76], v72 offset0:67 offset1:68
	ds_read2_b64 v[77:80], v72 offset0:69 offset1:70
	s_waitcnt vmcnt(8) lgkmcnt(1)
	v_fma_f64 v[72:73], v[89:90], v[73:74], v[81:82]
	s_waitcnt vmcnt(6)
	v_fma_f64 v[72:73], v[91:92], v[75:76], v[72:73]
	s_waitcnt vmcnt(4) lgkmcnt(0)
	v_fma_f64 v[72:73], v[93:94], v[77:78], v[72:73]
	s_waitcnt vmcnt(2)
	v_fma_f64 v[72:73], v[95:96], v[79:80], v[72:73]
	s_waitcnt vmcnt(0)
	v_add_f64 v[72:73], v[97:98], -v[72:73]
	buffer_store_dword v72, off, s[0:3], 0 offset:208
	buffer_store_dword v73, off, s[0:3], 0 offset:212
	v_cmpx_lt_u32_e32 25, v0
	s_cbranch_execz .LBB98_169
; %bb.168:
	s_clause 0x1
	buffer_load_dword v72, off, s[0:3], 0 offset:200
	buffer_load_dword v73, off, s[0:3], 0 offset:204
	v_mov_b32_e32 v74, 0
	buffer_store_dword v74, off, s[0:3], 0 offset:200
	buffer_store_dword v74, off, s[0:3], 0 offset:204
	s_waitcnt vmcnt(0)
	ds_write_b64 v71, v[72:73]
.LBB98_169:
	s_or_b32 exec_lo, exec_lo, s4
	s_waitcnt lgkmcnt(0)
	s_waitcnt_vscnt null, 0x0
	s_barrier
	buffer_gl0_inv
	s_clause 0x13
	buffer_load_dword v81, off, s[0:3], 0 offset:208
	buffer_load_dword v82, off, s[0:3], 0 offset:212
	;; [unrolled: 1-line block ×20, first 2 shown]
	v_mov_b32_e32 v72, 0
	ds_read_b128 v[73:76], v72 offset:496
	ds_read_b128 v[77:80], v72 offset:512
	s_mov_b32 s4, exec_lo
	s_waitcnt vmcnt(18) lgkmcnt(1)
	v_fma_f64 v[73:74], v[81:82], v[73:74], 0
	s_waitcnt vmcnt(16)
	v_fma_f64 v[73:74], v[83:84], v[75:76], v[73:74]
	s_waitcnt vmcnt(14) lgkmcnt(0)
	v_fma_f64 v[73:74], v[85:86], v[77:78], v[73:74]
	s_waitcnt vmcnt(12)
	v_fma_f64 v[81:82], v[87:88], v[79:80], v[73:74]
	ds_read_b128 v[73:76], v72 offset:528
	ds_read_b128 v[77:80], v72 offset:544
	s_waitcnt vmcnt(10) lgkmcnt(1)
	v_fma_f64 v[73:74], v[89:90], v[73:74], v[81:82]
	s_waitcnt vmcnt(8)
	v_fma_f64 v[73:74], v[91:92], v[75:76], v[73:74]
	ds_read_b64 v[75:76], v72 offset:560
	s_waitcnt vmcnt(6) lgkmcnt(1)
	v_fma_f64 v[73:74], v[93:94], v[77:78], v[73:74]
	s_waitcnt vmcnt(3)
	v_fma_f64 v[73:74], v[95:96], v[79:80], v[73:74]
	s_waitcnt vmcnt(2) lgkmcnt(0)
	v_fma_f64 v[73:74], v[97:98], v[75:76], v[73:74]
	s_waitcnt vmcnt(0)
	v_add_f64 v[73:74], v[99:100], -v[73:74]
	buffer_store_dword v73, off, s[0:3], 0 offset:200
	buffer_store_dword v74, off, s[0:3], 0 offset:204
	v_cmpx_lt_u32_e32 24, v0
	s_cbranch_execz .LBB98_171
; %bb.170:
	s_clause 0x1
	buffer_load_dword v73, off, s[0:3], 0 offset:192
	buffer_load_dword v74, off, s[0:3], 0 offset:196
	buffer_store_dword v72, off, s[0:3], 0 offset:192
	buffer_store_dword v72, off, s[0:3], 0 offset:196
	s_waitcnt vmcnt(0)
	ds_write_b64 v71, v[73:74]
.LBB98_171:
	s_or_b32 exec_lo, exec_lo, s4
	s_waitcnt lgkmcnt(0)
	s_waitcnt_vscnt null, 0x0
	s_barrier
	buffer_gl0_inv
	s_clause 0x15
	buffer_load_dword v81, off, s[0:3], 0 offset:200
	buffer_load_dword v82, off, s[0:3], 0 offset:204
	;; [unrolled: 1-line block ×22, first 2 shown]
	ds_read2_b64 v[73:76], v72 offset0:61 offset1:62
	ds_read2_b64 v[77:80], v72 offset0:63 offset1:64
	s_mov_b32 s4, exec_lo
	s_waitcnt vmcnt(20) lgkmcnt(1)
	v_fma_f64 v[73:74], v[81:82], v[73:74], 0
	s_waitcnt vmcnt(18)
	v_fma_f64 v[73:74], v[83:84], v[75:76], v[73:74]
	s_waitcnt vmcnt(16) lgkmcnt(0)
	v_fma_f64 v[73:74], v[85:86], v[77:78], v[73:74]
	s_waitcnt vmcnt(14)
	v_fma_f64 v[81:82], v[87:88], v[79:80], v[73:74]
	ds_read2_b64 v[73:76], v72 offset0:65 offset1:66
	ds_read2_b64 v[77:80], v72 offset0:67 offset1:68
	s_waitcnt vmcnt(12) lgkmcnt(1)
	v_fma_f64 v[73:74], v[89:90], v[73:74], v[81:82]
	s_waitcnt vmcnt(10)
	v_fma_f64 v[73:74], v[91:92], v[75:76], v[73:74]
	s_waitcnt vmcnt(8) lgkmcnt(0)
	v_fma_f64 v[73:74], v[93:94], v[77:78], v[73:74]
	s_waitcnt vmcnt(4)
	v_fma_f64 v[76:77], v[95:96], v[79:80], v[73:74]
	ds_read2_b64 v[72:75], v72 offset0:69 offset1:70
	s_waitcnt vmcnt(3) lgkmcnt(0)
	v_fma_f64 v[72:73], v[99:100], v[72:73], v[76:77]
	s_waitcnt vmcnt(2)
	v_fma_f64 v[72:73], v[97:98], v[74:75], v[72:73]
	s_waitcnt vmcnt(0)
	v_add_f64 v[72:73], v[101:102], -v[72:73]
	buffer_store_dword v72, off, s[0:3], 0 offset:192
	buffer_store_dword v73, off, s[0:3], 0 offset:196
	v_cmpx_lt_u32_e32 23, v0
	s_cbranch_execz .LBB98_173
; %bb.172:
	s_clause 0x1
	buffer_load_dword v72, off, s[0:3], 0 offset:184
	buffer_load_dword v73, off, s[0:3], 0 offset:188
	v_mov_b32_e32 v74, 0
	buffer_store_dword v74, off, s[0:3], 0 offset:184
	buffer_store_dword v74, off, s[0:3], 0 offset:188
	s_waitcnt vmcnt(0)
	ds_write_b64 v71, v[72:73]
.LBB98_173:
	s_or_b32 exec_lo, exec_lo, s4
	s_waitcnt lgkmcnt(0)
	s_waitcnt_vscnt null, 0x0
	s_barrier
	buffer_gl0_inv
	s_clause 0x17
	buffer_load_dword v81, off, s[0:3], 0 offset:192
	buffer_load_dword v82, off, s[0:3], 0 offset:196
	;; [unrolled: 1-line block ×24, first 2 shown]
	v_mov_b32_e32 v72, 0
	ds_read_b128 v[73:76], v72 offset:480
	ds_read_b128 v[77:80], v72 offset:496
	s_mov_b32 s4, exec_lo
	s_waitcnt vmcnt(22) lgkmcnt(1)
	v_fma_f64 v[73:74], v[81:82], v[73:74], 0
	s_waitcnt vmcnt(20)
	v_fma_f64 v[73:74], v[83:84], v[75:76], v[73:74]
	s_waitcnt vmcnt(18) lgkmcnt(0)
	v_fma_f64 v[73:74], v[85:86], v[77:78], v[73:74]
	s_waitcnt vmcnt(16)
	v_fma_f64 v[81:82], v[87:88], v[79:80], v[73:74]
	ds_read_b128 v[73:76], v72 offset:512
	ds_read_b128 v[77:80], v72 offset:528
	s_waitcnt vmcnt(14) lgkmcnt(1)
	v_fma_f64 v[73:74], v[89:90], v[73:74], v[81:82]
	s_waitcnt vmcnt(12)
	v_fma_f64 v[73:74], v[91:92], v[75:76], v[73:74]
	s_waitcnt vmcnt(10) lgkmcnt(0)
	v_fma_f64 v[73:74], v[93:94], v[77:78], v[73:74]
	s_waitcnt vmcnt(5)
	v_fma_f64 v[77:78], v[95:96], v[79:80], v[73:74]
	ds_read_b128 v[73:76], v72 offset:544
	ds_read_b64 v[79:80], v72 offset:560
	s_waitcnt vmcnt(4) lgkmcnt(1)
	v_fma_f64 v[73:74], v[101:102], v[73:74], v[77:78]
	s_waitcnt vmcnt(3)
	v_fma_f64 v[73:74], v[99:100], v[75:76], v[73:74]
	s_waitcnt vmcnt(2) lgkmcnt(0)
	v_fma_f64 v[73:74], v[97:98], v[79:80], v[73:74]
	s_waitcnt vmcnt(0)
	v_add_f64 v[73:74], v[103:104], -v[73:74]
	buffer_store_dword v74, off, s[0:3], 0 offset:188
	buffer_store_dword v73, off, s[0:3], 0 offset:184
	v_cmpx_lt_u32_e32 22, v0
	s_cbranch_execz .LBB98_175
; %bb.174:
	s_clause 0x1
	buffer_load_dword v73, off, s[0:3], 0 offset:176
	buffer_load_dword v74, off, s[0:3], 0 offset:180
	buffer_store_dword v72, off, s[0:3], 0 offset:176
	buffer_store_dword v72, off, s[0:3], 0 offset:180
	s_waitcnt vmcnt(0)
	ds_write_b64 v71, v[73:74]
.LBB98_175:
	s_or_b32 exec_lo, exec_lo, s4
	s_waitcnt lgkmcnt(0)
	s_waitcnt_vscnt null, 0x0
	s_barrier
	buffer_gl0_inv
	s_clause 0x19
	buffer_load_dword v81, off, s[0:3], 0 offset:184
	buffer_load_dword v82, off, s[0:3], 0 offset:188
	;; [unrolled: 1-line block ×26, first 2 shown]
	ds_read2_b64 v[73:76], v72 offset0:59 offset1:60
	ds_read2_b64 v[77:80], v72 offset0:61 offset1:62
	s_mov_b32 s4, exec_lo
	s_waitcnt vmcnt(24) lgkmcnt(1)
	v_fma_f64 v[73:74], v[81:82], v[73:74], 0
	s_waitcnt vmcnt(22)
	v_fma_f64 v[73:74], v[83:84], v[75:76], v[73:74]
	s_waitcnt vmcnt(20) lgkmcnt(0)
	v_fma_f64 v[73:74], v[85:86], v[77:78], v[73:74]
	s_waitcnt vmcnt(18)
	v_fma_f64 v[81:82], v[87:88], v[79:80], v[73:74]
	ds_read2_b64 v[73:76], v72 offset0:63 offset1:64
	ds_read2_b64 v[77:80], v72 offset0:65 offset1:66
	s_waitcnt vmcnt(16) lgkmcnt(1)
	v_fma_f64 v[73:74], v[89:90], v[73:74], v[81:82]
	s_waitcnt vmcnt(14)
	v_fma_f64 v[73:74], v[91:92], v[75:76], v[73:74]
	s_waitcnt vmcnt(12) lgkmcnt(0)
	v_fma_f64 v[73:74], v[93:94], v[77:78], v[73:74]
	s_waitcnt vmcnt(7)
	v_fma_f64 v[81:82], v[95:96], v[79:80], v[73:74]
	ds_read2_b64 v[73:76], v72 offset0:67 offset1:68
	ds_read2_b64 v[77:80], v72 offset0:69 offset1:70
	s_waitcnt vmcnt(6) lgkmcnt(1)
	v_fma_f64 v[72:73], v[101:102], v[73:74], v[81:82]
	s_waitcnt vmcnt(5)
	v_fma_f64 v[72:73], v[99:100], v[75:76], v[72:73]
	s_waitcnt vmcnt(4) lgkmcnt(0)
	v_fma_f64 v[72:73], v[97:98], v[77:78], v[72:73]
	s_waitcnt vmcnt(2)
	v_fma_f64 v[72:73], v[103:104], v[79:80], v[72:73]
	s_waitcnt vmcnt(0)
	v_add_f64 v[72:73], v[105:106], -v[72:73]
	buffer_store_dword v73, off, s[0:3], 0 offset:180
	buffer_store_dword v72, off, s[0:3], 0 offset:176
	v_cmpx_lt_u32_e32 21, v0
	s_cbranch_execz .LBB98_177
; %bb.176:
	s_clause 0x1
	buffer_load_dword v72, off, s[0:3], 0 offset:168
	buffer_load_dword v73, off, s[0:3], 0 offset:172
	v_mov_b32_e32 v74, 0
	buffer_store_dword v74, off, s[0:3], 0 offset:168
	buffer_store_dword v74, off, s[0:3], 0 offset:172
	s_waitcnt vmcnt(0)
	ds_write_b64 v71, v[72:73]
.LBB98_177:
	s_or_b32 exec_lo, exec_lo, s4
	s_waitcnt lgkmcnt(0)
	s_waitcnt_vscnt null, 0x0
	s_barrier
	buffer_gl0_inv
	s_clause 0x1b
	buffer_load_dword v81, off, s[0:3], 0 offset:176
	buffer_load_dword v82, off, s[0:3], 0 offset:180
	;; [unrolled: 1-line block ×28, first 2 shown]
	v_mov_b32_e32 v72, 0
	ds_read_b128 v[73:76], v72 offset:464
	ds_read_b128 v[77:80], v72 offset:480
	s_mov_b32 s4, exec_lo
	s_waitcnt vmcnt(26) lgkmcnt(1)
	v_fma_f64 v[73:74], v[81:82], v[73:74], 0
	s_waitcnt vmcnt(24)
	v_fma_f64 v[73:74], v[83:84], v[75:76], v[73:74]
	s_waitcnt vmcnt(22) lgkmcnt(0)
	v_fma_f64 v[73:74], v[85:86], v[77:78], v[73:74]
	s_waitcnt vmcnt(20)
	v_fma_f64 v[81:82], v[87:88], v[79:80], v[73:74]
	ds_read_b128 v[73:76], v72 offset:496
	ds_read_b128 v[77:80], v72 offset:512
	s_waitcnt vmcnt(18) lgkmcnt(1)
	v_fma_f64 v[73:74], v[89:90], v[73:74], v[81:82]
	s_waitcnt vmcnt(16)
	v_fma_f64 v[73:74], v[91:92], v[75:76], v[73:74]
	s_waitcnt vmcnt(14) lgkmcnt(0)
	v_fma_f64 v[73:74], v[93:94], v[77:78], v[73:74]
	s_waitcnt vmcnt(9)
	v_fma_f64 v[81:82], v[95:96], v[79:80], v[73:74]
	ds_read_b128 v[73:76], v72 offset:528
	ds_read_b128 v[77:80], v72 offset:544
	s_waitcnt vmcnt(8) lgkmcnt(1)
	v_fma_f64 v[73:74], v[101:102], v[73:74], v[81:82]
	s_waitcnt vmcnt(7)
	v_fma_f64 v[73:74], v[99:100], v[75:76], v[73:74]
	ds_read_b64 v[75:76], v72 offset:560
	s_waitcnt vmcnt(6) lgkmcnt(1)
	v_fma_f64 v[73:74], v[97:98], v[77:78], v[73:74]
	s_waitcnt vmcnt(3)
	v_fma_f64 v[73:74], v[103:104], v[79:80], v[73:74]
	s_waitcnt vmcnt(2) lgkmcnt(0)
	v_fma_f64 v[73:74], v[105:106], v[75:76], v[73:74]
	s_waitcnt vmcnt(0)
	v_add_f64 v[73:74], v[107:108], -v[73:74]
	buffer_store_dword v74, off, s[0:3], 0 offset:172
	buffer_store_dword v73, off, s[0:3], 0 offset:168
	v_cmpx_lt_u32_e32 20, v0
	s_cbranch_execz .LBB98_179
; %bb.178:
	s_clause 0x1
	buffer_load_dword v73, off, s[0:3], 0 offset:160
	buffer_load_dword v74, off, s[0:3], 0 offset:164
	buffer_store_dword v72, off, s[0:3], 0 offset:160
	buffer_store_dword v72, off, s[0:3], 0 offset:164
	s_waitcnt vmcnt(0)
	ds_write_b64 v71, v[73:74]
.LBB98_179:
	s_or_b32 exec_lo, exec_lo, s4
	s_waitcnt lgkmcnt(0)
	s_waitcnt_vscnt null, 0x0
	s_barrier
	buffer_gl0_inv
	s_clause 0x1b
	buffer_load_dword v77, off, s[0:3], 0 offset:168
	buffer_load_dword v78, off, s[0:3], 0 offset:172
	;; [unrolled: 1-line block ×28, first 2 shown]
	ds_read2_b64 v[73:76], v72 offset0:57 offset1:58
	s_clause 0x1
	buffer_load_dword v105, off, s[0:3], 0 offset:160
	buffer_load_dword v106, off, s[0:3], 0 offset:164
	s_mov_b32 s4, exec_lo
	s_waitcnt vmcnt(28) lgkmcnt(0)
	v_fma_f64 v[73:74], v[77:78], v[73:74], 0
	s_waitcnt vmcnt(26)
	v_fma_f64 v[77:78], v[79:80], v[75:76], v[73:74]
	ds_read2_b64 v[73:76], v72 offset0:59 offset1:60
	s_waitcnt vmcnt(24) lgkmcnt(0)
	v_fma_f64 v[73:74], v[81:82], v[73:74], v[77:78]
	s_waitcnt vmcnt(22)
	v_fma_f64 v[77:78], v[83:84], v[75:76], v[73:74]
	ds_read2_b64 v[73:76], v72 offset0:61 offset1:62
	;; [unrolled: 5-line block ×6, first 2 shown]
	s_waitcnt vmcnt(4) lgkmcnt(0)
	v_fma_f64 v[72:73], v[101:102], v[72:73], v[76:77]
	s_waitcnt vmcnt(2)
	v_fma_f64 v[72:73], v[103:104], v[74:75], v[72:73]
	s_waitcnt vmcnt(0)
	v_add_f64 v[72:73], v[105:106], -v[72:73]
	buffer_store_dword v73, off, s[0:3], 0 offset:164
	buffer_store_dword v72, off, s[0:3], 0 offset:160
	v_cmpx_lt_u32_e32 19, v0
	s_cbranch_execz .LBB98_181
; %bb.180:
	s_clause 0x1
	buffer_load_dword v72, off, s[0:3], 0 offset:152
	buffer_load_dword v73, off, s[0:3], 0 offset:156
	v_mov_b32_e32 v74, 0
	buffer_store_dword v74, off, s[0:3], 0 offset:152
	buffer_store_dword v74, off, s[0:3], 0 offset:156
	s_waitcnt vmcnt(0)
	ds_write_b64 v71, v[72:73]
.LBB98_181:
	s_or_b32 exec_lo, exec_lo, s4
	s_waitcnt lgkmcnt(0)
	s_waitcnt_vscnt null, 0x0
	s_barrier
	buffer_gl0_inv
	s_clause 0x1b
	buffer_load_dword v77, off, s[0:3], 0 offset:160
	buffer_load_dword v78, off, s[0:3], 0 offset:164
	;; [unrolled: 1-line block ×28, first 2 shown]
	v_mov_b32_e32 v72, 0
	s_mov_b32 s4, exec_lo
	ds_read_b128 v[73:76], v72 offset:448
	s_clause 0x1
	buffer_load_dword v105, off, s[0:3], 0 offset:272
	buffer_load_dword v106, off, s[0:3], 0 offset:276
	s_waitcnt vmcnt(28) lgkmcnt(0)
	v_fma_f64 v[73:74], v[77:78], v[73:74], 0
	s_clause 0x1
	buffer_load_dword v77, off, s[0:3], 0 offset:152
	buffer_load_dword v78, off, s[0:3], 0 offset:156
	s_waitcnt vmcnt(28)
	v_fma_f64 v[79:80], v[79:80], v[75:76], v[73:74]
	ds_read_b128 v[73:76], v72 offset:464
	s_waitcnt vmcnt(26) lgkmcnt(0)
	v_fma_f64 v[73:74], v[81:82], v[73:74], v[79:80]
	s_waitcnt vmcnt(24)
	v_fma_f64 v[79:80], v[83:84], v[75:76], v[73:74]
	ds_read_b128 v[73:76], v72 offset:480
	s_waitcnt vmcnt(22) lgkmcnt(0)
	v_fma_f64 v[73:74], v[85:86], v[73:74], v[79:80]
	;; [unrolled: 5-line block ×6, first 2 shown]
	s_waitcnt vmcnt(4)
	v_fma_f64 v[73:74], v[103:104], v[75:76], v[73:74]
	ds_read_b64 v[75:76], v72 offset:560
	s_waitcnt vmcnt(2) lgkmcnt(0)
	v_fma_f64 v[73:74], v[105:106], v[75:76], v[73:74]
	s_waitcnt vmcnt(0)
	v_add_f64 v[73:74], v[77:78], -v[73:74]
	buffer_store_dword v74, off, s[0:3], 0 offset:156
	buffer_store_dword v73, off, s[0:3], 0 offset:152
	v_cmpx_lt_u32_e32 18, v0
	s_cbranch_execz .LBB98_183
; %bb.182:
	s_clause 0x1
	buffer_load_dword v73, off, s[0:3], 0 offset:144
	buffer_load_dword v74, off, s[0:3], 0 offset:148
	buffer_store_dword v72, off, s[0:3], 0 offset:144
	buffer_store_dword v72, off, s[0:3], 0 offset:148
	s_waitcnt vmcnt(0)
	ds_write_b64 v71, v[73:74]
.LBB98_183:
	s_or_b32 exec_lo, exec_lo, s4
	s_waitcnt lgkmcnt(0)
	s_waitcnt_vscnt null, 0x0
	s_barrier
	buffer_gl0_inv
	s_clause 0x1b
	buffer_load_dword v77, off, s[0:3], 0 offset:152
	buffer_load_dword v78, off, s[0:3], 0 offset:156
	;; [unrolled: 1-line block ×28, first 2 shown]
	ds_read2_b64 v[73:76], v72 offset0:55 offset1:56
	s_clause 0x1
	buffer_load_dword v105, off, s[0:3], 0 offset:264
	buffer_load_dword v106, off, s[0:3], 0 offset:268
	s_mov_b32 s4, exec_lo
	s_waitcnt vmcnt(28) lgkmcnt(0)
	v_fma_f64 v[73:74], v[77:78], v[73:74], 0
	s_clause 0x1
	buffer_load_dword v78, off, s[0:3], 0 offset:276
	buffer_load_dword v77, off, s[0:3], 0 offset:272
	s_waitcnt vmcnt(28)
	v_fma_f64 v[79:80], v[79:80], v[75:76], v[73:74]
	ds_read2_b64 v[73:76], v72 offset0:57 offset1:58
	s_clause 0x1
	buffer_load_dword v107, off, s[0:3], 0 offset:144
	buffer_load_dword v108, off, s[0:3], 0 offset:148
	s_waitcnt vmcnt(28) lgkmcnt(0)
	v_fma_f64 v[73:74], v[81:82], v[73:74], v[79:80]
	s_waitcnt vmcnt(26)
	v_fma_f64 v[79:80], v[83:84], v[75:76], v[73:74]
	ds_read2_b64 v[73:76], v72 offset0:59 offset1:60
	s_waitcnt vmcnt(24) lgkmcnt(0)
	v_fma_f64 v[73:74], v[85:86], v[73:74], v[79:80]
	s_waitcnt vmcnt(22)
	v_fma_f64 v[79:80], v[87:88], v[75:76], v[73:74]
	ds_read2_b64 v[73:76], v72 offset0:61 offset1:62
	;; [unrolled: 5-line block ×6, first 2 shown]
	s_waitcnt vmcnt(4) lgkmcnt(0)
	v_fma_f64 v[72:73], v[105:106], v[72:73], v[79:80]
	s_waitcnt vmcnt(2)
	v_fma_f64 v[72:73], v[77:78], v[74:75], v[72:73]
	s_waitcnt vmcnt(0)
	v_add_f64 v[72:73], v[107:108], -v[72:73]
	buffer_store_dword v73, off, s[0:3], 0 offset:148
	buffer_store_dword v72, off, s[0:3], 0 offset:144
	v_cmpx_lt_u32_e32 17, v0
	s_cbranch_execz .LBB98_185
; %bb.184:
	s_clause 0x1
	buffer_load_dword v72, off, s[0:3], 0 offset:136
	buffer_load_dword v73, off, s[0:3], 0 offset:140
	v_mov_b32_e32 v74, 0
	buffer_store_dword v74, off, s[0:3], 0 offset:136
	buffer_store_dword v74, off, s[0:3], 0 offset:140
	s_waitcnt vmcnt(0)
	ds_write_b64 v71, v[72:73]
.LBB98_185:
	s_or_b32 exec_lo, exec_lo, s4
	s_waitcnt lgkmcnt(0)
	s_waitcnt_vscnt null, 0x0
	s_barrier
	buffer_gl0_inv
	s_clause 0x1b
	buffer_load_dword v77, off, s[0:3], 0 offset:144
	buffer_load_dword v78, off, s[0:3], 0 offset:148
	;; [unrolled: 1-line block ×28, first 2 shown]
	v_mov_b32_e32 v72, 0
	s_mov_b32 s4, exec_lo
	ds_read_b128 v[73:76], v72 offset:432
	s_clause 0x1
	buffer_load_dword v105, off, s[0:3], 0 offset:256
	buffer_load_dword v106, off, s[0:3], 0 offset:260
	s_waitcnt vmcnt(28) lgkmcnt(0)
	v_fma_f64 v[73:74], v[77:78], v[73:74], 0
	s_clause 0x1
	buffer_load_dword v78, off, s[0:3], 0 offset:268
	buffer_load_dword v77, off, s[0:3], 0 offset:264
	s_waitcnt vmcnt(28)
	v_fma_f64 v[79:80], v[79:80], v[75:76], v[73:74]
	ds_read_b128 v[73:76], v72 offset:448
	s_clause 0x1
	buffer_load_dword v107, off, s[0:3], 0 offset:272
	buffer_load_dword v108, off, s[0:3], 0 offset:276
	s_waitcnt vmcnt(28) lgkmcnt(0)
	v_fma_f64 v[73:74], v[81:82], v[73:74], v[79:80]
	s_clause 0x1
	buffer_load_dword v79, off, s[0:3], 0 offset:136
	buffer_load_dword v80, off, s[0:3], 0 offset:140
	s_waitcnt vmcnt(28)
	v_fma_f64 v[81:82], v[83:84], v[75:76], v[73:74]
	ds_read_b128 v[73:76], v72 offset:464
	s_waitcnt vmcnt(26) lgkmcnt(0)
	v_fma_f64 v[73:74], v[85:86], v[73:74], v[81:82]
	s_waitcnt vmcnt(24)
	v_fma_f64 v[81:82], v[87:88], v[75:76], v[73:74]
	ds_read_b128 v[73:76], v72 offset:480
	s_waitcnt vmcnt(22) lgkmcnt(0)
	v_fma_f64 v[73:74], v[89:90], v[73:74], v[81:82]
	;; [unrolled: 5-line block ×6, first 2 shown]
	s_waitcnt vmcnt(4)
	v_fma_f64 v[73:74], v[77:78], v[75:76], v[73:74]
	ds_read_b64 v[75:76], v72 offset:560
	s_waitcnt vmcnt(2) lgkmcnt(0)
	v_fma_f64 v[73:74], v[107:108], v[75:76], v[73:74]
	s_waitcnt vmcnt(0)
	v_add_f64 v[73:74], v[79:80], -v[73:74]
	buffer_store_dword v74, off, s[0:3], 0 offset:140
	buffer_store_dword v73, off, s[0:3], 0 offset:136
	v_cmpx_lt_u32_e32 16, v0
	s_cbranch_execz .LBB98_187
; %bb.186:
	s_clause 0x1
	buffer_load_dword v73, off, s[0:3], 0 offset:128
	buffer_load_dword v74, off, s[0:3], 0 offset:132
	buffer_store_dword v72, off, s[0:3], 0 offset:128
	buffer_store_dword v72, off, s[0:3], 0 offset:132
	s_waitcnt vmcnt(0)
	ds_write_b64 v71, v[73:74]
.LBB98_187:
	s_or_b32 exec_lo, exec_lo, s4
	s_waitcnt lgkmcnt(0)
	s_waitcnt_vscnt null, 0x0
	s_barrier
	buffer_gl0_inv
	s_clause 0x1b
	buffer_load_dword v77, off, s[0:3], 0 offset:136
	buffer_load_dword v78, off, s[0:3], 0 offset:140
	;; [unrolled: 1-line block ×28, first 2 shown]
	ds_read2_b64 v[73:76], v72 offset0:53 offset1:54
	s_clause 0x1
	buffer_load_dword v105, off, s[0:3], 0 offset:248
	buffer_load_dword v106, off, s[0:3], 0 offset:252
	s_mov_b32 s4, exec_lo
	s_waitcnt vmcnt(28) lgkmcnt(0)
	v_fma_f64 v[73:74], v[77:78], v[73:74], 0
	s_clause 0x1
	buffer_load_dword v78, off, s[0:3], 0 offset:260
	buffer_load_dword v77, off, s[0:3], 0 offset:256
	s_waitcnt vmcnt(28)
	v_fma_f64 v[79:80], v[79:80], v[75:76], v[73:74]
	ds_read2_b64 v[73:76], v72 offset0:55 offset1:56
	s_clause 0x1
	buffer_load_dword v107, off, s[0:3], 0 offset:264
	buffer_load_dword v108, off, s[0:3], 0 offset:268
	s_waitcnt vmcnt(28) lgkmcnt(0)
	v_fma_f64 v[73:74], v[81:82], v[73:74], v[79:80]
	s_clause 0x1
	buffer_load_dword v79, off, s[0:3], 0 offset:272
	buffer_load_dword v80, off, s[0:3], 0 offset:276
	s_waitcnt vmcnt(28)
	v_fma_f64 v[81:82], v[83:84], v[75:76], v[73:74]
	ds_read2_b64 v[73:76], v72 offset0:57 offset1:58
	s_clause 0x1
	buffer_load_dword v83, off, s[0:3], 0 offset:128
	buffer_load_dword v84, off, s[0:3], 0 offset:132
	s_waitcnt vmcnt(28) lgkmcnt(0)
	v_fma_f64 v[73:74], v[85:86], v[73:74], v[81:82]
	s_waitcnt vmcnt(26)
	v_fma_f64 v[81:82], v[87:88], v[75:76], v[73:74]
	ds_read2_b64 v[73:76], v72 offset0:59 offset1:60
	s_waitcnt vmcnt(24) lgkmcnt(0)
	v_fma_f64 v[73:74], v[89:90], v[73:74], v[81:82]
	s_waitcnt vmcnt(22)
	v_fma_f64 v[81:82], v[91:92], v[75:76], v[73:74]
	ds_read2_b64 v[73:76], v72 offset0:61 offset1:62
	;; [unrolled: 5-line block ×6, first 2 shown]
	s_waitcnt vmcnt(4) lgkmcnt(0)
	v_fma_f64 v[72:73], v[107:108], v[72:73], v[76:77]
	s_waitcnt vmcnt(2)
	v_fma_f64 v[72:73], v[79:80], v[74:75], v[72:73]
	s_waitcnt vmcnt(0)
	v_add_f64 v[72:73], v[83:84], -v[72:73]
	buffer_store_dword v73, off, s[0:3], 0 offset:132
	buffer_store_dword v72, off, s[0:3], 0 offset:128
	v_cmpx_lt_u32_e32 15, v0
	s_cbranch_execz .LBB98_189
; %bb.188:
	s_clause 0x1
	buffer_load_dword v72, off, s[0:3], 0 offset:120
	buffer_load_dword v73, off, s[0:3], 0 offset:124
	v_mov_b32_e32 v74, 0
	buffer_store_dword v74, off, s[0:3], 0 offset:120
	buffer_store_dword v74, off, s[0:3], 0 offset:124
	s_waitcnt vmcnt(0)
	ds_write_b64 v71, v[72:73]
.LBB98_189:
	s_or_b32 exec_lo, exec_lo, s4
	s_waitcnt lgkmcnt(0)
	s_waitcnt_vscnt null, 0x0
	s_barrier
	buffer_gl0_inv
	s_clause 0x1b
	buffer_load_dword v77, off, s[0:3], 0 offset:128
	buffer_load_dword v78, off, s[0:3], 0 offset:132
	;; [unrolled: 1-line block ×28, first 2 shown]
	v_mov_b32_e32 v72, 0
	s_mov_b32 s4, exec_lo
	ds_read_b128 v[73:76], v72 offset:416
	s_clause 0x1
	buffer_load_dword v105, off, s[0:3], 0 offset:240
	buffer_load_dword v106, off, s[0:3], 0 offset:244
	s_waitcnt vmcnt(28) lgkmcnt(0)
	v_fma_f64 v[73:74], v[77:78], v[73:74], 0
	s_clause 0x1
	buffer_load_dword v78, off, s[0:3], 0 offset:252
	buffer_load_dword v77, off, s[0:3], 0 offset:248
	s_waitcnt vmcnt(28)
	v_fma_f64 v[79:80], v[79:80], v[75:76], v[73:74]
	ds_read_b128 v[73:76], v72 offset:432
	s_clause 0x1
	buffer_load_dword v107, off, s[0:3], 0 offset:256
	buffer_load_dword v108, off, s[0:3], 0 offset:260
	s_waitcnt vmcnt(28) lgkmcnt(0)
	v_fma_f64 v[73:74], v[81:82], v[73:74], v[79:80]
	s_clause 0x1
	buffer_load_dword v79, off, s[0:3], 0 offset:264
	buffer_load_dword v80, off, s[0:3], 0 offset:268
	s_waitcnt vmcnt(28)
	v_fma_f64 v[81:82], v[83:84], v[75:76], v[73:74]
	;; [unrolled: 11-line block ×3, first 2 shown]
	ds_read_b128 v[73:76], v72 offset:464
	s_waitcnt vmcnt(26) lgkmcnt(0)
	v_fma_f64 v[73:74], v[89:90], v[73:74], v[85:86]
	s_waitcnt vmcnt(24)
	v_fma_f64 v[85:86], v[91:92], v[75:76], v[73:74]
	ds_read_b128 v[73:76], v72 offset:480
	s_waitcnt vmcnt(22) lgkmcnt(0)
	v_fma_f64 v[73:74], v[93:94], v[73:74], v[85:86]
	s_waitcnt vmcnt(20)
	v_fma_f64 v[85:86], v[95:96], v[75:76], v[73:74]
	;; [unrolled: 5-line block ×6, first 2 shown]
	ds_read_b64 v[75:76], v72 offset:560
	s_waitcnt vmcnt(2) lgkmcnt(0)
	v_fma_f64 v[73:74], v[83:84], v[75:76], v[73:74]
	s_waitcnt vmcnt(0)
	v_add_f64 v[73:74], v[81:82], -v[73:74]
	buffer_store_dword v74, off, s[0:3], 0 offset:124
	buffer_store_dword v73, off, s[0:3], 0 offset:120
	v_cmpx_lt_u32_e32 14, v0
	s_cbranch_execz .LBB98_191
; %bb.190:
	s_clause 0x1
	buffer_load_dword v73, off, s[0:3], 0 offset:112
	buffer_load_dword v74, off, s[0:3], 0 offset:116
	buffer_store_dword v72, off, s[0:3], 0 offset:112
	buffer_store_dword v72, off, s[0:3], 0 offset:116
	s_waitcnt vmcnt(0)
	ds_write_b64 v71, v[73:74]
.LBB98_191:
	s_or_b32 exec_lo, exec_lo, s4
	s_waitcnt lgkmcnt(0)
	s_waitcnt_vscnt null, 0x0
	s_barrier
	buffer_gl0_inv
	s_clause 0x1b
	buffer_load_dword v77, off, s[0:3], 0 offset:120
	buffer_load_dword v78, off, s[0:3], 0 offset:124
	;; [unrolled: 1-line block ×28, first 2 shown]
	ds_read2_b64 v[73:76], v72 offset0:51 offset1:52
	s_clause 0x1
	buffer_load_dword v105, off, s[0:3], 0 offset:232
	buffer_load_dword v106, off, s[0:3], 0 offset:236
	s_mov_b32 s4, exec_lo
	s_waitcnt vmcnt(28) lgkmcnt(0)
	v_fma_f64 v[73:74], v[77:78], v[73:74], 0
	s_clause 0x1
	buffer_load_dword v78, off, s[0:3], 0 offset:244
	buffer_load_dword v77, off, s[0:3], 0 offset:240
	s_waitcnt vmcnt(28)
	v_fma_f64 v[79:80], v[79:80], v[75:76], v[73:74]
	ds_read2_b64 v[73:76], v72 offset0:53 offset1:54
	s_clause 0x1
	buffer_load_dword v107, off, s[0:3], 0 offset:248
	buffer_load_dword v108, off, s[0:3], 0 offset:252
	s_waitcnt vmcnt(28) lgkmcnt(0)
	v_fma_f64 v[73:74], v[81:82], v[73:74], v[79:80]
	s_clause 0x1
	buffer_load_dword v79, off, s[0:3], 0 offset:256
	buffer_load_dword v80, off, s[0:3], 0 offset:260
	s_waitcnt vmcnt(28)
	v_fma_f64 v[81:82], v[83:84], v[75:76], v[73:74]
	ds_read2_b64 v[73:76], v72 offset0:55 offset1:56
	s_clause 0x1
	buffer_load_dword v83, off, s[0:3], 0 offset:264
	buffer_load_dword v84, off, s[0:3], 0 offset:268
	;; [unrolled: 11-line block ×3, first 2 shown]
	s_waitcnt vmcnt(28) lgkmcnt(0)
	v_fma_f64 v[73:74], v[89:90], v[73:74], v[85:86]
	s_waitcnt vmcnt(26)
	v_fma_f64 v[85:86], v[91:92], v[75:76], v[73:74]
	ds_read2_b64 v[73:76], v72 offset0:59 offset1:60
	s_waitcnt vmcnt(24) lgkmcnt(0)
	v_fma_f64 v[73:74], v[93:94], v[73:74], v[85:86]
	s_waitcnt vmcnt(22)
	v_fma_f64 v[85:86], v[95:96], v[75:76], v[73:74]
	ds_read2_b64 v[73:76], v72 offset0:61 offset1:62
	;; [unrolled: 5-line block ×6, first 2 shown]
	s_waitcnt vmcnt(4) lgkmcnt(0)
	v_fma_f64 v[72:73], v[83:84], v[72:73], v[76:77]
	s_waitcnt vmcnt(2)
	v_fma_f64 v[72:73], v[81:82], v[74:75], v[72:73]
	s_waitcnt vmcnt(0)
	v_add_f64 v[72:73], v[87:88], -v[72:73]
	buffer_store_dword v73, off, s[0:3], 0 offset:116
	buffer_store_dword v72, off, s[0:3], 0 offset:112
	v_cmpx_lt_u32_e32 13, v0
	s_cbranch_execz .LBB98_193
; %bb.192:
	s_clause 0x1
	buffer_load_dword v72, off, s[0:3], 0 offset:104
	buffer_load_dword v73, off, s[0:3], 0 offset:108
	v_mov_b32_e32 v74, 0
	buffer_store_dword v74, off, s[0:3], 0 offset:104
	buffer_store_dword v74, off, s[0:3], 0 offset:108
	s_waitcnt vmcnt(0)
	ds_write_b64 v71, v[72:73]
.LBB98_193:
	s_or_b32 exec_lo, exec_lo, s4
	s_waitcnt lgkmcnt(0)
	s_waitcnt_vscnt null, 0x0
	s_barrier
	buffer_gl0_inv
	s_clause 0x1b
	buffer_load_dword v77, off, s[0:3], 0 offset:112
	buffer_load_dword v78, off, s[0:3], 0 offset:116
	;; [unrolled: 1-line block ×28, first 2 shown]
	v_mov_b32_e32 v72, 0
	s_mov_b32 s4, exec_lo
	ds_read_b128 v[73:76], v72 offset:400
	s_clause 0x1
	buffer_load_dword v105, off, s[0:3], 0 offset:224
	buffer_load_dword v106, off, s[0:3], 0 offset:228
	s_waitcnt vmcnt(28) lgkmcnt(0)
	v_fma_f64 v[73:74], v[77:78], v[73:74], 0
	s_clause 0x1
	buffer_load_dword v78, off, s[0:3], 0 offset:236
	buffer_load_dword v77, off, s[0:3], 0 offset:232
	s_waitcnt vmcnt(28)
	v_fma_f64 v[79:80], v[79:80], v[75:76], v[73:74]
	ds_read_b128 v[73:76], v72 offset:416
	s_clause 0x1
	buffer_load_dword v107, off, s[0:3], 0 offset:240
	buffer_load_dword v108, off, s[0:3], 0 offset:244
	s_waitcnt vmcnt(28) lgkmcnt(0)
	v_fma_f64 v[73:74], v[81:82], v[73:74], v[79:80]
	s_clause 0x1
	buffer_load_dword v79, off, s[0:3], 0 offset:248
	buffer_load_dword v80, off, s[0:3], 0 offset:252
	s_waitcnt vmcnt(28)
	v_fma_f64 v[81:82], v[83:84], v[75:76], v[73:74]
	;; [unrolled: 11-line block ×4, first 2 shown]
	ds_read_b128 v[73:76], v72 offset:464
	s_waitcnt vmcnt(26) lgkmcnt(0)
	v_fma_f64 v[73:74], v[93:94], v[73:74], v[89:90]
	s_waitcnt vmcnt(24)
	v_fma_f64 v[89:90], v[95:96], v[75:76], v[73:74]
	ds_read_b128 v[73:76], v72 offset:480
	s_waitcnt vmcnt(22) lgkmcnt(0)
	v_fma_f64 v[73:74], v[97:98], v[73:74], v[89:90]
	s_waitcnt vmcnt(20)
	v_fma_f64 v[89:90], v[99:100], v[75:76], v[73:74]
	;; [unrolled: 5-line block ×6, first 2 shown]
	ds_read_b64 v[75:76], v72 offset:560
	s_waitcnt vmcnt(2) lgkmcnt(0)
	v_fma_f64 v[73:74], v[87:88], v[75:76], v[73:74]
	s_waitcnt vmcnt(0)
	v_add_f64 v[73:74], v[85:86], -v[73:74]
	buffer_store_dword v74, off, s[0:3], 0 offset:108
	buffer_store_dword v73, off, s[0:3], 0 offset:104
	v_cmpx_lt_u32_e32 12, v0
	s_cbranch_execz .LBB98_195
; %bb.194:
	s_clause 0x1
	buffer_load_dword v73, off, s[0:3], 0 offset:96
	buffer_load_dword v74, off, s[0:3], 0 offset:100
	buffer_store_dword v72, off, s[0:3], 0 offset:96
	buffer_store_dword v72, off, s[0:3], 0 offset:100
	s_waitcnt vmcnt(0)
	ds_write_b64 v71, v[73:74]
.LBB98_195:
	s_or_b32 exec_lo, exec_lo, s4
	s_waitcnt lgkmcnt(0)
	s_waitcnt_vscnt null, 0x0
	s_barrier
	buffer_gl0_inv
	s_clause 0x1b
	buffer_load_dword v77, off, s[0:3], 0 offset:104
	buffer_load_dword v78, off, s[0:3], 0 offset:108
	;; [unrolled: 1-line block ×28, first 2 shown]
	ds_read2_b64 v[73:76], v72 offset0:49 offset1:50
	s_clause 0x1
	buffer_load_dword v105, off, s[0:3], 0 offset:216
	buffer_load_dword v106, off, s[0:3], 0 offset:220
	s_mov_b32 s4, exec_lo
	s_waitcnt vmcnt(28) lgkmcnt(0)
	v_fma_f64 v[73:74], v[77:78], v[73:74], 0
	s_clause 0x1
	buffer_load_dword v78, off, s[0:3], 0 offset:228
	buffer_load_dword v77, off, s[0:3], 0 offset:224
	s_waitcnt vmcnt(28)
	v_fma_f64 v[79:80], v[79:80], v[75:76], v[73:74]
	ds_read2_b64 v[73:76], v72 offset0:51 offset1:52
	s_clause 0x1
	buffer_load_dword v107, off, s[0:3], 0 offset:232
	buffer_load_dword v108, off, s[0:3], 0 offset:236
	s_waitcnt vmcnt(28) lgkmcnt(0)
	v_fma_f64 v[73:74], v[81:82], v[73:74], v[79:80]
	s_clause 0x1
	buffer_load_dword v79, off, s[0:3], 0 offset:240
	buffer_load_dword v80, off, s[0:3], 0 offset:244
	s_waitcnt vmcnt(28)
	v_fma_f64 v[81:82], v[83:84], v[75:76], v[73:74]
	ds_read2_b64 v[73:76], v72 offset0:53 offset1:54
	s_clause 0x1
	buffer_load_dword v83, off, s[0:3], 0 offset:248
	buffer_load_dword v84, off, s[0:3], 0 offset:252
	s_waitcnt vmcnt(28) lgkmcnt(0)
	v_fma_f64 v[73:74], v[85:86], v[73:74], v[81:82]
	s_clause 0x1
	buffer_load_dword v82, off, s[0:3], 0 offset:260
	buffer_load_dword v81, off, s[0:3], 0 offset:256
	s_waitcnt vmcnt(28)
	v_fma_f64 v[85:86], v[87:88], v[75:76], v[73:74]
	ds_read2_b64 v[73:76], v72 offset0:55 offset1:56
	s_clause 0x1
	buffer_load_dword v87, off, s[0:3], 0 offset:264
	buffer_load_dword v88, off, s[0:3], 0 offset:268
	s_waitcnt vmcnt(28) lgkmcnt(0)
	v_fma_f64 v[73:74], v[89:90], v[73:74], v[85:86]
	s_clause 0x1
	buffer_load_dword v85, off, s[0:3], 0 offset:272
	buffer_load_dword v86, off, s[0:3], 0 offset:276
	s_waitcnt vmcnt(28)
	v_fma_f64 v[89:90], v[91:92], v[75:76], v[73:74]
	ds_read2_b64 v[73:76], v72 offset0:57 offset1:58
	s_clause 0x1
	buffer_load_dword v91, off, s[0:3], 0 offset:96
	buffer_load_dword v92, off, s[0:3], 0 offset:100
	s_waitcnt vmcnt(28) lgkmcnt(0)
	v_fma_f64 v[73:74], v[93:94], v[73:74], v[89:90]
	s_waitcnt vmcnt(26)
	v_fma_f64 v[89:90], v[95:96], v[75:76], v[73:74]
	ds_read2_b64 v[73:76], v72 offset0:59 offset1:60
	s_waitcnt vmcnt(24) lgkmcnt(0)
	v_fma_f64 v[73:74], v[97:98], v[73:74], v[89:90]
	s_waitcnt vmcnt(22)
	v_fma_f64 v[89:90], v[99:100], v[75:76], v[73:74]
	ds_read2_b64 v[73:76], v72 offset0:61 offset1:62
	;; [unrolled: 5-line block ×6, first 2 shown]
	s_waitcnt vmcnt(4) lgkmcnt(0)
	v_fma_f64 v[72:73], v[87:88], v[72:73], v[76:77]
	s_waitcnt vmcnt(2)
	v_fma_f64 v[72:73], v[85:86], v[74:75], v[72:73]
	s_waitcnt vmcnt(0)
	v_add_f64 v[72:73], v[91:92], -v[72:73]
	buffer_store_dword v73, off, s[0:3], 0 offset:100
	buffer_store_dword v72, off, s[0:3], 0 offset:96
	v_cmpx_lt_u32_e32 11, v0
	s_cbranch_execz .LBB98_197
; %bb.196:
	s_clause 0x1
	buffer_load_dword v72, off, s[0:3], 0 offset:88
	buffer_load_dword v73, off, s[0:3], 0 offset:92
	v_mov_b32_e32 v74, 0
	buffer_store_dword v74, off, s[0:3], 0 offset:88
	buffer_store_dword v74, off, s[0:3], 0 offset:92
	s_waitcnt vmcnt(0)
	ds_write_b64 v71, v[72:73]
.LBB98_197:
	s_or_b32 exec_lo, exec_lo, s4
	s_waitcnt lgkmcnt(0)
	s_waitcnt_vscnt null, 0x0
	s_barrier
	buffer_gl0_inv
	s_clause 0x1b
	buffer_load_dword v77, off, s[0:3], 0 offset:96
	buffer_load_dword v78, off, s[0:3], 0 offset:100
	buffer_load_dword v79, off, s[0:3], 0 offset:104
	buffer_load_dword v80, off, s[0:3], 0 offset:108
	buffer_load_dword v81, off, s[0:3], 0 offset:112
	buffer_load_dword v82, off, s[0:3], 0 offset:116
	buffer_load_dword v83, off, s[0:3], 0 offset:120
	buffer_load_dword v84, off, s[0:3], 0 offset:124
	buffer_load_dword v85, off, s[0:3], 0 offset:128
	buffer_load_dword v86, off, s[0:3], 0 offset:132
	buffer_load_dword v87, off, s[0:3], 0 offset:136
	buffer_load_dword v88, off, s[0:3], 0 offset:140
	buffer_load_dword v89, off, s[0:3], 0 offset:144
	buffer_load_dword v90, off, s[0:3], 0 offset:148
	buffer_load_dword v92, off, s[0:3], 0 offset:156
	buffer_load_dword v91, off, s[0:3], 0 offset:152
	buffer_load_dword v93, off, s[0:3], 0 offset:160
	buffer_load_dword v94, off, s[0:3], 0 offset:164
	buffer_load_dword v95, off, s[0:3], 0 offset:168
	buffer_load_dword v96, off, s[0:3], 0 offset:172
	buffer_load_dword v97, off, s[0:3], 0 offset:176
	buffer_load_dword v98, off, s[0:3], 0 offset:180
	buffer_load_dword v100, off, s[0:3], 0 offset:188
	buffer_load_dword v99, off, s[0:3], 0 offset:184
	buffer_load_dword v101, off, s[0:3], 0 offset:192
	buffer_load_dword v102, off, s[0:3], 0 offset:196
	buffer_load_dword v103, off, s[0:3], 0 offset:200
	buffer_load_dword v104, off, s[0:3], 0 offset:204
	v_mov_b32_e32 v72, 0
	s_mov_b32 s4, exec_lo
	ds_read_b128 v[73:76], v72 offset:384
	s_clause 0x1
	buffer_load_dword v105, off, s[0:3], 0 offset:208
	buffer_load_dword v106, off, s[0:3], 0 offset:212
	s_waitcnt vmcnt(28) lgkmcnt(0)
	v_fma_f64 v[73:74], v[77:78], v[73:74], 0
	s_clause 0x1
	buffer_load_dword v78, off, s[0:3], 0 offset:220
	buffer_load_dword v77, off, s[0:3], 0 offset:216
	s_waitcnt vmcnt(28)
	v_fma_f64 v[79:80], v[79:80], v[75:76], v[73:74]
	ds_read_b128 v[73:76], v72 offset:400
	s_clause 0x1
	buffer_load_dword v107, off, s[0:3], 0 offset:224
	buffer_load_dword v108, off, s[0:3], 0 offset:228
	s_waitcnt vmcnt(28) lgkmcnt(0)
	v_fma_f64 v[73:74], v[81:82], v[73:74], v[79:80]
	s_clause 0x1
	buffer_load_dword v79, off, s[0:3], 0 offset:232
	buffer_load_dword v80, off, s[0:3], 0 offset:236
	s_waitcnt vmcnt(28)
	v_fma_f64 v[81:82], v[83:84], v[75:76], v[73:74]
	;; [unrolled: 11-line block ×5, first 2 shown]
	ds_read_b128 v[73:76], v72 offset:464
	s_waitcnt vmcnt(26) lgkmcnt(0)
	v_fma_f64 v[73:74], v[97:98], v[73:74], v[93:94]
	s_waitcnt vmcnt(24)
	v_fma_f64 v[93:94], v[99:100], v[75:76], v[73:74]
	ds_read_b128 v[73:76], v72 offset:480
	s_waitcnt vmcnt(22) lgkmcnt(0)
	v_fma_f64 v[73:74], v[101:102], v[73:74], v[93:94]
	s_waitcnt vmcnt(20)
	v_fma_f64 v[93:94], v[103:104], v[75:76], v[73:74]
	;; [unrolled: 5-line block ×6, first 2 shown]
	ds_read_b64 v[75:76], v72 offset:560
	s_waitcnt vmcnt(2) lgkmcnt(0)
	v_fma_f64 v[73:74], v[91:92], v[75:76], v[73:74]
	s_waitcnt vmcnt(0)
	v_add_f64 v[73:74], v[89:90], -v[73:74]
	buffer_store_dword v74, off, s[0:3], 0 offset:92
	buffer_store_dword v73, off, s[0:3], 0 offset:88
	v_cmpx_lt_u32_e32 10, v0
	s_cbranch_execz .LBB98_199
; %bb.198:
	s_clause 0x1
	buffer_load_dword v73, off, s[0:3], 0 offset:80
	buffer_load_dword v74, off, s[0:3], 0 offset:84
	buffer_store_dword v72, off, s[0:3], 0 offset:80
	buffer_store_dword v72, off, s[0:3], 0 offset:84
	s_waitcnt vmcnt(0)
	ds_write_b64 v71, v[73:74]
.LBB98_199:
	s_or_b32 exec_lo, exec_lo, s4
	s_waitcnt lgkmcnt(0)
	s_waitcnt_vscnt null, 0x0
	s_barrier
	buffer_gl0_inv
	s_clause 0x1b
	buffer_load_dword v77, off, s[0:3], 0 offset:88
	buffer_load_dword v78, off, s[0:3], 0 offset:92
	;; [unrolled: 1-line block ×28, first 2 shown]
	ds_read2_b64 v[73:76], v72 offset0:47 offset1:48
	s_clause 0x1
	buffer_load_dword v105, off, s[0:3], 0 offset:200
	buffer_load_dword v106, off, s[0:3], 0 offset:204
	s_mov_b32 s4, exec_lo
	s_waitcnt vmcnt(28) lgkmcnt(0)
	v_fma_f64 v[73:74], v[77:78], v[73:74], 0
	s_clause 0x1
	buffer_load_dword v78, off, s[0:3], 0 offset:212
	buffer_load_dword v77, off, s[0:3], 0 offset:208
	s_waitcnt vmcnt(28)
	v_fma_f64 v[79:80], v[79:80], v[75:76], v[73:74]
	ds_read2_b64 v[73:76], v72 offset0:49 offset1:50
	s_clause 0x1
	buffer_load_dword v107, off, s[0:3], 0 offset:216
	buffer_load_dword v108, off, s[0:3], 0 offset:220
	s_waitcnt vmcnt(28) lgkmcnt(0)
	v_fma_f64 v[73:74], v[81:82], v[73:74], v[79:80]
	s_clause 0x1
	buffer_load_dword v79, off, s[0:3], 0 offset:224
	buffer_load_dword v80, off, s[0:3], 0 offset:228
	s_waitcnt vmcnt(28)
	v_fma_f64 v[81:82], v[83:84], v[75:76], v[73:74]
	ds_read2_b64 v[73:76], v72 offset0:51 offset1:52
	s_clause 0x1
	buffer_load_dword v83, off, s[0:3], 0 offset:232
	buffer_load_dword v84, off, s[0:3], 0 offset:236
	;; [unrolled: 11-line block ×5, first 2 shown]
	s_waitcnt vmcnt(28) lgkmcnt(0)
	v_fma_f64 v[73:74], v[97:98], v[73:74], v[93:94]
	s_waitcnt vmcnt(26)
	v_fma_f64 v[93:94], v[99:100], v[75:76], v[73:74]
	ds_read2_b64 v[73:76], v72 offset0:59 offset1:60
	s_waitcnt vmcnt(24) lgkmcnt(0)
	v_fma_f64 v[73:74], v[101:102], v[73:74], v[93:94]
	s_waitcnt vmcnt(22)
	v_fma_f64 v[93:94], v[103:104], v[75:76], v[73:74]
	ds_read2_b64 v[73:76], v72 offset0:61 offset1:62
	s_waitcnt vmcnt(20) lgkmcnt(0)
	v_fma_f64 v[73:74], v[105:106], v[73:74], v[93:94]
	s_waitcnt vmcnt(18)
	v_fma_f64 v[77:78], v[77:78], v[75:76], v[73:74]
	ds_read2_b64 v[73:76], v72 offset0:63 offset1:64
	s_waitcnt vmcnt(16) lgkmcnt(0)
	v_fma_f64 v[73:74], v[107:108], v[73:74], v[77:78]
	s_waitcnt vmcnt(14)
	v_fma_f64 v[77:78], v[79:80], v[75:76], v[73:74]
	ds_read2_b64 v[73:76], v72 offset0:65 offset1:66
	s_waitcnt vmcnt(12) lgkmcnt(0)
	v_fma_f64 v[73:74], v[83:84], v[73:74], v[77:78]
	s_waitcnt vmcnt(10)
	v_fma_f64 v[77:78], v[81:82], v[75:76], v[73:74]
	ds_read2_b64 v[73:76], v72 offset0:67 offset1:68
	s_waitcnt vmcnt(8) lgkmcnt(0)
	v_fma_f64 v[73:74], v[87:88], v[73:74], v[77:78]
	s_waitcnt vmcnt(6)
	v_fma_f64 v[76:77], v[85:86], v[75:76], v[73:74]
	ds_read2_b64 v[72:75], v72 offset0:69 offset1:70
	s_waitcnt vmcnt(4) lgkmcnt(0)
	v_fma_f64 v[72:73], v[91:92], v[72:73], v[76:77]
	s_waitcnt vmcnt(2)
	v_fma_f64 v[72:73], v[89:90], v[74:75], v[72:73]
	s_waitcnt vmcnt(0)
	v_add_f64 v[72:73], v[95:96], -v[72:73]
	buffer_store_dword v73, off, s[0:3], 0 offset:84
	buffer_store_dword v72, off, s[0:3], 0 offset:80
	v_cmpx_lt_u32_e32 9, v0
	s_cbranch_execz .LBB98_201
; %bb.200:
	s_clause 0x1
	buffer_load_dword v72, off, s[0:3], 0 offset:72
	buffer_load_dword v73, off, s[0:3], 0 offset:76
	v_mov_b32_e32 v74, 0
	buffer_store_dword v74, off, s[0:3], 0 offset:72
	buffer_store_dword v74, off, s[0:3], 0 offset:76
	s_waitcnt vmcnt(0)
	ds_write_b64 v71, v[72:73]
.LBB98_201:
	s_or_b32 exec_lo, exec_lo, s4
	s_waitcnt lgkmcnt(0)
	s_waitcnt_vscnt null, 0x0
	s_barrier
	buffer_gl0_inv
	s_clause 0x1b
	buffer_load_dword v77, off, s[0:3], 0 offset:80
	buffer_load_dword v78, off, s[0:3], 0 offset:84
	;; [unrolled: 1-line block ×28, first 2 shown]
	v_mov_b32_e32 v72, 0
	s_mov_b32 s4, exec_lo
	ds_read_b128 v[73:76], v72 offset:368
	s_clause 0x1
	buffer_load_dword v105, off, s[0:3], 0 offset:192
	buffer_load_dword v106, off, s[0:3], 0 offset:196
	s_waitcnt vmcnt(28) lgkmcnt(0)
	v_fma_f64 v[73:74], v[77:78], v[73:74], 0
	s_clause 0x1
	buffer_load_dword v78, off, s[0:3], 0 offset:204
	buffer_load_dword v77, off, s[0:3], 0 offset:200
	s_waitcnt vmcnt(28)
	v_fma_f64 v[79:80], v[79:80], v[75:76], v[73:74]
	ds_read_b128 v[73:76], v72 offset:384
	s_clause 0x1
	buffer_load_dword v107, off, s[0:3], 0 offset:208
	buffer_load_dword v108, off, s[0:3], 0 offset:212
	s_waitcnt vmcnt(28) lgkmcnt(0)
	v_fma_f64 v[73:74], v[81:82], v[73:74], v[79:80]
	s_clause 0x1
	buffer_load_dword v79, off, s[0:3], 0 offset:216
	buffer_load_dword v80, off, s[0:3], 0 offset:220
	s_waitcnt vmcnt(28)
	v_fma_f64 v[81:82], v[83:84], v[75:76], v[73:74]
	;; [unrolled: 11-line block ×6, first 2 shown]
	ds_read_b128 v[73:76], v72 offset:464
	s_waitcnt vmcnt(26) lgkmcnt(0)
	v_fma_f64 v[73:74], v[101:102], v[73:74], v[97:98]
	s_waitcnt vmcnt(24)
	v_fma_f64 v[97:98], v[103:104], v[75:76], v[73:74]
	ds_read_b128 v[73:76], v72 offset:480
	s_waitcnt vmcnt(22) lgkmcnt(0)
	v_fma_f64 v[73:74], v[105:106], v[73:74], v[97:98]
	s_waitcnt vmcnt(20)
	v_fma_f64 v[77:78], v[77:78], v[75:76], v[73:74]
	;; [unrolled: 5-line block ×6, first 2 shown]
	ds_read_b64 v[75:76], v72 offset:560
	s_waitcnt vmcnt(2) lgkmcnt(0)
	v_fma_f64 v[73:74], v[95:96], v[75:76], v[73:74]
	s_waitcnt vmcnt(0)
	v_add_f64 v[73:74], v[93:94], -v[73:74]
	buffer_store_dword v74, off, s[0:3], 0 offset:76
	buffer_store_dword v73, off, s[0:3], 0 offset:72
	v_cmpx_lt_u32_e32 8, v0
	s_cbranch_execz .LBB98_203
; %bb.202:
	s_clause 0x1
	buffer_load_dword v73, off, s[0:3], 0 offset:64
	buffer_load_dword v74, off, s[0:3], 0 offset:68
	buffer_store_dword v72, off, s[0:3], 0 offset:64
	buffer_store_dword v72, off, s[0:3], 0 offset:68
	s_waitcnt vmcnt(0)
	ds_write_b64 v71, v[73:74]
.LBB98_203:
	s_or_b32 exec_lo, exec_lo, s4
	s_waitcnt lgkmcnt(0)
	s_waitcnt_vscnt null, 0x0
	s_barrier
	buffer_gl0_inv
	s_clause 0x1b
	buffer_load_dword v77, off, s[0:3], 0 offset:72
	buffer_load_dword v78, off, s[0:3], 0 offset:76
	;; [unrolled: 1-line block ×28, first 2 shown]
	ds_read2_b64 v[73:76], v72 offset0:45 offset1:46
	s_clause 0x1
	buffer_load_dword v105, off, s[0:3], 0 offset:184
	buffer_load_dword v106, off, s[0:3], 0 offset:188
	s_mov_b32 s4, exec_lo
	s_waitcnt vmcnt(28) lgkmcnt(0)
	v_fma_f64 v[73:74], v[77:78], v[73:74], 0
	s_clause 0x1
	buffer_load_dword v78, off, s[0:3], 0 offset:196
	buffer_load_dword v77, off, s[0:3], 0 offset:192
	s_waitcnt vmcnt(28)
	v_fma_f64 v[79:80], v[79:80], v[75:76], v[73:74]
	ds_read2_b64 v[73:76], v72 offset0:47 offset1:48
	s_clause 0x1
	buffer_load_dword v107, off, s[0:3], 0 offset:200
	buffer_load_dword v108, off, s[0:3], 0 offset:204
	s_waitcnt vmcnt(28) lgkmcnt(0)
	v_fma_f64 v[73:74], v[81:82], v[73:74], v[79:80]
	s_clause 0x1
	buffer_load_dword v79, off, s[0:3], 0 offset:208
	buffer_load_dword v80, off, s[0:3], 0 offset:212
	s_waitcnt vmcnt(28)
	v_fma_f64 v[81:82], v[83:84], v[75:76], v[73:74]
	ds_read2_b64 v[73:76], v72 offset0:49 offset1:50
	s_clause 0x1
	buffer_load_dword v83, off, s[0:3], 0 offset:216
	buffer_load_dword v84, off, s[0:3], 0 offset:220
	;; [unrolled: 11-line block ×6, first 2 shown]
	s_waitcnt vmcnt(28) lgkmcnt(0)
	v_fma_f64 v[73:74], v[101:102], v[73:74], v[97:98]
	s_waitcnt vmcnt(26)
	v_fma_f64 v[97:98], v[103:104], v[75:76], v[73:74]
	ds_read2_b64 v[73:76], v72 offset0:59 offset1:60
	s_waitcnt vmcnt(24) lgkmcnt(0)
	v_fma_f64 v[73:74], v[105:106], v[73:74], v[97:98]
	s_waitcnt vmcnt(22)
	v_fma_f64 v[77:78], v[77:78], v[75:76], v[73:74]
	ds_read2_b64 v[73:76], v72 offset0:61 offset1:62
	;; [unrolled: 5-line block ×6, first 2 shown]
	s_waitcnt vmcnt(4) lgkmcnt(0)
	v_fma_f64 v[72:73], v[95:96], v[72:73], v[76:77]
	s_waitcnt vmcnt(2)
	v_fma_f64 v[72:73], v[93:94], v[74:75], v[72:73]
	s_waitcnt vmcnt(0)
	v_add_f64 v[72:73], v[99:100], -v[72:73]
	buffer_store_dword v73, off, s[0:3], 0 offset:68
	buffer_store_dword v72, off, s[0:3], 0 offset:64
	v_cmpx_lt_u32_e32 7, v0
	s_cbranch_execz .LBB98_205
; %bb.204:
	s_clause 0x1
	buffer_load_dword v72, off, s[0:3], 0 offset:56
	buffer_load_dword v73, off, s[0:3], 0 offset:60
	v_mov_b32_e32 v74, 0
	buffer_store_dword v74, off, s[0:3], 0 offset:56
	buffer_store_dword v74, off, s[0:3], 0 offset:60
	s_waitcnt vmcnt(0)
	ds_write_b64 v71, v[72:73]
.LBB98_205:
	s_or_b32 exec_lo, exec_lo, s4
	s_waitcnt lgkmcnt(0)
	s_waitcnt_vscnt null, 0x0
	s_barrier
	buffer_gl0_inv
	s_clause 0x1b
	buffer_load_dword v77, off, s[0:3], 0 offset:64
	buffer_load_dword v78, off, s[0:3], 0 offset:68
	;; [unrolled: 1-line block ×28, first 2 shown]
	v_mov_b32_e32 v72, 0
	s_mov_b32 s4, exec_lo
	ds_read_b128 v[73:76], v72 offset:352
	s_clause 0x1
	buffer_load_dword v105, off, s[0:3], 0 offset:176
	buffer_load_dword v106, off, s[0:3], 0 offset:180
	s_waitcnt vmcnt(28) lgkmcnt(0)
	v_fma_f64 v[73:74], v[77:78], v[73:74], 0
	s_clause 0x1
	buffer_load_dword v78, off, s[0:3], 0 offset:188
	buffer_load_dword v77, off, s[0:3], 0 offset:184
	s_waitcnt vmcnt(28)
	v_fma_f64 v[79:80], v[79:80], v[75:76], v[73:74]
	ds_read_b128 v[73:76], v72 offset:368
	s_clause 0x1
	buffer_load_dword v107, off, s[0:3], 0 offset:192
	buffer_load_dword v108, off, s[0:3], 0 offset:196
	s_waitcnt vmcnt(28) lgkmcnt(0)
	v_fma_f64 v[73:74], v[81:82], v[73:74], v[79:80]
	s_clause 0x1
	buffer_load_dword v79, off, s[0:3], 0 offset:200
	buffer_load_dword v80, off, s[0:3], 0 offset:204
	s_waitcnt vmcnt(28)
	v_fma_f64 v[81:82], v[83:84], v[75:76], v[73:74]
	;; [unrolled: 11-line block ×7, first 2 shown]
	ds_read_b128 v[73:76], v72 offset:464
	s_waitcnt vmcnt(26) lgkmcnt(0)
	v_fma_f64 v[73:74], v[105:106], v[73:74], v[101:102]
	s_waitcnt vmcnt(24)
	v_fma_f64 v[77:78], v[77:78], v[75:76], v[73:74]
	ds_read_b128 v[73:76], v72 offset:480
	s_waitcnt vmcnt(22) lgkmcnt(0)
	v_fma_f64 v[73:74], v[107:108], v[73:74], v[77:78]
	s_waitcnt vmcnt(20)
	v_fma_f64 v[77:78], v[79:80], v[75:76], v[73:74]
	;; [unrolled: 5-line block ×6, first 2 shown]
	ds_read_b64 v[75:76], v72 offset:560
	s_waitcnt vmcnt(2) lgkmcnt(0)
	v_fma_f64 v[73:74], v[99:100], v[75:76], v[73:74]
	s_waitcnt vmcnt(0)
	v_add_f64 v[73:74], v[97:98], -v[73:74]
	buffer_store_dword v74, off, s[0:3], 0 offset:60
	buffer_store_dword v73, off, s[0:3], 0 offset:56
	v_cmpx_lt_u32_e32 6, v0
	s_cbranch_execz .LBB98_207
; %bb.206:
	s_clause 0x1
	buffer_load_dword v73, off, s[0:3], 0 offset:48
	buffer_load_dword v74, off, s[0:3], 0 offset:52
	buffer_store_dword v72, off, s[0:3], 0 offset:48
	buffer_store_dword v72, off, s[0:3], 0 offset:52
	s_waitcnt vmcnt(0)
	ds_write_b64 v71, v[73:74]
.LBB98_207:
	s_or_b32 exec_lo, exec_lo, s4
	s_waitcnt lgkmcnt(0)
	s_waitcnt_vscnt null, 0x0
	s_barrier
	buffer_gl0_inv
	s_clause 0x1b
	buffer_load_dword v77, off, s[0:3], 0 offset:56
	buffer_load_dword v78, off, s[0:3], 0 offset:60
	;; [unrolled: 1-line block ×28, first 2 shown]
	ds_read2_b64 v[73:76], v72 offset0:43 offset1:44
	s_clause 0x1
	buffer_load_dword v105, off, s[0:3], 0 offset:168
	buffer_load_dword v106, off, s[0:3], 0 offset:172
	s_mov_b32 s4, exec_lo
	s_waitcnt vmcnt(28) lgkmcnt(0)
	v_fma_f64 v[73:74], v[77:78], v[73:74], 0
	s_clause 0x1
	buffer_load_dword v78, off, s[0:3], 0 offset:180
	buffer_load_dword v77, off, s[0:3], 0 offset:176
	s_waitcnt vmcnt(28)
	v_fma_f64 v[79:80], v[79:80], v[75:76], v[73:74]
	ds_read2_b64 v[73:76], v72 offset0:45 offset1:46
	s_clause 0x1
	buffer_load_dword v107, off, s[0:3], 0 offset:184
	buffer_load_dword v108, off, s[0:3], 0 offset:188
	s_waitcnt vmcnt(28) lgkmcnt(0)
	v_fma_f64 v[73:74], v[81:82], v[73:74], v[79:80]
	s_clause 0x1
	buffer_load_dword v79, off, s[0:3], 0 offset:192
	buffer_load_dword v80, off, s[0:3], 0 offset:196
	s_waitcnt vmcnt(28)
	v_fma_f64 v[81:82], v[83:84], v[75:76], v[73:74]
	ds_read2_b64 v[73:76], v72 offset0:47 offset1:48
	s_clause 0x1
	buffer_load_dword v83, off, s[0:3], 0 offset:200
	buffer_load_dword v84, off, s[0:3], 0 offset:204
	;; [unrolled: 11-line block ×7, first 2 shown]
	s_waitcnt vmcnt(28) lgkmcnt(0)
	v_fma_f64 v[73:74], v[105:106], v[73:74], v[101:102]
	s_waitcnt vmcnt(26)
	v_fma_f64 v[77:78], v[77:78], v[75:76], v[73:74]
	ds_read2_b64 v[73:76], v72 offset0:59 offset1:60
	s_waitcnt vmcnt(24) lgkmcnt(0)
	v_fma_f64 v[73:74], v[107:108], v[73:74], v[77:78]
	s_waitcnt vmcnt(22)
	v_fma_f64 v[77:78], v[79:80], v[75:76], v[73:74]
	ds_read2_b64 v[73:76], v72 offset0:61 offset1:62
	;; [unrolled: 5-line block ×6, first 2 shown]
	s_waitcnt vmcnt(4) lgkmcnt(0)
	v_fma_f64 v[72:73], v[99:100], v[72:73], v[76:77]
	s_waitcnt vmcnt(2)
	v_fma_f64 v[72:73], v[97:98], v[74:75], v[72:73]
	s_waitcnt vmcnt(0)
	v_add_f64 v[72:73], v[103:104], -v[72:73]
	buffer_store_dword v73, off, s[0:3], 0 offset:52
	buffer_store_dword v72, off, s[0:3], 0 offset:48
	v_cmpx_lt_u32_e32 5, v0
	s_cbranch_execz .LBB98_209
; %bb.208:
	s_clause 0x1
	buffer_load_dword v72, off, s[0:3], 0 offset:40
	buffer_load_dword v73, off, s[0:3], 0 offset:44
	v_mov_b32_e32 v74, 0
	buffer_store_dword v74, off, s[0:3], 0 offset:40
	buffer_store_dword v74, off, s[0:3], 0 offset:44
	s_waitcnt vmcnt(0)
	ds_write_b64 v71, v[72:73]
.LBB98_209:
	s_or_b32 exec_lo, exec_lo, s4
	s_waitcnt lgkmcnt(0)
	s_waitcnt_vscnt null, 0x0
	s_barrier
	buffer_gl0_inv
	s_clause 0x1b
	buffer_load_dword v77, off, s[0:3], 0 offset:48
	buffer_load_dword v78, off, s[0:3], 0 offset:52
	;; [unrolled: 1-line block ×28, first 2 shown]
	v_mov_b32_e32 v72, 0
	s_mov_b32 s4, exec_lo
	ds_read_b128 v[73:76], v72 offset:336
	s_clause 0x1
	buffer_load_dword v105, off, s[0:3], 0 offset:160
	buffer_load_dword v106, off, s[0:3], 0 offset:164
	s_waitcnt vmcnt(28) lgkmcnt(0)
	v_fma_f64 v[73:74], v[77:78], v[73:74], 0
	s_clause 0x1
	buffer_load_dword v78, off, s[0:3], 0 offset:172
	buffer_load_dword v77, off, s[0:3], 0 offset:168
	s_waitcnt vmcnt(28)
	v_fma_f64 v[79:80], v[79:80], v[75:76], v[73:74]
	ds_read_b128 v[73:76], v72 offset:352
	s_clause 0x1
	buffer_load_dword v107, off, s[0:3], 0 offset:176
	buffer_load_dword v108, off, s[0:3], 0 offset:180
	s_waitcnt vmcnt(28) lgkmcnt(0)
	v_fma_f64 v[73:74], v[81:82], v[73:74], v[79:80]
	s_clause 0x1
	buffer_load_dword v79, off, s[0:3], 0 offset:184
	buffer_load_dword v80, off, s[0:3], 0 offset:188
	s_waitcnt vmcnt(28)
	v_fma_f64 v[81:82], v[83:84], v[75:76], v[73:74]
	;; [unrolled: 11-line block ×8, first 2 shown]
	ds_read_b128 v[73:76], v72 offset:464
	s_waitcnt vmcnt(26) lgkmcnt(0)
	v_fma_f64 v[73:74], v[107:108], v[73:74], v[77:78]
	s_waitcnt vmcnt(24)
	v_fma_f64 v[77:78], v[79:80], v[75:76], v[73:74]
	ds_read_b128 v[73:76], v72 offset:480
	s_waitcnt vmcnt(22) lgkmcnt(0)
	v_fma_f64 v[73:74], v[83:84], v[73:74], v[77:78]
	s_waitcnt vmcnt(20)
	v_fma_f64 v[77:78], v[81:82], v[75:76], v[73:74]
	;; [unrolled: 5-line block ×6, first 2 shown]
	ds_read_b64 v[75:76], v72 offset:560
	s_waitcnt vmcnt(2) lgkmcnt(0)
	v_fma_f64 v[73:74], v[103:104], v[75:76], v[73:74]
	s_waitcnt vmcnt(0)
	v_add_f64 v[73:74], v[101:102], -v[73:74]
	buffer_store_dword v74, off, s[0:3], 0 offset:44
	buffer_store_dword v73, off, s[0:3], 0 offset:40
	v_cmpx_lt_u32_e32 4, v0
	s_cbranch_execz .LBB98_211
; %bb.210:
	s_clause 0x1
	buffer_load_dword v73, off, s[0:3], 0 offset:32
	buffer_load_dword v74, off, s[0:3], 0 offset:36
	buffer_store_dword v72, off, s[0:3], 0 offset:32
	buffer_store_dword v72, off, s[0:3], 0 offset:36
	s_waitcnt vmcnt(0)
	ds_write_b64 v71, v[73:74]
.LBB98_211:
	s_or_b32 exec_lo, exec_lo, s4
	s_waitcnt lgkmcnt(0)
	s_waitcnt_vscnt null, 0x0
	s_barrier
	buffer_gl0_inv
	s_clause 0x1b
	buffer_load_dword v77, off, s[0:3], 0 offset:40
	buffer_load_dword v78, off, s[0:3], 0 offset:44
	;; [unrolled: 1-line block ×28, first 2 shown]
	ds_read2_b64 v[73:76], v72 offset0:41 offset1:42
	s_clause 0x1
	buffer_load_dword v105, off, s[0:3], 0 offset:152
	buffer_load_dword v106, off, s[0:3], 0 offset:156
	s_mov_b32 s4, exec_lo
	s_waitcnt vmcnt(28) lgkmcnt(0)
	v_fma_f64 v[73:74], v[77:78], v[73:74], 0
	s_clause 0x1
	buffer_load_dword v78, off, s[0:3], 0 offset:164
	buffer_load_dword v77, off, s[0:3], 0 offset:160
	s_waitcnt vmcnt(28)
	v_fma_f64 v[79:80], v[79:80], v[75:76], v[73:74]
	ds_read2_b64 v[73:76], v72 offset0:43 offset1:44
	s_clause 0x1
	buffer_load_dword v107, off, s[0:3], 0 offset:168
	buffer_load_dword v108, off, s[0:3], 0 offset:172
	s_waitcnt vmcnt(28) lgkmcnt(0)
	v_fma_f64 v[73:74], v[81:82], v[73:74], v[79:80]
	s_clause 0x1
	buffer_load_dword v79, off, s[0:3], 0 offset:176
	buffer_load_dword v80, off, s[0:3], 0 offset:180
	s_waitcnt vmcnt(28)
	v_fma_f64 v[81:82], v[83:84], v[75:76], v[73:74]
	ds_read2_b64 v[73:76], v72 offset0:45 offset1:46
	s_clause 0x1
	buffer_load_dword v83, off, s[0:3], 0 offset:184
	buffer_load_dword v84, off, s[0:3], 0 offset:188
	;; [unrolled: 11-line block ×8, first 2 shown]
	s_waitcnt vmcnt(28) lgkmcnt(0)
	v_fma_f64 v[73:74], v[107:108], v[73:74], v[77:78]
	s_waitcnt vmcnt(26)
	v_fma_f64 v[77:78], v[79:80], v[75:76], v[73:74]
	ds_read2_b64 v[73:76], v72 offset0:59 offset1:60
	s_waitcnt vmcnt(24) lgkmcnt(0)
	v_fma_f64 v[73:74], v[83:84], v[73:74], v[77:78]
	s_waitcnt vmcnt(22)
	v_fma_f64 v[77:78], v[81:82], v[75:76], v[73:74]
	ds_read2_b64 v[73:76], v72 offset0:61 offset1:62
	;; [unrolled: 5-line block ×6, first 2 shown]
	s_waitcnt vmcnt(4) lgkmcnt(0)
	v_fma_f64 v[72:73], v[103:104], v[72:73], v[76:77]
	s_waitcnt vmcnt(2)
	v_fma_f64 v[72:73], v[101:102], v[74:75], v[72:73]
	s_waitcnt vmcnt(0)
	v_add_f64 v[72:73], v[105:106], -v[72:73]
	buffer_store_dword v73, off, s[0:3], 0 offset:36
	buffer_store_dword v72, off, s[0:3], 0 offset:32
	v_cmpx_lt_u32_e32 3, v0
	s_cbranch_execz .LBB98_213
; %bb.212:
	s_clause 0x1
	buffer_load_dword v72, off, s[0:3], 0 offset:24
	buffer_load_dword v73, off, s[0:3], 0 offset:28
	v_mov_b32_e32 v74, 0
	buffer_store_dword v74, off, s[0:3], 0 offset:24
	buffer_store_dword v74, off, s[0:3], 0 offset:28
	s_waitcnt vmcnt(0)
	ds_write_b64 v71, v[72:73]
.LBB98_213:
	s_or_b32 exec_lo, exec_lo, s4
	s_waitcnt lgkmcnt(0)
	s_waitcnt_vscnt null, 0x0
	s_barrier
	buffer_gl0_inv
	s_clause 0x1b
	buffer_load_dword v77, off, s[0:3], 0 offset:32
	buffer_load_dword v78, off, s[0:3], 0 offset:36
	;; [unrolled: 1-line block ×28, first 2 shown]
	v_mov_b32_e32 v72, 0
	s_mov_b32 s4, exec_lo
	ds_read_b128 v[73:76], v72 offset:320
	s_clause 0x1
	buffer_load_dword v105, off, s[0:3], 0 offset:144
	buffer_load_dword v106, off, s[0:3], 0 offset:148
	s_waitcnt vmcnt(28) lgkmcnt(0)
	v_fma_f64 v[73:74], v[77:78], v[73:74], 0
	s_clause 0x1
	buffer_load_dword v78, off, s[0:3], 0 offset:156
	buffer_load_dword v77, off, s[0:3], 0 offset:152
	s_waitcnt vmcnt(28)
	v_fma_f64 v[79:80], v[79:80], v[75:76], v[73:74]
	ds_read_b128 v[73:76], v72 offset:336
	s_clause 0x1
	buffer_load_dword v107, off, s[0:3], 0 offset:160
	buffer_load_dword v108, off, s[0:3], 0 offset:164
	s_waitcnt vmcnt(28) lgkmcnt(0)
	v_fma_f64 v[73:74], v[81:82], v[73:74], v[79:80]
	s_clause 0x1
	buffer_load_dword v79, off, s[0:3], 0 offset:168
	buffer_load_dword v80, off, s[0:3], 0 offset:172
	s_waitcnt vmcnt(28)
	v_fma_f64 v[81:82], v[83:84], v[75:76], v[73:74]
	;; [unrolled: 11-line block ×9, first 2 shown]
	ds_read_b128 v[73:76], v72 offset:464
	s_waitcnt vmcnt(26) lgkmcnt(0)
	v_fma_f64 v[73:74], v[83:84], v[73:74], v[79:80]
	s_waitcnt vmcnt(24)
	v_fma_f64 v[79:80], v[81:82], v[75:76], v[73:74]
	ds_read_b128 v[73:76], v72 offset:480
	s_waitcnt vmcnt(22) lgkmcnt(0)
	v_fma_f64 v[73:74], v[87:88], v[73:74], v[79:80]
	s_waitcnt vmcnt(20)
	v_fma_f64 v[79:80], v[85:86], v[75:76], v[73:74]
	;; [unrolled: 5-line block ×6, first 2 shown]
	ds_read_b64 v[75:76], v72 offset:560
	s_waitcnt vmcnt(2) lgkmcnt(0)
	v_fma_f64 v[73:74], v[105:106], v[75:76], v[73:74]
	s_waitcnt vmcnt(0)
	v_add_f64 v[73:74], v[77:78], -v[73:74]
	buffer_store_dword v74, off, s[0:3], 0 offset:28
	buffer_store_dword v73, off, s[0:3], 0 offset:24
	v_cmpx_lt_u32_e32 2, v0
	s_cbranch_execz .LBB98_215
; %bb.214:
	s_clause 0x1
	buffer_load_dword v73, off, s[0:3], 0 offset:16
	buffer_load_dword v74, off, s[0:3], 0 offset:20
	buffer_store_dword v72, off, s[0:3], 0 offset:16
	buffer_store_dword v72, off, s[0:3], 0 offset:20
	s_waitcnt vmcnt(0)
	ds_write_b64 v71, v[73:74]
.LBB98_215:
	s_or_b32 exec_lo, exec_lo, s4
	s_waitcnt lgkmcnt(0)
	s_waitcnt_vscnt null, 0x0
	s_barrier
	buffer_gl0_inv
	s_clause 0x1b
	buffer_load_dword v77, off, s[0:3], 0 offset:24
	buffer_load_dword v78, off, s[0:3], 0 offset:28
	;; [unrolled: 1-line block ×28, first 2 shown]
	ds_read2_b64 v[73:76], v72 offset0:39 offset1:40
	s_clause 0x1
	buffer_load_dword v105, off, s[0:3], 0 offset:136
	buffer_load_dword v106, off, s[0:3], 0 offset:140
	s_mov_b32 s4, exec_lo
	s_waitcnt vmcnt(28) lgkmcnt(0)
	v_fma_f64 v[73:74], v[77:78], v[73:74], 0
	s_clause 0x1
	buffer_load_dword v78, off, s[0:3], 0 offset:148
	buffer_load_dword v77, off, s[0:3], 0 offset:144
	s_waitcnt vmcnt(28)
	v_fma_f64 v[79:80], v[79:80], v[75:76], v[73:74]
	ds_read2_b64 v[73:76], v72 offset0:41 offset1:42
	s_clause 0x1
	buffer_load_dword v107, off, s[0:3], 0 offset:152
	buffer_load_dword v108, off, s[0:3], 0 offset:156
	s_waitcnt vmcnt(28) lgkmcnt(0)
	v_fma_f64 v[73:74], v[81:82], v[73:74], v[79:80]
	s_clause 0x1
	buffer_load_dword v79, off, s[0:3], 0 offset:160
	buffer_load_dword v80, off, s[0:3], 0 offset:164
	s_waitcnt vmcnt(28)
	v_fma_f64 v[81:82], v[83:84], v[75:76], v[73:74]
	ds_read2_b64 v[73:76], v72 offset0:43 offset1:44
	s_clause 0x1
	buffer_load_dword v83, off, s[0:3], 0 offset:168
	buffer_load_dword v84, off, s[0:3], 0 offset:172
	;; [unrolled: 11-line block ×9, first 2 shown]
	s_waitcnt vmcnt(28) lgkmcnt(0)
	v_fma_f64 v[73:74], v[83:84], v[73:74], v[79:80]
	s_waitcnt vmcnt(26)
	v_fma_f64 v[79:80], v[81:82], v[75:76], v[73:74]
	ds_read2_b64 v[73:76], v72 offset0:59 offset1:60
	s_waitcnt vmcnt(24) lgkmcnt(0)
	v_fma_f64 v[73:74], v[87:88], v[73:74], v[79:80]
	s_waitcnt vmcnt(22)
	v_fma_f64 v[79:80], v[85:86], v[75:76], v[73:74]
	ds_read2_b64 v[73:76], v72 offset0:61 offset1:62
	s_waitcnt vmcnt(20) lgkmcnt(0)
	v_fma_f64 v[73:74], v[91:92], v[73:74], v[79:80]
	s_waitcnt vmcnt(18)
	v_fma_f64 v[79:80], v[89:90], v[75:76], v[73:74]
	ds_read2_b64 v[73:76], v72 offset0:63 offset1:64
	s_waitcnt vmcnt(16) lgkmcnt(0)
	v_fma_f64 v[73:74], v[95:96], v[73:74], v[79:80]
	s_waitcnt vmcnt(14)
	v_fma_f64 v[79:80], v[93:94], v[75:76], v[73:74]
	ds_read2_b64 v[73:76], v72 offset0:65 offset1:66
	s_waitcnt vmcnt(12) lgkmcnt(0)
	v_fma_f64 v[73:74], v[99:100], v[73:74], v[79:80]
	s_waitcnt vmcnt(10)
	v_fma_f64 v[79:80], v[97:98], v[75:76], v[73:74]
	ds_read2_b64 v[73:76], v72 offset0:67 offset1:68
	s_waitcnt vmcnt(8) lgkmcnt(0)
	v_fma_f64 v[73:74], v[103:104], v[73:74], v[79:80]
	s_waitcnt vmcnt(6)
	v_fma_f64 v[79:80], v[101:102], v[75:76], v[73:74]
	ds_read2_b64 v[72:75], v72 offset0:69 offset1:70
	s_waitcnt vmcnt(4) lgkmcnt(0)
	v_fma_f64 v[72:73], v[105:106], v[72:73], v[79:80]
	s_waitcnt vmcnt(2)
	v_fma_f64 v[72:73], v[77:78], v[74:75], v[72:73]
	s_waitcnt vmcnt(0)
	v_add_f64 v[72:73], v[107:108], -v[72:73]
	buffer_store_dword v73, off, s[0:3], 0 offset:20
	buffer_store_dword v72, off, s[0:3], 0 offset:16
	v_cmpx_lt_u32_e32 1, v0
	s_cbranch_execz .LBB98_217
; %bb.216:
	s_clause 0x1
	buffer_load_dword v72, off, s[0:3], 0 offset:8
	buffer_load_dword v73, off, s[0:3], 0 offset:12
	v_mov_b32_e32 v74, 0
	buffer_store_dword v74, off, s[0:3], 0 offset:8
	buffer_store_dword v74, off, s[0:3], 0 offset:12
	s_waitcnt vmcnt(0)
	ds_write_b64 v71, v[72:73]
.LBB98_217:
	s_or_b32 exec_lo, exec_lo, s4
	s_waitcnt lgkmcnt(0)
	s_waitcnt_vscnt null, 0x0
	s_barrier
	buffer_gl0_inv
	s_clause 0x1b
	buffer_load_dword v78, off, s[0:3], 0 offset:16
	buffer_load_dword v79, off, s[0:3], 0 offset:20
	;; [unrolled: 1-line block ×28, first 2 shown]
	v_mov_b32_e32 v73, 0
	s_mov_b32 s4, exec_lo
	ds_read_b128 v[74:77], v73 offset:304
	s_clause 0x1
	buffer_load_dword v106, off, s[0:3], 0 offset:128
	buffer_load_dword v107, off, s[0:3], 0 offset:132
	s_waitcnt vmcnt(28) lgkmcnt(0)
	v_fma_f64 v[74:75], v[78:79], v[74:75], 0
	s_clause 0x1
	buffer_load_dword v79, off, s[0:3], 0 offset:140
	buffer_load_dword v78, off, s[0:3], 0 offset:136
	s_waitcnt vmcnt(28)
	v_fma_f64 v[80:81], v[80:81], v[76:77], v[74:75]
	ds_read_b128 v[74:77], v73 offset:320
	s_clause 0x1
	buffer_load_dword v108, off, s[0:3], 0 offset:144
	buffer_load_dword v109, off, s[0:3], 0 offset:148
	s_waitcnt vmcnt(28) lgkmcnt(0)
	v_fma_f64 v[74:75], v[82:83], v[74:75], v[80:81]
	s_clause 0x1
	buffer_load_dword v80, off, s[0:3], 0 offset:152
	buffer_load_dword v81, off, s[0:3], 0 offset:156
	s_waitcnt vmcnt(28)
	v_fma_f64 v[82:83], v[84:85], v[76:77], v[74:75]
	;; [unrolled: 11-line block ×10, first 2 shown]
	ds_read_b128 v[74:77], v73 offset:464
	s_waitcnt vmcnt(26) lgkmcnt(0)
	v_fma_f64 v[74:75], v[88:89], v[74:75], v[82:83]
	s_waitcnt vmcnt(24)
	v_fma_f64 v[82:83], v[86:87], v[76:77], v[74:75]
	ds_read_b128 v[74:77], v73 offset:480
	s_waitcnt vmcnt(22) lgkmcnt(0)
	v_fma_f64 v[74:75], v[92:93], v[74:75], v[82:83]
	s_waitcnt vmcnt(20)
	v_fma_f64 v[82:83], v[90:91], v[76:77], v[74:75]
	;; [unrolled: 5-line block ×6, first 2 shown]
	ds_read_b64 v[76:77], v73 offset:560
	s_waitcnt vmcnt(2) lgkmcnt(0)
	v_fma_f64 v[74:75], v[108:109], v[76:77], v[74:75]
	s_waitcnt vmcnt(0)
	v_add_f64 v[74:75], v[80:81], -v[74:75]
	buffer_store_dword v75, off, s[0:3], 0 offset:12
	buffer_store_dword v74, off, s[0:3], 0 offset:8
	v_cmpx_ne_u32_e32 0, v0
	s_cbranch_execz .LBB98_219
; %bb.218:
	s_clause 0x1
	buffer_load_dword v74, off, s[0:3], 0
	buffer_load_dword v75, off, s[0:3], 0 offset:4
	buffer_store_dword v73, off, s[0:3], 0
	buffer_store_dword v73, off, s[0:3], 0 offset:4
	s_waitcnt vmcnt(0)
	ds_write_b64 v71, v[74:75]
.LBB98_219:
	s_or_b32 exec_lo, exec_lo, s4
	s_waitcnt lgkmcnt(0)
	s_waitcnt_vscnt null, 0x0
	s_barrier
	buffer_gl0_inv
	s_clause 0x1b
	buffer_load_dword v71, off, s[0:3], 0 offset:8
	buffer_load_dword v72, off, s[0:3], 0 offset:12
	;; [unrolled: 1-line block ×28, first 2 shown]
	ds_read2_b64 v[74:77], v73 offset0:37 offset1:38
	s_clause 0x3
	buffer_load_dword v104, off, s[0:3], 0 offset:120
	buffer_load_dword v105, off, s[0:3], 0 offset:124
	;; [unrolled: 1-line block ×4, first 2 shown]
	s_and_b32 vcc_lo, exec_lo, s16
	s_waitcnt vmcnt(30) lgkmcnt(0)
	v_fma_f64 v[71:72], v[71:72], v[74:75], 0
	s_waitcnt vmcnt(28)
	v_fma_f64 v[71:72], v[78:79], v[76:77], v[71:72]
	ds_read2_b64 v[74:77], v73 offset0:39 offset1:40
	s_clause 0x1
	buffer_load_dword v78, off, s[0:3], 0 offset:136
	buffer_load_dword v79, off, s[0:3], 0 offset:140
	s_waitcnt vmcnt(28) lgkmcnt(0)
	v_fma_f64 v[71:72], v[80:81], v[74:75], v[71:72]
	s_clause 0x1
	buffer_load_dword v80, off, s[0:3], 0 offset:144
	buffer_load_dword v81, off, s[0:3], 0 offset:148
	s_waitcnt vmcnt(28)
	v_fma_f64 v[71:72], v[82:83], v[76:77], v[71:72]
	ds_read2_b64 v[74:77], v73 offset0:41 offset1:42
	s_clause 0x1
	buffer_load_dword v82, off, s[0:3], 0 offset:152
	buffer_load_dword v83, off, s[0:3], 0 offset:156
	s_waitcnt vmcnt(28) lgkmcnt(0)
	v_fma_f64 v[71:72], v[84:85], v[74:75], v[71:72]
	s_clause 0x1
	buffer_load_dword v85, off, s[0:3], 0 offset:164
	buffer_load_dword v84, off, s[0:3], 0 offset:160
	;; [unrolled: 11-line block ×9, first 2 shown]
	s_waitcnt vmcnt(28)
	v_fma_f64 v[82:83], v[84:85], v[76:77], v[74:75]
	ds_read2_b64 v[74:77], v73 offset0:57 offset1:58
	s_clause 0x1
	buffer_load_dword v84, off, s[0:3], 0
	buffer_load_dword v85, off, s[0:3], 0 offset:4
	s_waitcnt vmcnt(28) lgkmcnt(0)
	v_fma_f64 v[74:75], v[86:87], v[74:75], v[82:83]
	s_waitcnt vmcnt(26)
	v_fma_f64 v[82:83], v[88:89], v[76:77], v[74:75]
	ds_read2_b64 v[74:77], v73 offset0:59 offset1:60
	s_waitcnt vmcnt(24) lgkmcnt(0)
	v_fma_f64 v[74:75], v[90:91], v[74:75], v[82:83]
	s_waitcnt vmcnt(22)
	v_fma_f64 v[82:83], v[92:93], v[76:77], v[74:75]
	ds_read2_b64 v[74:77], v73 offset0:61 offset1:62
	;; [unrolled: 5-line block ×6, first 2 shown]
	s_waitcnt vmcnt(4) lgkmcnt(0)
	v_fma_f64 v[73:74], v[71:72], v[73:74], v[77:78]
	s_waitcnt vmcnt(2)
	v_fma_f64 v[73:74], v[80:81], v[75:76], v[73:74]
	s_waitcnt vmcnt(0)
	v_add_f64 v[73:74], v[84:85], -v[73:74]
	buffer_store_dword v74, off, s[0:3], 0 offset:4
	buffer_store_dword v73, off, s[0:3], 0
	s_cbranch_vccz .LBB98_288
; %bb.220:
	v_mov_b32_e32 v0, 0
	global_load_dword v73, v0, s[12:13] offset:132
	s_waitcnt vmcnt(0)
	v_add_nc_u32_e32 v73, -1, v73
	v_cmp_ne_u32_e32 vcc_lo, 33, v73
	s_cbranch_vccz .LBB98_222
; %bb.221:
	v_lshlrev_b32_e32 v73, 3, v73
	s_clause 0x1
	buffer_load_dword v74, v73, s[0:3], 0 offen
	buffer_load_dword v75, v73, s[0:3], 0 offen offset:4
	s_waitcnt vmcnt(1)
	buffer_store_dword v74, off, s[0:3], 0 offset:264
	s_waitcnt vmcnt(0)
	buffer_store_dword v75, off, s[0:3], 0 offset:268
	buffer_store_dword v71, v73, s[0:3], 0 offen
	buffer_store_dword v72, v73, s[0:3], 0 offen offset:4
.LBB98_222:
	global_load_dword v0, v0, s[12:13] offset:128
	s_waitcnt vmcnt(0)
	v_add_nc_u32_e32 v0, -1, v0
	v_cmp_eq_u32_e32 vcc_lo, 32, v0
	s_cbranch_vccnz .LBB98_224
; %bb.223:
	v_lshlrev_b32_e32 v0, 3, v0
	s_clause 0x3
	buffer_load_dword v71, v0, s[0:3], 0 offen
	buffer_load_dword v72, v0, s[0:3], 0 offen offset:4
	buffer_load_dword v73, off, s[0:3], 0 offset:260
	buffer_load_dword v74, off, s[0:3], 0 offset:256
	s_waitcnt vmcnt(3)
	buffer_store_dword v71, off, s[0:3], 0 offset:256
	s_waitcnt vmcnt(2)
	buffer_store_dword v72, off, s[0:3], 0 offset:260
	s_waitcnt vmcnt(1)
	buffer_store_dword v73, v0, s[0:3], 0 offen offset:4
	s_waitcnt vmcnt(0)
	buffer_store_dword v74, v0, s[0:3], 0 offen
.LBB98_224:
	v_mov_b32_e32 v0, 0
	global_load_dword v71, v0, s[12:13] offset:124
	s_waitcnt vmcnt(0)
	v_add_nc_u32_e32 v71, -1, v71
	v_cmp_eq_u32_e32 vcc_lo, 31, v71
	s_cbranch_vccnz .LBB98_226
; %bb.225:
	v_lshlrev_b32_e32 v71, 3, v71
	s_clause 0x3
	buffer_load_dword v72, v71, s[0:3], 0 offen
	buffer_load_dword v73, v71, s[0:3], 0 offen offset:4
	buffer_load_dword v74, off, s[0:3], 0 offset:248
	buffer_load_dword v75, off, s[0:3], 0 offset:252
	s_waitcnt vmcnt(3)
	buffer_store_dword v72, off, s[0:3], 0 offset:248
	s_waitcnt vmcnt(2)
	buffer_store_dword v73, off, s[0:3], 0 offset:252
	s_waitcnt vmcnt(1)
	buffer_store_dword v74, v71, s[0:3], 0 offen
	s_waitcnt vmcnt(0)
	buffer_store_dword v75, v71, s[0:3], 0 offen offset:4
.LBB98_226:
	global_load_dword v0, v0, s[12:13] offset:120
	s_waitcnt vmcnt(0)
	v_add_nc_u32_e32 v0, -1, v0
	v_cmp_eq_u32_e32 vcc_lo, 30, v0
	s_cbranch_vccnz .LBB98_228
; %bb.227:
	v_lshlrev_b32_e32 v0, 3, v0
	s_clause 0x3
	buffer_load_dword v71, v0, s[0:3], 0 offen
	buffer_load_dword v72, v0, s[0:3], 0 offen offset:4
	buffer_load_dword v73, off, s[0:3], 0 offset:244
	buffer_load_dword v74, off, s[0:3], 0 offset:240
	s_waitcnt vmcnt(3)
	buffer_store_dword v71, off, s[0:3], 0 offset:240
	s_waitcnt vmcnt(2)
	buffer_store_dword v72, off, s[0:3], 0 offset:244
	s_waitcnt vmcnt(1)
	buffer_store_dword v73, v0, s[0:3], 0 offen offset:4
	s_waitcnt vmcnt(0)
	buffer_store_dword v74, v0, s[0:3], 0 offen
.LBB98_228:
	v_mov_b32_e32 v0, 0
	global_load_dword v71, v0, s[12:13] offset:116
	s_waitcnt vmcnt(0)
	v_add_nc_u32_e32 v71, -1, v71
	v_cmp_eq_u32_e32 vcc_lo, 29, v71
	s_cbranch_vccnz .LBB98_230
; %bb.229:
	v_lshlrev_b32_e32 v71, 3, v71
	s_clause 0x3
	buffer_load_dword v72, v71, s[0:3], 0 offen
	buffer_load_dword v73, v71, s[0:3], 0 offen offset:4
	buffer_load_dword v74, off, s[0:3], 0 offset:232
	buffer_load_dword v75, off, s[0:3], 0 offset:236
	s_waitcnt vmcnt(3)
	buffer_store_dword v72, off, s[0:3], 0 offset:232
	s_waitcnt vmcnt(2)
	buffer_store_dword v73, off, s[0:3], 0 offset:236
	s_waitcnt vmcnt(1)
	buffer_store_dword v74, v71, s[0:3], 0 offen
	s_waitcnt vmcnt(0)
	buffer_store_dword v75, v71, s[0:3], 0 offen offset:4
.LBB98_230:
	;; [unrolled: 43-line block ×16, first 2 shown]
	global_load_dword v0, v0, s[12:13]
	s_clause 0x1
	buffer_load_dword v73, off, s[0:3], 0
	buffer_load_dword v74, off, s[0:3], 0 offset:4
	s_waitcnt vmcnt(2)
	v_add_nc_u32_e32 v0, -1, v0
	v_cmp_eq_u32_e32 vcc_lo, 0, v0
	s_cbranch_vccnz .LBB98_288
; %bb.287:
	v_lshlrev_b32_e32 v0, 3, v0
	s_clause 0x1
	buffer_load_dword v71, v0, s[0:3], 0 offen offset:4
	buffer_load_dword v72, v0, s[0:3], 0 offen
	s_waitcnt vmcnt(1)
	buffer_store_dword v71, off, s[0:3], 0 offset:4
	s_waitcnt vmcnt(0)
	buffer_store_dword v72, off, s[0:3], 0
	buffer_store_dword v74, v0, s[0:3], 0 offen offset:4
	buffer_store_dword v73, v0, s[0:3], 0 offen
	s_clause 0x1
	buffer_load_dword v73, off, s[0:3], 0
	buffer_load_dword v74, off, s[0:3], 0 offset:4
.LBB98_288:
	s_waitcnt vmcnt(0)
	flat_store_dwordx2 v[1:2], v[73:74]
	s_clause 0x1
	buffer_load_dword v0, off, s[0:3], 0 offset:8
	buffer_load_dword v1, off, s[0:3], 0 offset:12
	s_waitcnt vmcnt(0)
	flat_store_dwordx2 v[3:4], v[0:1]
	s_clause 0x1
	buffer_load_dword v0, off, s[0:3], 0 offset:16
	buffer_load_dword v1, off, s[0:3], 0 offset:20
	;; [unrolled: 5-line block ×34, first 2 shown]
	s_waitcnt vmcnt(0)
	flat_store_dwordx2 v[69:70], v[0:1]
	s_endpgm
	.section	.rodata,"a",@progbits
	.p2align	6, 0x0
	.amdhsa_kernel _ZN9rocsolver6v33100L18getri_kernel_smallILi35EdPKPdEEvT1_iilPiilS6_bb
		.amdhsa_group_segment_fixed_size 568
		.amdhsa_private_segment_fixed_size 288
		.amdhsa_kernarg_size 60
		.amdhsa_user_sgpr_count 6
		.amdhsa_user_sgpr_private_segment_buffer 1
		.amdhsa_user_sgpr_dispatch_ptr 0
		.amdhsa_user_sgpr_queue_ptr 0
		.amdhsa_user_sgpr_kernarg_segment_ptr 1
		.amdhsa_user_sgpr_dispatch_id 0
		.amdhsa_user_sgpr_flat_scratch_init 0
		.amdhsa_user_sgpr_private_segment_size 0
		.amdhsa_wavefront_size32 1
		.amdhsa_uses_dynamic_stack 0
		.amdhsa_system_sgpr_private_segment_wavefront_offset 1
		.amdhsa_system_sgpr_workgroup_id_x 1
		.amdhsa_system_sgpr_workgroup_id_y 0
		.amdhsa_system_sgpr_workgroup_id_z 0
		.amdhsa_system_sgpr_workgroup_info 0
		.amdhsa_system_vgpr_workitem_id 0
		.amdhsa_next_free_vgpr 110
		.amdhsa_next_free_sgpr 20
		.amdhsa_reserve_vcc 1
		.amdhsa_reserve_flat_scratch 0
		.amdhsa_float_round_mode_32 0
		.amdhsa_float_round_mode_16_64 0
		.amdhsa_float_denorm_mode_32 3
		.amdhsa_float_denorm_mode_16_64 3
		.amdhsa_dx10_clamp 1
		.amdhsa_ieee_mode 1
		.amdhsa_fp16_overflow 0
		.amdhsa_workgroup_processor_mode 1
		.amdhsa_memory_ordered 1
		.amdhsa_forward_progress 1
		.amdhsa_shared_vgpr_count 0
		.amdhsa_exception_fp_ieee_invalid_op 0
		.amdhsa_exception_fp_denorm_src 0
		.amdhsa_exception_fp_ieee_div_zero 0
		.amdhsa_exception_fp_ieee_overflow 0
		.amdhsa_exception_fp_ieee_underflow 0
		.amdhsa_exception_fp_ieee_inexact 0
		.amdhsa_exception_int_div_zero 0
	.end_amdhsa_kernel
	.section	.text._ZN9rocsolver6v33100L18getri_kernel_smallILi35EdPKPdEEvT1_iilPiilS6_bb,"axG",@progbits,_ZN9rocsolver6v33100L18getri_kernel_smallILi35EdPKPdEEvT1_iilPiilS6_bb,comdat
.Lfunc_end98:
	.size	_ZN9rocsolver6v33100L18getri_kernel_smallILi35EdPKPdEEvT1_iilPiilS6_bb, .Lfunc_end98-_ZN9rocsolver6v33100L18getri_kernel_smallILi35EdPKPdEEvT1_iilPiilS6_bb
                                        ; -- End function
	.set _ZN9rocsolver6v33100L18getri_kernel_smallILi35EdPKPdEEvT1_iilPiilS6_bb.num_vgpr, 110
	.set _ZN9rocsolver6v33100L18getri_kernel_smallILi35EdPKPdEEvT1_iilPiilS6_bb.num_agpr, 0
	.set _ZN9rocsolver6v33100L18getri_kernel_smallILi35EdPKPdEEvT1_iilPiilS6_bb.numbered_sgpr, 20
	.set _ZN9rocsolver6v33100L18getri_kernel_smallILi35EdPKPdEEvT1_iilPiilS6_bb.num_named_barrier, 0
	.set _ZN9rocsolver6v33100L18getri_kernel_smallILi35EdPKPdEEvT1_iilPiilS6_bb.private_seg_size, 288
	.set _ZN9rocsolver6v33100L18getri_kernel_smallILi35EdPKPdEEvT1_iilPiilS6_bb.uses_vcc, 1
	.set _ZN9rocsolver6v33100L18getri_kernel_smallILi35EdPKPdEEvT1_iilPiilS6_bb.uses_flat_scratch, 0
	.set _ZN9rocsolver6v33100L18getri_kernel_smallILi35EdPKPdEEvT1_iilPiilS6_bb.has_dyn_sized_stack, 0
	.set _ZN9rocsolver6v33100L18getri_kernel_smallILi35EdPKPdEEvT1_iilPiilS6_bb.has_recursion, 0
	.set _ZN9rocsolver6v33100L18getri_kernel_smallILi35EdPKPdEEvT1_iilPiilS6_bb.has_indirect_call, 0
	.section	.AMDGPU.csdata,"",@progbits
; Kernel info:
; codeLenInByte = 39832
; TotalNumSgprs: 22
; NumVgprs: 110
; ScratchSize: 288
; MemoryBound: 1
; FloatMode: 240
; IeeeMode: 1
; LDSByteSize: 568 bytes/workgroup (compile time only)
; SGPRBlocks: 0
; VGPRBlocks: 13
; NumSGPRsForWavesPerEU: 22
; NumVGPRsForWavesPerEU: 110
; Occupancy: 9
; WaveLimiterHint : 1
; COMPUTE_PGM_RSRC2:SCRATCH_EN: 1
; COMPUTE_PGM_RSRC2:USER_SGPR: 6
; COMPUTE_PGM_RSRC2:TRAP_HANDLER: 0
; COMPUTE_PGM_RSRC2:TGID_X_EN: 1
; COMPUTE_PGM_RSRC2:TGID_Y_EN: 0
; COMPUTE_PGM_RSRC2:TGID_Z_EN: 0
; COMPUTE_PGM_RSRC2:TIDIG_COMP_CNT: 0
	.section	.text._ZN9rocsolver6v33100L18getri_kernel_smallILi36EdPKPdEEvT1_iilPiilS6_bb,"axG",@progbits,_ZN9rocsolver6v33100L18getri_kernel_smallILi36EdPKPdEEvT1_iilPiilS6_bb,comdat
	.globl	_ZN9rocsolver6v33100L18getri_kernel_smallILi36EdPKPdEEvT1_iilPiilS6_bb ; -- Begin function _ZN9rocsolver6v33100L18getri_kernel_smallILi36EdPKPdEEvT1_iilPiilS6_bb
	.p2align	8
	.type	_ZN9rocsolver6v33100L18getri_kernel_smallILi36EdPKPdEEvT1_iilPiilS6_bb,@function
_ZN9rocsolver6v33100L18getri_kernel_smallILi36EdPKPdEEvT1_iilPiilS6_bb: ; @_ZN9rocsolver6v33100L18getri_kernel_smallILi36EdPKPdEEvT1_iilPiilS6_bb
; %bb.0:
	s_add_u32 s0, s0, s7
	s_addc_u32 s1, s1, 0
	s_mov_b32 s7, exec_lo
	v_cmpx_gt_u32_e32 36, v0
	s_cbranch_execz .LBB99_154
; %bb.1:
	s_clause 0x2
	s_load_dword s17, s[4:5], 0x38
	s_load_dwordx2 s[12:13], s[4:5], 0x0
	s_load_dwordx4 s[8:11], s[4:5], 0x28
	s_waitcnt lgkmcnt(0)
	s_bitcmp1_b32 s17, 8
	s_cselect_b32 s16, -1, 0
	s_ashr_i32 s7, s6, 31
	s_lshl_b64 s[14:15], s[6:7], 3
	s_add_u32 s12, s12, s14
	s_addc_u32 s13, s13, s15
	s_load_dwordx2 s[14:15], s[12:13], 0x0
	s_bfe_u32 s12, s17, 0x10008
	s_cmp_eq_u32 s12, 0
                                        ; implicit-def: $sgpr12_sgpr13
	s_cbranch_scc1 .LBB99_3
; %bb.2:
	s_clause 0x1
	s_load_dword s12, s[4:5], 0x20
	s_load_dwordx2 s[18:19], s[4:5], 0x18
	s_mul_i32 s13, s8, s7
	s_mul_hi_u32 s17, s8, s6
	s_mul_i32 s9, s9, s6
	s_add_i32 s13, s17, s13
	s_mul_i32 s8, s8, s6
	s_add_i32 s9, s13, s9
	s_lshl_b64 s[8:9], s[8:9], 2
	s_waitcnt lgkmcnt(0)
	s_ashr_i32 s13, s12, 31
	s_add_u32 s17, s18, s8
	s_addc_u32 s18, s19, s9
	s_lshl_b64 s[8:9], s[12:13], 2
	s_add_u32 s12, s17, s8
	s_addc_u32 s13, s18, s9
.LBB99_3:
	s_clause 0x1
	s_load_dwordx2 s[8:9], s[4:5], 0x8
	s_load_dword s17, s[4:5], 0x38
	v_lshlrev_b32_e32 v75, 3, v0
	s_waitcnt lgkmcnt(0)
	s_ashr_i32 s5, s8, 31
	s_mov_b32 s4, s8
	v_add3_u32 v9, s9, s9, v0
	s_lshl_b64 s[4:5], s[4:5], 3
	s_add_u32 s4, s14, s4
	s_addc_u32 s5, s15, s5
	v_add_co_u32 v1, s8, s4, v75
	v_add_co_ci_u32_e64 v2, null, s5, 0, s8
	s_mov_b32 s14, s9
	s_ashr_i32 s15, s9, 31
	v_ashrrev_i32_e32 v10, 31, v9
	flat_load_dwordx2 v[5:6], v[1:2]
	s_lshl_b64 s[14:15], s[14:15], 3
	v_add_nc_u32_e32 v12, s9, v9
	v_add_co_u32 v3, vcc_lo, v1, s14
	v_add_co_ci_u32_e64 v4, null, s15, v2, vcc_lo
	v_ashrrev_i32_e32 v13, 31, v12
	s_bitcmp0_b32 s17, 0
	s_waitcnt vmcnt(0) lgkmcnt(0)
	buffer_store_dword v6, off, s[0:3], 0 offset:4
	buffer_store_dword v5, off, s[0:3], 0
	flat_load_dwordx2 v[7:8], v[3:4]
	v_lshlrev_b64 v[5:6], 3, v[9:10]
	s_waitcnt vmcnt(0) lgkmcnt(0)
	buffer_store_dword v8, off, s[0:3], 0 offset:12
	buffer_store_dword v7, off, s[0:3], 0 offset:8
	v_add_co_u32 v5, vcc_lo, s4, v5
	v_add_co_ci_u32_e64 v6, null, s5, v6, vcc_lo
	v_lshlrev_b64 v[7:8], 3, v[12:13]
	flat_load_dwordx2 v[10:11], v[5:6]
	s_waitcnt vmcnt(0) lgkmcnt(0)
	buffer_store_dword v11, off, s[0:3], 0 offset:20
	buffer_store_dword v10, off, s[0:3], 0 offset:16
	v_add_co_u32 v7, vcc_lo, s4, v7
	v_add_co_ci_u32_e64 v8, null, s5, v8, vcc_lo
	v_add_nc_u32_e32 v11, s9, v12
	flat_load_dwordx2 v[13:14], v[7:8]
	s_waitcnt vmcnt(0) lgkmcnt(0)
	buffer_store_dword v14, off, s[0:3], 0 offset:28
	buffer_store_dword v13, off, s[0:3], 0 offset:24
	v_ashrrev_i32_e32 v12, 31, v11
	v_add_nc_u32_e32 v15, s9, v11
	v_lshlrev_b64 v[9:10], 3, v[11:12]
	v_ashrrev_i32_e32 v16, 31, v15
	v_add_nc_u32_e32 v18, s9, v15
	v_add_co_u32 v9, vcc_lo, s4, v9
	v_add_co_ci_u32_e64 v10, null, s5, v10, vcc_lo
	v_lshlrev_b64 v[11:12], 3, v[15:16]
	v_ashrrev_i32_e32 v19, 31, v18
	flat_load_dwordx2 v[13:14], v[9:10]
	s_waitcnt vmcnt(0) lgkmcnt(0)
	buffer_store_dword v14, off, s[0:3], 0 offset:36
	buffer_store_dword v13, off, s[0:3], 0 offset:32
	v_add_co_u32 v11, vcc_lo, s4, v11
	v_add_co_ci_u32_e64 v12, null, s5, v12, vcc_lo
	v_lshlrev_b64 v[13:14], 3, v[18:19]
	flat_load_dwordx2 v[16:17], v[11:12]
	s_waitcnt vmcnt(0) lgkmcnt(0)
	buffer_store_dword v17, off, s[0:3], 0 offset:44
	buffer_store_dword v16, off, s[0:3], 0 offset:40
	v_add_co_u32 v13, vcc_lo, s4, v13
	v_add_co_ci_u32_e64 v14, null, s5, v14, vcc_lo
	v_add_nc_u32_e32 v17, s9, v18
	flat_load_dwordx2 v[19:20], v[13:14]
	s_waitcnt vmcnt(0) lgkmcnt(0)
	buffer_store_dword v20, off, s[0:3], 0 offset:52
	buffer_store_dword v19, off, s[0:3], 0 offset:48
	v_ashrrev_i32_e32 v18, 31, v17
	v_add_nc_u32_e32 v21, s9, v17
	v_lshlrev_b64 v[15:16], 3, v[17:18]
	v_ashrrev_i32_e32 v22, 31, v21
	v_add_nc_u32_e32 v24, s9, v21
	v_add_co_u32 v15, vcc_lo, s4, v15
	v_add_co_ci_u32_e64 v16, null, s5, v16, vcc_lo
	v_lshlrev_b64 v[17:18], 3, v[21:22]
	v_ashrrev_i32_e32 v25, 31, v24
	flat_load_dwordx2 v[19:20], v[15:16]
	;; [unrolled: 27-line block ×10, first 2 shown]
	s_waitcnt vmcnt(0) lgkmcnt(0)
	buffer_store_dword v68, off, s[0:3], 0 offset:252
	buffer_store_dword v67, off, s[0:3], 0 offset:248
	v_add_co_u32 v65, vcc_lo, s4, v65
	v_add_co_ci_u32_e64 v66, null, s5, v66, vcc_lo
	v_lshlrev_b64 v[67:68], 3, v[72:73]
	flat_load_dwordx2 v[70:71], v[65:66]
	s_waitcnt vmcnt(0) lgkmcnt(0)
	buffer_store_dword v71, off, s[0:3], 0 offset:260
	buffer_store_dword v70, off, s[0:3], 0 offset:256
	v_add_co_u32 v67, vcc_lo, s4, v67
	v_add_co_ci_u32_e64 v68, null, s5, v68, vcc_lo
	v_add_nc_u32_e32 v71, s9, v72
	flat_load_dwordx2 v[73:74], v[67:68]
	s_waitcnt vmcnt(0) lgkmcnt(0)
	buffer_store_dword v74, off, s[0:3], 0 offset:268
	buffer_store_dword v73, off, s[0:3], 0 offset:264
	v_ashrrev_i32_e32 v72, 31, v71
	v_lshlrev_b64 v[69:70], 3, v[71:72]
	v_add_nc_u32_e32 v71, s9, v71
	v_add_co_u32 v69, vcc_lo, s4, v69
	v_add_co_ci_u32_e64 v70, null, s5, v70, vcc_lo
	v_ashrrev_i32_e32 v72, 31, v71
	flat_load_dwordx2 v[73:74], v[69:70]
	s_waitcnt vmcnt(0) lgkmcnt(0)
	buffer_store_dword v74, off, s[0:3], 0 offset:276
	buffer_store_dword v73, off, s[0:3], 0 offset:272
	v_lshlrev_b64 v[71:72], 3, v[71:72]
	v_add_co_u32 v71, vcc_lo, s4, v71
	v_add_co_ci_u32_e64 v72, null, s5, v72, vcc_lo
	s_mov_b32 s5, -1
	flat_load_dwordx2 v[73:74], v[71:72]
	s_waitcnt vmcnt(0) lgkmcnt(0)
	buffer_store_dword v74, off, s[0:3], 0 offset:284
	buffer_store_dword v73, off, s[0:3], 0 offset:280
	s_cbranch_scc1 .LBB99_152
; %bb.4:
	v_cmp_eq_u32_e64 s4, 0, v0
	s_and_saveexec_b32 s5, s4
; %bb.5:
	v_mov_b32_e32 v73, 0
	ds_write_b32 v73, v73 offset:576
; %bb.6:
	s_or_b32 exec_lo, exec_lo, s5
	v_lshl_add_u32 v73, v0, 3, 0
	s_waitcnt lgkmcnt(0)
	s_waitcnt_vscnt null, 0x0
	s_barrier
	buffer_gl0_inv
	s_mov_b32 s8, exec_lo
	s_clause 0x1
	buffer_load_dword v76, v73, s[0:3], 0 offen
	buffer_load_dword v77, v73, s[0:3], 0 offen offset:4
	s_waitcnt vmcnt(0)
	v_cmpx_eq_f64_e32 0, v[76:77]
	s_cbranch_execz .LBB99_10
; %bb.7:
	v_mov_b32_e32 v74, 0
	s_mov_b32 s9, 0
	ds_read_b32 v76, v74 offset:576
	s_waitcnt lgkmcnt(0)
	v_readfirstlane_b32 s5, v76
	v_add_nc_u32_e32 v76, 1, v0
	s_cmp_eq_u32 s5, 0
	v_cmp_gt_i32_e32 vcc_lo, s5, v76
	s_cselect_b32 s14, -1, 0
	s_or_b32 s14, s14, vcc_lo
	s_and_b32 exec_lo, exec_lo, s14
	s_cbranch_execz .LBB99_10
; %bb.8:
	v_mov_b32_e32 v77, s5
.LBB99_9:                               ; =>This Inner Loop Header: Depth=1
	ds_cmpst_rtn_b32 v77, v74, v77, v76 offset:576
	s_waitcnt lgkmcnt(0)
	v_cmp_ne_u32_e32 vcc_lo, 0, v77
	v_cmp_le_i32_e64 s5, v77, v76
	s_and_b32 s5, vcc_lo, s5
	s_and_b32 s5, exec_lo, s5
	s_or_b32 s9, s5, s9
	s_andn2_b32 exec_lo, exec_lo, s9
	s_cbranch_execnz .LBB99_9
.LBB99_10:
	s_or_b32 exec_lo, exec_lo, s8
	v_mov_b32_e32 v74, 0
	s_barrier
	buffer_gl0_inv
	ds_read_b32 v76, v74 offset:576
	s_and_saveexec_b32 s5, s4
	s_cbranch_execz .LBB99_12
; %bb.11:
	s_lshl_b64 s[8:9], s[6:7], 2
	s_add_u32 s8, s10, s8
	s_addc_u32 s9, s11, s9
	s_waitcnt lgkmcnt(0)
	global_store_dword v74, v76, s[8:9]
.LBB99_12:
	s_or_b32 exec_lo, exec_lo, s5
	s_waitcnt lgkmcnt(0)
	v_cmp_ne_u32_e32 vcc_lo, 0, v76
	s_mov_b32 s5, 0
	s_cbranch_vccnz .LBB99_152
; %bb.13:
	s_clause 0x1
	buffer_load_dword v76, v73, s[0:3], 0 offen
	buffer_load_dword v77, v73, s[0:3], 0 offen offset:4
	s_waitcnt vmcnt(0)
	v_div_scale_f64 v[78:79], null, v[76:77], v[76:77], 1.0
	v_div_scale_f64 v[84:85], vcc_lo, 1.0, v[76:77], 1.0
	v_rcp_f64_e32 v[80:81], v[78:79]
	v_fma_f64 v[82:83], -v[78:79], v[80:81], 1.0
	v_fma_f64 v[80:81], v[80:81], v[82:83], v[80:81]
	v_fma_f64 v[82:83], -v[78:79], v[80:81], 1.0
	v_fma_f64 v[80:81], v[80:81], v[82:83], v[80:81]
	v_mul_f64 v[82:83], v[84:85], v[80:81]
	v_fma_f64 v[78:79], -v[78:79], v[82:83], v[84:85]
	v_div_fmas_f64 v[78:79], v[78:79], v[80:81], v[82:83]
	v_div_fixup_f64 v[77:78], v[78:79], v[76:77], 1.0
	v_add_nc_u32_e32 v76, 0x120, v75
	buffer_store_dword v78, v73, s[0:3], 0 offen offset:4
	buffer_store_dword v77, v73, s[0:3], 0 offen
	s_clause 0x1
	buffer_load_dword v80, off, s[0:3], 0 offset:12
	buffer_load_dword v79, off, s[0:3], 0 offset:8
	v_xor_b32_e32 v78, 0x80000000, v78
	s_waitcnt vmcnt(0)
	ds_write2_b64 v75, v[77:78], v[79:80] offset1:36
	s_waitcnt lgkmcnt(0)
	s_waitcnt_vscnt null, 0x0
	s_barrier
	buffer_gl0_inv
	s_and_saveexec_b32 s5, s4
	s_cbranch_execz .LBB99_15
; %bb.14:
	s_clause 0x1
	buffer_load_dword v77, v73, s[0:3], 0 offen
	buffer_load_dword v78, v73, s[0:3], 0 offen offset:4
	ds_read_b64 v[79:80], v76
	v_mov_b32_e32 v74, 0
	ds_read_b64 v[81:82], v74 offset:8
	s_waitcnt vmcnt(0) lgkmcnt(1)
	v_fma_f64 v[77:78], v[77:78], v[79:80], 0
	s_waitcnt lgkmcnt(0)
	v_mul_f64 v[77:78], v[77:78], v[81:82]
	buffer_store_dword v77, off, s[0:3], 0 offset:8
	buffer_store_dword v78, off, s[0:3], 0 offset:12
.LBB99_15:
	s_or_b32 exec_lo, exec_lo, s5
	s_waitcnt_vscnt null, 0x0
	s_barrier
	buffer_gl0_inv
	s_clause 0x1
	buffer_load_dword v77, off, s[0:3], 0 offset:16
	buffer_load_dword v78, off, s[0:3], 0 offset:20
	s_mov_b32 s5, exec_lo
	s_waitcnt vmcnt(0)
	ds_write_b64 v76, v[77:78]
	s_waitcnt lgkmcnt(0)
	s_barrier
	buffer_gl0_inv
	v_cmpx_gt_u32_e32 2, v0
	s_cbranch_execz .LBB99_19
; %bb.16:
	s_clause 0x1
	buffer_load_dword v77, v73, s[0:3], 0 offen
	buffer_load_dword v78, v73, s[0:3], 0 offen offset:4
	ds_read_b64 v[73:74], v76
	s_waitcnt vmcnt(0) lgkmcnt(0)
	v_fma_f64 v[73:74], v[77:78], v[73:74], 0
	s_and_saveexec_b32 s8, s4
	s_cbranch_execz .LBB99_18
; %bb.17:
	s_clause 0x1
	buffer_load_dword v77, off, s[0:3], 0 offset:8
	buffer_load_dword v78, off, s[0:3], 0 offset:12
	v_mov_b32_e32 v79, 0
	ds_read_b64 v[79:80], v79 offset:296
	s_waitcnt vmcnt(0) lgkmcnt(0)
	v_fma_f64 v[73:74], v[77:78], v[79:80], v[73:74]
.LBB99_18:
	s_or_b32 exec_lo, exec_lo, s8
	v_mov_b32_e32 v77, 0
	ds_read_b64 v[77:78], v77 offset:16
	s_waitcnt lgkmcnt(0)
	v_mul_f64 v[73:74], v[73:74], v[77:78]
	buffer_store_dword v74, off, s[0:3], 0 offset:20
	buffer_store_dword v73, off, s[0:3], 0 offset:16
.LBB99_19:
	s_or_b32 exec_lo, exec_lo, s5
	s_waitcnt_vscnt null, 0x0
	s_barrier
	buffer_gl0_inv
	s_clause 0x1
	buffer_load_dword v73, off, s[0:3], 0 offset:24
	buffer_load_dword v74, off, s[0:3], 0 offset:28
	v_add_nc_u32_e32 v77, -1, v0
	s_mov_b32 s4, exec_lo
	s_waitcnt vmcnt(0)
	ds_write_b64 v76, v[73:74]
	s_waitcnt lgkmcnt(0)
	s_barrier
	buffer_gl0_inv
	v_cmpx_gt_u32_e32 3, v0
	s_cbranch_execz .LBB99_23
; %bb.20:
	v_mov_b32_e32 v73, 0
	v_add_nc_u32_e32 v78, -1, v0
	v_add_nc_u32_e32 v79, 0x120, v75
	v_mov_b32_e32 v74, 0
	v_mov_b32_e32 v80, v75
	s_mov_b32 s5, 0
.LBB99_21:                              ; =>This Inner Loop Header: Depth=1
	s_clause 0x1
	buffer_load_dword v81, v80, s[0:3], 0 offen
	buffer_load_dword v82, v80, s[0:3], 0 offen offset:4
	ds_read_b64 v[83:84], v79
	v_add_nc_u32_e32 v78, 1, v78
	v_add_nc_u32_e32 v79, 8, v79
	v_add_nc_u32_e32 v80, 8, v80
	v_cmp_lt_u32_e32 vcc_lo, 1, v78
	s_or_b32 s5, vcc_lo, s5
	s_waitcnt vmcnt(0) lgkmcnt(0)
	v_fma_f64 v[73:74], v[81:82], v[83:84], v[73:74]
	s_andn2_b32 exec_lo, exec_lo, s5
	s_cbranch_execnz .LBB99_21
; %bb.22:
	s_or_b32 exec_lo, exec_lo, s5
	v_mov_b32_e32 v78, 0
	ds_read_b64 v[78:79], v78 offset:24
	s_waitcnt lgkmcnt(0)
	v_mul_f64 v[73:74], v[73:74], v[78:79]
	buffer_store_dword v74, off, s[0:3], 0 offset:28
	buffer_store_dword v73, off, s[0:3], 0 offset:24
.LBB99_23:
	s_or_b32 exec_lo, exec_lo, s4
	s_waitcnt_vscnt null, 0x0
	s_barrier
	buffer_gl0_inv
	s_clause 0x1
	buffer_load_dword v73, off, s[0:3], 0 offset:32
	buffer_load_dword v74, off, s[0:3], 0 offset:36
	s_mov_b32 s4, exec_lo
	s_waitcnt vmcnt(0)
	ds_write_b64 v76, v[73:74]
	s_waitcnt lgkmcnt(0)
	s_barrier
	buffer_gl0_inv
	v_cmpx_gt_u32_e32 4, v0
	s_cbranch_execz .LBB99_27
; %bb.24:
	v_mov_b32_e32 v73, 0
	v_add_nc_u32_e32 v78, -1, v0
	v_add_nc_u32_e32 v79, 0x120, v75
	v_mov_b32_e32 v74, 0
	v_mov_b32_e32 v80, v75
	s_mov_b32 s5, 0
.LBB99_25:                              ; =>This Inner Loop Header: Depth=1
	s_clause 0x1
	buffer_load_dword v81, v80, s[0:3], 0 offen
	buffer_load_dword v82, v80, s[0:3], 0 offen offset:4
	ds_read_b64 v[83:84], v79
	v_add_nc_u32_e32 v78, 1, v78
	v_add_nc_u32_e32 v79, 8, v79
	v_add_nc_u32_e32 v80, 8, v80
	v_cmp_lt_u32_e32 vcc_lo, 2, v78
	s_or_b32 s5, vcc_lo, s5
	s_waitcnt vmcnt(0) lgkmcnt(0)
	v_fma_f64 v[73:74], v[81:82], v[83:84], v[73:74]
	s_andn2_b32 exec_lo, exec_lo, s5
	s_cbranch_execnz .LBB99_25
; %bb.26:
	s_or_b32 exec_lo, exec_lo, s5
	v_mov_b32_e32 v78, 0
	ds_read_b64 v[78:79], v78 offset:32
	s_waitcnt lgkmcnt(0)
	v_mul_f64 v[73:74], v[73:74], v[78:79]
	buffer_store_dword v74, off, s[0:3], 0 offset:36
	buffer_store_dword v73, off, s[0:3], 0 offset:32
.LBB99_27:
	s_or_b32 exec_lo, exec_lo, s4
	s_waitcnt_vscnt null, 0x0
	s_barrier
	buffer_gl0_inv
	s_clause 0x1
	buffer_load_dword v73, off, s[0:3], 0 offset:40
	buffer_load_dword v74, off, s[0:3], 0 offset:44
	;; [unrolled: 45-line block ×20, first 2 shown]
	s_mov_b32 s4, exec_lo
	s_waitcnt vmcnt(0)
	ds_write_b64 v76, v[73:74]
	s_waitcnt lgkmcnt(0)
	s_barrier
	buffer_gl0_inv
	v_cmpx_gt_u32_e32 23, v0
	s_cbranch_execz .LBB99_103
; %bb.100:
	v_mov_b32_e32 v73, 0
	v_add_nc_u32_e32 v78, -1, v0
	v_add_nc_u32_e32 v79, 0x120, v75
	v_mov_b32_e32 v74, 0
	v_mov_b32_e32 v80, v75
	s_mov_b32 s5, 0
.LBB99_101:                             ; =>This Inner Loop Header: Depth=1
	s_clause 0x1
	buffer_load_dword v81, v80, s[0:3], 0 offen
	buffer_load_dword v82, v80, s[0:3], 0 offen offset:4
	ds_read_b64 v[83:84], v79
	v_add_nc_u32_e32 v78, 1, v78
	v_add_nc_u32_e32 v79, 8, v79
	v_add_nc_u32_e32 v80, 8, v80
	v_cmp_lt_u32_e32 vcc_lo, 21, v78
	s_or_b32 s5, vcc_lo, s5
	s_waitcnt vmcnt(0) lgkmcnt(0)
	v_fma_f64 v[73:74], v[81:82], v[83:84], v[73:74]
	s_andn2_b32 exec_lo, exec_lo, s5
	s_cbranch_execnz .LBB99_101
; %bb.102:
	s_or_b32 exec_lo, exec_lo, s5
	v_mov_b32_e32 v78, 0
	ds_read_b64 v[78:79], v78 offset:184
	s_waitcnt lgkmcnt(0)
	v_mul_f64 v[73:74], v[73:74], v[78:79]
	buffer_store_dword v74, off, s[0:3], 0 offset:188
	buffer_store_dword v73, off, s[0:3], 0 offset:184
.LBB99_103:
	s_or_b32 exec_lo, exec_lo, s4
	s_waitcnt_vscnt null, 0x0
	s_barrier
	buffer_gl0_inv
	s_clause 0x1
	buffer_load_dword v73, off, s[0:3], 0 offset:192
	buffer_load_dword v74, off, s[0:3], 0 offset:196
	s_mov_b32 s4, exec_lo
	s_waitcnt vmcnt(0)
	ds_write_b64 v76, v[73:74]
	s_waitcnt lgkmcnt(0)
	s_barrier
	buffer_gl0_inv
	v_cmpx_gt_u32_e32 24, v0
	s_cbranch_execz .LBB99_107
; %bb.104:
	v_mov_b32_e32 v73, 0
	v_add_nc_u32_e32 v78, -1, v0
	v_add_nc_u32_e32 v79, 0x120, v75
	v_mov_b32_e32 v74, 0
	v_mov_b32_e32 v80, v75
	s_mov_b32 s5, 0
.LBB99_105:                             ; =>This Inner Loop Header: Depth=1
	s_clause 0x1
	buffer_load_dword v81, v80, s[0:3], 0 offen
	buffer_load_dword v82, v80, s[0:3], 0 offen offset:4
	ds_read_b64 v[83:84], v79
	v_add_nc_u32_e32 v78, 1, v78
	v_add_nc_u32_e32 v79, 8, v79
	v_add_nc_u32_e32 v80, 8, v80
	v_cmp_lt_u32_e32 vcc_lo, 22, v78
	s_or_b32 s5, vcc_lo, s5
	s_waitcnt vmcnt(0) lgkmcnt(0)
	v_fma_f64 v[73:74], v[81:82], v[83:84], v[73:74]
	s_andn2_b32 exec_lo, exec_lo, s5
	s_cbranch_execnz .LBB99_105
; %bb.106:
	s_or_b32 exec_lo, exec_lo, s5
	v_mov_b32_e32 v78, 0
	ds_read_b64 v[78:79], v78 offset:192
	s_waitcnt lgkmcnt(0)
	v_mul_f64 v[73:74], v[73:74], v[78:79]
	buffer_store_dword v74, off, s[0:3], 0 offset:196
	buffer_store_dword v73, off, s[0:3], 0 offset:192
.LBB99_107:
	s_or_b32 exec_lo, exec_lo, s4
	s_waitcnt_vscnt null, 0x0
	s_barrier
	buffer_gl0_inv
	s_clause 0x1
	buffer_load_dword v73, off, s[0:3], 0 offset:200
	buffer_load_dword v74, off, s[0:3], 0 offset:204
	;; [unrolled: 45-line block ×12, first 2 shown]
	s_mov_b32 s4, exec_lo
	s_waitcnt vmcnt(0)
	ds_write_b64 v76, v[73:74]
	s_waitcnt lgkmcnt(0)
	s_barrier
	buffer_gl0_inv
	v_cmpx_ne_u32_e32 35, v0
	s_cbranch_execz .LBB99_151
; %bb.148:
	v_mov_b32_e32 v73, 0
	v_mov_b32_e32 v74, 0
	s_mov_b32 s5, 0
.LBB99_149:                             ; =>This Inner Loop Header: Depth=1
	s_clause 0x1
	buffer_load_dword v78, v75, s[0:3], 0 offen
	buffer_load_dword v79, v75, s[0:3], 0 offen offset:4
	ds_read_b64 v[80:81], v76
	v_add_nc_u32_e32 v77, 1, v77
	v_add_nc_u32_e32 v76, 8, v76
	;; [unrolled: 1-line block ×3, first 2 shown]
	v_cmp_lt_u32_e32 vcc_lo, 33, v77
	s_or_b32 s5, vcc_lo, s5
	s_waitcnt vmcnt(0) lgkmcnt(0)
	v_fma_f64 v[73:74], v[78:79], v[80:81], v[73:74]
	s_andn2_b32 exec_lo, exec_lo, s5
	s_cbranch_execnz .LBB99_149
; %bb.150:
	s_or_b32 exec_lo, exec_lo, s5
	v_mov_b32_e32 v75, 0
	ds_read_b64 v[75:76], v75 offset:280
	s_waitcnt lgkmcnt(0)
	v_mul_f64 v[73:74], v[73:74], v[75:76]
	buffer_store_dword v74, off, s[0:3], 0 offset:284
	buffer_store_dword v73, off, s[0:3], 0 offset:280
.LBB99_151:
	s_or_b32 exec_lo, exec_lo, s4
	s_mov_b32 s5, -1
	s_waitcnt_vscnt null, 0x0
	s_barrier
	buffer_gl0_inv
.LBB99_152:
	s_and_b32 vcc_lo, exec_lo, s5
	s_cbranch_vccz .LBB99_154
; %bb.153:
	s_lshl_b64 s[4:5], s[6:7], 2
	v_mov_b32_e32 v73, 0
	s_add_u32 s4, s10, s4
	s_addc_u32 s5, s11, s5
	global_load_dword v73, v73, s[4:5]
	s_waitcnt vmcnt(0)
	v_cmp_ne_u32_e32 vcc_lo, 0, v73
	s_cbranch_vccz .LBB99_155
.LBB99_154:
	s_endpgm
.LBB99_155:
	v_lshl_add_u32 v73, v0, 3, 0x120
	s_mov_b32 s4, exec_lo
	v_cmpx_eq_u32_e32 35, v0
	s_cbranch_execz .LBB99_157
; %bb.156:
	s_clause 0x1
	buffer_load_dword v74, off, s[0:3], 0 offset:272
	buffer_load_dword v75, off, s[0:3], 0 offset:276
	v_mov_b32_e32 v76, 0
	buffer_store_dword v76, off, s[0:3], 0 offset:272
	buffer_store_dword v76, off, s[0:3], 0 offset:276
	s_waitcnt vmcnt(0)
	ds_write_b64 v73, v[74:75]
.LBB99_157:
	s_or_b32 exec_lo, exec_lo, s4
	s_waitcnt lgkmcnt(0)
	s_waitcnt_vscnt null, 0x0
	s_barrier
	buffer_gl0_inv
	s_clause 0x3
	buffer_load_dword v75, off, s[0:3], 0 offset:280
	buffer_load_dword v76, off, s[0:3], 0 offset:284
	buffer_load_dword v77, off, s[0:3], 0 offset:272
	buffer_load_dword v78, off, s[0:3], 0 offset:276
	v_mov_b32_e32 v74, 0
	s_mov_b32 s4, exec_lo
	ds_read_b64 v[79:80], v74 offset:568
	s_waitcnt vmcnt(2) lgkmcnt(0)
	v_fma_f64 v[75:76], v[75:76], v[79:80], 0
	s_waitcnt vmcnt(0)
	v_add_f64 v[75:76], v[77:78], -v[75:76]
	buffer_store_dword v75, off, s[0:3], 0 offset:272
	buffer_store_dword v76, off, s[0:3], 0 offset:276
	v_cmpx_lt_u32_e32 33, v0
	s_cbranch_execz .LBB99_159
; %bb.158:
	s_clause 0x1
	buffer_load_dword v75, off, s[0:3], 0 offset:264
	buffer_load_dword v76, off, s[0:3], 0 offset:268
	buffer_store_dword v74, off, s[0:3], 0 offset:264
	buffer_store_dword v74, off, s[0:3], 0 offset:268
	s_waitcnt vmcnt(0)
	ds_write_b64 v73, v[75:76]
.LBB99_159:
	s_or_b32 exec_lo, exec_lo, s4
	s_waitcnt lgkmcnt(0)
	s_waitcnt_vscnt null, 0x0
	s_barrier
	buffer_gl0_inv
	s_clause 0x5
	buffer_load_dword v78, off, s[0:3], 0 offset:272
	buffer_load_dword v79, off, s[0:3], 0 offset:276
	buffer_load_dword v80, off, s[0:3], 0 offset:280
	buffer_load_dword v81, off, s[0:3], 0 offset:284
	buffer_load_dword v82, off, s[0:3], 0 offset:264
	buffer_load_dword v83, off, s[0:3], 0 offset:268
	ds_read_b128 v[74:77], v74 offset:560
	s_mov_b32 s4, exec_lo
	s_waitcnt vmcnt(4) lgkmcnt(0)
	v_fma_f64 v[74:75], v[78:79], v[74:75], 0
	s_waitcnt vmcnt(2)
	v_fma_f64 v[74:75], v[80:81], v[76:77], v[74:75]
	s_waitcnt vmcnt(0)
	v_add_f64 v[74:75], v[82:83], -v[74:75]
	buffer_store_dword v74, off, s[0:3], 0 offset:264
	buffer_store_dword v75, off, s[0:3], 0 offset:268
	v_cmpx_lt_u32_e32 32, v0
	s_cbranch_execz .LBB99_161
; %bb.160:
	s_clause 0x1
	buffer_load_dword v74, off, s[0:3], 0 offset:256
	buffer_load_dword v75, off, s[0:3], 0 offset:260
	v_mov_b32_e32 v76, 0
	buffer_store_dword v76, off, s[0:3], 0 offset:256
	buffer_store_dword v76, off, s[0:3], 0 offset:260
	s_waitcnt vmcnt(0)
	ds_write_b64 v73, v[74:75]
.LBB99_161:
	s_or_b32 exec_lo, exec_lo, s4
	s_waitcnt lgkmcnt(0)
	s_waitcnt_vscnt null, 0x0
	s_barrier
	buffer_gl0_inv
	s_clause 0x7
	buffer_load_dword v79, off, s[0:3], 0 offset:264
	buffer_load_dword v80, off, s[0:3], 0 offset:268
	;; [unrolled: 1-line block ×8, first 2 shown]
	v_mov_b32_e32 v74, 0
	ds_read2_b64 v[75:78], v74 offset0:69 offset1:70
	ds_read_b64 v[87:88], v74 offset:568
	s_mov_b32 s4, exec_lo
	s_waitcnt vmcnt(6) lgkmcnt(1)
	v_fma_f64 v[75:76], v[79:80], v[75:76], 0
	s_waitcnt vmcnt(4)
	v_fma_f64 v[75:76], v[81:82], v[77:78], v[75:76]
	s_waitcnt vmcnt(2) lgkmcnt(0)
	v_fma_f64 v[75:76], v[83:84], v[87:88], v[75:76]
	s_waitcnt vmcnt(0)
	v_add_f64 v[75:76], v[85:86], -v[75:76]
	buffer_store_dword v75, off, s[0:3], 0 offset:256
	buffer_store_dword v76, off, s[0:3], 0 offset:260
	v_cmpx_lt_u32_e32 31, v0
	s_cbranch_execz .LBB99_163
; %bb.162:
	s_clause 0x1
	buffer_load_dword v75, off, s[0:3], 0 offset:248
	buffer_load_dword v76, off, s[0:3], 0 offset:252
	buffer_store_dword v74, off, s[0:3], 0 offset:248
	buffer_store_dword v74, off, s[0:3], 0 offset:252
	s_waitcnt vmcnt(0)
	ds_write_b64 v73, v[75:76]
.LBB99_163:
	s_or_b32 exec_lo, exec_lo, s4
	s_waitcnt lgkmcnt(0)
	s_waitcnt_vscnt null, 0x0
	s_barrier
	buffer_gl0_inv
	s_clause 0x9
	buffer_load_dword v83, off, s[0:3], 0 offset:256
	buffer_load_dword v84, off, s[0:3], 0 offset:260
	;; [unrolled: 1-line block ×10, first 2 shown]
	ds_read_b128 v[75:78], v74 offset:544
	ds_read_b128 v[79:82], v74 offset:560
	s_mov_b32 s4, exec_lo
	s_waitcnt vmcnt(8) lgkmcnt(1)
	v_fma_f64 v[74:75], v[83:84], v[75:76], 0
	s_waitcnt vmcnt(6)
	v_fma_f64 v[74:75], v[85:86], v[77:78], v[74:75]
	s_waitcnt vmcnt(4) lgkmcnt(0)
	v_fma_f64 v[74:75], v[87:88], v[79:80], v[74:75]
	s_waitcnt vmcnt(2)
	v_fma_f64 v[74:75], v[89:90], v[81:82], v[74:75]
	s_waitcnt vmcnt(0)
	v_add_f64 v[74:75], v[91:92], -v[74:75]
	buffer_store_dword v74, off, s[0:3], 0 offset:248
	buffer_store_dword v75, off, s[0:3], 0 offset:252
	v_cmpx_lt_u32_e32 30, v0
	s_cbranch_execz .LBB99_165
; %bb.164:
	s_clause 0x1
	buffer_load_dword v74, off, s[0:3], 0 offset:240
	buffer_load_dword v75, off, s[0:3], 0 offset:244
	v_mov_b32_e32 v76, 0
	buffer_store_dword v76, off, s[0:3], 0 offset:240
	buffer_store_dword v76, off, s[0:3], 0 offset:244
	s_waitcnt vmcnt(0)
	ds_write_b64 v73, v[74:75]
.LBB99_165:
	s_or_b32 exec_lo, exec_lo, s4
	s_waitcnt lgkmcnt(0)
	s_waitcnt_vscnt null, 0x0
	s_barrier
	buffer_gl0_inv
	s_clause 0xb
	buffer_load_dword v83, off, s[0:3], 0 offset:248
	buffer_load_dword v84, off, s[0:3], 0 offset:252
	;; [unrolled: 1-line block ×12, first 2 shown]
	v_mov_b32_e32 v74, 0
	ds_read2_b64 v[75:78], v74 offset0:67 offset1:68
	ds_read2_b64 v[79:82], v74 offset0:69 offset1:70
	s_mov_b32 s4, exec_lo
	s_waitcnt vmcnt(10) lgkmcnt(1)
	v_fma_f64 v[75:76], v[83:84], v[75:76], 0
	s_waitcnt vmcnt(8)
	v_fma_f64 v[75:76], v[85:86], v[77:78], v[75:76]
	ds_read_b64 v[77:78], v74 offset:568
	s_waitcnt vmcnt(6) lgkmcnt(1)
	v_fma_f64 v[75:76], v[87:88], v[79:80], v[75:76]
	s_waitcnt vmcnt(4)
	v_fma_f64 v[75:76], v[89:90], v[81:82], v[75:76]
	s_waitcnt vmcnt(2) lgkmcnt(0)
	v_fma_f64 v[75:76], v[91:92], v[77:78], v[75:76]
	s_waitcnt vmcnt(0)
	v_add_f64 v[75:76], v[93:94], -v[75:76]
	buffer_store_dword v75, off, s[0:3], 0 offset:240
	buffer_store_dword v76, off, s[0:3], 0 offset:244
	v_cmpx_lt_u32_e32 29, v0
	s_cbranch_execz .LBB99_167
; %bb.166:
	s_clause 0x1
	buffer_load_dword v75, off, s[0:3], 0 offset:232
	buffer_load_dword v76, off, s[0:3], 0 offset:236
	buffer_store_dword v74, off, s[0:3], 0 offset:232
	buffer_store_dword v74, off, s[0:3], 0 offset:236
	s_waitcnt vmcnt(0)
	ds_write_b64 v73, v[75:76]
.LBB99_167:
	s_or_b32 exec_lo, exec_lo, s4
	s_waitcnt lgkmcnt(0)
	s_waitcnt_vscnt null, 0x0
	s_barrier
	buffer_gl0_inv
	s_clause 0xd
	buffer_load_dword v83, off, s[0:3], 0 offset:240
	buffer_load_dword v84, off, s[0:3], 0 offset:244
	;; [unrolled: 1-line block ×14, first 2 shown]
	ds_read_b128 v[75:78], v74 offset:528
	ds_read_b128 v[79:82], v74 offset:544
	s_mov_b32 s4, exec_lo
	s_waitcnt vmcnt(12) lgkmcnt(1)
	v_fma_f64 v[75:76], v[83:84], v[75:76], 0
	s_waitcnt vmcnt(10)
	v_fma_f64 v[75:76], v[85:86], v[77:78], v[75:76]
	s_waitcnt vmcnt(8) lgkmcnt(0)
	v_fma_f64 v[75:76], v[87:88], v[79:80], v[75:76]
	s_waitcnt vmcnt(6)
	v_fma_f64 v[78:79], v[89:90], v[81:82], v[75:76]
	ds_read_b128 v[74:77], v74 offset:560
	s_waitcnt vmcnt(4) lgkmcnt(0)
	v_fma_f64 v[74:75], v[91:92], v[74:75], v[78:79]
	s_waitcnt vmcnt(2)
	v_fma_f64 v[74:75], v[93:94], v[76:77], v[74:75]
	s_waitcnt vmcnt(0)
	v_add_f64 v[74:75], v[95:96], -v[74:75]
	buffer_store_dword v74, off, s[0:3], 0 offset:232
	buffer_store_dword v75, off, s[0:3], 0 offset:236
	v_cmpx_lt_u32_e32 28, v0
	s_cbranch_execz .LBB99_169
; %bb.168:
	s_clause 0x1
	buffer_load_dword v74, off, s[0:3], 0 offset:224
	buffer_load_dword v75, off, s[0:3], 0 offset:228
	v_mov_b32_e32 v76, 0
	buffer_store_dword v76, off, s[0:3], 0 offset:224
	buffer_store_dword v76, off, s[0:3], 0 offset:228
	s_waitcnt vmcnt(0)
	ds_write_b64 v73, v[74:75]
.LBB99_169:
	s_or_b32 exec_lo, exec_lo, s4
	s_waitcnt lgkmcnt(0)
	s_waitcnt_vscnt null, 0x0
	s_barrier
	buffer_gl0_inv
	s_clause 0xf
	buffer_load_dword v83, off, s[0:3], 0 offset:232
	buffer_load_dword v84, off, s[0:3], 0 offset:236
	buffer_load_dword v85, off, s[0:3], 0 offset:240
	buffer_load_dword v86, off, s[0:3], 0 offset:244
	buffer_load_dword v87, off, s[0:3], 0 offset:248
	buffer_load_dword v88, off, s[0:3], 0 offset:252
	buffer_load_dword v89, off, s[0:3], 0 offset:256
	buffer_load_dword v90, off, s[0:3], 0 offset:260
	buffer_load_dword v91, off, s[0:3], 0 offset:264
	buffer_load_dword v92, off, s[0:3], 0 offset:268
	buffer_load_dword v93, off, s[0:3], 0 offset:272
	buffer_load_dword v94, off, s[0:3], 0 offset:276
	buffer_load_dword v95, off, s[0:3], 0 offset:280
	buffer_load_dword v96, off, s[0:3], 0 offset:284
	buffer_load_dword v97, off, s[0:3], 0 offset:224
	buffer_load_dword v98, off, s[0:3], 0 offset:228
	v_mov_b32_e32 v74, 0
	ds_read2_b64 v[75:78], v74 offset0:65 offset1:66
	ds_read2_b64 v[79:82], v74 offset0:67 offset1:68
	s_mov_b32 s4, exec_lo
	s_waitcnt vmcnt(14) lgkmcnt(1)
	v_fma_f64 v[75:76], v[83:84], v[75:76], 0
	s_waitcnt vmcnt(12)
	v_fma_f64 v[75:76], v[85:86], v[77:78], v[75:76]
	s_waitcnt vmcnt(10) lgkmcnt(0)
	v_fma_f64 v[75:76], v[87:88], v[79:80], v[75:76]
	s_waitcnt vmcnt(8)
	v_fma_f64 v[79:80], v[89:90], v[81:82], v[75:76]
	ds_read2_b64 v[75:78], v74 offset0:69 offset1:70
	ds_read_b64 v[81:82], v74 offset:568
	s_waitcnt vmcnt(6) lgkmcnt(1)
	v_fma_f64 v[75:76], v[91:92], v[75:76], v[79:80]
	s_waitcnt vmcnt(4)
	v_fma_f64 v[75:76], v[93:94], v[77:78], v[75:76]
	s_waitcnt vmcnt(2) lgkmcnt(0)
	v_fma_f64 v[75:76], v[95:96], v[81:82], v[75:76]
	s_waitcnt vmcnt(0)
	v_add_f64 v[75:76], v[97:98], -v[75:76]
	buffer_store_dword v75, off, s[0:3], 0 offset:224
	buffer_store_dword v76, off, s[0:3], 0 offset:228
	v_cmpx_lt_u32_e32 27, v0
	s_cbranch_execz .LBB99_171
; %bb.170:
	s_clause 0x1
	buffer_load_dword v75, off, s[0:3], 0 offset:216
	buffer_load_dword v76, off, s[0:3], 0 offset:220
	buffer_store_dword v74, off, s[0:3], 0 offset:216
	buffer_store_dword v74, off, s[0:3], 0 offset:220
	s_waitcnt vmcnt(0)
	ds_write_b64 v73, v[75:76]
.LBB99_171:
	s_or_b32 exec_lo, exec_lo, s4
	s_waitcnt lgkmcnt(0)
	s_waitcnt_vscnt null, 0x0
	s_barrier
	buffer_gl0_inv
	s_clause 0x11
	buffer_load_dword v83, off, s[0:3], 0 offset:224
	buffer_load_dword v84, off, s[0:3], 0 offset:228
	;; [unrolled: 1-line block ×18, first 2 shown]
	ds_read_b128 v[75:78], v74 offset:512
	ds_read_b128 v[79:82], v74 offset:528
	s_mov_b32 s4, exec_lo
	s_waitcnt vmcnt(16) lgkmcnt(1)
	v_fma_f64 v[75:76], v[83:84], v[75:76], 0
	s_waitcnt vmcnt(14)
	v_fma_f64 v[75:76], v[85:86], v[77:78], v[75:76]
	s_waitcnt vmcnt(12) lgkmcnt(0)
	v_fma_f64 v[75:76], v[87:88], v[79:80], v[75:76]
	s_waitcnt vmcnt(10)
	v_fma_f64 v[83:84], v[89:90], v[81:82], v[75:76]
	ds_read_b128 v[75:78], v74 offset:544
	ds_read_b128 v[79:82], v74 offset:560
	s_waitcnt vmcnt(8) lgkmcnt(1)
	v_fma_f64 v[74:75], v[91:92], v[75:76], v[83:84]
	s_waitcnt vmcnt(6)
	v_fma_f64 v[74:75], v[93:94], v[77:78], v[74:75]
	s_waitcnt vmcnt(4) lgkmcnt(0)
	v_fma_f64 v[74:75], v[95:96], v[79:80], v[74:75]
	s_waitcnt vmcnt(2)
	v_fma_f64 v[74:75], v[97:98], v[81:82], v[74:75]
	s_waitcnt vmcnt(0)
	v_add_f64 v[74:75], v[99:100], -v[74:75]
	buffer_store_dword v74, off, s[0:3], 0 offset:216
	buffer_store_dword v75, off, s[0:3], 0 offset:220
	v_cmpx_lt_u32_e32 26, v0
	s_cbranch_execz .LBB99_173
; %bb.172:
	s_clause 0x1
	buffer_load_dword v74, off, s[0:3], 0 offset:208
	buffer_load_dword v75, off, s[0:3], 0 offset:212
	v_mov_b32_e32 v76, 0
	buffer_store_dword v76, off, s[0:3], 0 offset:208
	buffer_store_dword v76, off, s[0:3], 0 offset:212
	s_waitcnt vmcnt(0)
	ds_write_b64 v73, v[74:75]
.LBB99_173:
	s_or_b32 exec_lo, exec_lo, s4
	s_waitcnt lgkmcnt(0)
	s_waitcnt_vscnt null, 0x0
	s_barrier
	buffer_gl0_inv
	s_clause 0x13
	buffer_load_dword v83, off, s[0:3], 0 offset:216
	buffer_load_dword v84, off, s[0:3], 0 offset:220
	;; [unrolled: 1-line block ×20, first 2 shown]
	v_mov_b32_e32 v74, 0
	ds_read2_b64 v[75:78], v74 offset0:63 offset1:64
	ds_read2_b64 v[79:82], v74 offset0:65 offset1:66
	s_mov_b32 s4, exec_lo
	s_waitcnt vmcnt(18) lgkmcnt(1)
	v_fma_f64 v[75:76], v[83:84], v[75:76], 0
	s_waitcnt vmcnt(16)
	v_fma_f64 v[75:76], v[85:86], v[77:78], v[75:76]
	s_waitcnt vmcnt(14) lgkmcnt(0)
	v_fma_f64 v[75:76], v[87:88], v[79:80], v[75:76]
	s_waitcnt vmcnt(12)
	v_fma_f64 v[83:84], v[89:90], v[81:82], v[75:76]
	ds_read2_b64 v[75:78], v74 offset0:67 offset1:68
	ds_read2_b64 v[79:82], v74 offset0:69 offset1:70
	s_waitcnt vmcnt(10) lgkmcnt(1)
	v_fma_f64 v[75:76], v[91:92], v[75:76], v[83:84]
	s_waitcnt vmcnt(8)
	v_fma_f64 v[75:76], v[93:94], v[77:78], v[75:76]
	ds_read_b64 v[77:78], v74 offset:568
	s_waitcnt vmcnt(6) lgkmcnt(1)
	v_fma_f64 v[75:76], v[95:96], v[79:80], v[75:76]
	s_waitcnt vmcnt(3)
	v_fma_f64 v[75:76], v[97:98], v[81:82], v[75:76]
	s_waitcnt vmcnt(2) lgkmcnt(0)
	v_fma_f64 v[75:76], v[99:100], v[77:78], v[75:76]
	s_waitcnt vmcnt(0)
	v_add_f64 v[75:76], v[101:102], -v[75:76]
	buffer_store_dword v75, off, s[0:3], 0 offset:208
	buffer_store_dword v76, off, s[0:3], 0 offset:212
	v_cmpx_lt_u32_e32 25, v0
	s_cbranch_execz .LBB99_175
; %bb.174:
	s_clause 0x1
	buffer_load_dword v75, off, s[0:3], 0 offset:200
	buffer_load_dword v76, off, s[0:3], 0 offset:204
	buffer_store_dword v74, off, s[0:3], 0 offset:200
	buffer_store_dword v74, off, s[0:3], 0 offset:204
	s_waitcnt vmcnt(0)
	ds_write_b64 v73, v[75:76]
.LBB99_175:
	s_or_b32 exec_lo, exec_lo, s4
	s_waitcnt lgkmcnt(0)
	s_waitcnt_vscnt null, 0x0
	s_barrier
	buffer_gl0_inv
	s_clause 0x15
	buffer_load_dword v83, off, s[0:3], 0 offset:208
	buffer_load_dword v84, off, s[0:3], 0 offset:212
	;; [unrolled: 1-line block ×22, first 2 shown]
	ds_read_b128 v[75:78], v74 offset:496
	ds_read_b128 v[79:82], v74 offset:512
	s_mov_b32 s4, exec_lo
	s_waitcnt vmcnt(20) lgkmcnt(1)
	v_fma_f64 v[75:76], v[83:84], v[75:76], 0
	s_waitcnt vmcnt(18)
	v_fma_f64 v[75:76], v[85:86], v[77:78], v[75:76]
	s_waitcnt vmcnt(16) lgkmcnt(0)
	v_fma_f64 v[75:76], v[87:88], v[79:80], v[75:76]
	s_waitcnt vmcnt(14)
	v_fma_f64 v[83:84], v[89:90], v[81:82], v[75:76]
	ds_read_b128 v[75:78], v74 offset:528
	ds_read_b128 v[79:82], v74 offset:544
	s_waitcnt vmcnt(12) lgkmcnt(1)
	v_fma_f64 v[75:76], v[91:92], v[75:76], v[83:84]
	s_waitcnt vmcnt(10)
	v_fma_f64 v[75:76], v[93:94], v[77:78], v[75:76]
	s_waitcnt vmcnt(8) lgkmcnt(0)
	v_fma_f64 v[75:76], v[95:96], v[79:80], v[75:76]
	s_waitcnt vmcnt(4)
	v_fma_f64 v[78:79], v[97:98], v[81:82], v[75:76]
	ds_read_b128 v[74:77], v74 offset:560
	s_waitcnt vmcnt(3) lgkmcnt(0)
	v_fma_f64 v[74:75], v[101:102], v[74:75], v[78:79]
	s_waitcnt vmcnt(2)
	v_fma_f64 v[74:75], v[99:100], v[76:77], v[74:75]
	s_waitcnt vmcnt(0)
	v_add_f64 v[74:75], v[103:104], -v[74:75]
	buffer_store_dword v74, off, s[0:3], 0 offset:200
	buffer_store_dword v75, off, s[0:3], 0 offset:204
	v_cmpx_lt_u32_e32 24, v0
	s_cbranch_execz .LBB99_177
; %bb.176:
	s_clause 0x1
	buffer_load_dword v74, off, s[0:3], 0 offset:192
	buffer_load_dword v75, off, s[0:3], 0 offset:196
	v_mov_b32_e32 v76, 0
	buffer_store_dword v76, off, s[0:3], 0 offset:192
	buffer_store_dword v76, off, s[0:3], 0 offset:196
	s_waitcnt vmcnt(0)
	ds_write_b64 v73, v[74:75]
.LBB99_177:
	s_or_b32 exec_lo, exec_lo, s4
	s_waitcnt lgkmcnt(0)
	s_waitcnt_vscnt null, 0x0
	s_barrier
	buffer_gl0_inv
	s_clause 0x17
	buffer_load_dword v83, off, s[0:3], 0 offset:200
	buffer_load_dword v84, off, s[0:3], 0 offset:204
	;; [unrolled: 1-line block ×24, first 2 shown]
	v_mov_b32_e32 v74, 0
	ds_read2_b64 v[75:78], v74 offset0:61 offset1:62
	ds_read2_b64 v[79:82], v74 offset0:63 offset1:64
	s_mov_b32 s4, exec_lo
	s_waitcnt vmcnt(22) lgkmcnt(1)
	v_fma_f64 v[75:76], v[83:84], v[75:76], 0
	s_waitcnt vmcnt(20)
	v_fma_f64 v[75:76], v[85:86], v[77:78], v[75:76]
	s_waitcnt vmcnt(18) lgkmcnt(0)
	v_fma_f64 v[75:76], v[87:88], v[79:80], v[75:76]
	s_waitcnt vmcnt(16)
	v_fma_f64 v[83:84], v[89:90], v[81:82], v[75:76]
	ds_read2_b64 v[75:78], v74 offset0:65 offset1:66
	ds_read2_b64 v[79:82], v74 offset0:67 offset1:68
	s_waitcnt vmcnt(14) lgkmcnt(1)
	v_fma_f64 v[75:76], v[91:92], v[75:76], v[83:84]
	s_waitcnt vmcnt(12)
	v_fma_f64 v[75:76], v[93:94], v[77:78], v[75:76]
	s_waitcnt vmcnt(10) lgkmcnt(0)
	v_fma_f64 v[75:76], v[95:96], v[79:80], v[75:76]
	s_waitcnt vmcnt(5)
	v_fma_f64 v[79:80], v[97:98], v[81:82], v[75:76]
	ds_read2_b64 v[75:78], v74 offset0:69 offset1:70
	ds_read_b64 v[81:82], v74 offset:568
	s_waitcnt vmcnt(4) lgkmcnt(1)
	v_fma_f64 v[75:76], v[103:104], v[75:76], v[79:80]
	s_waitcnt vmcnt(3)
	v_fma_f64 v[75:76], v[101:102], v[77:78], v[75:76]
	s_waitcnt vmcnt(2) lgkmcnt(0)
	v_fma_f64 v[75:76], v[99:100], v[81:82], v[75:76]
	s_waitcnt vmcnt(0)
	v_add_f64 v[75:76], v[105:106], -v[75:76]
	buffer_store_dword v76, off, s[0:3], 0 offset:196
	buffer_store_dword v75, off, s[0:3], 0 offset:192
	v_cmpx_lt_u32_e32 23, v0
	s_cbranch_execz .LBB99_179
; %bb.178:
	s_clause 0x1
	buffer_load_dword v75, off, s[0:3], 0 offset:184
	buffer_load_dword v76, off, s[0:3], 0 offset:188
	buffer_store_dword v74, off, s[0:3], 0 offset:184
	buffer_store_dword v74, off, s[0:3], 0 offset:188
	s_waitcnt vmcnt(0)
	ds_write_b64 v73, v[75:76]
.LBB99_179:
	s_or_b32 exec_lo, exec_lo, s4
	s_waitcnt lgkmcnt(0)
	s_waitcnt_vscnt null, 0x0
	s_barrier
	buffer_gl0_inv
	s_clause 0x19
	buffer_load_dword v83, off, s[0:3], 0 offset:192
	buffer_load_dword v84, off, s[0:3], 0 offset:196
	buffer_load_dword v85, off, s[0:3], 0 offset:200
	buffer_load_dword v86, off, s[0:3], 0 offset:204
	buffer_load_dword v87, off, s[0:3], 0 offset:208
	buffer_load_dword v88, off, s[0:3], 0 offset:212
	buffer_load_dword v89, off, s[0:3], 0 offset:216
	buffer_load_dword v90, off, s[0:3], 0 offset:220
	buffer_load_dword v91, off, s[0:3], 0 offset:224
	buffer_load_dword v92, off, s[0:3], 0 offset:228
	buffer_load_dword v93, off, s[0:3], 0 offset:232
	buffer_load_dword v94, off, s[0:3], 0 offset:236
	buffer_load_dword v95, off, s[0:3], 0 offset:240
	buffer_load_dword v96, off, s[0:3], 0 offset:244
	buffer_load_dword v98, off, s[0:3], 0 offset:252
	buffer_load_dword v99, off, s[0:3], 0 offset:272
	buffer_load_dword v101, off, s[0:3], 0 offset:264
	buffer_load_dword v103, off, s[0:3], 0 offset:256
	buffer_load_dword v97, off, s[0:3], 0 offset:248
	buffer_load_dword v104, off, s[0:3], 0 offset:260
	buffer_load_dword v102, off, s[0:3], 0 offset:268
	buffer_load_dword v100, off, s[0:3], 0 offset:276
	buffer_load_dword v106, off, s[0:3], 0 offset:284
	buffer_load_dword v105, off, s[0:3], 0 offset:280
	buffer_load_dword v107, off, s[0:3], 0 offset:184
	buffer_load_dword v108, off, s[0:3], 0 offset:188
	ds_read_b128 v[75:78], v74 offset:480
	ds_read_b128 v[79:82], v74 offset:496
	s_mov_b32 s4, exec_lo
	s_waitcnt vmcnt(24) lgkmcnt(1)
	v_fma_f64 v[75:76], v[83:84], v[75:76], 0
	s_waitcnt vmcnt(22)
	v_fma_f64 v[75:76], v[85:86], v[77:78], v[75:76]
	s_waitcnt vmcnt(20) lgkmcnt(0)
	v_fma_f64 v[75:76], v[87:88], v[79:80], v[75:76]
	s_waitcnt vmcnt(18)
	v_fma_f64 v[83:84], v[89:90], v[81:82], v[75:76]
	ds_read_b128 v[75:78], v74 offset:512
	ds_read_b128 v[79:82], v74 offset:528
	s_waitcnt vmcnt(16) lgkmcnt(1)
	v_fma_f64 v[75:76], v[91:92], v[75:76], v[83:84]
	s_waitcnt vmcnt(14)
	v_fma_f64 v[75:76], v[93:94], v[77:78], v[75:76]
	s_waitcnt vmcnt(12) lgkmcnt(0)
	v_fma_f64 v[75:76], v[95:96], v[79:80], v[75:76]
	s_waitcnt vmcnt(7)
	v_fma_f64 v[83:84], v[97:98], v[81:82], v[75:76]
	ds_read_b128 v[75:78], v74 offset:544
	ds_read_b128 v[79:82], v74 offset:560
	s_waitcnt vmcnt(6) lgkmcnt(1)
	v_fma_f64 v[74:75], v[103:104], v[75:76], v[83:84]
	s_waitcnt vmcnt(5)
	v_fma_f64 v[74:75], v[101:102], v[77:78], v[74:75]
	s_waitcnt vmcnt(4) lgkmcnt(0)
	v_fma_f64 v[74:75], v[99:100], v[79:80], v[74:75]
	s_waitcnt vmcnt(2)
	v_fma_f64 v[74:75], v[105:106], v[81:82], v[74:75]
	s_waitcnt vmcnt(0)
	v_add_f64 v[74:75], v[107:108], -v[74:75]
	buffer_store_dword v75, off, s[0:3], 0 offset:188
	buffer_store_dword v74, off, s[0:3], 0 offset:184
	v_cmpx_lt_u32_e32 22, v0
	s_cbranch_execz .LBB99_181
; %bb.180:
	s_clause 0x1
	buffer_load_dword v74, off, s[0:3], 0 offset:176
	buffer_load_dword v75, off, s[0:3], 0 offset:180
	v_mov_b32_e32 v76, 0
	buffer_store_dword v76, off, s[0:3], 0 offset:176
	buffer_store_dword v76, off, s[0:3], 0 offset:180
	s_waitcnt vmcnt(0)
	ds_write_b64 v73, v[74:75]
.LBB99_181:
	s_or_b32 exec_lo, exec_lo, s4
	s_waitcnt lgkmcnt(0)
	s_waitcnt_vscnt null, 0x0
	s_barrier
	buffer_gl0_inv
	s_clause 0x1b
	buffer_load_dword v79, off, s[0:3], 0 offset:184
	buffer_load_dword v80, off, s[0:3], 0 offset:188
	;; [unrolled: 1-line block ×28, first 2 shown]
	v_mov_b32_e32 v74, 0
	s_mov_b32 s4, exec_lo
	ds_read2_b64 v[75:78], v74 offset0:59 offset1:60
	s_waitcnt vmcnt(26) lgkmcnt(0)
	v_fma_f64 v[75:76], v[79:80], v[75:76], 0
	s_waitcnt vmcnt(24)
	v_fma_f64 v[79:80], v[81:82], v[77:78], v[75:76]
	ds_read2_b64 v[75:78], v74 offset0:61 offset1:62
	s_waitcnt vmcnt(22) lgkmcnt(0)
	v_fma_f64 v[75:76], v[83:84], v[75:76], v[79:80]
	s_waitcnt vmcnt(20)
	v_fma_f64 v[79:80], v[85:86], v[77:78], v[75:76]
	;; [unrolled: 5-line block ×6, first 2 shown]
	ds_read_b64 v[77:78], v74 offset:568
	s_waitcnt vmcnt(2) lgkmcnt(0)
	v_fma_f64 v[75:76], v[103:104], v[77:78], v[75:76]
	s_waitcnt vmcnt(0)
	v_add_f64 v[75:76], v[105:106], -v[75:76]
	buffer_store_dword v76, off, s[0:3], 0 offset:180
	buffer_store_dword v75, off, s[0:3], 0 offset:176
	v_cmpx_lt_u32_e32 21, v0
	s_cbranch_execz .LBB99_183
; %bb.182:
	s_clause 0x1
	buffer_load_dword v75, off, s[0:3], 0 offset:168
	buffer_load_dword v76, off, s[0:3], 0 offset:172
	buffer_store_dword v74, off, s[0:3], 0 offset:168
	buffer_store_dword v74, off, s[0:3], 0 offset:172
	s_waitcnt vmcnt(0)
	ds_write_b64 v73, v[75:76]
.LBB99_183:
	s_or_b32 exec_lo, exec_lo, s4
	s_waitcnt lgkmcnt(0)
	s_waitcnt_vscnt null, 0x0
	s_barrier
	buffer_gl0_inv
	s_clause 0x1b
	buffer_load_dword v79, off, s[0:3], 0 offset:176
	buffer_load_dword v80, off, s[0:3], 0 offset:180
	;; [unrolled: 1-line block ×28, first 2 shown]
	ds_read_b128 v[75:78], v74 offset:464
	s_clause 0x1
	buffer_load_dword v107, off, s[0:3], 0 offset:168
	buffer_load_dword v108, off, s[0:3], 0 offset:172
	s_mov_b32 s4, exec_lo
	s_waitcnt vmcnt(28) lgkmcnt(0)
	v_fma_f64 v[75:76], v[79:80], v[75:76], 0
	s_waitcnt vmcnt(26)
	v_fma_f64 v[79:80], v[81:82], v[77:78], v[75:76]
	ds_read_b128 v[75:78], v74 offset:480
	s_waitcnt vmcnt(24) lgkmcnt(0)
	v_fma_f64 v[75:76], v[83:84], v[75:76], v[79:80]
	s_waitcnt vmcnt(22)
	v_fma_f64 v[79:80], v[85:86], v[77:78], v[75:76]
	ds_read_b128 v[75:78], v74 offset:496
	;; [unrolled: 5-line block ×6, first 2 shown]
	s_waitcnt vmcnt(4) lgkmcnt(0)
	v_fma_f64 v[74:75], v[103:104], v[74:75], v[78:79]
	s_waitcnt vmcnt(2)
	v_fma_f64 v[74:75], v[105:106], v[76:77], v[74:75]
	s_waitcnt vmcnt(0)
	v_add_f64 v[74:75], v[107:108], -v[74:75]
	buffer_store_dword v75, off, s[0:3], 0 offset:172
	buffer_store_dword v74, off, s[0:3], 0 offset:168
	v_cmpx_lt_u32_e32 20, v0
	s_cbranch_execz .LBB99_185
; %bb.184:
	s_clause 0x1
	buffer_load_dword v74, off, s[0:3], 0 offset:160
	buffer_load_dword v75, off, s[0:3], 0 offset:164
	v_mov_b32_e32 v76, 0
	buffer_store_dword v76, off, s[0:3], 0 offset:160
	buffer_store_dword v76, off, s[0:3], 0 offset:164
	s_waitcnt vmcnt(0)
	ds_write_b64 v73, v[74:75]
.LBB99_185:
	s_or_b32 exec_lo, exec_lo, s4
	s_waitcnt lgkmcnt(0)
	s_waitcnt_vscnt null, 0x0
	s_barrier
	buffer_gl0_inv
	s_clause 0x1b
	buffer_load_dword v79, off, s[0:3], 0 offset:168
	buffer_load_dword v80, off, s[0:3], 0 offset:172
	;; [unrolled: 1-line block ×28, first 2 shown]
	v_mov_b32_e32 v74, 0
	s_mov_b32 s4, exec_lo
	ds_read2_b64 v[75:78], v74 offset0:57 offset1:58
	s_clause 0x1
	buffer_load_dword v107, off, s[0:3], 0 offset:280
	buffer_load_dword v108, off, s[0:3], 0 offset:284
	s_waitcnt vmcnt(28) lgkmcnt(0)
	v_fma_f64 v[75:76], v[79:80], v[75:76], 0
	s_clause 0x1
	buffer_load_dword v79, off, s[0:3], 0 offset:160
	buffer_load_dword v80, off, s[0:3], 0 offset:164
	s_waitcnt vmcnt(28)
	v_fma_f64 v[81:82], v[81:82], v[77:78], v[75:76]
	ds_read2_b64 v[75:78], v74 offset0:59 offset1:60
	s_waitcnt vmcnt(26) lgkmcnt(0)
	v_fma_f64 v[75:76], v[83:84], v[75:76], v[81:82]
	s_waitcnt vmcnt(24)
	v_fma_f64 v[81:82], v[85:86], v[77:78], v[75:76]
	ds_read2_b64 v[75:78], v74 offset0:61 offset1:62
	s_waitcnt vmcnt(22) lgkmcnt(0)
	v_fma_f64 v[75:76], v[87:88], v[75:76], v[81:82]
	;; [unrolled: 5-line block ×6, first 2 shown]
	s_waitcnt vmcnt(4)
	v_fma_f64 v[75:76], v[105:106], v[77:78], v[75:76]
	ds_read_b64 v[77:78], v74 offset:568
	s_waitcnt vmcnt(2) lgkmcnt(0)
	v_fma_f64 v[75:76], v[107:108], v[77:78], v[75:76]
	s_waitcnt vmcnt(0)
	v_add_f64 v[75:76], v[79:80], -v[75:76]
	buffer_store_dword v76, off, s[0:3], 0 offset:164
	buffer_store_dword v75, off, s[0:3], 0 offset:160
	v_cmpx_lt_u32_e32 19, v0
	s_cbranch_execz .LBB99_187
; %bb.186:
	s_clause 0x1
	buffer_load_dword v75, off, s[0:3], 0 offset:152
	buffer_load_dword v76, off, s[0:3], 0 offset:156
	buffer_store_dword v74, off, s[0:3], 0 offset:152
	buffer_store_dword v74, off, s[0:3], 0 offset:156
	s_waitcnt vmcnt(0)
	ds_write_b64 v73, v[75:76]
.LBB99_187:
	s_or_b32 exec_lo, exec_lo, s4
	s_waitcnt lgkmcnt(0)
	s_waitcnt_vscnt null, 0x0
	s_barrier
	buffer_gl0_inv
	s_clause 0x1b
	buffer_load_dword v79, off, s[0:3], 0 offset:160
	buffer_load_dword v80, off, s[0:3], 0 offset:164
	;; [unrolled: 1-line block ×28, first 2 shown]
	ds_read_b128 v[75:78], v74 offset:448
	s_clause 0x1
	buffer_load_dword v107, off, s[0:3], 0 offset:272
	buffer_load_dword v108, off, s[0:3], 0 offset:276
	s_mov_b32 s4, exec_lo
	s_waitcnt vmcnt(28) lgkmcnt(0)
	v_fma_f64 v[75:76], v[79:80], v[75:76], 0
	s_clause 0x1
	buffer_load_dword v80, off, s[0:3], 0 offset:284
	buffer_load_dword v79, off, s[0:3], 0 offset:280
	s_waitcnt vmcnt(28)
	v_fma_f64 v[81:82], v[81:82], v[77:78], v[75:76]
	ds_read_b128 v[75:78], v74 offset:464
	s_clause 0x1
	buffer_load_dword v109, off, s[0:3], 0 offset:152
	buffer_load_dword v110, off, s[0:3], 0 offset:156
	s_waitcnt vmcnt(28) lgkmcnt(0)
	v_fma_f64 v[75:76], v[83:84], v[75:76], v[81:82]
	s_waitcnt vmcnt(26)
	v_fma_f64 v[81:82], v[85:86], v[77:78], v[75:76]
	ds_read_b128 v[75:78], v74 offset:480
	s_waitcnt vmcnt(24) lgkmcnt(0)
	v_fma_f64 v[75:76], v[87:88], v[75:76], v[81:82]
	s_waitcnt vmcnt(22)
	v_fma_f64 v[81:82], v[89:90], v[77:78], v[75:76]
	ds_read_b128 v[75:78], v74 offset:496
	;; [unrolled: 5-line block ×6, first 2 shown]
	s_waitcnt vmcnt(4) lgkmcnt(0)
	v_fma_f64 v[74:75], v[107:108], v[74:75], v[81:82]
	s_waitcnt vmcnt(2)
	v_fma_f64 v[74:75], v[79:80], v[76:77], v[74:75]
	s_waitcnt vmcnt(0)
	v_add_f64 v[74:75], v[109:110], -v[74:75]
	buffer_store_dword v75, off, s[0:3], 0 offset:156
	buffer_store_dword v74, off, s[0:3], 0 offset:152
	v_cmpx_lt_u32_e32 18, v0
	s_cbranch_execz .LBB99_189
; %bb.188:
	s_clause 0x1
	buffer_load_dword v74, off, s[0:3], 0 offset:144
	buffer_load_dword v75, off, s[0:3], 0 offset:148
	v_mov_b32_e32 v76, 0
	buffer_store_dword v76, off, s[0:3], 0 offset:144
	buffer_store_dword v76, off, s[0:3], 0 offset:148
	s_waitcnt vmcnt(0)
	ds_write_b64 v73, v[74:75]
.LBB99_189:
	s_or_b32 exec_lo, exec_lo, s4
	s_waitcnt lgkmcnt(0)
	s_waitcnt_vscnt null, 0x0
	s_barrier
	buffer_gl0_inv
	s_clause 0x1c
	buffer_load_dword v83, off, s[0:3], 0 offset:152
	buffer_load_dword v84, off, s[0:3], 0 offset:156
	;; [unrolled: 1-line block ×29, first 2 shown]
	v_mov_b32_e32 v74, 0
	buffer_load_dword v108, off, s[0:3], 0 offset:268
	s_mov_b32 s4, exec_lo
	ds_read2_b64 v[75:78], v74 offset0:55 offset1:56
	ds_read2_b64 v[79:82], v74 offset0:57 offset1:58
	s_waitcnt vmcnt(28) lgkmcnt(1)
	v_fma_f64 v[75:76], v[83:84], v[75:76], 0
	s_clause 0x3
	buffer_load_dword v84, off, s[0:3], 0 offset:276
	buffer_load_dword v113, off, s[0:3], 0 offset:280
	;; [unrolled: 1-line block ×4, first 2 shown]
	s_waitcnt vmcnt(30)
	v_fma_f64 v[75:76], v[85:86], v[77:78], v[75:76]
	s_clause 0x1
	buffer_load_dword v85, off, s[0:3], 0 offset:144
	buffer_load_dword v86, off, s[0:3], 0 offset:148
	s_waitcnt vmcnt(30) lgkmcnt(0)
	v_fma_f64 v[75:76], v[87:88], v[79:80], v[75:76]
	s_waitcnt vmcnt(28)
	v_fma_f64 v[87:88], v[89:90], v[81:82], v[75:76]
	ds_read2_b64 v[75:78], v74 offset0:59 offset1:60
	ds_read2_b64 v[79:82], v74 offset0:61 offset1:62
	s_waitcnt vmcnt(26) lgkmcnt(1)
	v_fma_f64 v[75:76], v[91:92], v[75:76], v[87:88]
	s_waitcnt vmcnt(24)
	v_fma_f64 v[75:76], v[93:94], v[77:78], v[75:76]
	s_waitcnt vmcnt(22) lgkmcnt(0)
	v_fma_f64 v[75:76], v[95:96], v[79:80], v[75:76]
	s_waitcnt vmcnt(17)
	v_fma_f64 v[87:88], v[97:98], v[81:82], v[75:76]
	ds_read2_b64 v[75:78], v74 offset0:63 offset1:64
	ds_read2_b64 v[79:82], v74 offset0:65 offset1:66
	s_waitcnt vmcnt(16) lgkmcnt(1)
	v_fma_f64 v[75:76], v[103:104], v[75:76], v[87:88]
	s_waitcnt vmcnt(15)
	v_fma_f64 v[75:76], v[101:102], v[77:78], v[75:76]
	;; [unrolled: 10-line block ×3, first 2 shown]
	ds_read_b64 v[77:78], v74 offset:568
	s_waitcnt vmcnt(6) lgkmcnt(1)
	v_fma_f64 v[75:76], v[107:108], v[79:80], v[75:76]
	s_waitcnt vmcnt(3)
	v_fma_f64 v[75:76], v[83:84], v[81:82], v[75:76]
	s_waitcnt vmcnt(2) lgkmcnt(0)
	v_fma_f64 v[75:76], v[113:114], v[77:78], v[75:76]
	s_waitcnt vmcnt(0)
	v_add_f64 v[75:76], v[85:86], -v[75:76]
	buffer_store_dword v76, off, s[0:3], 0 offset:148
	buffer_store_dword v75, off, s[0:3], 0 offset:144
	v_cmpx_lt_u32_e32 17, v0
	s_cbranch_execz .LBB99_191
; %bb.190:
	s_clause 0x1
	buffer_load_dword v75, off, s[0:3], 0 offset:136
	buffer_load_dword v76, off, s[0:3], 0 offset:140
	buffer_store_dword v74, off, s[0:3], 0 offset:136
	buffer_store_dword v74, off, s[0:3], 0 offset:140
	s_waitcnt vmcnt(0)
	ds_write_b64 v73, v[75:76]
.LBB99_191:
	s_or_b32 exec_lo, exec_lo, s4
	s_waitcnt lgkmcnt(0)
	s_waitcnt_vscnt null, 0x0
	s_barrier
	buffer_gl0_inv
	s_clause 0x1c
	buffer_load_dword v83, off, s[0:3], 0 offset:144
	buffer_load_dword v84, off, s[0:3], 0 offset:148
	;; [unrolled: 1-line block ×29, first 2 shown]
	ds_read_b128 v[75:78], v74 offset:432
	ds_read_b128 v[79:82], v74 offset:448
	buffer_load_dword v108, off, s[0:3], 0 offset:260
	s_mov_b32 s4, exec_lo
	s_waitcnt vmcnt(28) lgkmcnt(1)
	v_fma_f64 v[75:76], v[83:84], v[75:76], 0
	s_clause 0x5
	buffer_load_dword v84, off, s[0:3], 0 offset:268
	buffer_load_dword v113, off, s[0:3], 0 offset:280
	;; [unrolled: 1-line block ×6, first 2 shown]
	s_waitcnt vmcnt(32)
	v_fma_f64 v[75:76], v[85:86], v[77:78], v[75:76]
	s_waitcnt vmcnt(30) lgkmcnt(0)
	v_fma_f64 v[75:76], v[87:88], v[79:80], v[75:76]
	s_waitcnt vmcnt(28)
	v_fma_f64 v[85:86], v[89:90], v[81:82], v[75:76]
	ds_read_b128 v[75:78], v74 offset:464
	s_clause 0x1
	buffer_load_dword v87, off, s[0:3], 0 offset:136
	buffer_load_dword v88, off, s[0:3], 0 offset:140
	ds_read_b128 v[79:82], v74 offset:480
	s_waitcnt vmcnt(28) lgkmcnt(1)
	v_fma_f64 v[75:76], v[91:92], v[75:76], v[85:86]
	s_waitcnt vmcnt(26)
	v_fma_f64 v[75:76], v[93:94], v[77:78], v[75:76]
	s_waitcnt vmcnt(24) lgkmcnt(0)
	v_fma_f64 v[75:76], v[95:96], v[79:80], v[75:76]
	s_waitcnt vmcnt(19)
	v_fma_f64 v[85:86], v[97:98], v[81:82], v[75:76]
	ds_read_b128 v[75:78], v74 offset:496
	ds_read_b128 v[79:82], v74 offset:512
	s_waitcnt vmcnt(18) lgkmcnt(1)
	v_fma_f64 v[75:76], v[103:104], v[75:76], v[85:86]
	s_waitcnt vmcnt(17)
	v_fma_f64 v[75:76], v[101:102], v[77:78], v[75:76]
	s_waitcnt vmcnt(16) lgkmcnt(0)
	v_fma_f64 v[75:76], v[99:100], v[79:80], v[75:76]
	s_waitcnt vmcnt(11)
	v_fma_f64 v[85:86], v[105:106], v[81:82], v[75:76]
	ds_read_b128 v[75:78], v74 offset:528
	;; [unrolled: 10-line block ×3, first 2 shown]
	s_waitcnt vmcnt(3) lgkmcnt(0)
	v_fma_f64 v[74:75], v[115:116], v[74:75], v[78:79]
	s_waitcnt vmcnt(2)
	v_fma_f64 v[74:75], v[113:114], v[76:77], v[74:75]
	s_waitcnt vmcnt(0)
	v_add_f64 v[74:75], v[87:88], -v[74:75]
	buffer_store_dword v75, off, s[0:3], 0 offset:140
	buffer_store_dword v74, off, s[0:3], 0 offset:136
	v_cmpx_lt_u32_e32 16, v0
	s_cbranch_execz .LBB99_193
; %bb.192:
	s_clause 0x1
	buffer_load_dword v74, off, s[0:3], 0 offset:128
	buffer_load_dword v75, off, s[0:3], 0 offset:132
	v_mov_b32_e32 v76, 0
	buffer_store_dword v76, off, s[0:3], 0 offset:128
	buffer_store_dword v76, off, s[0:3], 0 offset:132
	s_waitcnt vmcnt(0)
	ds_write_b64 v73, v[74:75]
.LBB99_193:
	s_or_b32 exec_lo, exec_lo, s4
	s_waitcnt lgkmcnt(0)
	s_waitcnt_vscnt null, 0x0
	s_barrier
	buffer_gl0_inv
	s_clause 0x1c
	buffer_load_dword v83, off, s[0:3], 0 offset:136
	buffer_load_dword v84, off, s[0:3], 0 offset:140
	;; [unrolled: 1-line block ×29, first 2 shown]
	v_mov_b32_e32 v74, 0
	buffer_load_dword v108, off, s[0:3], 0 offset:252
	s_mov_b32 s4, exec_lo
	ds_read2_b64 v[75:78], v74 offset0:53 offset1:54
	ds_read2_b64 v[79:82], v74 offset0:55 offset1:56
	s_waitcnt vmcnt(28) lgkmcnt(1)
	v_fma_f64 v[75:76], v[83:84], v[75:76], 0
	s_clause 0x7
	buffer_load_dword v84, off, s[0:3], 0 offset:260
	buffer_load_dword v113, off, s[0:3], 0 offset:280
	;; [unrolled: 1-line block ×8, first 2 shown]
	s_waitcnt vmcnt(34)
	v_fma_f64 v[75:76], v[85:86], v[77:78], v[75:76]
	s_waitcnt vmcnt(32) lgkmcnt(0)
	v_fma_f64 v[75:76], v[87:88], v[79:80], v[75:76]
	s_waitcnt vmcnt(30)
	v_fma_f64 v[85:86], v[89:90], v[81:82], v[75:76]
	ds_read2_b64 v[75:78], v74 offset0:57 offset1:58
	ds_read2_b64 v[79:82], v74 offset0:59 offset1:60
	s_waitcnt vmcnt(28) lgkmcnt(1)
	v_fma_f64 v[75:76], v[91:92], v[75:76], v[85:86]
	s_clause 0x1
	buffer_load_dword v85, off, s[0:3], 0 offset:128
	buffer_load_dword v86, off, s[0:3], 0 offset:132
	s_waitcnt vmcnt(28)
	v_fma_f64 v[75:76], v[93:94], v[77:78], v[75:76]
	s_waitcnt vmcnt(26) lgkmcnt(0)
	v_fma_f64 v[75:76], v[95:96], v[79:80], v[75:76]
	s_waitcnt vmcnt(21)
	v_fma_f64 v[87:88], v[97:98], v[81:82], v[75:76]
	ds_read2_b64 v[75:78], v74 offset0:61 offset1:62
	ds_read2_b64 v[79:82], v74 offset0:63 offset1:64
	s_waitcnt vmcnt(20) lgkmcnt(1)
	v_fma_f64 v[75:76], v[103:104], v[75:76], v[87:88]
	s_waitcnt vmcnt(19)
	v_fma_f64 v[75:76], v[101:102], v[77:78], v[75:76]
	s_waitcnt vmcnt(18) lgkmcnt(0)
	v_fma_f64 v[75:76], v[99:100], v[79:80], v[75:76]
	s_waitcnt vmcnt(13)
	v_fma_f64 v[87:88], v[105:106], v[81:82], v[75:76]
	ds_read2_b64 v[75:78], v74 offset0:65 offset1:66
	ds_read2_b64 v[79:82], v74 offset0:67 offset1:68
	s_waitcnt vmcnt(12) lgkmcnt(1)
	v_fma_f64 v[75:76], v[111:112], v[75:76], v[87:88]
	s_waitcnt vmcnt(11)
	v_fma_f64 v[75:76], v[109:110], v[77:78], v[75:76]
	s_waitcnt vmcnt(10) lgkmcnt(0)
	v_fma_f64 v[75:76], v[107:108], v[79:80], v[75:76]
	s_waitcnt vmcnt(5)
	v_fma_f64 v[79:80], v[83:84], v[81:82], v[75:76]
	ds_read2_b64 v[75:78], v74 offset0:69 offset1:70
	ds_read_b64 v[81:82], v74 offset:568
	s_waitcnt vmcnt(4) lgkmcnt(1)
	v_fma_f64 v[75:76], v[117:118], v[75:76], v[79:80]
	s_waitcnt vmcnt(3)
	v_fma_f64 v[75:76], v[115:116], v[77:78], v[75:76]
	s_waitcnt vmcnt(2) lgkmcnt(0)
	v_fma_f64 v[75:76], v[113:114], v[81:82], v[75:76]
	s_waitcnt vmcnt(0)
	v_add_f64 v[75:76], v[85:86], -v[75:76]
	buffer_store_dword v76, off, s[0:3], 0 offset:132
	buffer_store_dword v75, off, s[0:3], 0 offset:128
	v_cmpx_lt_u32_e32 15, v0
	s_cbranch_execz .LBB99_195
; %bb.194:
	s_clause 0x1
	buffer_load_dword v75, off, s[0:3], 0 offset:120
	buffer_load_dword v76, off, s[0:3], 0 offset:124
	buffer_store_dword v74, off, s[0:3], 0 offset:120
	buffer_store_dword v74, off, s[0:3], 0 offset:124
	s_waitcnt vmcnt(0)
	ds_write_b64 v73, v[75:76]
.LBB99_195:
	s_or_b32 exec_lo, exec_lo, s4
	s_waitcnt lgkmcnt(0)
	s_waitcnt_vscnt null, 0x0
	s_barrier
	buffer_gl0_inv
	s_clause 0x1c
	buffer_load_dword v83, off, s[0:3], 0 offset:128
	buffer_load_dword v84, off, s[0:3], 0 offset:132
	;; [unrolled: 1-line block ×29, first 2 shown]
	ds_read_b128 v[75:78], v74 offset:416
	ds_read_b128 v[79:82], v74 offset:432
	buffer_load_dword v108, off, s[0:3], 0 offset:244
	s_mov_b32 s4, exec_lo
	s_waitcnt vmcnt(28) lgkmcnt(1)
	v_fma_f64 v[75:76], v[83:84], v[75:76], 0
	s_clause 0x7
	buffer_load_dword v84, off, s[0:3], 0 offset:252
	buffer_load_dword v113, off, s[0:3], 0 offset:272
	;; [unrolled: 1-line block ×8, first 2 shown]
	s_waitcnt vmcnt(34)
	v_fma_f64 v[75:76], v[85:86], v[77:78], v[75:76]
	s_waitcnt vmcnt(32) lgkmcnt(0)
	v_fma_f64 v[75:76], v[87:88], v[79:80], v[75:76]
	s_waitcnt vmcnt(30)
	v_fma_f64 v[85:86], v[89:90], v[81:82], v[75:76]
	ds_read_b128 v[75:78], v74 offset:448
	ds_read_b128 v[79:82], v74 offset:464
	s_waitcnt vmcnt(28) lgkmcnt(1)
	v_fma_f64 v[75:76], v[91:92], v[75:76], v[85:86]
	s_clause 0x3
	buffer_load_dword v86, off, s[0:3], 0 offset:284
	buffer_load_dword v85, off, s[0:3], 0 offset:280
	;; [unrolled: 1-line block ×4, first 2 shown]
	s_waitcnt vmcnt(30)
	v_fma_f64 v[75:76], v[93:94], v[77:78], v[75:76]
	s_waitcnt vmcnt(28) lgkmcnt(0)
	v_fma_f64 v[75:76], v[95:96], v[79:80], v[75:76]
	s_waitcnt vmcnt(23)
	v_fma_f64 v[89:90], v[97:98], v[81:82], v[75:76]
	ds_read_b128 v[75:78], v74 offset:480
	ds_read_b128 v[79:82], v74 offset:496
	s_waitcnt vmcnt(22) lgkmcnt(1)
	v_fma_f64 v[75:76], v[103:104], v[75:76], v[89:90]
	s_waitcnt vmcnt(21)
	v_fma_f64 v[75:76], v[101:102], v[77:78], v[75:76]
	s_waitcnt vmcnt(20) lgkmcnt(0)
	v_fma_f64 v[75:76], v[99:100], v[79:80], v[75:76]
	s_waitcnt vmcnt(15)
	v_fma_f64 v[89:90], v[105:106], v[81:82], v[75:76]
	ds_read_b128 v[75:78], v74 offset:512
	ds_read_b128 v[79:82], v74 offset:528
	s_waitcnt vmcnt(14) lgkmcnt(1)
	v_fma_f64 v[75:76], v[111:112], v[75:76], v[89:90]
	;; [unrolled: 10-line block ×3, first 2 shown]
	s_waitcnt vmcnt(5)
	v_fma_f64 v[74:75], v[115:116], v[77:78], v[74:75]
	s_waitcnt vmcnt(4) lgkmcnt(0)
	v_fma_f64 v[74:75], v[113:114], v[79:80], v[74:75]
	s_waitcnt vmcnt(2)
	v_fma_f64 v[74:75], v[85:86], v[81:82], v[74:75]
	s_waitcnt vmcnt(0)
	v_add_f64 v[74:75], v[87:88], -v[74:75]
	buffer_store_dword v75, off, s[0:3], 0 offset:124
	buffer_store_dword v74, off, s[0:3], 0 offset:120
	v_cmpx_lt_u32_e32 14, v0
	s_cbranch_execz .LBB99_197
; %bb.196:
	s_clause 0x1
	buffer_load_dword v74, off, s[0:3], 0 offset:112
	buffer_load_dword v75, off, s[0:3], 0 offset:116
	v_mov_b32_e32 v76, 0
	buffer_store_dword v76, off, s[0:3], 0 offset:112
	buffer_store_dword v76, off, s[0:3], 0 offset:116
	s_waitcnt vmcnt(0)
	ds_write_b64 v73, v[74:75]
.LBB99_197:
	s_or_b32 exec_lo, exec_lo, s4
	s_waitcnt lgkmcnt(0)
	s_waitcnt_vscnt null, 0x0
	s_barrier
	buffer_gl0_inv
	s_clause 0x1c
	buffer_load_dword v83, off, s[0:3], 0 offset:120
	buffer_load_dword v84, off, s[0:3], 0 offset:124
	;; [unrolled: 1-line block ×29, first 2 shown]
	v_mov_b32_e32 v74, 0
	buffer_load_dword v108, off, s[0:3], 0 offset:236
	s_mov_b32 s4, exec_lo
	ds_read2_b64 v[75:78], v74 offset0:51 offset1:52
	ds_read2_b64 v[79:82], v74 offset0:53 offset1:54
	s_waitcnt vmcnt(28) lgkmcnt(1)
	v_fma_f64 v[75:76], v[83:84], v[75:76], 0
	s_clause 0x7
	buffer_load_dword v84, off, s[0:3], 0 offset:244
	buffer_load_dword v113, off, s[0:3], 0 offset:264
	;; [unrolled: 1-line block ×8, first 2 shown]
	s_waitcnt vmcnt(34)
	v_fma_f64 v[75:76], v[85:86], v[77:78], v[75:76]
	s_waitcnt vmcnt(32) lgkmcnt(0)
	v_fma_f64 v[75:76], v[87:88], v[79:80], v[75:76]
	s_waitcnt vmcnt(30)
	v_fma_f64 v[85:86], v[89:90], v[81:82], v[75:76]
	ds_read2_b64 v[75:78], v74 offset0:55 offset1:56
	ds_read2_b64 v[79:82], v74 offset0:57 offset1:58
	s_waitcnt vmcnt(28) lgkmcnt(1)
	v_fma_f64 v[75:76], v[91:92], v[75:76], v[85:86]
	s_clause 0x5
	buffer_load_dword v86, off, s[0:3], 0 offset:276
	buffer_load_dword v87, off, s[0:3], 0 offset:280
	;; [unrolled: 1-line block ×6, first 2 shown]
	s_waitcnt vmcnt(32)
	v_fma_f64 v[75:76], v[93:94], v[77:78], v[75:76]
	s_waitcnt vmcnt(30) lgkmcnt(0)
	v_fma_f64 v[75:76], v[95:96], v[79:80], v[75:76]
	s_waitcnt vmcnt(25)
	v_fma_f64 v[91:92], v[97:98], v[81:82], v[75:76]
	ds_read2_b64 v[75:78], v74 offset0:59 offset1:60
	ds_read2_b64 v[79:82], v74 offset0:61 offset1:62
	s_waitcnt vmcnt(24) lgkmcnt(1)
	v_fma_f64 v[75:76], v[103:104], v[75:76], v[91:92]
	s_waitcnt vmcnt(23)
	v_fma_f64 v[75:76], v[101:102], v[77:78], v[75:76]
	s_waitcnt vmcnt(22) lgkmcnt(0)
	v_fma_f64 v[75:76], v[99:100], v[79:80], v[75:76]
	s_waitcnt vmcnt(17)
	v_fma_f64 v[91:92], v[105:106], v[81:82], v[75:76]
	ds_read2_b64 v[75:78], v74 offset0:63 offset1:64
	ds_read2_b64 v[79:82], v74 offset0:65 offset1:66
	s_waitcnt vmcnt(16) lgkmcnt(1)
	v_fma_f64 v[75:76], v[111:112], v[75:76], v[91:92]
	;; [unrolled: 10-line block ×3, first 2 shown]
	s_waitcnt vmcnt(7)
	v_fma_f64 v[75:76], v[115:116], v[77:78], v[75:76]
	ds_read_b64 v[77:78], v74 offset:568
	s_waitcnt vmcnt(6) lgkmcnt(1)
	v_fma_f64 v[75:76], v[113:114], v[79:80], v[75:76]
	s_waitcnt vmcnt(3)
	v_fma_f64 v[75:76], v[85:86], v[81:82], v[75:76]
	s_waitcnt vmcnt(2) lgkmcnt(0)
	v_fma_f64 v[75:76], v[87:88], v[77:78], v[75:76]
	s_waitcnt vmcnt(0)
	v_add_f64 v[75:76], v[89:90], -v[75:76]
	buffer_store_dword v76, off, s[0:3], 0 offset:116
	buffer_store_dword v75, off, s[0:3], 0 offset:112
	v_cmpx_lt_u32_e32 13, v0
	s_cbranch_execz .LBB99_199
; %bb.198:
	s_clause 0x1
	buffer_load_dword v75, off, s[0:3], 0 offset:104
	buffer_load_dword v76, off, s[0:3], 0 offset:108
	buffer_store_dword v74, off, s[0:3], 0 offset:104
	buffer_store_dword v74, off, s[0:3], 0 offset:108
	s_waitcnt vmcnt(0)
	ds_write_b64 v73, v[75:76]
.LBB99_199:
	s_or_b32 exec_lo, exec_lo, s4
	s_waitcnt lgkmcnt(0)
	s_waitcnt_vscnt null, 0x0
	s_barrier
	buffer_gl0_inv
	s_clause 0x1c
	buffer_load_dword v83, off, s[0:3], 0 offset:112
	buffer_load_dword v84, off, s[0:3], 0 offset:116
	;; [unrolled: 1-line block ×29, first 2 shown]
	ds_read_b128 v[75:78], v74 offset:400
	ds_read_b128 v[79:82], v74 offset:416
	buffer_load_dword v108, off, s[0:3], 0 offset:228
	s_mov_b32 s4, exec_lo
	s_waitcnt vmcnt(28) lgkmcnt(1)
	v_fma_f64 v[75:76], v[83:84], v[75:76], 0
	s_clause 0x7
	buffer_load_dword v84, off, s[0:3], 0 offset:236
	buffer_load_dword v113, off, s[0:3], 0 offset:256
	;; [unrolled: 1-line block ×8, first 2 shown]
	s_waitcnt vmcnt(34)
	v_fma_f64 v[75:76], v[85:86], v[77:78], v[75:76]
	s_waitcnt vmcnt(32) lgkmcnt(0)
	v_fma_f64 v[75:76], v[87:88], v[79:80], v[75:76]
	s_waitcnt vmcnt(30)
	v_fma_f64 v[85:86], v[89:90], v[81:82], v[75:76]
	ds_read_b128 v[75:78], v74 offset:432
	ds_read_b128 v[79:82], v74 offset:448
	s_waitcnt vmcnt(28) lgkmcnt(1)
	v_fma_f64 v[75:76], v[91:92], v[75:76], v[85:86]
	s_clause 0x5
	buffer_load_dword v86, off, s[0:3], 0 offset:268
	buffer_load_dword v87, off, s[0:3], 0 offset:280
	;; [unrolled: 1-line block ×6, first 2 shown]
	s_waitcnt vmcnt(32)
	v_fma_f64 v[75:76], v[93:94], v[77:78], v[75:76]
	s_waitcnt vmcnt(30) lgkmcnt(0)
	v_fma_f64 v[75:76], v[95:96], v[79:80], v[75:76]
	s_waitcnt vmcnt(25)
	v_fma_f64 v[91:92], v[97:98], v[81:82], v[75:76]
	ds_read_b128 v[75:78], v74 offset:464
	s_clause 0x1
	buffer_load_dword v93, off, s[0:3], 0 offset:104
	buffer_load_dword v94, off, s[0:3], 0 offset:108
	ds_read_b128 v[79:82], v74 offset:480
	s_waitcnt vmcnt(26) lgkmcnt(1)
	v_fma_f64 v[75:76], v[103:104], v[75:76], v[91:92]
	s_waitcnt vmcnt(25)
	v_fma_f64 v[75:76], v[101:102], v[77:78], v[75:76]
	s_waitcnt vmcnt(24) lgkmcnt(0)
	v_fma_f64 v[75:76], v[99:100], v[79:80], v[75:76]
	s_waitcnt vmcnt(19)
	v_fma_f64 v[91:92], v[105:106], v[81:82], v[75:76]
	ds_read_b128 v[75:78], v74 offset:496
	ds_read_b128 v[79:82], v74 offset:512
	s_waitcnt vmcnt(18) lgkmcnt(1)
	v_fma_f64 v[75:76], v[111:112], v[75:76], v[91:92]
	s_waitcnt vmcnt(17)
	v_fma_f64 v[75:76], v[109:110], v[77:78], v[75:76]
	s_waitcnt vmcnt(16) lgkmcnt(0)
	v_fma_f64 v[75:76], v[107:108], v[79:80], v[75:76]
	s_waitcnt vmcnt(11)
	v_fma_f64 v[83:84], v[83:84], v[81:82], v[75:76]
	ds_read_b128 v[75:78], v74 offset:528
	ds_read_b128 v[79:82], v74 offset:544
	s_waitcnt vmcnt(10) lgkmcnt(1)
	v_fma_f64 v[75:76], v[117:118], v[75:76], v[83:84]
	s_waitcnt vmcnt(9)
	v_fma_f64 v[75:76], v[115:116], v[77:78], v[75:76]
	s_waitcnt vmcnt(8) lgkmcnt(0)
	v_fma_f64 v[75:76], v[113:114], v[79:80], v[75:76]
	s_waitcnt vmcnt(4)
	v_fma_f64 v[78:79], v[85:86], v[81:82], v[75:76]
	ds_read_b128 v[74:77], v74 offset:560
	s_waitcnt vmcnt(3) lgkmcnt(0)
	v_fma_f64 v[74:75], v[89:90], v[74:75], v[78:79]
	s_waitcnt vmcnt(2)
	v_fma_f64 v[74:75], v[87:88], v[76:77], v[74:75]
	s_waitcnt vmcnt(0)
	v_add_f64 v[74:75], v[93:94], -v[74:75]
	buffer_store_dword v75, off, s[0:3], 0 offset:108
	buffer_store_dword v74, off, s[0:3], 0 offset:104
	v_cmpx_lt_u32_e32 12, v0
	s_cbranch_execz .LBB99_201
; %bb.200:
	s_clause 0x1
	buffer_load_dword v74, off, s[0:3], 0 offset:96
	buffer_load_dword v75, off, s[0:3], 0 offset:100
	v_mov_b32_e32 v76, 0
	buffer_store_dword v76, off, s[0:3], 0 offset:96
	buffer_store_dword v76, off, s[0:3], 0 offset:100
	s_waitcnt vmcnt(0)
	ds_write_b64 v73, v[74:75]
.LBB99_201:
	s_or_b32 exec_lo, exec_lo, s4
	s_waitcnt lgkmcnt(0)
	s_waitcnt_vscnt null, 0x0
	s_barrier
	buffer_gl0_inv
	s_clause 0x1c
	buffer_load_dword v83, off, s[0:3], 0 offset:104
	buffer_load_dword v84, off, s[0:3], 0 offset:108
	;; [unrolled: 1-line block ×29, first 2 shown]
	v_mov_b32_e32 v74, 0
	buffer_load_dword v108, off, s[0:3], 0 offset:220
	s_mov_b32 s4, exec_lo
	ds_read2_b64 v[75:78], v74 offset0:49 offset1:50
	ds_read2_b64 v[79:82], v74 offset0:51 offset1:52
	s_waitcnt vmcnt(28) lgkmcnt(1)
	v_fma_f64 v[75:76], v[83:84], v[75:76], 0
	s_clause 0x7
	buffer_load_dword v84, off, s[0:3], 0 offset:228
	buffer_load_dword v113, off, s[0:3], 0 offset:248
	buffer_load_dword v115, off, s[0:3], 0 offset:240
	buffer_load_dword v117, off, s[0:3], 0 offset:232
	buffer_load_dword v83, off, s[0:3], 0 offset:224
	buffer_load_dword v118, off, s[0:3], 0 offset:236
	buffer_load_dword v116, off, s[0:3], 0 offset:244
	buffer_load_dword v114, off, s[0:3], 0 offset:252
	s_waitcnt vmcnt(34)
	v_fma_f64 v[75:76], v[85:86], v[77:78], v[75:76]
	s_waitcnt vmcnt(32) lgkmcnt(0)
	v_fma_f64 v[75:76], v[87:88], v[79:80], v[75:76]
	s_waitcnt vmcnt(30)
	v_fma_f64 v[85:86], v[89:90], v[81:82], v[75:76]
	ds_read2_b64 v[75:78], v74 offset0:53 offset1:54
	ds_read2_b64 v[79:82], v74 offset0:55 offset1:56
	s_waitcnt vmcnt(28) lgkmcnt(1)
	v_fma_f64 v[75:76], v[91:92], v[75:76], v[85:86]
	s_clause 0x7
	buffer_load_dword v86, off, s[0:3], 0 offset:260
	buffer_load_dword v87, off, s[0:3], 0 offset:280
	;; [unrolled: 1-line block ×8, first 2 shown]
	s_waitcnt vmcnt(34)
	v_fma_f64 v[75:76], v[93:94], v[77:78], v[75:76]
	s_waitcnt vmcnt(32) lgkmcnt(0)
	v_fma_f64 v[75:76], v[95:96], v[79:80], v[75:76]
	s_waitcnt vmcnt(27)
	v_fma_f64 v[93:94], v[97:98], v[81:82], v[75:76]
	ds_read2_b64 v[75:78], v74 offset0:57 offset1:58
	ds_read2_b64 v[79:82], v74 offset0:59 offset1:60
	s_waitcnt vmcnt(26) lgkmcnt(1)
	v_fma_f64 v[75:76], v[103:104], v[75:76], v[93:94]
	s_clause 0x1
	buffer_load_dword v93, off, s[0:3], 0 offset:96
	buffer_load_dword v94, off, s[0:3], 0 offset:100
	s_waitcnt vmcnt(27)
	v_fma_f64 v[75:76], v[101:102], v[77:78], v[75:76]
	s_waitcnt vmcnt(26) lgkmcnt(0)
	v_fma_f64 v[75:76], v[99:100], v[79:80], v[75:76]
	s_waitcnt vmcnt(21)
	v_fma_f64 v[95:96], v[105:106], v[81:82], v[75:76]
	ds_read2_b64 v[75:78], v74 offset0:61 offset1:62
	ds_read2_b64 v[79:82], v74 offset0:63 offset1:64
	s_waitcnt vmcnt(20) lgkmcnt(1)
	v_fma_f64 v[75:76], v[111:112], v[75:76], v[95:96]
	s_waitcnt vmcnt(19)
	v_fma_f64 v[75:76], v[109:110], v[77:78], v[75:76]
	s_waitcnt vmcnt(18) lgkmcnt(0)
	v_fma_f64 v[75:76], v[107:108], v[79:80], v[75:76]
	s_waitcnt vmcnt(13)
	v_fma_f64 v[83:84], v[83:84], v[81:82], v[75:76]
	ds_read2_b64 v[75:78], v74 offset0:65 offset1:66
	ds_read2_b64 v[79:82], v74 offset0:67 offset1:68
	s_waitcnt vmcnt(12) lgkmcnt(1)
	v_fma_f64 v[75:76], v[117:118], v[75:76], v[83:84]
	s_waitcnt vmcnt(11)
	v_fma_f64 v[75:76], v[115:116], v[77:78], v[75:76]
	s_waitcnt vmcnt(10) lgkmcnt(0)
	v_fma_f64 v[75:76], v[113:114], v[79:80], v[75:76]
	s_waitcnt vmcnt(5)
	v_fma_f64 v[79:80], v[85:86], v[81:82], v[75:76]
	ds_read2_b64 v[75:78], v74 offset0:69 offset1:70
	ds_read_b64 v[81:82], v74 offset:568
	s_waitcnt vmcnt(4) lgkmcnt(1)
	v_fma_f64 v[75:76], v[91:92], v[75:76], v[79:80]
	s_waitcnt vmcnt(3)
	v_fma_f64 v[75:76], v[89:90], v[77:78], v[75:76]
	s_waitcnt vmcnt(2) lgkmcnt(0)
	v_fma_f64 v[75:76], v[87:88], v[81:82], v[75:76]
	s_waitcnt vmcnt(0)
	v_add_f64 v[75:76], v[93:94], -v[75:76]
	buffer_store_dword v76, off, s[0:3], 0 offset:100
	buffer_store_dword v75, off, s[0:3], 0 offset:96
	v_cmpx_lt_u32_e32 11, v0
	s_cbranch_execz .LBB99_203
; %bb.202:
	s_clause 0x1
	buffer_load_dword v75, off, s[0:3], 0 offset:88
	buffer_load_dword v76, off, s[0:3], 0 offset:92
	buffer_store_dword v74, off, s[0:3], 0 offset:88
	buffer_store_dword v74, off, s[0:3], 0 offset:92
	s_waitcnt vmcnt(0)
	ds_write_b64 v73, v[75:76]
.LBB99_203:
	s_or_b32 exec_lo, exec_lo, s4
	s_waitcnt lgkmcnt(0)
	s_waitcnt_vscnt null, 0x0
	s_barrier
	buffer_gl0_inv
	s_clause 0x1c
	buffer_load_dword v83, off, s[0:3], 0 offset:96
	buffer_load_dword v84, off, s[0:3], 0 offset:100
	;; [unrolled: 1-line block ×29, first 2 shown]
	ds_read_b128 v[75:78], v74 offset:384
	ds_read_b128 v[79:82], v74 offset:400
	buffer_load_dword v108, off, s[0:3], 0 offset:212
	s_mov_b32 s4, exec_lo
	s_waitcnt vmcnt(28) lgkmcnt(1)
	v_fma_f64 v[75:76], v[83:84], v[75:76], 0
	s_clause 0x7
	buffer_load_dword v84, off, s[0:3], 0 offset:220
	buffer_load_dword v113, off, s[0:3], 0 offset:240
	;; [unrolled: 1-line block ×8, first 2 shown]
	s_waitcnt vmcnt(34)
	v_fma_f64 v[75:76], v[85:86], v[77:78], v[75:76]
	s_waitcnt vmcnt(32) lgkmcnt(0)
	v_fma_f64 v[75:76], v[87:88], v[79:80], v[75:76]
	s_waitcnt vmcnt(30)
	v_fma_f64 v[85:86], v[89:90], v[81:82], v[75:76]
	ds_read_b128 v[75:78], v74 offset:416
	ds_read_b128 v[79:82], v74 offset:432
	s_waitcnt vmcnt(28) lgkmcnt(1)
	v_fma_f64 v[75:76], v[91:92], v[75:76], v[85:86]
	s_clause 0x7
	buffer_load_dword v86, off, s[0:3], 0 offset:252
	buffer_load_dword v87, off, s[0:3], 0 offset:272
	;; [unrolled: 1-line block ×8, first 2 shown]
	s_waitcnt vmcnt(34)
	v_fma_f64 v[75:76], v[93:94], v[77:78], v[75:76]
	s_waitcnt vmcnt(32) lgkmcnt(0)
	v_fma_f64 v[75:76], v[95:96], v[79:80], v[75:76]
	s_waitcnt vmcnt(27)
	v_fma_f64 v[93:94], v[97:98], v[81:82], v[75:76]
	ds_read_b128 v[75:78], v74 offset:448
	ds_read_b128 v[79:82], v74 offset:464
	s_waitcnt vmcnt(26) lgkmcnt(1)
	v_fma_f64 v[75:76], v[103:104], v[75:76], v[93:94]
	s_clause 0x3
	buffer_load_dword v94, off, s[0:3], 0 offset:284
	buffer_load_dword v93, off, s[0:3], 0 offset:280
	buffer_load_dword v95, off, s[0:3], 0 offset:88
	buffer_load_dword v96, off, s[0:3], 0 offset:92
	s_waitcnt vmcnt(29)
	v_fma_f64 v[75:76], v[101:102], v[77:78], v[75:76]
	s_waitcnt vmcnt(28) lgkmcnt(0)
	v_fma_f64 v[75:76], v[99:100], v[79:80], v[75:76]
	s_waitcnt vmcnt(23)
	v_fma_f64 v[97:98], v[105:106], v[81:82], v[75:76]
	ds_read_b128 v[75:78], v74 offset:480
	ds_read_b128 v[79:82], v74 offset:496
	s_waitcnt vmcnt(22) lgkmcnt(1)
	v_fma_f64 v[75:76], v[111:112], v[75:76], v[97:98]
	s_waitcnt vmcnt(21)
	v_fma_f64 v[75:76], v[109:110], v[77:78], v[75:76]
	s_waitcnt vmcnt(20) lgkmcnt(0)
	v_fma_f64 v[75:76], v[107:108], v[79:80], v[75:76]
	s_waitcnt vmcnt(15)
	v_fma_f64 v[83:84], v[83:84], v[81:82], v[75:76]
	ds_read_b128 v[75:78], v74 offset:512
	ds_read_b128 v[79:82], v74 offset:528
	s_waitcnt vmcnt(14) lgkmcnt(1)
	v_fma_f64 v[75:76], v[117:118], v[75:76], v[83:84]
	;; [unrolled: 10-line block ×3, first 2 shown]
	s_waitcnt vmcnt(5)
	v_fma_f64 v[74:75], v[89:90], v[77:78], v[74:75]
	s_waitcnt vmcnt(4) lgkmcnt(0)
	v_fma_f64 v[74:75], v[87:88], v[79:80], v[74:75]
	s_waitcnt vmcnt(2)
	v_fma_f64 v[74:75], v[93:94], v[81:82], v[74:75]
	s_waitcnt vmcnt(0)
	v_add_f64 v[74:75], v[95:96], -v[74:75]
	buffer_store_dword v75, off, s[0:3], 0 offset:92
	buffer_store_dword v74, off, s[0:3], 0 offset:88
	v_cmpx_lt_u32_e32 10, v0
	s_cbranch_execz .LBB99_205
; %bb.204:
	s_clause 0x1
	buffer_load_dword v74, off, s[0:3], 0 offset:80
	buffer_load_dword v75, off, s[0:3], 0 offset:84
	v_mov_b32_e32 v76, 0
	buffer_store_dword v76, off, s[0:3], 0 offset:80
	buffer_store_dword v76, off, s[0:3], 0 offset:84
	s_waitcnt vmcnt(0)
	ds_write_b64 v73, v[74:75]
.LBB99_205:
	s_or_b32 exec_lo, exec_lo, s4
	s_waitcnt lgkmcnt(0)
	s_waitcnt_vscnt null, 0x0
	s_barrier
	buffer_gl0_inv
	s_clause 0x1c
	buffer_load_dword v83, off, s[0:3], 0 offset:88
	buffer_load_dword v84, off, s[0:3], 0 offset:92
	;; [unrolled: 1-line block ×29, first 2 shown]
	v_mov_b32_e32 v74, 0
	buffer_load_dword v108, off, s[0:3], 0 offset:204
	s_mov_b32 s4, exec_lo
	ds_read2_b64 v[75:78], v74 offset0:47 offset1:48
	ds_read2_b64 v[79:82], v74 offset0:49 offset1:50
	s_waitcnt vmcnt(28) lgkmcnt(1)
	v_fma_f64 v[75:76], v[83:84], v[75:76], 0
	s_clause 0x7
	buffer_load_dword v84, off, s[0:3], 0 offset:212
	buffer_load_dword v113, off, s[0:3], 0 offset:232
	;; [unrolled: 1-line block ×8, first 2 shown]
	s_waitcnt vmcnt(34)
	v_fma_f64 v[75:76], v[85:86], v[77:78], v[75:76]
	s_waitcnt vmcnt(32) lgkmcnt(0)
	v_fma_f64 v[75:76], v[87:88], v[79:80], v[75:76]
	s_waitcnt vmcnt(30)
	v_fma_f64 v[85:86], v[89:90], v[81:82], v[75:76]
	ds_read2_b64 v[75:78], v74 offset0:51 offset1:52
	ds_read2_b64 v[79:82], v74 offset0:53 offset1:54
	s_waitcnt vmcnt(28) lgkmcnt(1)
	v_fma_f64 v[75:76], v[91:92], v[75:76], v[85:86]
	s_clause 0x7
	buffer_load_dword v86, off, s[0:3], 0 offset:244
	buffer_load_dword v87, off, s[0:3], 0 offset:264
	;; [unrolled: 1-line block ×8, first 2 shown]
	s_waitcnt vmcnt(34)
	v_fma_f64 v[75:76], v[93:94], v[77:78], v[75:76]
	s_waitcnt vmcnt(32) lgkmcnt(0)
	v_fma_f64 v[75:76], v[95:96], v[79:80], v[75:76]
	s_waitcnt vmcnt(27)
	v_fma_f64 v[93:94], v[97:98], v[81:82], v[75:76]
	ds_read2_b64 v[75:78], v74 offset0:55 offset1:56
	ds_read2_b64 v[79:82], v74 offset0:57 offset1:58
	s_waitcnt vmcnt(26) lgkmcnt(1)
	v_fma_f64 v[75:76], v[103:104], v[75:76], v[93:94]
	s_clause 0x5
	buffer_load_dword v94, off, s[0:3], 0 offset:276
	buffer_load_dword v95, off, s[0:3], 0 offset:280
	;; [unrolled: 1-line block ×6, first 2 shown]
	s_waitcnt vmcnt(31)
	v_fma_f64 v[75:76], v[101:102], v[77:78], v[75:76]
	s_waitcnt vmcnt(30) lgkmcnt(0)
	v_fma_f64 v[75:76], v[99:100], v[79:80], v[75:76]
	s_waitcnt vmcnt(25)
	v_fma_f64 v[99:100], v[105:106], v[81:82], v[75:76]
	ds_read2_b64 v[75:78], v74 offset0:59 offset1:60
	ds_read2_b64 v[79:82], v74 offset0:61 offset1:62
	s_waitcnt vmcnt(24) lgkmcnt(1)
	v_fma_f64 v[75:76], v[111:112], v[75:76], v[99:100]
	s_waitcnt vmcnt(23)
	v_fma_f64 v[75:76], v[109:110], v[77:78], v[75:76]
	s_waitcnt vmcnt(22) lgkmcnt(0)
	v_fma_f64 v[75:76], v[107:108], v[79:80], v[75:76]
	s_waitcnt vmcnt(17)
	v_fma_f64 v[83:84], v[83:84], v[81:82], v[75:76]
	ds_read2_b64 v[75:78], v74 offset0:63 offset1:64
	ds_read2_b64 v[79:82], v74 offset0:65 offset1:66
	s_waitcnt vmcnt(16) lgkmcnt(1)
	v_fma_f64 v[75:76], v[117:118], v[75:76], v[83:84]
	;; [unrolled: 10-line block ×3, first 2 shown]
	s_waitcnt vmcnt(7)
	v_fma_f64 v[75:76], v[89:90], v[77:78], v[75:76]
	ds_read_b64 v[77:78], v74 offset:568
	s_waitcnt vmcnt(6) lgkmcnt(1)
	v_fma_f64 v[75:76], v[87:88], v[79:80], v[75:76]
	s_waitcnt vmcnt(3)
	v_fma_f64 v[75:76], v[93:94], v[81:82], v[75:76]
	s_waitcnt vmcnt(2) lgkmcnt(0)
	v_fma_f64 v[75:76], v[95:96], v[77:78], v[75:76]
	s_waitcnt vmcnt(0)
	v_add_f64 v[75:76], v[97:98], -v[75:76]
	buffer_store_dword v76, off, s[0:3], 0 offset:84
	buffer_store_dword v75, off, s[0:3], 0 offset:80
	v_cmpx_lt_u32_e32 9, v0
	s_cbranch_execz .LBB99_207
; %bb.206:
	s_clause 0x1
	buffer_load_dword v75, off, s[0:3], 0 offset:72
	buffer_load_dword v76, off, s[0:3], 0 offset:76
	buffer_store_dword v74, off, s[0:3], 0 offset:72
	buffer_store_dword v74, off, s[0:3], 0 offset:76
	s_waitcnt vmcnt(0)
	ds_write_b64 v73, v[75:76]
.LBB99_207:
	s_or_b32 exec_lo, exec_lo, s4
	s_waitcnt lgkmcnt(0)
	s_waitcnt_vscnt null, 0x0
	s_barrier
	buffer_gl0_inv
	s_clause 0x1c
	buffer_load_dword v83, off, s[0:3], 0 offset:80
	buffer_load_dword v84, off, s[0:3], 0 offset:84
	;; [unrolled: 1-line block ×29, first 2 shown]
	ds_read_b128 v[75:78], v74 offset:368
	ds_read_b128 v[79:82], v74 offset:384
	buffer_load_dword v108, off, s[0:3], 0 offset:196
	s_mov_b32 s4, exec_lo
	s_waitcnt vmcnt(28) lgkmcnt(1)
	v_fma_f64 v[75:76], v[83:84], v[75:76], 0
	s_clause 0x7
	buffer_load_dword v84, off, s[0:3], 0 offset:204
	buffer_load_dword v113, off, s[0:3], 0 offset:224
	;; [unrolled: 1-line block ×8, first 2 shown]
	s_waitcnt vmcnt(34)
	v_fma_f64 v[75:76], v[85:86], v[77:78], v[75:76]
	s_waitcnt vmcnt(32) lgkmcnt(0)
	v_fma_f64 v[75:76], v[87:88], v[79:80], v[75:76]
	s_waitcnt vmcnt(30)
	v_fma_f64 v[85:86], v[89:90], v[81:82], v[75:76]
	ds_read_b128 v[75:78], v74 offset:400
	ds_read_b128 v[79:82], v74 offset:416
	s_waitcnt vmcnt(28) lgkmcnt(1)
	v_fma_f64 v[75:76], v[91:92], v[75:76], v[85:86]
	s_clause 0x7
	buffer_load_dword v86, off, s[0:3], 0 offset:236
	buffer_load_dword v87, off, s[0:3], 0 offset:256
	;; [unrolled: 1-line block ×8, first 2 shown]
	s_waitcnt vmcnt(34)
	v_fma_f64 v[75:76], v[93:94], v[77:78], v[75:76]
	s_waitcnt vmcnt(32) lgkmcnt(0)
	v_fma_f64 v[75:76], v[95:96], v[79:80], v[75:76]
	s_waitcnt vmcnt(27)
	v_fma_f64 v[93:94], v[97:98], v[81:82], v[75:76]
	ds_read_b128 v[75:78], v74 offset:432
	ds_read_b128 v[79:82], v74 offset:448
	s_waitcnt vmcnt(26) lgkmcnt(1)
	v_fma_f64 v[75:76], v[103:104], v[75:76], v[93:94]
	s_clause 0x5
	buffer_load_dword v94, off, s[0:3], 0 offset:268
	buffer_load_dword v95, off, s[0:3], 0 offset:280
	;; [unrolled: 1-line block ×6, first 2 shown]
	s_waitcnt vmcnt(31)
	v_fma_f64 v[75:76], v[101:102], v[77:78], v[75:76]
	s_waitcnt vmcnt(30) lgkmcnt(0)
	v_fma_f64 v[75:76], v[99:100], v[79:80], v[75:76]
	s_waitcnt vmcnt(25)
	v_fma_f64 v[99:100], v[105:106], v[81:82], v[75:76]
	ds_read_b128 v[75:78], v74 offset:464
	s_clause 0x1
	buffer_load_dword v101, off, s[0:3], 0 offset:72
	buffer_load_dword v102, off, s[0:3], 0 offset:76
	ds_read_b128 v[79:82], v74 offset:480
	s_waitcnt vmcnt(26) lgkmcnt(1)
	v_fma_f64 v[75:76], v[111:112], v[75:76], v[99:100]
	s_waitcnt vmcnt(25)
	v_fma_f64 v[75:76], v[109:110], v[77:78], v[75:76]
	s_waitcnt vmcnt(24) lgkmcnt(0)
	v_fma_f64 v[75:76], v[107:108], v[79:80], v[75:76]
	s_waitcnt vmcnt(19)
	v_fma_f64 v[83:84], v[83:84], v[81:82], v[75:76]
	ds_read_b128 v[75:78], v74 offset:496
	ds_read_b128 v[79:82], v74 offset:512
	s_waitcnt vmcnt(18) lgkmcnt(1)
	v_fma_f64 v[75:76], v[117:118], v[75:76], v[83:84]
	s_waitcnt vmcnt(17)
	v_fma_f64 v[75:76], v[115:116], v[77:78], v[75:76]
	s_waitcnt vmcnt(16) lgkmcnt(0)
	v_fma_f64 v[75:76], v[113:114], v[79:80], v[75:76]
	s_waitcnt vmcnt(11)
	v_fma_f64 v[83:84], v[85:86], v[81:82], v[75:76]
	ds_read_b128 v[75:78], v74 offset:528
	;; [unrolled: 10-line block ×3, first 2 shown]
	s_waitcnt vmcnt(3) lgkmcnt(0)
	v_fma_f64 v[74:75], v[97:98], v[74:75], v[78:79]
	s_waitcnt vmcnt(2)
	v_fma_f64 v[74:75], v[95:96], v[76:77], v[74:75]
	s_waitcnt vmcnt(0)
	v_add_f64 v[74:75], v[101:102], -v[74:75]
	buffer_store_dword v75, off, s[0:3], 0 offset:76
	buffer_store_dword v74, off, s[0:3], 0 offset:72
	v_cmpx_lt_u32_e32 8, v0
	s_cbranch_execz .LBB99_209
; %bb.208:
	s_clause 0x1
	buffer_load_dword v74, off, s[0:3], 0 offset:64
	buffer_load_dword v75, off, s[0:3], 0 offset:68
	v_mov_b32_e32 v76, 0
	buffer_store_dword v76, off, s[0:3], 0 offset:64
	buffer_store_dword v76, off, s[0:3], 0 offset:68
	s_waitcnt vmcnt(0)
	ds_write_b64 v73, v[74:75]
.LBB99_209:
	s_or_b32 exec_lo, exec_lo, s4
	s_waitcnt lgkmcnt(0)
	s_waitcnt_vscnt null, 0x0
	s_barrier
	buffer_gl0_inv
	s_clause 0x1c
	buffer_load_dword v83, off, s[0:3], 0 offset:72
	buffer_load_dword v84, off, s[0:3], 0 offset:76
	;; [unrolled: 1-line block ×29, first 2 shown]
	v_mov_b32_e32 v74, 0
	buffer_load_dword v108, off, s[0:3], 0 offset:188
	s_mov_b32 s4, exec_lo
	ds_read2_b64 v[75:78], v74 offset0:45 offset1:46
	ds_read2_b64 v[79:82], v74 offset0:47 offset1:48
	s_waitcnt vmcnt(28) lgkmcnt(1)
	v_fma_f64 v[75:76], v[83:84], v[75:76], 0
	s_clause 0x7
	buffer_load_dword v84, off, s[0:3], 0 offset:196
	buffer_load_dword v113, off, s[0:3], 0 offset:216
	buffer_load_dword v115, off, s[0:3], 0 offset:208
	buffer_load_dword v117, off, s[0:3], 0 offset:200
	buffer_load_dword v83, off, s[0:3], 0 offset:192
	buffer_load_dword v118, off, s[0:3], 0 offset:204
	buffer_load_dword v116, off, s[0:3], 0 offset:212
	buffer_load_dword v114, off, s[0:3], 0 offset:220
	s_waitcnt vmcnt(34)
	v_fma_f64 v[75:76], v[85:86], v[77:78], v[75:76]
	s_waitcnt vmcnt(32) lgkmcnt(0)
	v_fma_f64 v[75:76], v[87:88], v[79:80], v[75:76]
	s_waitcnt vmcnt(30)
	v_fma_f64 v[85:86], v[89:90], v[81:82], v[75:76]
	ds_read2_b64 v[75:78], v74 offset0:49 offset1:50
	ds_read2_b64 v[79:82], v74 offset0:51 offset1:52
	s_waitcnt vmcnt(28) lgkmcnt(1)
	v_fma_f64 v[75:76], v[91:92], v[75:76], v[85:86]
	s_clause 0x7
	buffer_load_dword v86, off, s[0:3], 0 offset:228
	buffer_load_dword v87, off, s[0:3], 0 offset:248
	buffer_load_dword v89, off, s[0:3], 0 offset:240
	buffer_load_dword v91, off, s[0:3], 0 offset:232
	buffer_load_dword v85, off, s[0:3], 0 offset:224
	buffer_load_dword v92, off, s[0:3], 0 offset:236
	buffer_load_dword v90, off, s[0:3], 0 offset:244
	buffer_load_dword v88, off, s[0:3], 0 offset:252
	s_waitcnt vmcnt(34)
	v_fma_f64 v[75:76], v[93:94], v[77:78], v[75:76]
	s_waitcnt vmcnt(32) lgkmcnt(0)
	v_fma_f64 v[75:76], v[95:96], v[79:80], v[75:76]
	s_waitcnt vmcnt(27)
	v_fma_f64 v[93:94], v[97:98], v[81:82], v[75:76]
	;; [unrolled: 19-line block ×3, first 2 shown]
	ds_read2_b64 v[75:78], v74 offset0:57 offset1:58
	ds_read2_b64 v[79:82], v74 offset0:59 offset1:60
	s_waitcnt vmcnt(26) lgkmcnt(1)
	v_fma_f64 v[75:76], v[111:112], v[75:76], v[99:100]
	s_clause 0x1
	buffer_load_dword v99, off, s[0:3], 0 offset:64
	buffer_load_dword v100, off, s[0:3], 0 offset:68
	s_waitcnt vmcnt(27)
	v_fma_f64 v[75:76], v[109:110], v[77:78], v[75:76]
	s_waitcnt vmcnt(26) lgkmcnt(0)
	v_fma_f64 v[75:76], v[107:108], v[79:80], v[75:76]
	s_waitcnt vmcnt(21)
	v_fma_f64 v[83:84], v[83:84], v[81:82], v[75:76]
	ds_read2_b64 v[75:78], v74 offset0:61 offset1:62
	ds_read2_b64 v[79:82], v74 offset0:63 offset1:64
	s_waitcnt vmcnt(20) lgkmcnt(1)
	v_fma_f64 v[75:76], v[117:118], v[75:76], v[83:84]
	s_waitcnt vmcnt(19)
	v_fma_f64 v[75:76], v[115:116], v[77:78], v[75:76]
	s_waitcnt vmcnt(18) lgkmcnt(0)
	v_fma_f64 v[75:76], v[113:114], v[79:80], v[75:76]
	s_waitcnt vmcnt(13)
	v_fma_f64 v[83:84], v[85:86], v[81:82], v[75:76]
	ds_read2_b64 v[75:78], v74 offset0:65 offset1:66
	ds_read2_b64 v[79:82], v74 offset0:67 offset1:68
	s_waitcnt vmcnt(12) lgkmcnt(1)
	v_fma_f64 v[75:76], v[91:92], v[75:76], v[83:84]
	s_waitcnt vmcnt(11)
	v_fma_f64 v[75:76], v[89:90], v[77:78], v[75:76]
	s_waitcnt vmcnt(10) lgkmcnt(0)
	v_fma_f64 v[75:76], v[87:88], v[79:80], v[75:76]
	s_waitcnt vmcnt(5)
	v_fma_f64 v[79:80], v[93:94], v[81:82], v[75:76]
	ds_read2_b64 v[75:78], v74 offset0:69 offset1:70
	ds_read_b64 v[81:82], v74 offset:568
	s_waitcnt vmcnt(4) lgkmcnt(1)
	v_fma_f64 v[75:76], v[103:104], v[75:76], v[79:80]
	s_waitcnt vmcnt(3)
	v_fma_f64 v[75:76], v[97:98], v[77:78], v[75:76]
	s_waitcnt vmcnt(2) lgkmcnt(0)
	v_fma_f64 v[75:76], v[95:96], v[81:82], v[75:76]
	s_waitcnt vmcnt(0)
	v_add_f64 v[75:76], v[99:100], -v[75:76]
	buffer_store_dword v76, off, s[0:3], 0 offset:68
	buffer_store_dword v75, off, s[0:3], 0 offset:64
	v_cmpx_lt_u32_e32 7, v0
	s_cbranch_execz .LBB99_211
; %bb.210:
	s_clause 0x1
	buffer_load_dword v75, off, s[0:3], 0 offset:56
	buffer_load_dword v76, off, s[0:3], 0 offset:60
	buffer_store_dword v74, off, s[0:3], 0 offset:56
	buffer_store_dword v74, off, s[0:3], 0 offset:60
	s_waitcnt vmcnt(0)
	ds_write_b64 v73, v[75:76]
.LBB99_211:
	s_or_b32 exec_lo, exec_lo, s4
	s_waitcnt lgkmcnt(0)
	s_waitcnt_vscnt null, 0x0
	s_barrier
	buffer_gl0_inv
	s_clause 0x1c
	buffer_load_dword v83, off, s[0:3], 0 offset:64
	buffer_load_dword v84, off, s[0:3], 0 offset:68
	;; [unrolled: 1-line block ×29, first 2 shown]
	ds_read_b128 v[75:78], v74 offset:352
	ds_read_b128 v[79:82], v74 offset:368
	buffer_load_dword v108, off, s[0:3], 0 offset:180
	s_mov_b32 s4, exec_lo
	s_waitcnt vmcnt(28) lgkmcnt(1)
	v_fma_f64 v[75:76], v[83:84], v[75:76], 0
	s_clause 0x7
	buffer_load_dword v84, off, s[0:3], 0 offset:188
	buffer_load_dword v113, off, s[0:3], 0 offset:208
	buffer_load_dword v115, off, s[0:3], 0 offset:200
	buffer_load_dword v117, off, s[0:3], 0 offset:192
	buffer_load_dword v83, off, s[0:3], 0 offset:184
	buffer_load_dword v118, off, s[0:3], 0 offset:196
	buffer_load_dword v116, off, s[0:3], 0 offset:204
	buffer_load_dword v114, off, s[0:3], 0 offset:212
	s_waitcnt vmcnt(34)
	v_fma_f64 v[75:76], v[85:86], v[77:78], v[75:76]
	s_waitcnt vmcnt(32) lgkmcnt(0)
	v_fma_f64 v[75:76], v[87:88], v[79:80], v[75:76]
	s_waitcnt vmcnt(30)
	v_fma_f64 v[85:86], v[89:90], v[81:82], v[75:76]
	ds_read_b128 v[75:78], v74 offset:384
	ds_read_b128 v[79:82], v74 offset:400
	s_waitcnt vmcnt(28) lgkmcnt(1)
	v_fma_f64 v[75:76], v[91:92], v[75:76], v[85:86]
	s_clause 0x7
	buffer_load_dword v86, off, s[0:3], 0 offset:220
	buffer_load_dword v87, off, s[0:3], 0 offset:240
	buffer_load_dword v89, off, s[0:3], 0 offset:232
	buffer_load_dword v91, off, s[0:3], 0 offset:224
	buffer_load_dword v85, off, s[0:3], 0 offset:216
	buffer_load_dword v92, off, s[0:3], 0 offset:228
	buffer_load_dword v90, off, s[0:3], 0 offset:236
	buffer_load_dword v88, off, s[0:3], 0 offset:244
	s_waitcnt vmcnt(34)
	v_fma_f64 v[75:76], v[93:94], v[77:78], v[75:76]
	s_waitcnt vmcnt(32) lgkmcnt(0)
	v_fma_f64 v[75:76], v[95:96], v[79:80], v[75:76]
	s_waitcnt vmcnt(27)
	v_fma_f64 v[93:94], v[97:98], v[81:82], v[75:76]
	ds_read_b128 v[75:78], v74 offset:416
	ds_read_b128 v[79:82], v74 offset:432
	;; [unrolled: 19-line block ×3, first 2 shown]
	s_waitcnt vmcnt(26) lgkmcnt(1)
	v_fma_f64 v[75:76], v[111:112], v[75:76], v[99:100]
	s_clause 0x3
	buffer_load_dword v100, off, s[0:3], 0 offset:284
	buffer_load_dword v99, off, s[0:3], 0 offset:280
	;; [unrolled: 1-line block ×4, first 2 shown]
	s_waitcnt vmcnt(29)
	v_fma_f64 v[75:76], v[109:110], v[77:78], v[75:76]
	s_waitcnt vmcnt(28) lgkmcnt(0)
	v_fma_f64 v[75:76], v[107:108], v[79:80], v[75:76]
	s_waitcnt vmcnt(23)
	v_fma_f64 v[83:84], v[83:84], v[81:82], v[75:76]
	ds_read_b128 v[75:78], v74 offset:480
	ds_read_b128 v[79:82], v74 offset:496
	s_waitcnt vmcnt(22) lgkmcnt(1)
	v_fma_f64 v[75:76], v[117:118], v[75:76], v[83:84]
	s_waitcnt vmcnt(21)
	v_fma_f64 v[75:76], v[115:116], v[77:78], v[75:76]
	s_waitcnt vmcnt(20) lgkmcnt(0)
	v_fma_f64 v[75:76], v[113:114], v[79:80], v[75:76]
	s_waitcnt vmcnt(15)
	v_fma_f64 v[83:84], v[85:86], v[81:82], v[75:76]
	ds_read_b128 v[75:78], v74 offset:512
	ds_read_b128 v[79:82], v74 offset:528
	s_waitcnt vmcnt(14) lgkmcnt(1)
	v_fma_f64 v[75:76], v[91:92], v[75:76], v[83:84]
	;; [unrolled: 10-line block ×3, first 2 shown]
	s_waitcnt vmcnt(5)
	v_fma_f64 v[74:75], v[97:98], v[77:78], v[74:75]
	s_waitcnt vmcnt(4) lgkmcnt(0)
	v_fma_f64 v[74:75], v[95:96], v[79:80], v[74:75]
	s_waitcnt vmcnt(2)
	v_fma_f64 v[74:75], v[99:100], v[81:82], v[74:75]
	s_waitcnt vmcnt(0)
	v_add_f64 v[74:75], v[101:102], -v[74:75]
	buffer_store_dword v75, off, s[0:3], 0 offset:60
	buffer_store_dword v74, off, s[0:3], 0 offset:56
	v_cmpx_lt_u32_e32 6, v0
	s_cbranch_execz .LBB99_213
; %bb.212:
	s_clause 0x1
	buffer_load_dword v74, off, s[0:3], 0 offset:48
	buffer_load_dword v75, off, s[0:3], 0 offset:52
	v_mov_b32_e32 v76, 0
	buffer_store_dword v76, off, s[0:3], 0 offset:48
	buffer_store_dword v76, off, s[0:3], 0 offset:52
	s_waitcnt vmcnt(0)
	ds_write_b64 v73, v[74:75]
.LBB99_213:
	s_or_b32 exec_lo, exec_lo, s4
	s_waitcnt lgkmcnt(0)
	s_waitcnt_vscnt null, 0x0
	s_barrier
	buffer_gl0_inv
	s_clause 0x1c
	buffer_load_dword v83, off, s[0:3], 0 offset:56
	buffer_load_dword v84, off, s[0:3], 0 offset:60
	;; [unrolled: 1-line block ×29, first 2 shown]
	v_mov_b32_e32 v74, 0
	buffer_load_dword v108, off, s[0:3], 0 offset:172
	s_mov_b32 s4, exec_lo
	ds_read2_b64 v[75:78], v74 offset0:43 offset1:44
	ds_read2_b64 v[79:82], v74 offset0:45 offset1:46
	s_waitcnt vmcnt(28) lgkmcnt(1)
	v_fma_f64 v[75:76], v[83:84], v[75:76], 0
	s_clause 0x7
	buffer_load_dword v84, off, s[0:3], 0 offset:180
	buffer_load_dword v113, off, s[0:3], 0 offset:200
	buffer_load_dword v115, off, s[0:3], 0 offset:192
	buffer_load_dword v117, off, s[0:3], 0 offset:184
	buffer_load_dword v83, off, s[0:3], 0 offset:176
	buffer_load_dword v118, off, s[0:3], 0 offset:188
	buffer_load_dword v116, off, s[0:3], 0 offset:196
	buffer_load_dword v114, off, s[0:3], 0 offset:204
	s_waitcnt vmcnt(34)
	v_fma_f64 v[75:76], v[85:86], v[77:78], v[75:76]
	s_waitcnt vmcnt(32) lgkmcnt(0)
	v_fma_f64 v[75:76], v[87:88], v[79:80], v[75:76]
	s_waitcnt vmcnt(30)
	v_fma_f64 v[85:86], v[89:90], v[81:82], v[75:76]
	ds_read2_b64 v[75:78], v74 offset0:47 offset1:48
	ds_read2_b64 v[79:82], v74 offset0:49 offset1:50
	s_waitcnt vmcnt(28) lgkmcnt(1)
	v_fma_f64 v[75:76], v[91:92], v[75:76], v[85:86]
	s_clause 0x7
	buffer_load_dword v86, off, s[0:3], 0 offset:212
	buffer_load_dword v87, off, s[0:3], 0 offset:232
	buffer_load_dword v89, off, s[0:3], 0 offset:224
	buffer_load_dword v91, off, s[0:3], 0 offset:216
	buffer_load_dword v85, off, s[0:3], 0 offset:208
	buffer_load_dword v92, off, s[0:3], 0 offset:220
	buffer_load_dword v90, off, s[0:3], 0 offset:228
	buffer_load_dword v88, off, s[0:3], 0 offset:236
	s_waitcnt vmcnt(34)
	v_fma_f64 v[75:76], v[93:94], v[77:78], v[75:76]
	s_waitcnt vmcnt(32) lgkmcnt(0)
	v_fma_f64 v[75:76], v[95:96], v[79:80], v[75:76]
	s_waitcnt vmcnt(27)
	v_fma_f64 v[93:94], v[97:98], v[81:82], v[75:76]
	;; [unrolled: 19-line block ×3, first 2 shown]
	ds_read2_b64 v[75:78], v74 offset0:55 offset1:56
	ds_read2_b64 v[79:82], v74 offset0:57 offset1:58
	s_waitcnt vmcnt(26) lgkmcnt(1)
	v_fma_f64 v[75:76], v[111:112], v[75:76], v[99:100]
	s_clause 0x5
	buffer_load_dword v100, off, s[0:3], 0 offset:276
	buffer_load_dword v101, off, s[0:3], 0 offset:280
	;; [unrolled: 1-line block ×6, first 2 shown]
	s_waitcnt vmcnt(31)
	v_fma_f64 v[75:76], v[109:110], v[77:78], v[75:76]
	s_waitcnt vmcnt(30) lgkmcnt(0)
	v_fma_f64 v[75:76], v[107:108], v[79:80], v[75:76]
	s_waitcnt vmcnt(25)
	v_fma_f64 v[83:84], v[83:84], v[81:82], v[75:76]
	ds_read2_b64 v[75:78], v74 offset0:59 offset1:60
	ds_read2_b64 v[79:82], v74 offset0:61 offset1:62
	s_waitcnt vmcnt(24) lgkmcnt(1)
	v_fma_f64 v[75:76], v[117:118], v[75:76], v[83:84]
	s_waitcnt vmcnt(23)
	v_fma_f64 v[75:76], v[115:116], v[77:78], v[75:76]
	s_waitcnt vmcnt(22) lgkmcnt(0)
	v_fma_f64 v[75:76], v[113:114], v[79:80], v[75:76]
	s_waitcnt vmcnt(17)
	v_fma_f64 v[83:84], v[85:86], v[81:82], v[75:76]
	ds_read2_b64 v[75:78], v74 offset0:63 offset1:64
	ds_read2_b64 v[79:82], v74 offset0:65 offset1:66
	s_waitcnt vmcnt(16) lgkmcnt(1)
	v_fma_f64 v[75:76], v[91:92], v[75:76], v[83:84]
	;; [unrolled: 10-line block ×3, first 2 shown]
	s_waitcnt vmcnt(7)
	v_fma_f64 v[75:76], v[97:98], v[77:78], v[75:76]
	ds_read_b64 v[77:78], v74 offset:568
	s_waitcnt vmcnt(6) lgkmcnt(1)
	v_fma_f64 v[75:76], v[95:96], v[79:80], v[75:76]
	s_waitcnt vmcnt(3)
	v_fma_f64 v[75:76], v[99:100], v[81:82], v[75:76]
	s_waitcnt vmcnt(2) lgkmcnt(0)
	v_fma_f64 v[75:76], v[101:102], v[77:78], v[75:76]
	s_waitcnt vmcnt(0)
	v_add_f64 v[75:76], v[105:106], -v[75:76]
	buffer_store_dword v76, off, s[0:3], 0 offset:52
	buffer_store_dword v75, off, s[0:3], 0 offset:48
	v_cmpx_lt_u32_e32 5, v0
	s_cbranch_execz .LBB99_215
; %bb.214:
	s_clause 0x1
	buffer_load_dword v75, off, s[0:3], 0 offset:40
	buffer_load_dword v76, off, s[0:3], 0 offset:44
	buffer_store_dword v74, off, s[0:3], 0 offset:40
	buffer_store_dword v74, off, s[0:3], 0 offset:44
	s_waitcnt vmcnt(0)
	ds_write_b64 v73, v[75:76]
.LBB99_215:
	s_or_b32 exec_lo, exec_lo, s4
	s_waitcnt lgkmcnt(0)
	s_waitcnt_vscnt null, 0x0
	s_barrier
	buffer_gl0_inv
	s_clause 0x1c
	buffer_load_dword v83, off, s[0:3], 0 offset:48
	buffer_load_dword v84, off, s[0:3], 0 offset:52
	;; [unrolled: 1-line block ×29, first 2 shown]
	ds_read_b128 v[75:78], v74 offset:336
	ds_read_b128 v[79:82], v74 offset:352
	buffer_load_dword v108, off, s[0:3], 0 offset:164
	s_mov_b32 s4, exec_lo
	s_waitcnt vmcnt(28) lgkmcnt(1)
	v_fma_f64 v[75:76], v[83:84], v[75:76], 0
	s_clause 0x7
	buffer_load_dword v84, off, s[0:3], 0 offset:172
	buffer_load_dword v113, off, s[0:3], 0 offset:192
	buffer_load_dword v115, off, s[0:3], 0 offset:184
	buffer_load_dword v117, off, s[0:3], 0 offset:176
	buffer_load_dword v83, off, s[0:3], 0 offset:168
	buffer_load_dword v118, off, s[0:3], 0 offset:180
	buffer_load_dword v116, off, s[0:3], 0 offset:188
	buffer_load_dword v114, off, s[0:3], 0 offset:196
	s_waitcnt vmcnt(34)
	v_fma_f64 v[75:76], v[85:86], v[77:78], v[75:76]
	s_waitcnt vmcnt(32) lgkmcnt(0)
	v_fma_f64 v[75:76], v[87:88], v[79:80], v[75:76]
	s_waitcnt vmcnt(30)
	v_fma_f64 v[85:86], v[89:90], v[81:82], v[75:76]
	ds_read_b128 v[75:78], v74 offset:368
	ds_read_b128 v[79:82], v74 offset:384
	s_waitcnt vmcnt(28) lgkmcnt(1)
	v_fma_f64 v[75:76], v[91:92], v[75:76], v[85:86]
	s_clause 0x7
	buffer_load_dword v86, off, s[0:3], 0 offset:204
	buffer_load_dword v87, off, s[0:3], 0 offset:224
	buffer_load_dword v89, off, s[0:3], 0 offset:216
	buffer_load_dword v91, off, s[0:3], 0 offset:208
	buffer_load_dword v85, off, s[0:3], 0 offset:200
	buffer_load_dword v92, off, s[0:3], 0 offset:212
	buffer_load_dword v90, off, s[0:3], 0 offset:220
	buffer_load_dword v88, off, s[0:3], 0 offset:228
	s_waitcnt vmcnt(34)
	v_fma_f64 v[75:76], v[93:94], v[77:78], v[75:76]
	s_waitcnt vmcnt(32) lgkmcnt(0)
	v_fma_f64 v[75:76], v[95:96], v[79:80], v[75:76]
	s_waitcnt vmcnt(27)
	v_fma_f64 v[93:94], v[97:98], v[81:82], v[75:76]
	ds_read_b128 v[75:78], v74 offset:400
	ds_read_b128 v[79:82], v74 offset:416
	;; [unrolled: 19-line block ×3, first 2 shown]
	s_waitcnt vmcnt(26) lgkmcnt(1)
	v_fma_f64 v[75:76], v[111:112], v[75:76], v[99:100]
	s_clause 0x5
	buffer_load_dword v100, off, s[0:3], 0 offset:268
	buffer_load_dword v101, off, s[0:3], 0 offset:280
	;; [unrolled: 1-line block ×6, first 2 shown]
	s_waitcnt vmcnt(31)
	v_fma_f64 v[75:76], v[109:110], v[77:78], v[75:76]
	s_waitcnt vmcnt(30) lgkmcnt(0)
	v_fma_f64 v[75:76], v[107:108], v[79:80], v[75:76]
	s_waitcnt vmcnt(25)
	v_fma_f64 v[83:84], v[83:84], v[81:82], v[75:76]
	ds_read_b128 v[75:78], v74 offset:464
	s_clause 0x1
	buffer_load_dword v107, off, s[0:3], 0 offset:40
	buffer_load_dword v108, off, s[0:3], 0 offset:44
	ds_read_b128 v[79:82], v74 offset:480
	s_waitcnt vmcnt(26) lgkmcnt(1)
	v_fma_f64 v[75:76], v[117:118], v[75:76], v[83:84]
	s_waitcnt vmcnt(25)
	v_fma_f64 v[75:76], v[115:116], v[77:78], v[75:76]
	s_waitcnt vmcnt(24) lgkmcnt(0)
	v_fma_f64 v[75:76], v[113:114], v[79:80], v[75:76]
	s_waitcnt vmcnt(19)
	v_fma_f64 v[83:84], v[85:86], v[81:82], v[75:76]
	ds_read_b128 v[75:78], v74 offset:496
	ds_read_b128 v[79:82], v74 offset:512
	s_waitcnt vmcnt(18) lgkmcnt(1)
	v_fma_f64 v[75:76], v[91:92], v[75:76], v[83:84]
	s_waitcnt vmcnt(17)
	v_fma_f64 v[75:76], v[89:90], v[77:78], v[75:76]
	s_waitcnt vmcnt(16) lgkmcnt(0)
	v_fma_f64 v[75:76], v[87:88], v[79:80], v[75:76]
	s_waitcnt vmcnt(11)
	v_fma_f64 v[83:84], v[93:94], v[81:82], v[75:76]
	ds_read_b128 v[75:78], v74 offset:528
	;; [unrolled: 10-line block ×3, first 2 shown]
	s_waitcnt vmcnt(3) lgkmcnt(0)
	v_fma_f64 v[74:75], v[105:106], v[74:75], v[78:79]
	s_waitcnt vmcnt(2)
	v_fma_f64 v[74:75], v[101:102], v[76:77], v[74:75]
	s_waitcnt vmcnt(0)
	v_add_f64 v[74:75], v[107:108], -v[74:75]
	buffer_store_dword v75, off, s[0:3], 0 offset:44
	buffer_store_dword v74, off, s[0:3], 0 offset:40
	v_cmpx_lt_u32_e32 4, v0
	s_cbranch_execz .LBB99_217
; %bb.216:
	s_clause 0x1
	buffer_load_dword v74, off, s[0:3], 0 offset:32
	buffer_load_dword v75, off, s[0:3], 0 offset:36
	v_mov_b32_e32 v76, 0
	buffer_store_dword v76, off, s[0:3], 0 offset:32
	buffer_store_dword v76, off, s[0:3], 0 offset:36
	s_waitcnt vmcnt(0)
	ds_write_b64 v73, v[74:75]
.LBB99_217:
	s_or_b32 exec_lo, exec_lo, s4
	s_waitcnt lgkmcnt(0)
	s_waitcnt_vscnt null, 0x0
	s_barrier
	buffer_gl0_inv
	s_clause 0x1c
	buffer_load_dword v83, off, s[0:3], 0 offset:40
	buffer_load_dword v84, off, s[0:3], 0 offset:44
	;; [unrolled: 1-line block ×29, first 2 shown]
	v_mov_b32_e32 v74, 0
	buffer_load_dword v108, off, s[0:3], 0 offset:156
	s_mov_b32 s4, exec_lo
	ds_read2_b64 v[75:78], v74 offset0:41 offset1:42
	ds_read2_b64 v[79:82], v74 offset0:43 offset1:44
	s_waitcnt vmcnt(28) lgkmcnt(1)
	v_fma_f64 v[75:76], v[83:84], v[75:76], 0
	s_clause 0x7
	buffer_load_dword v84, off, s[0:3], 0 offset:164
	buffer_load_dword v113, off, s[0:3], 0 offset:184
	buffer_load_dword v115, off, s[0:3], 0 offset:176
	buffer_load_dword v117, off, s[0:3], 0 offset:168
	buffer_load_dword v83, off, s[0:3], 0 offset:160
	buffer_load_dword v118, off, s[0:3], 0 offset:172
	buffer_load_dword v116, off, s[0:3], 0 offset:180
	buffer_load_dword v114, off, s[0:3], 0 offset:188
	s_waitcnt vmcnt(34)
	v_fma_f64 v[75:76], v[85:86], v[77:78], v[75:76]
	s_waitcnt vmcnt(32) lgkmcnt(0)
	v_fma_f64 v[75:76], v[87:88], v[79:80], v[75:76]
	s_waitcnt vmcnt(30)
	v_fma_f64 v[85:86], v[89:90], v[81:82], v[75:76]
	ds_read2_b64 v[75:78], v74 offset0:45 offset1:46
	ds_read2_b64 v[79:82], v74 offset0:47 offset1:48
	s_waitcnt vmcnt(28) lgkmcnt(1)
	v_fma_f64 v[75:76], v[91:92], v[75:76], v[85:86]
	s_clause 0x7
	buffer_load_dword v86, off, s[0:3], 0 offset:196
	buffer_load_dword v87, off, s[0:3], 0 offset:216
	buffer_load_dword v89, off, s[0:3], 0 offset:208
	buffer_load_dword v91, off, s[0:3], 0 offset:200
	buffer_load_dword v85, off, s[0:3], 0 offset:192
	buffer_load_dword v92, off, s[0:3], 0 offset:204
	buffer_load_dword v90, off, s[0:3], 0 offset:212
	buffer_load_dword v88, off, s[0:3], 0 offset:220
	s_waitcnt vmcnt(34)
	v_fma_f64 v[75:76], v[93:94], v[77:78], v[75:76]
	s_waitcnt vmcnt(32) lgkmcnt(0)
	v_fma_f64 v[75:76], v[95:96], v[79:80], v[75:76]
	s_waitcnt vmcnt(27)
	v_fma_f64 v[93:94], v[97:98], v[81:82], v[75:76]
	;; [unrolled: 19-line block ×4, first 2 shown]
	ds_read2_b64 v[75:78], v74 offset0:57 offset1:58
	ds_read2_b64 v[79:82], v74 offset0:59 offset1:60
	s_waitcnt vmcnt(26) lgkmcnt(1)
	v_fma_f64 v[75:76], v[117:118], v[75:76], v[83:84]
	s_clause 0x1
	buffer_load_dword v83, off, s[0:3], 0 offset:32
	buffer_load_dword v84, off, s[0:3], 0 offset:36
	s_waitcnt vmcnt(27)
	v_fma_f64 v[75:76], v[115:116], v[77:78], v[75:76]
	s_waitcnt vmcnt(26) lgkmcnt(0)
	v_fma_f64 v[75:76], v[113:114], v[79:80], v[75:76]
	s_waitcnt vmcnt(21)
	v_fma_f64 v[85:86], v[85:86], v[81:82], v[75:76]
	ds_read2_b64 v[75:78], v74 offset0:61 offset1:62
	ds_read2_b64 v[79:82], v74 offset0:63 offset1:64
	s_waitcnt vmcnt(20) lgkmcnt(1)
	v_fma_f64 v[75:76], v[91:92], v[75:76], v[85:86]
	s_waitcnt vmcnt(19)
	v_fma_f64 v[75:76], v[89:90], v[77:78], v[75:76]
	s_waitcnt vmcnt(18) lgkmcnt(0)
	v_fma_f64 v[75:76], v[87:88], v[79:80], v[75:76]
	s_waitcnt vmcnt(13)
	v_fma_f64 v[85:86], v[93:94], v[81:82], v[75:76]
	ds_read2_b64 v[75:78], v74 offset0:65 offset1:66
	ds_read2_b64 v[79:82], v74 offset0:67 offset1:68
	s_waitcnt vmcnt(12) lgkmcnt(1)
	v_fma_f64 v[75:76], v[103:104], v[75:76], v[85:86]
	s_waitcnt vmcnt(11)
	v_fma_f64 v[75:76], v[97:98], v[77:78], v[75:76]
	s_waitcnt vmcnt(10) lgkmcnt(0)
	v_fma_f64 v[75:76], v[95:96], v[79:80], v[75:76]
	s_waitcnt vmcnt(5)
	v_fma_f64 v[79:80], v[99:100], v[81:82], v[75:76]
	ds_read2_b64 v[75:78], v74 offset0:69 offset1:70
	ds_read_b64 v[81:82], v74 offset:568
	s_waitcnt vmcnt(4) lgkmcnt(1)
	v_fma_f64 v[75:76], v[111:112], v[75:76], v[79:80]
	s_waitcnt vmcnt(3)
	v_fma_f64 v[75:76], v[105:106], v[77:78], v[75:76]
	s_waitcnt vmcnt(2) lgkmcnt(0)
	v_fma_f64 v[75:76], v[101:102], v[81:82], v[75:76]
	s_waitcnt vmcnt(0)
	v_add_f64 v[75:76], v[83:84], -v[75:76]
	buffer_store_dword v76, off, s[0:3], 0 offset:36
	buffer_store_dword v75, off, s[0:3], 0 offset:32
	v_cmpx_lt_u32_e32 3, v0
	s_cbranch_execz .LBB99_219
; %bb.218:
	s_clause 0x1
	buffer_load_dword v75, off, s[0:3], 0 offset:24
	buffer_load_dword v76, off, s[0:3], 0 offset:28
	buffer_store_dword v74, off, s[0:3], 0 offset:24
	buffer_store_dword v74, off, s[0:3], 0 offset:28
	s_waitcnt vmcnt(0)
	ds_write_b64 v73, v[75:76]
.LBB99_219:
	s_or_b32 exec_lo, exec_lo, s4
	s_waitcnt lgkmcnt(0)
	s_waitcnt_vscnt null, 0x0
	s_barrier
	buffer_gl0_inv
	s_clause 0x1c
	buffer_load_dword v83, off, s[0:3], 0 offset:32
	buffer_load_dword v84, off, s[0:3], 0 offset:36
	;; [unrolled: 1-line block ×29, first 2 shown]
	ds_read_b128 v[75:78], v74 offset:320
	ds_read_b128 v[79:82], v74 offset:336
	buffer_load_dword v108, off, s[0:3], 0 offset:148
	s_mov_b32 s4, exec_lo
	s_waitcnt vmcnt(28) lgkmcnt(1)
	v_fma_f64 v[75:76], v[83:84], v[75:76], 0
	s_clause 0x7
	buffer_load_dword v84, off, s[0:3], 0 offset:156
	buffer_load_dword v113, off, s[0:3], 0 offset:176
	buffer_load_dword v115, off, s[0:3], 0 offset:168
	buffer_load_dword v117, off, s[0:3], 0 offset:160
	buffer_load_dword v83, off, s[0:3], 0 offset:152
	buffer_load_dword v118, off, s[0:3], 0 offset:164
	buffer_load_dword v116, off, s[0:3], 0 offset:172
	buffer_load_dword v114, off, s[0:3], 0 offset:180
	s_waitcnt vmcnt(34)
	v_fma_f64 v[75:76], v[85:86], v[77:78], v[75:76]
	s_waitcnt vmcnt(32) lgkmcnt(0)
	v_fma_f64 v[75:76], v[87:88], v[79:80], v[75:76]
	s_waitcnt vmcnt(30)
	v_fma_f64 v[85:86], v[89:90], v[81:82], v[75:76]
	ds_read_b128 v[75:78], v74 offset:352
	ds_read_b128 v[79:82], v74 offset:368
	s_waitcnt vmcnt(28) lgkmcnt(1)
	v_fma_f64 v[75:76], v[91:92], v[75:76], v[85:86]
	s_clause 0x7
	buffer_load_dword v86, off, s[0:3], 0 offset:188
	buffer_load_dword v87, off, s[0:3], 0 offset:208
	buffer_load_dword v89, off, s[0:3], 0 offset:200
	buffer_load_dword v91, off, s[0:3], 0 offset:192
	buffer_load_dword v85, off, s[0:3], 0 offset:184
	buffer_load_dword v92, off, s[0:3], 0 offset:196
	buffer_load_dword v90, off, s[0:3], 0 offset:204
	buffer_load_dword v88, off, s[0:3], 0 offset:212
	s_waitcnt vmcnt(34)
	v_fma_f64 v[75:76], v[93:94], v[77:78], v[75:76]
	s_waitcnt vmcnt(32) lgkmcnt(0)
	v_fma_f64 v[75:76], v[95:96], v[79:80], v[75:76]
	s_waitcnt vmcnt(27)
	v_fma_f64 v[93:94], v[97:98], v[81:82], v[75:76]
	ds_read_b128 v[75:78], v74 offset:384
	ds_read_b128 v[79:82], v74 offset:400
	;; [unrolled: 19-line block ×4, first 2 shown]
	s_waitcnt vmcnt(26) lgkmcnt(1)
	v_fma_f64 v[75:76], v[117:118], v[75:76], v[83:84]
	s_clause 0x3
	buffer_load_dword v84, off, s[0:3], 0 offset:284
	buffer_load_dword v83, off, s[0:3], 0 offset:280
	;; [unrolled: 1-line block ×4, first 2 shown]
	s_waitcnt vmcnt(29)
	v_fma_f64 v[75:76], v[115:116], v[77:78], v[75:76]
	s_waitcnt vmcnt(28) lgkmcnt(0)
	v_fma_f64 v[75:76], v[113:114], v[79:80], v[75:76]
	s_waitcnt vmcnt(23)
	v_fma_f64 v[85:86], v[85:86], v[81:82], v[75:76]
	ds_read_b128 v[75:78], v74 offset:480
	ds_read_b128 v[79:82], v74 offset:496
	s_waitcnt vmcnt(22) lgkmcnt(1)
	v_fma_f64 v[75:76], v[91:92], v[75:76], v[85:86]
	s_waitcnt vmcnt(21)
	v_fma_f64 v[75:76], v[89:90], v[77:78], v[75:76]
	s_waitcnt vmcnt(20) lgkmcnt(0)
	v_fma_f64 v[75:76], v[87:88], v[79:80], v[75:76]
	s_waitcnt vmcnt(15)
	v_fma_f64 v[85:86], v[93:94], v[81:82], v[75:76]
	ds_read_b128 v[75:78], v74 offset:512
	ds_read_b128 v[79:82], v74 offset:528
	s_waitcnt vmcnt(14) lgkmcnt(1)
	v_fma_f64 v[75:76], v[103:104], v[75:76], v[85:86]
	;; [unrolled: 10-line block ×3, first 2 shown]
	s_waitcnt vmcnt(5)
	v_fma_f64 v[74:75], v[105:106], v[77:78], v[74:75]
	s_waitcnt vmcnt(4) lgkmcnt(0)
	v_fma_f64 v[74:75], v[101:102], v[79:80], v[74:75]
	s_waitcnt vmcnt(2)
	v_fma_f64 v[74:75], v[83:84], v[81:82], v[74:75]
	s_waitcnt vmcnt(0)
	v_add_f64 v[74:75], v[107:108], -v[74:75]
	buffer_store_dword v75, off, s[0:3], 0 offset:28
	buffer_store_dword v74, off, s[0:3], 0 offset:24
	v_cmpx_lt_u32_e32 2, v0
	s_cbranch_execz .LBB99_221
; %bb.220:
	s_clause 0x1
	buffer_load_dword v74, off, s[0:3], 0 offset:16
	buffer_load_dword v75, off, s[0:3], 0 offset:20
	v_mov_b32_e32 v76, 0
	buffer_store_dword v76, off, s[0:3], 0 offset:16
	buffer_store_dword v76, off, s[0:3], 0 offset:20
	s_waitcnt vmcnt(0)
	ds_write_b64 v73, v[74:75]
.LBB99_221:
	s_or_b32 exec_lo, exec_lo, s4
	s_waitcnt lgkmcnt(0)
	s_waitcnt_vscnt null, 0x0
	s_barrier
	buffer_gl0_inv
	s_clause 0x1c
	buffer_load_dword v83, off, s[0:3], 0 offset:24
	buffer_load_dword v84, off, s[0:3], 0 offset:28
	;; [unrolled: 1-line block ×29, first 2 shown]
	v_mov_b32_e32 v74, 0
	buffer_load_dword v108, off, s[0:3], 0 offset:140
	s_mov_b32 s4, exec_lo
	ds_read2_b64 v[75:78], v74 offset0:39 offset1:40
	ds_read2_b64 v[79:82], v74 offset0:41 offset1:42
	s_waitcnt vmcnt(28) lgkmcnt(1)
	v_fma_f64 v[75:76], v[83:84], v[75:76], 0
	s_clause 0x7
	buffer_load_dword v84, off, s[0:3], 0 offset:148
	buffer_load_dword v113, off, s[0:3], 0 offset:168
	buffer_load_dword v115, off, s[0:3], 0 offset:160
	buffer_load_dword v117, off, s[0:3], 0 offset:152
	buffer_load_dword v83, off, s[0:3], 0 offset:144
	buffer_load_dword v118, off, s[0:3], 0 offset:156
	buffer_load_dword v116, off, s[0:3], 0 offset:164
	buffer_load_dword v114, off, s[0:3], 0 offset:172
	s_waitcnt vmcnt(34)
	v_fma_f64 v[75:76], v[85:86], v[77:78], v[75:76]
	s_waitcnt vmcnt(32) lgkmcnt(0)
	v_fma_f64 v[75:76], v[87:88], v[79:80], v[75:76]
	s_waitcnt vmcnt(30)
	v_fma_f64 v[85:86], v[89:90], v[81:82], v[75:76]
	ds_read2_b64 v[75:78], v74 offset0:43 offset1:44
	ds_read2_b64 v[79:82], v74 offset0:45 offset1:46
	s_waitcnt vmcnt(28) lgkmcnt(1)
	v_fma_f64 v[75:76], v[91:92], v[75:76], v[85:86]
	s_clause 0x7
	buffer_load_dword v86, off, s[0:3], 0 offset:180
	buffer_load_dword v87, off, s[0:3], 0 offset:200
	buffer_load_dword v89, off, s[0:3], 0 offset:192
	buffer_load_dword v91, off, s[0:3], 0 offset:184
	buffer_load_dword v85, off, s[0:3], 0 offset:176
	buffer_load_dword v92, off, s[0:3], 0 offset:188
	buffer_load_dword v90, off, s[0:3], 0 offset:196
	buffer_load_dword v88, off, s[0:3], 0 offset:204
	s_waitcnt vmcnt(34)
	v_fma_f64 v[75:76], v[93:94], v[77:78], v[75:76]
	s_waitcnt vmcnt(32) lgkmcnt(0)
	v_fma_f64 v[75:76], v[95:96], v[79:80], v[75:76]
	s_waitcnt vmcnt(27)
	v_fma_f64 v[93:94], v[97:98], v[81:82], v[75:76]
	;; [unrolled: 19-line block ×4, first 2 shown]
	ds_read2_b64 v[75:78], v74 offset0:55 offset1:56
	ds_read2_b64 v[79:82], v74 offset0:57 offset1:58
	s_waitcnt vmcnt(26) lgkmcnt(1)
	v_fma_f64 v[75:76], v[117:118], v[75:76], v[83:84]
	s_clause 0x5
	buffer_load_dword v84, off, s[0:3], 0 offset:276
	buffer_load_dword v107, off, s[0:3], 0 offset:280
	;; [unrolled: 1-line block ×6, first 2 shown]
	s_waitcnt vmcnt(31)
	v_fma_f64 v[75:76], v[115:116], v[77:78], v[75:76]
	s_waitcnt vmcnt(30) lgkmcnt(0)
	v_fma_f64 v[75:76], v[113:114], v[79:80], v[75:76]
	s_waitcnt vmcnt(25)
	v_fma_f64 v[85:86], v[85:86], v[81:82], v[75:76]
	ds_read2_b64 v[75:78], v74 offset0:59 offset1:60
	ds_read2_b64 v[79:82], v74 offset0:61 offset1:62
	s_waitcnt vmcnt(24) lgkmcnt(1)
	v_fma_f64 v[75:76], v[91:92], v[75:76], v[85:86]
	s_waitcnt vmcnt(23)
	v_fma_f64 v[75:76], v[89:90], v[77:78], v[75:76]
	s_waitcnt vmcnt(22) lgkmcnt(0)
	v_fma_f64 v[75:76], v[87:88], v[79:80], v[75:76]
	s_waitcnt vmcnt(17)
	v_fma_f64 v[85:86], v[93:94], v[81:82], v[75:76]
	ds_read2_b64 v[75:78], v74 offset0:63 offset1:64
	ds_read2_b64 v[79:82], v74 offset0:65 offset1:66
	s_waitcnt vmcnt(16) lgkmcnt(1)
	v_fma_f64 v[75:76], v[103:104], v[75:76], v[85:86]
	;; [unrolled: 10-line block ×3, first 2 shown]
	s_waitcnt vmcnt(7)
	v_fma_f64 v[75:76], v[105:106], v[77:78], v[75:76]
	ds_read_b64 v[77:78], v74 offset:568
	s_waitcnt vmcnt(6) lgkmcnt(1)
	v_fma_f64 v[75:76], v[101:102], v[79:80], v[75:76]
	s_waitcnt vmcnt(3)
	v_fma_f64 v[75:76], v[83:84], v[81:82], v[75:76]
	s_waitcnt vmcnt(2) lgkmcnt(0)
	v_fma_f64 v[75:76], v[107:108], v[77:78], v[75:76]
	s_waitcnt vmcnt(0)
	v_add_f64 v[75:76], v[109:110], -v[75:76]
	buffer_store_dword v76, off, s[0:3], 0 offset:20
	buffer_store_dword v75, off, s[0:3], 0 offset:16
	v_cmpx_lt_u32_e32 1, v0
	s_cbranch_execz .LBB99_223
; %bb.222:
	s_clause 0x1
	buffer_load_dword v75, off, s[0:3], 0 offset:8
	buffer_load_dword v76, off, s[0:3], 0 offset:12
	buffer_store_dword v74, off, s[0:3], 0 offset:8
	buffer_store_dword v74, off, s[0:3], 0 offset:12
	s_waitcnt vmcnt(0)
	ds_write_b64 v73, v[75:76]
.LBB99_223:
	s_or_b32 exec_lo, exec_lo, s4
	s_waitcnt lgkmcnt(0)
	s_waitcnt_vscnt null, 0x0
	s_barrier
	buffer_gl0_inv
	s_clause 0x1c
	buffer_load_dword v83, off, s[0:3], 0 offset:16
	buffer_load_dword v84, off, s[0:3], 0 offset:20
	;; [unrolled: 1-line block ×29, first 2 shown]
	ds_read_b128 v[75:78], v74 offset:304
	ds_read_b128 v[79:82], v74 offset:320
	buffer_load_dword v108, off, s[0:3], 0 offset:132
	s_mov_b32 s4, exec_lo
	s_waitcnt vmcnt(28) lgkmcnt(1)
	v_fma_f64 v[75:76], v[83:84], v[75:76], 0
	s_clause 0x7
	buffer_load_dword v84, off, s[0:3], 0 offset:140
	buffer_load_dword v113, off, s[0:3], 0 offset:160
	buffer_load_dword v115, off, s[0:3], 0 offset:152
	buffer_load_dword v117, off, s[0:3], 0 offset:144
	buffer_load_dword v83, off, s[0:3], 0 offset:136
	buffer_load_dword v118, off, s[0:3], 0 offset:148
	buffer_load_dword v116, off, s[0:3], 0 offset:156
	buffer_load_dword v114, off, s[0:3], 0 offset:164
	s_waitcnt vmcnt(34)
	v_fma_f64 v[75:76], v[85:86], v[77:78], v[75:76]
	s_waitcnt vmcnt(32) lgkmcnt(0)
	v_fma_f64 v[75:76], v[87:88], v[79:80], v[75:76]
	s_waitcnt vmcnt(30)
	v_fma_f64 v[85:86], v[89:90], v[81:82], v[75:76]
	ds_read_b128 v[75:78], v74 offset:336
	ds_read_b128 v[79:82], v74 offset:352
	s_waitcnt vmcnt(28) lgkmcnt(1)
	v_fma_f64 v[75:76], v[91:92], v[75:76], v[85:86]
	s_clause 0x7
	buffer_load_dword v86, off, s[0:3], 0 offset:172
	buffer_load_dword v87, off, s[0:3], 0 offset:192
	buffer_load_dword v89, off, s[0:3], 0 offset:184
	buffer_load_dword v91, off, s[0:3], 0 offset:176
	buffer_load_dword v85, off, s[0:3], 0 offset:168
	buffer_load_dword v92, off, s[0:3], 0 offset:180
	buffer_load_dword v90, off, s[0:3], 0 offset:188
	buffer_load_dword v88, off, s[0:3], 0 offset:196
	s_waitcnt vmcnt(34)
	v_fma_f64 v[75:76], v[93:94], v[77:78], v[75:76]
	s_waitcnt vmcnt(32) lgkmcnt(0)
	v_fma_f64 v[75:76], v[95:96], v[79:80], v[75:76]
	s_waitcnt vmcnt(27)
	v_fma_f64 v[93:94], v[97:98], v[81:82], v[75:76]
	ds_read_b128 v[75:78], v74 offset:368
	ds_read_b128 v[79:82], v74 offset:384
	;; [unrolled: 19-line block ×4, first 2 shown]
	s_waitcnt vmcnt(26) lgkmcnt(1)
	v_fma_f64 v[75:76], v[117:118], v[75:76], v[83:84]
	s_clause 0x5
	buffer_load_dword v84, off, s[0:3], 0 offset:268
	buffer_load_dword v107, off, s[0:3], 0 offset:280
	;; [unrolled: 1-line block ×6, first 2 shown]
	s_waitcnt vmcnt(31)
	v_fma_f64 v[75:76], v[115:116], v[77:78], v[75:76]
	s_waitcnt vmcnt(30) lgkmcnt(0)
	v_fma_f64 v[75:76], v[113:114], v[79:80], v[75:76]
	s_waitcnt vmcnt(25)
	v_fma_f64 v[85:86], v[85:86], v[81:82], v[75:76]
	ds_read_b128 v[75:78], v74 offset:464
	s_clause 0x1
	buffer_load_dword v113, off, s[0:3], 0 offset:8
	buffer_load_dword v114, off, s[0:3], 0 offset:12
	ds_read_b128 v[79:82], v74 offset:480
	s_waitcnt vmcnt(26) lgkmcnt(1)
	v_fma_f64 v[75:76], v[91:92], v[75:76], v[85:86]
	s_waitcnt vmcnt(25)
	v_fma_f64 v[75:76], v[89:90], v[77:78], v[75:76]
	s_waitcnt vmcnt(24) lgkmcnt(0)
	v_fma_f64 v[75:76], v[87:88], v[79:80], v[75:76]
	s_waitcnt vmcnt(19)
	v_fma_f64 v[85:86], v[93:94], v[81:82], v[75:76]
	ds_read_b128 v[75:78], v74 offset:496
	ds_read_b128 v[79:82], v74 offset:512
	s_waitcnt vmcnt(18) lgkmcnt(1)
	v_fma_f64 v[75:76], v[103:104], v[75:76], v[85:86]
	s_waitcnt vmcnt(17)
	v_fma_f64 v[75:76], v[97:98], v[77:78], v[75:76]
	s_waitcnt vmcnt(16) lgkmcnt(0)
	v_fma_f64 v[75:76], v[95:96], v[79:80], v[75:76]
	s_waitcnt vmcnt(11)
	v_fma_f64 v[85:86], v[99:100], v[81:82], v[75:76]
	ds_read_b128 v[75:78], v74 offset:528
	;; [unrolled: 10-line block ×3, first 2 shown]
	s_waitcnt vmcnt(3) lgkmcnt(0)
	v_fma_f64 v[74:75], v[109:110], v[74:75], v[78:79]
	s_waitcnt vmcnt(2)
	v_fma_f64 v[74:75], v[107:108], v[76:77], v[74:75]
	s_waitcnt vmcnt(0)
	v_add_f64 v[74:75], v[113:114], -v[74:75]
	buffer_store_dword v75, off, s[0:3], 0 offset:12
	buffer_store_dword v74, off, s[0:3], 0 offset:8
	v_cmpx_ne_u32_e32 0, v0
	s_cbranch_execz .LBB99_225
; %bb.224:
	s_clause 0x1
	buffer_load_dword v74, off, s[0:3], 0
	buffer_load_dword v75, off, s[0:3], 0 offset:4
	v_mov_b32_e32 v0, 0
	buffer_store_dword v0, off, s[0:3], 0
	buffer_store_dword v0, off, s[0:3], 0 offset:4
	s_waitcnt vmcnt(0)
	ds_write_b64 v73, v[74:75]
.LBB99_225:
	s_or_b32 exec_lo, exec_lo, s4
	s_waitcnt lgkmcnt(0)
	s_waitcnt_vscnt null, 0x0
	s_barrier
	buffer_gl0_inv
	s_clause 0x1c
	buffer_load_dword v81, off, s[0:3], 0 offset:8
	buffer_load_dword v82, off, s[0:3], 0 offset:12
	;; [unrolled: 1-line block ×29, first 2 shown]
	v_mov_b32_e32 v0, 0
	buffer_load_dword v106, off, s[0:3], 0 offset:124
	s_and_b32 vcc_lo, exec_lo, s16
	ds_read2_b64 v[73:76], v0 offset0:37 offset1:38
	ds_read2_b64 v[77:80], v0 offset0:39 offset1:40
	s_waitcnt vmcnt(28) lgkmcnt(1)
	v_fma_f64 v[73:74], v[81:82], v[73:74], 0
	s_clause 0x7
	buffer_load_dword v82, off, s[0:3], 0 offset:132
	buffer_load_dword v111, off, s[0:3], 0 offset:152
	buffer_load_dword v113, off, s[0:3], 0 offset:144
	buffer_load_dword v115, off, s[0:3], 0 offset:136
	buffer_load_dword v81, off, s[0:3], 0 offset:128
	buffer_load_dword v116, off, s[0:3], 0 offset:140
	buffer_load_dword v114, off, s[0:3], 0 offset:148
	buffer_load_dword v112, off, s[0:3], 0 offset:156
	s_waitcnt vmcnt(34)
	v_fma_f64 v[73:74], v[83:84], v[75:76], v[73:74]
	s_waitcnt vmcnt(32) lgkmcnt(0)
	v_fma_f64 v[73:74], v[85:86], v[77:78], v[73:74]
	s_waitcnt vmcnt(30)
	v_fma_f64 v[83:84], v[87:88], v[79:80], v[73:74]
	ds_read2_b64 v[73:76], v0 offset0:41 offset1:42
	ds_read2_b64 v[77:80], v0 offset0:43 offset1:44
	s_waitcnt vmcnt(28) lgkmcnt(1)
	v_fma_f64 v[73:74], v[89:90], v[73:74], v[83:84]
	s_clause 0x7
	buffer_load_dword v84, off, s[0:3], 0 offset:164
	buffer_load_dword v85, off, s[0:3], 0 offset:184
	buffer_load_dword v87, off, s[0:3], 0 offset:176
	buffer_load_dword v89, off, s[0:3], 0 offset:168
	buffer_load_dword v83, off, s[0:3], 0 offset:160
	buffer_load_dword v90, off, s[0:3], 0 offset:172
	buffer_load_dword v88, off, s[0:3], 0 offset:180
	buffer_load_dword v86, off, s[0:3], 0 offset:188
	s_waitcnt vmcnt(34)
	v_fma_f64 v[73:74], v[91:92], v[75:76], v[73:74]
	s_waitcnt vmcnt(32) lgkmcnt(0)
	v_fma_f64 v[73:74], v[93:94], v[77:78], v[73:74]
	s_waitcnt vmcnt(27)
	v_fma_f64 v[91:92], v[95:96], v[79:80], v[73:74]
	;; [unrolled: 19-line block ×4, first 2 shown]
	ds_read2_b64 v[73:76], v0 offset0:53 offset1:54
	ds_read2_b64 v[77:80], v0 offset0:55 offset1:56
	s_waitcnt vmcnt(26) lgkmcnt(1)
	v_fma_f64 v[81:82], v[115:116], v[73:74], v[81:82]
	s_clause 0x6
	buffer_load_dword v106, off, s[0:3], 0 offset:260
	buffer_load_dword v107, off, s[0:3], 0 offset:280
	;; [unrolled: 1-line block ×7, first 2 shown]
	s_waitcnt vmcnt(32)
	v_fma_f64 v[74:75], v[113:114], v[75:76], v[81:82]
	s_waitcnt vmcnt(31) lgkmcnt(0)
	v_fma_f64 v[75:76], v[111:112], v[77:78], v[74:75]
	buffer_load_dword v74, off, s[0:3], 0 offset:276
	s_waitcnt vmcnt(27)
	v_fma_f64 v[83:84], v[83:84], v[79:80], v[75:76]
	ds_read2_b64 v[75:78], v0 offset0:57 offset1:58
	ds_read2_b64 v[79:82], v0 offset0:59 offset1:60
	s_waitcnt vmcnt(26) lgkmcnt(1)
	v_fma_f64 v[75:76], v[89:90], v[75:76], v[83:84]
	s_clause 0x1
	buffer_load_dword v83, off, s[0:3], 0
	buffer_load_dword v84, off, s[0:3], 0 offset:4
	s_waitcnt vmcnt(27)
	v_fma_f64 v[75:76], v[87:88], v[77:78], v[75:76]
	s_waitcnt vmcnt(26) lgkmcnt(0)
	v_fma_f64 v[75:76], v[85:86], v[79:80], v[75:76]
	s_waitcnt vmcnt(21)
	v_fma_f64 v[85:86], v[91:92], v[81:82], v[75:76]
	ds_read2_b64 v[75:78], v0 offset0:61 offset1:62
	ds_read2_b64 v[79:82], v0 offset0:63 offset1:64
	s_waitcnt vmcnt(20) lgkmcnt(1)
	v_fma_f64 v[75:76], v[101:102], v[75:76], v[85:86]
	s_waitcnt vmcnt(19)
	v_fma_f64 v[75:76], v[95:96], v[77:78], v[75:76]
	s_waitcnt vmcnt(18) lgkmcnt(0)
	v_fma_f64 v[75:76], v[93:94], v[79:80], v[75:76]
	s_waitcnt vmcnt(13)
	v_fma_f64 v[85:86], v[97:98], v[81:82], v[75:76]
	ds_read2_b64 v[75:78], v0 offset0:65 offset1:66
	ds_read2_b64 v[79:82], v0 offset0:67 offset1:68
	s_waitcnt vmcnt(12) lgkmcnt(1)
	v_fma_f64 v[75:76], v[109:110], v[75:76], v[85:86]
	s_waitcnt vmcnt(11)
	v_fma_f64 v[75:76], v[103:104], v[77:78], v[75:76]
	s_waitcnt vmcnt(10) lgkmcnt(0)
	v_fma_f64 v[75:76], v[99:100], v[79:80], v[75:76]
	s_waitcnt vmcnt(5)
	v_fma_f64 v[79:80], v[105:106], v[81:82], v[75:76]
	ds_read2_b64 v[75:78], v0 offset0:69 offset1:70
	ds_read_b64 v[81:82], v0 offset:568
	s_waitcnt vmcnt(4) lgkmcnt(1)
	v_fma_f64 v[75:76], v[115:116], v[75:76], v[79:80]
	s_waitcnt vmcnt(2)
	v_fma_f64 v[75:76], v[73:74], v[77:78], v[75:76]
	s_waitcnt lgkmcnt(0)
	v_fma_f64 v[75:76], v[107:108], v[81:82], v[75:76]
	s_waitcnt vmcnt(0)
	v_add_f64 v[75:76], v[83:84], -v[75:76]
	buffer_store_dword v76, off, s[0:3], 0 offset:4
	buffer_store_dword v75, off, s[0:3], 0
	s_cbranch_vccz .LBB99_296
; %bb.226:
	global_load_dword v0, v0, s[12:13] offset:136
	s_waitcnt vmcnt(0)
	v_add_nc_u32_e32 v0, -1, v0
	v_cmp_ne_u32_e32 vcc_lo, 34, v0
	s_cbranch_vccz .LBB99_228
; %bb.227:
	v_lshlrev_b32_e32 v0, 3, v0
	s_clause 0x1
	buffer_load_dword v75, v0, s[0:3], 0 offen offset:4
	buffer_load_dword v76, v0, s[0:3], 0 offen
	s_waitcnt vmcnt(1)
	buffer_store_dword v75, off, s[0:3], 0 offset:276
	s_waitcnt vmcnt(0)
	buffer_store_dword v76, off, s[0:3], 0 offset:272
	buffer_store_dword v74, v0, s[0:3], 0 offen offset:4
	buffer_store_dword v73, v0, s[0:3], 0 offen
.LBB99_228:
	v_mov_b32_e32 v0, 0
	global_load_dword v73, v0, s[12:13] offset:132
	s_waitcnt vmcnt(0)
	v_add_nc_u32_e32 v73, -1, v73
	v_cmp_eq_u32_e32 vcc_lo, 33, v73
	s_cbranch_vccnz .LBB99_230
; %bb.229:
	v_lshlrev_b32_e32 v73, 3, v73
	s_clause 0x3
	buffer_load_dword v74, v73, s[0:3], 0 offen
	buffer_load_dword v75, v73, s[0:3], 0 offen offset:4
	buffer_load_dword v76, off, s[0:3], 0 offset:264
	buffer_load_dword v77, off, s[0:3], 0 offset:268
	s_waitcnt vmcnt(3)
	buffer_store_dword v74, off, s[0:3], 0 offset:264
	s_waitcnt vmcnt(2)
	buffer_store_dword v75, off, s[0:3], 0 offset:268
	s_waitcnt vmcnt(1)
	buffer_store_dword v76, v73, s[0:3], 0 offen
	s_waitcnt vmcnt(0)
	buffer_store_dword v77, v73, s[0:3], 0 offen offset:4
.LBB99_230:
	global_load_dword v0, v0, s[12:13] offset:128
	s_waitcnt vmcnt(0)
	v_add_nc_u32_e32 v0, -1, v0
	v_cmp_eq_u32_e32 vcc_lo, 32, v0
	s_cbranch_vccnz .LBB99_232
; %bb.231:
	v_lshlrev_b32_e32 v0, 3, v0
	s_clause 0x3
	buffer_load_dword v73, v0, s[0:3], 0 offen
	buffer_load_dword v74, v0, s[0:3], 0 offen offset:4
	buffer_load_dword v75, off, s[0:3], 0 offset:260
	buffer_load_dword v76, off, s[0:3], 0 offset:256
	s_waitcnt vmcnt(3)
	buffer_store_dword v73, off, s[0:3], 0 offset:256
	s_waitcnt vmcnt(2)
	buffer_store_dword v74, off, s[0:3], 0 offset:260
	s_waitcnt vmcnt(1)
	buffer_store_dword v75, v0, s[0:3], 0 offen offset:4
	s_waitcnt vmcnt(0)
	buffer_store_dword v76, v0, s[0:3], 0 offen
.LBB99_232:
	v_mov_b32_e32 v0, 0
	global_load_dword v73, v0, s[12:13] offset:124
	s_waitcnt vmcnt(0)
	v_add_nc_u32_e32 v73, -1, v73
	v_cmp_eq_u32_e32 vcc_lo, 31, v73
	s_cbranch_vccnz .LBB99_234
; %bb.233:
	v_lshlrev_b32_e32 v73, 3, v73
	s_clause 0x3
	buffer_load_dword v74, v73, s[0:3], 0 offen
	buffer_load_dword v75, v73, s[0:3], 0 offen offset:4
	buffer_load_dword v76, off, s[0:3], 0 offset:248
	buffer_load_dword v77, off, s[0:3], 0 offset:252
	s_waitcnt vmcnt(3)
	buffer_store_dword v74, off, s[0:3], 0 offset:248
	s_waitcnt vmcnt(2)
	buffer_store_dword v75, off, s[0:3], 0 offset:252
	s_waitcnt vmcnt(1)
	buffer_store_dword v76, v73, s[0:3], 0 offen
	s_waitcnt vmcnt(0)
	buffer_store_dword v77, v73, s[0:3], 0 offen offset:4
.LBB99_234:
	global_load_dword v0, v0, s[12:13] offset:120
	s_waitcnt vmcnt(0)
	v_add_nc_u32_e32 v0, -1, v0
	v_cmp_eq_u32_e32 vcc_lo, 30, v0
	s_cbranch_vccnz .LBB99_236
; %bb.235:
	v_lshlrev_b32_e32 v0, 3, v0
	s_clause 0x3
	buffer_load_dword v73, v0, s[0:3], 0 offen
	buffer_load_dword v74, v0, s[0:3], 0 offen offset:4
	buffer_load_dword v75, off, s[0:3], 0 offset:244
	buffer_load_dword v76, off, s[0:3], 0 offset:240
	s_waitcnt vmcnt(3)
	buffer_store_dword v73, off, s[0:3], 0 offset:240
	s_waitcnt vmcnt(2)
	buffer_store_dword v74, off, s[0:3], 0 offset:244
	s_waitcnt vmcnt(1)
	buffer_store_dword v75, v0, s[0:3], 0 offen offset:4
	s_waitcnt vmcnt(0)
	buffer_store_dword v76, v0, s[0:3], 0 offen
.LBB99_236:
	v_mov_b32_e32 v0, 0
	global_load_dword v73, v0, s[12:13] offset:116
	s_waitcnt vmcnt(0)
	v_add_nc_u32_e32 v73, -1, v73
	v_cmp_eq_u32_e32 vcc_lo, 29, v73
	s_cbranch_vccnz .LBB99_238
; %bb.237:
	v_lshlrev_b32_e32 v73, 3, v73
	s_clause 0x3
	buffer_load_dword v74, v73, s[0:3], 0 offen
	buffer_load_dword v75, v73, s[0:3], 0 offen offset:4
	buffer_load_dword v76, off, s[0:3], 0 offset:232
	buffer_load_dword v77, off, s[0:3], 0 offset:236
	s_waitcnt vmcnt(3)
	buffer_store_dword v74, off, s[0:3], 0 offset:232
	s_waitcnt vmcnt(2)
	buffer_store_dword v75, off, s[0:3], 0 offset:236
	s_waitcnt vmcnt(1)
	buffer_store_dword v76, v73, s[0:3], 0 offen
	s_waitcnt vmcnt(0)
	buffer_store_dword v77, v73, s[0:3], 0 offen offset:4
.LBB99_238:
	global_load_dword v0, v0, s[12:13] offset:112
	s_waitcnt vmcnt(0)
	v_add_nc_u32_e32 v0, -1, v0
	v_cmp_eq_u32_e32 vcc_lo, 28, v0
	s_cbranch_vccnz .LBB99_240
; %bb.239:
	v_lshlrev_b32_e32 v0, 3, v0
	s_clause 0x3
	buffer_load_dword v73, v0, s[0:3], 0 offen
	buffer_load_dword v74, v0, s[0:3], 0 offen offset:4
	buffer_load_dword v75, off, s[0:3], 0 offset:228
	buffer_load_dword v76, off, s[0:3], 0 offset:224
	s_waitcnt vmcnt(3)
	buffer_store_dword v73, off, s[0:3], 0 offset:224
	s_waitcnt vmcnt(2)
	buffer_store_dword v74, off, s[0:3], 0 offset:228
	s_waitcnt vmcnt(1)
	buffer_store_dword v75, v0, s[0:3], 0 offen offset:4
	s_waitcnt vmcnt(0)
	buffer_store_dword v76, v0, s[0:3], 0 offen
.LBB99_240:
	v_mov_b32_e32 v0, 0
	global_load_dword v73, v0, s[12:13] offset:108
	s_waitcnt vmcnt(0)
	v_add_nc_u32_e32 v73, -1, v73
	v_cmp_eq_u32_e32 vcc_lo, 27, v73
	s_cbranch_vccnz .LBB99_242
; %bb.241:
	v_lshlrev_b32_e32 v73, 3, v73
	s_clause 0x3
	buffer_load_dword v74, v73, s[0:3], 0 offen
	buffer_load_dword v75, v73, s[0:3], 0 offen offset:4
	buffer_load_dword v76, off, s[0:3], 0 offset:216
	buffer_load_dword v77, off, s[0:3], 0 offset:220
	s_waitcnt vmcnt(3)
	buffer_store_dword v74, off, s[0:3], 0 offset:216
	s_waitcnt vmcnt(2)
	buffer_store_dword v75, off, s[0:3], 0 offset:220
	s_waitcnt vmcnt(1)
	buffer_store_dword v76, v73, s[0:3], 0 offen
	s_waitcnt vmcnt(0)
	buffer_store_dword v77, v73, s[0:3], 0 offen offset:4
.LBB99_242:
	global_load_dword v0, v0, s[12:13] offset:104
	s_waitcnt vmcnt(0)
	v_add_nc_u32_e32 v0, -1, v0
	v_cmp_eq_u32_e32 vcc_lo, 26, v0
	s_cbranch_vccnz .LBB99_244
; %bb.243:
	v_lshlrev_b32_e32 v0, 3, v0
	s_clause 0x3
	buffer_load_dword v73, v0, s[0:3], 0 offen
	buffer_load_dword v74, v0, s[0:3], 0 offen offset:4
	buffer_load_dword v75, off, s[0:3], 0 offset:212
	buffer_load_dword v76, off, s[0:3], 0 offset:208
	s_waitcnt vmcnt(3)
	buffer_store_dword v73, off, s[0:3], 0 offset:208
	s_waitcnt vmcnt(2)
	buffer_store_dword v74, off, s[0:3], 0 offset:212
	s_waitcnt vmcnt(1)
	buffer_store_dword v75, v0, s[0:3], 0 offen offset:4
	s_waitcnt vmcnt(0)
	buffer_store_dword v76, v0, s[0:3], 0 offen
.LBB99_244:
	v_mov_b32_e32 v0, 0
	global_load_dword v73, v0, s[12:13] offset:100
	s_waitcnt vmcnt(0)
	v_add_nc_u32_e32 v73, -1, v73
	v_cmp_eq_u32_e32 vcc_lo, 25, v73
	s_cbranch_vccnz .LBB99_246
; %bb.245:
	v_lshlrev_b32_e32 v73, 3, v73
	s_clause 0x3
	buffer_load_dword v74, v73, s[0:3], 0 offen
	buffer_load_dword v75, v73, s[0:3], 0 offen offset:4
	buffer_load_dword v76, off, s[0:3], 0 offset:200
	buffer_load_dword v77, off, s[0:3], 0 offset:204
	s_waitcnt vmcnt(3)
	buffer_store_dword v74, off, s[0:3], 0 offset:200
	s_waitcnt vmcnt(2)
	buffer_store_dword v75, off, s[0:3], 0 offset:204
	s_waitcnt vmcnt(1)
	buffer_store_dword v76, v73, s[0:3], 0 offen
	s_waitcnt vmcnt(0)
	buffer_store_dword v77, v73, s[0:3], 0 offen offset:4
.LBB99_246:
	global_load_dword v0, v0, s[12:13] offset:96
	s_waitcnt vmcnt(0)
	v_add_nc_u32_e32 v0, -1, v0
	v_cmp_eq_u32_e32 vcc_lo, 24, v0
	s_cbranch_vccnz .LBB99_248
; %bb.247:
	v_lshlrev_b32_e32 v0, 3, v0
	s_clause 0x3
	buffer_load_dword v73, v0, s[0:3], 0 offen
	buffer_load_dword v74, v0, s[0:3], 0 offen offset:4
	buffer_load_dword v75, off, s[0:3], 0 offset:196
	buffer_load_dword v76, off, s[0:3], 0 offset:192
	s_waitcnt vmcnt(3)
	buffer_store_dword v73, off, s[0:3], 0 offset:192
	s_waitcnt vmcnt(2)
	buffer_store_dword v74, off, s[0:3], 0 offset:196
	s_waitcnt vmcnt(1)
	buffer_store_dword v75, v0, s[0:3], 0 offen offset:4
	s_waitcnt vmcnt(0)
	buffer_store_dword v76, v0, s[0:3], 0 offen
.LBB99_248:
	v_mov_b32_e32 v0, 0
	global_load_dword v73, v0, s[12:13] offset:92
	s_waitcnt vmcnt(0)
	v_add_nc_u32_e32 v73, -1, v73
	v_cmp_eq_u32_e32 vcc_lo, 23, v73
	s_cbranch_vccnz .LBB99_250
; %bb.249:
	v_lshlrev_b32_e32 v73, 3, v73
	s_clause 0x3
	buffer_load_dword v74, v73, s[0:3], 0 offen
	buffer_load_dword v75, v73, s[0:3], 0 offen offset:4
	buffer_load_dword v76, off, s[0:3], 0 offset:184
	buffer_load_dword v77, off, s[0:3], 0 offset:188
	s_waitcnt vmcnt(3)
	buffer_store_dword v74, off, s[0:3], 0 offset:184
	s_waitcnt vmcnt(2)
	buffer_store_dword v75, off, s[0:3], 0 offset:188
	s_waitcnt vmcnt(1)
	buffer_store_dword v76, v73, s[0:3], 0 offen
	s_waitcnt vmcnt(0)
	buffer_store_dword v77, v73, s[0:3], 0 offen offset:4
.LBB99_250:
	global_load_dword v0, v0, s[12:13] offset:88
	s_waitcnt vmcnt(0)
	v_add_nc_u32_e32 v0, -1, v0
	v_cmp_eq_u32_e32 vcc_lo, 22, v0
	s_cbranch_vccnz .LBB99_252
; %bb.251:
	v_lshlrev_b32_e32 v0, 3, v0
	s_clause 0x3
	buffer_load_dword v73, v0, s[0:3], 0 offen
	buffer_load_dword v74, v0, s[0:3], 0 offen offset:4
	buffer_load_dword v75, off, s[0:3], 0 offset:180
	buffer_load_dword v76, off, s[0:3], 0 offset:176
	s_waitcnt vmcnt(3)
	buffer_store_dword v73, off, s[0:3], 0 offset:176
	s_waitcnt vmcnt(2)
	buffer_store_dword v74, off, s[0:3], 0 offset:180
	s_waitcnt vmcnt(1)
	buffer_store_dword v75, v0, s[0:3], 0 offen offset:4
	s_waitcnt vmcnt(0)
	buffer_store_dword v76, v0, s[0:3], 0 offen
.LBB99_252:
	v_mov_b32_e32 v0, 0
	global_load_dword v73, v0, s[12:13] offset:84
	s_waitcnt vmcnt(0)
	v_add_nc_u32_e32 v73, -1, v73
	v_cmp_eq_u32_e32 vcc_lo, 21, v73
	s_cbranch_vccnz .LBB99_254
; %bb.253:
	v_lshlrev_b32_e32 v73, 3, v73
	s_clause 0x3
	buffer_load_dword v74, v73, s[0:3], 0 offen
	buffer_load_dword v75, v73, s[0:3], 0 offen offset:4
	buffer_load_dword v76, off, s[0:3], 0 offset:168
	buffer_load_dword v77, off, s[0:3], 0 offset:172
	s_waitcnt vmcnt(3)
	buffer_store_dword v74, off, s[0:3], 0 offset:168
	s_waitcnt vmcnt(2)
	buffer_store_dword v75, off, s[0:3], 0 offset:172
	s_waitcnt vmcnt(1)
	buffer_store_dword v76, v73, s[0:3], 0 offen
	s_waitcnt vmcnt(0)
	buffer_store_dword v77, v73, s[0:3], 0 offen offset:4
.LBB99_254:
	global_load_dword v0, v0, s[12:13] offset:80
	s_waitcnt vmcnt(0)
	v_add_nc_u32_e32 v0, -1, v0
	v_cmp_eq_u32_e32 vcc_lo, 20, v0
	s_cbranch_vccnz .LBB99_256
; %bb.255:
	v_lshlrev_b32_e32 v0, 3, v0
	s_clause 0x3
	buffer_load_dword v73, v0, s[0:3], 0 offen
	buffer_load_dword v74, v0, s[0:3], 0 offen offset:4
	buffer_load_dword v75, off, s[0:3], 0 offset:164
	buffer_load_dword v76, off, s[0:3], 0 offset:160
	s_waitcnt vmcnt(3)
	buffer_store_dword v73, off, s[0:3], 0 offset:160
	s_waitcnt vmcnt(2)
	buffer_store_dword v74, off, s[0:3], 0 offset:164
	s_waitcnt vmcnt(1)
	buffer_store_dword v75, v0, s[0:3], 0 offen offset:4
	s_waitcnt vmcnt(0)
	buffer_store_dword v76, v0, s[0:3], 0 offen
.LBB99_256:
	v_mov_b32_e32 v0, 0
	global_load_dword v73, v0, s[12:13] offset:76
	s_waitcnt vmcnt(0)
	v_add_nc_u32_e32 v73, -1, v73
	v_cmp_eq_u32_e32 vcc_lo, 19, v73
	s_cbranch_vccnz .LBB99_258
; %bb.257:
	v_lshlrev_b32_e32 v73, 3, v73
	s_clause 0x3
	buffer_load_dword v74, v73, s[0:3], 0 offen
	buffer_load_dword v75, v73, s[0:3], 0 offen offset:4
	buffer_load_dword v76, off, s[0:3], 0 offset:152
	buffer_load_dword v77, off, s[0:3], 0 offset:156
	s_waitcnt vmcnt(3)
	buffer_store_dword v74, off, s[0:3], 0 offset:152
	s_waitcnt vmcnt(2)
	buffer_store_dword v75, off, s[0:3], 0 offset:156
	s_waitcnt vmcnt(1)
	buffer_store_dword v76, v73, s[0:3], 0 offen
	s_waitcnt vmcnt(0)
	buffer_store_dword v77, v73, s[0:3], 0 offen offset:4
.LBB99_258:
	global_load_dword v0, v0, s[12:13] offset:72
	s_waitcnt vmcnt(0)
	v_add_nc_u32_e32 v0, -1, v0
	v_cmp_eq_u32_e32 vcc_lo, 18, v0
	s_cbranch_vccnz .LBB99_260
; %bb.259:
	v_lshlrev_b32_e32 v0, 3, v0
	s_clause 0x3
	buffer_load_dword v73, v0, s[0:3], 0 offen
	buffer_load_dword v74, v0, s[0:3], 0 offen offset:4
	buffer_load_dword v75, off, s[0:3], 0 offset:148
	buffer_load_dword v76, off, s[0:3], 0 offset:144
	s_waitcnt vmcnt(3)
	buffer_store_dword v73, off, s[0:3], 0 offset:144
	s_waitcnt vmcnt(2)
	buffer_store_dword v74, off, s[0:3], 0 offset:148
	s_waitcnt vmcnt(1)
	buffer_store_dword v75, v0, s[0:3], 0 offen offset:4
	s_waitcnt vmcnt(0)
	buffer_store_dword v76, v0, s[0:3], 0 offen
.LBB99_260:
	v_mov_b32_e32 v0, 0
	global_load_dword v73, v0, s[12:13] offset:68
	s_waitcnt vmcnt(0)
	v_add_nc_u32_e32 v73, -1, v73
	v_cmp_eq_u32_e32 vcc_lo, 17, v73
	s_cbranch_vccnz .LBB99_262
; %bb.261:
	v_lshlrev_b32_e32 v73, 3, v73
	s_clause 0x3
	buffer_load_dword v74, v73, s[0:3], 0 offen
	buffer_load_dword v75, v73, s[0:3], 0 offen offset:4
	buffer_load_dword v76, off, s[0:3], 0 offset:136
	buffer_load_dword v77, off, s[0:3], 0 offset:140
	s_waitcnt vmcnt(3)
	buffer_store_dword v74, off, s[0:3], 0 offset:136
	s_waitcnt vmcnt(2)
	buffer_store_dword v75, off, s[0:3], 0 offset:140
	s_waitcnt vmcnt(1)
	buffer_store_dword v76, v73, s[0:3], 0 offen
	s_waitcnt vmcnt(0)
	buffer_store_dword v77, v73, s[0:3], 0 offen offset:4
.LBB99_262:
	global_load_dword v0, v0, s[12:13] offset:64
	s_waitcnt vmcnt(0)
	v_add_nc_u32_e32 v0, -1, v0
	v_cmp_eq_u32_e32 vcc_lo, 16, v0
	s_cbranch_vccnz .LBB99_264
; %bb.263:
	v_lshlrev_b32_e32 v0, 3, v0
	s_clause 0x3
	buffer_load_dword v73, v0, s[0:3], 0 offen
	buffer_load_dword v74, v0, s[0:3], 0 offen offset:4
	buffer_load_dword v75, off, s[0:3], 0 offset:132
	buffer_load_dword v76, off, s[0:3], 0 offset:128
	s_waitcnt vmcnt(3)
	buffer_store_dword v73, off, s[0:3], 0 offset:128
	s_waitcnt vmcnt(2)
	buffer_store_dword v74, off, s[0:3], 0 offset:132
	s_waitcnt vmcnt(1)
	buffer_store_dword v75, v0, s[0:3], 0 offen offset:4
	s_waitcnt vmcnt(0)
	buffer_store_dword v76, v0, s[0:3], 0 offen
.LBB99_264:
	v_mov_b32_e32 v0, 0
	global_load_dword v73, v0, s[12:13] offset:60
	s_waitcnt vmcnt(0)
	v_add_nc_u32_e32 v73, -1, v73
	v_cmp_eq_u32_e32 vcc_lo, 15, v73
	s_cbranch_vccnz .LBB99_266
; %bb.265:
	v_lshlrev_b32_e32 v73, 3, v73
	s_clause 0x3
	buffer_load_dword v74, v73, s[0:3], 0 offen
	buffer_load_dword v75, v73, s[0:3], 0 offen offset:4
	buffer_load_dword v76, off, s[0:3], 0 offset:120
	buffer_load_dword v77, off, s[0:3], 0 offset:124
	s_waitcnt vmcnt(3)
	buffer_store_dword v74, off, s[0:3], 0 offset:120
	s_waitcnt vmcnt(2)
	buffer_store_dword v75, off, s[0:3], 0 offset:124
	s_waitcnt vmcnt(1)
	buffer_store_dword v76, v73, s[0:3], 0 offen
	s_waitcnt vmcnt(0)
	buffer_store_dword v77, v73, s[0:3], 0 offen offset:4
.LBB99_266:
	global_load_dword v0, v0, s[12:13] offset:56
	s_waitcnt vmcnt(0)
	v_add_nc_u32_e32 v0, -1, v0
	v_cmp_eq_u32_e32 vcc_lo, 14, v0
	s_cbranch_vccnz .LBB99_268
; %bb.267:
	v_lshlrev_b32_e32 v0, 3, v0
	s_clause 0x3
	buffer_load_dword v73, v0, s[0:3], 0 offen
	buffer_load_dword v74, v0, s[0:3], 0 offen offset:4
	buffer_load_dword v75, off, s[0:3], 0 offset:116
	buffer_load_dword v76, off, s[0:3], 0 offset:112
	s_waitcnt vmcnt(3)
	buffer_store_dword v73, off, s[0:3], 0 offset:112
	s_waitcnt vmcnt(2)
	buffer_store_dword v74, off, s[0:3], 0 offset:116
	s_waitcnt vmcnt(1)
	buffer_store_dword v75, v0, s[0:3], 0 offen offset:4
	s_waitcnt vmcnt(0)
	buffer_store_dword v76, v0, s[0:3], 0 offen
.LBB99_268:
	v_mov_b32_e32 v0, 0
	global_load_dword v73, v0, s[12:13] offset:52
	s_waitcnt vmcnt(0)
	v_add_nc_u32_e32 v73, -1, v73
	v_cmp_eq_u32_e32 vcc_lo, 13, v73
	s_cbranch_vccnz .LBB99_270
; %bb.269:
	v_lshlrev_b32_e32 v73, 3, v73
	s_clause 0x3
	buffer_load_dword v74, v73, s[0:3], 0 offen
	buffer_load_dword v75, v73, s[0:3], 0 offen offset:4
	buffer_load_dword v76, off, s[0:3], 0 offset:104
	buffer_load_dword v77, off, s[0:3], 0 offset:108
	s_waitcnt vmcnt(3)
	buffer_store_dword v74, off, s[0:3], 0 offset:104
	s_waitcnt vmcnt(2)
	buffer_store_dword v75, off, s[0:3], 0 offset:108
	s_waitcnt vmcnt(1)
	buffer_store_dword v76, v73, s[0:3], 0 offen
	s_waitcnt vmcnt(0)
	buffer_store_dword v77, v73, s[0:3], 0 offen offset:4
.LBB99_270:
	global_load_dword v0, v0, s[12:13] offset:48
	s_waitcnt vmcnt(0)
	v_add_nc_u32_e32 v0, -1, v0
	v_cmp_eq_u32_e32 vcc_lo, 12, v0
	s_cbranch_vccnz .LBB99_272
; %bb.271:
	v_lshlrev_b32_e32 v0, 3, v0
	s_clause 0x3
	buffer_load_dword v73, v0, s[0:3], 0 offen
	buffer_load_dword v74, v0, s[0:3], 0 offen offset:4
	buffer_load_dword v75, off, s[0:3], 0 offset:100
	buffer_load_dword v76, off, s[0:3], 0 offset:96
	s_waitcnt vmcnt(3)
	buffer_store_dword v73, off, s[0:3], 0 offset:96
	s_waitcnt vmcnt(2)
	buffer_store_dword v74, off, s[0:3], 0 offset:100
	s_waitcnt vmcnt(1)
	buffer_store_dword v75, v0, s[0:3], 0 offen offset:4
	s_waitcnt vmcnt(0)
	buffer_store_dword v76, v0, s[0:3], 0 offen
.LBB99_272:
	v_mov_b32_e32 v0, 0
	global_load_dword v73, v0, s[12:13] offset:44
	s_waitcnt vmcnt(0)
	v_add_nc_u32_e32 v73, -1, v73
	v_cmp_eq_u32_e32 vcc_lo, 11, v73
	s_cbranch_vccnz .LBB99_274
; %bb.273:
	v_lshlrev_b32_e32 v73, 3, v73
	s_clause 0x3
	buffer_load_dword v74, v73, s[0:3], 0 offen
	buffer_load_dword v75, v73, s[0:3], 0 offen offset:4
	buffer_load_dword v76, off, s[0:3], 0 offset:88
	buffer_load_dword v77, off, s[0:3], 0 offset:92
	s_waitcnt vmcnt(3)
	buffer_store_dword v74, off, s[0:3], 0 offset:88
	s_waitcnt vmcnt(2)
	buffer_store_dword v75, off, s[0:3], 0 offset:92
	s_waitcnt vmcnt(1)
	buffer_store_dword v76, v73, s[0:3], 0 offen
	s_waitcnt vmcnt(0)
	buffer_store_dword v77, v73, s[0:3], 0 offen offset:4
.LBB99_274:
	global_load_dword v0, v0, s[12:13] offset:40
	s_waitcnt vmcnt(0)
	v_add_nc_u32_e32 v0, -1, v0
	v_cmp_eq_u32_e32 vcc_lo, 10, v0
	s_cbranch_vccnz .LBB99_276
; %bb.275:
	v_lshlrev_b32_e32 v0, 3, v0
	s_clause 0x3
	buffer_load_dword v73, v0, s[0:3], 0 offen
	buffer_load_dword v74, v0, s[0:3], 0 offen offset:4
	buffer_load_dword v75, off, s[0:3], 0 offset:84
	buffer_load_dword v76, off, s[0:3], 0 offset:80
	s_waitcnt vmcnt(3)
	buffer_store_dword v73, off, s[0:3], 0 offset:80
	s_waitcnt vmcnt(2)
	buffer_store_dword v74, off, s[0:3], 0 offset:84
	s_waitcnt vmcnt(1)
	buffer_store_dword v75, v0, s[0:3], 0 offen offset:4
	s_waitcnt vmcnt(0)
	buffer_store_dword v76, v0, s[0:3], 0 offen
.LBB99_276:
	v_mov_b32_e32 v0, 0
	global_load_dword v73, v0, s[12:13] offset:36
	s_waitcnt vmcnt(0)
	v_add_nc_u32_e32 v73, -1, v73
	v_cmp_eq_u32_e32 vcc_lo, 9, v73
	s_cbranch_vccnz .LBB99_278
; %bb.277:
	v_lshlrev_b32_e32 v73, 3, v73
	s_clause 0x3
	buffer_load_dword v74, v73, s[0:3], 0 offen
	buffer_load_dword v75, v73, s[0:3], 0 offen offset:4
	buffer_load_dword v76, off, s[0:3], 0 offset:72
	buffer_load_dword v77, off, s[0:3], 0 offset:76
	s_waitcnt vmcnt(3)
	buffer_store_dword v74, off, s[0:3], 0 offset:72
	s_waitcnt vmcnt(2)
	buffer_store_dword v75, off, s[0:3], 0 offset:76
	s_waitcnt vmcnt(1)
	buffer_store_dword v76, v73, s[0:3], 0 offen
	s_waitcnt vmcnt(0)
	buffer_store_dword v77, v73, s[0:3], 0 offen offset:4
.LBB99_278:
	global_load_dword v0, v0, s[12:13] offset:32
	s_waitcnt vmcnt(0)
	v_add_nc_u32_e32 v0, -1, v0
	v_cmp_eq_u32_e32 vcc_lo, 8, v0
	s_cbranch_vccnz .LBB99_280
; %bb.279:
	v_lshlrev_b32_e32 v0, 3, v0
	s_clause 0x3
	buffer_load_dword v73, v0, s[0:3], 0 offen
	buffer_load_dword v74, v0, s[0:3], 0 offen offset:4
	buffer_load_dword v75, off, s[0:3], 0 offset:68
	buffer_load_dword v76, off, s[0:3], 0 offset:64
	s_waitcnt vmcnt(3)
	buffer_store_dword v73, off, s[0:3], 0 offset:64
	s_waitcnt vmcnt(2)
	buffer_store_dword v74, off, s[0:3], 0 offset:68
	s_waitcnt vmcnt(1)
	buffer_store_dword v75, v0, s[0:3], 0 offen offset:4
	s_waitcnt vmcnt(0)
	buffer_store_dword v76, v0, s[0:3], 0 offen
.LBB99_280:
	v_mov_b32_e32 v0, 0
	global_load_dword v73, v0, s[12:13] offset:28
	s_waitcnt vmcnt(0)
	v_add_nc_u32_e32 v73, -1, v73
	v_cmp_eq_u32_e32 vcc_lo, 7, v73
	s_cbranch_vccnz .LBB99_282
; %bb.281:
	v_lshlrev_b32_e32 v73, 3, v73
	s_clause 0x3
	buffer_load_dword v74, v73, s[0:3], 0 offen
	buffer_load_dword v75, v73, s[0:3], 0 offen offset:4
	buffer_load_dword v76, off, s[0:3], 0 offset:56
	buffer_load_dword v77, off, s[0:3], 0 offset:60
	s_waitcnt vmcnt(3)
	buffer_store_dword v74, off, s[0:3], 0 offset:56
	s_waitcnt vmcnt(2)
	buffer_store_dword v75, off, s[0:3], 0 offset:60
	s_waitcnt vmcnt(1)
	buffer_store_dword v76, v73, s[0:3], 0 offen
	s_waitcnt vmcnt(0)
	buffer_store_dword v77, v73, s[0:3], 0 offen offset:4
.LBB99_282:
	global_load_dword v0, v0, s[12:13] offset:24
	s_waitcnt vmcnt(0)
	v_add_nc_u32_e32 v0, -1, v0
	v_cmp_eq_u32_e32 vcc_lo, 6, v0
	s_cbranch_vccnz .LBB99_284
; %bb.283:
	v_lshlrev_b32_e32 v0, 3, v0
	s_clause 0x3
	buffer_load_dword v73, v0, s[0:3], 0 offen
	buffer_load_dword v74, v0, s[0:3], 0 offen offset:4
	buffer_load_dword v75, off, s[0:3], 0 offset:52
	buffer_load_dword v76, off, s[0:3], 0 offset:48
	s_waitcnt vmcnt(3)
	buffer_store_dword v73, off, s[0:3], 0 offset:48
	s_waitcnt vmcnt(2)
	buffer_store_dword v74, off, s[0:3], 0 offset:52
	s_waitcnt vmcnt(1)
	buffer_store_dword v75, v0, s[0:3], 0 offen offset:4
	s_waitcnt vmcnt(0)
	buffer_store_dword v76, v0, s[0:3], 0 offen
.LBB99_284:
	v_mov_b32_e32 v0, 0
	global_load_dword v73, v0, s[12:13] offset:20
	s_waitcnt vmcnt(0)
	v_add_nc_u32_e32 v73, -1, v73
	v_cmp_eq_u32_e32 vcc_lo, 5, v73
	s_cbranch_vccnz .LBB99_286
; %bb.285:
	v_lshlrev_b32_e32 v73, 3, v73
	s_clause 0x3
	buffer_load_dword v74, v73, s[0:3], 0 offen
	buffer_load_dword v75, v73, s[0:3], 0 offen offset:4
	buffer_load_dword v76, off, s[0:3], 0 offset:40
	buffer_load_dword v77, off, s[0:3], 0 offset:44
	s_waitcnt vmcnt(3)
	buffer_store_dword v74, off, s[0:3], 0 offset:40
	s_waitcnt vmcnt(2)
	buffer_store_dword v75, off, s[0:3], 0 offset:44
	s_waitcnt vmcnt(1)
	buffer_store_dword v76, v73, s[0:3], 0 offen
	s_waitcnt vmcnt(0)
	buffer_store_dword v77, v73, s[0:3], 0 offen offset:4
.LBB99_286:
	global_load_dword v0, v0, s[12:13] offset:16
	s_waitcnt vmcnt(0)
	v_add_nc_u32_e32 v0, -1, v0
	v_cmp_eq_u32_e32 vcc_lo, 4, v0
	s_cbranch_vccnz .LBB99_288
; %bb.287:
	v_lshlrev_b32_e32 v0, 3, v0
	s_clause 0x3
	buffer_load_dword v73, v0, s[0:3], 0 offen
	buffer_load_dword v74, v0, s[0:3], 0 offen offset:4
	buffer_load_dword v75, off, s[0:3], 0 offset:36
	buffer_load_dword v76, off, s[0:3], 0 offset:32
	s_waitcnt vmcnt(3)
	buffer_store_dword v73, off, s[0:3], 0 offset:32
	s_waitcnt vmcnt(2)
	buffer_store_dword v74, off, s[0:3], 0 offset:36
	s_waitcnt vmcnt(1)
	buffer_store_dword v75, v0, s[0:3], 0 offen offset:4
	s_waitcnt vmcnt(0)
	buffer_store_dword v76, v0, s[0:3], 0 offen
.LBB99_288:
	v_mov_b32_e32 v0, 0
	global_load_dword v73, v0, s[12:13] offset:12
	s_waitcnt vmcnt(0)
	v_add_nc_u32_e32 v73, -1, v73
	v_cmp_eq_u32_e32 vcc_lo, 3, v73
	s_cbranch_vccnz .LBB99_290
; %bb.289:
	v_lshlrev_b32_e32 v73, 3, v73
	s_clause 0x3
	buffer_load_dword v74, v73, s[0:3], 0 offen
	buffer_load_dword v75, v73, s[0:3], 0 offen offset:4
	buffer_load_dword v76, off, s[0:3], 0 offset:24
	buffer_load_dword v77, off, s[0:3], 0 offset:28
	s_waitcnt vmcnt(3)
	buffer_store_dword v74, off, s[0:3], 0 offset:24
	s_waitcnt vmcnt(2)
	buffer_store_dword v75, off, s[0:3], 0 offset:28
	s_waitcnt vmcnt(1)
	buffer_store_dword v76, v73, s[0:3], 0 offen
	s_waitcnt vmcnt(0)
	buffer_store_dword v77, v73, s[0:3], 0 offen offset:4
.LBB99_290:
	global_load_dword v0, v0, s[12:13] offset:8
	s_waitcnt vmcnt(0)
	v_add_nc_u32_e32 v0, -1, v0
	v_cmp_eq_u32_e32 vcc_lo, 2, v0
	s_cbranch_vccnz .LBB99_292
; %bb.291:
	v_lshlrev_b32_e32 v0, 3, v0
	s_clause 0x3
	buffer_load_dword v73, v0, s[0:3], 0 offen
	buffer_load_dword v74, v0, s[0:3], 0 offen offset:4
	buffer_load_dword v75, off, s[0:3], 0 offset:20
	buffer_load_dword v76, off, s[0:3], 0 offset:16
	s_waitcnt vmcnt(3)
	buffer_store_dword v73, off, s[0:3], 0 offset:16
	s_waitcnt vmcnt(2)
	buffer_store_dword v74, off, s[0:3], 0 offset:20
	s_waitcnt vmcnt(1)
	buffer_store_dword v75, v0, s[0:3], 0 offen offset:4
	s_waitcnt vmcnt(0)
	buffer_store_dword v76, v0, s[0:3], 0 offen
.LBB99_292:
	v_mov_b32_e32 v0, 0
	global_load_dword v73, v0, s[12:13] offset:4
	s_waitcnt vmcnt(0)
	v_add_nc_u32_e32 v73, -1, v73
	v_cmp_eq_u32_e32 vcc_lo, 1, v73
	s_cbranch_vccnz .LBB99_294
; %bb.293:
	v_lshlrev_b32_e32 v73, 3, v73
	s_clause 0x3
	buffer_load_dword v74, v73, s[0:3], 0 offen
	buffer_load_dword v75, v73, s[0:3], 0 offen offset:4
	buffer_load_dword v76, off, s[0:3], 0 offset:8
	buffer_load_dword v77, off, s[0:3], 0 offset:12
	s_waitcnt vmcnt(3)
	buffer_store_dword v74, off, s[0:3], 0 offset:8
	s_waitcnt vmcnt(2)
	buffer_store_dword v75, off, s[0:3], 0 offset:12
	s_waitcnt vmcnt(1)
	buffer_store_dword v76, v73, s[0:3], 0 offen
	s_waitcnt vmcnt(0)
	buffer_store_dword v77, v73, s[0:3], 0 offen offset:4
.LBB99_294:
	global_load_dword v0, v0, s[12:13]
	s_clause 0x1
	buffer_load_dword v75, off, s[0:3], 0
	buffer_load_dword v76, off, s[0:3], 0 offset:4
	s_waitcnt vmcnt(2)
	v_add_nc_u32_e32 v0, -1, v0
	v_cmp_eq_u32_e32 vcc_lo, 0, v0
	s_cbranch_vccnz .LBB99_296
; %bb.295:
	v_lshlrev_b32_e32 v0, 3, v0
	s_clause 0x1
	buffer_load_dword v73, v0, s[0:3], 0 offen offset:4
	buffer_load_dword v74, v0, s[0:3], 0 offen
	s_waitcnt vmcnt(1)
	buffer_store_dword v73, off, s[0:3], 0 offset:4
	s_waitcnt vmcnt(0)
	buffer_store_dword v74, off, s[0:3], 0
	buffer_store_dword v76, v0, s[0:3], 0 offen offset:4
	buffer_store_dword v75, v0, s[0:3], 0 offen
	s_clause 0x1
	buffer_load_dword v75, off, s[0:3], 0
	buffer_load_dword v76, off, s[0:3], 0 offset:4
.LBB99_296:
	s_waitcnt vmcnt(0)
	flat_store_dwordx2 v[1:2], v[75:76]
	s_clause 0x1
	buffer_load_dword v0, off, s[0:3], 0 offset:8
	buffer_load_dword v1, off, s[0:3], 0 offset:12
	s_waitcnt vmcnt(0)
	flat_store_dwordx2 v[3:4], v[0:1]
	s_clause 0x1
	buffer_load_dword v0, off, s[0:3], 0 offset:16
	buffer_load_dword v1, off, s[0:3], 0 offset:20
	s_waitcnt vmcnt(0)
	flat_store_dwordx2 v[5:6], v[0:1]
	s_clause 0x1
	buffer_load_dword v0, off, s[0:3], 0 offset:24
	buffer_load_dword v1, off, s[0:3], 0 offset:28
	s_waitcnt vmcnt(0)
	flat_store_dwordx2 v[7:8], v[0:1]
	s_clause 0x1
	buffer_load_dword v0, off, s[0:3], 0 offset:32
	buffer_load_dword v1, off, s[0:3], 0 offset:36
	s_waitcnt vmcnt(0)
	flat_store_dwordx2 v[9:10], v[0:1]
	s_clause 0x1
	buffer_load_dword v0, off, s[0:3], 0 offset:40
	buffer_load_dword v1, off, s[0:3], 0 offset:44
	s_waitcnt vmcnt(0)
	flat_store_dwordx2 v[11:12], v[0:1]
	s_clause 0x1
	buffer_load_dword v0, off, s[0:3], 0 offset:48
	buffer_load_dword v1, off, s[0:3], 0 offset:52
	s_waitcnt vmcnt(0)
	flat_store_dwordx2 v[13:14], v[0:1]
	s_clause 0x1
	buffer_load_dword v0, off, s[0:3], 0 offset:56
	buffer_load_dword v1, off, s[0:3], 0 offset:60
	s_waitcnt vmcnt(0)
	flat_store_dwordx2 v[15:16], v[0:1]
	s_clause 0x1
	buffer_load_dword v0, off, s[0:3], 0 offset:64
	buffer_load_dword v1, off, s[0:3], 0 offset:68
	s_waitcnt vmcnt(0)
	flat_store_dwordx2 v[17:18], v[0:1]
	s_clause 0x1
	buffer_load_dword v0, off, s[0:3], 0 offset:72
	buffer_load_dword v1, off, s[0:3], 0 offset:76
	s_waitcnt vmcnt(0)
	flat_store_dwordx2 v[19:20], v[0:1]
	s_clause 0x1
	buffer_load_dword v0, off, s[0:3], 0 offset:80
	buffer_load_dword v1, off, s[0:3], 0 offset:84
	s_waitcnt vmcnt(0)
	flat_store_dwordx2 v[21:22], v[0:1]
	s_clause 0x1
	buffer_load_dword v0, off, s[0:3], 0 offset:88
	buffer_load_dword v1, off, s[0:3], 0 offset:92
	s_waitcnt vmcnt(0)
	flat_store_dwordx2 v[23:24], v[0:1]
	s_clause 0x1
	buffer_load_dword v0, off, s[0:3], 0 offset:96
	buffer_load_dword v1, off, s[0:3], 0 offset:100
	s_waitcnt vmcnt(0)
	flat_store_dwordx2 v[25:26], v[0:1]
	s_clause 0x1
	buffer_load_dword v0, off, s[0:3], 0 offset:104
	buffer_load_dword v1, off, s[0:3], 0 offset:108
	s_waitcnt vmcnt(0)
	flat_store_dwordx2 v[27:28], v[0:1]
	s_clause 0x1
	buffer_load_dword v0, off, s[0:3], 0 offset:112
	buffer_load_dword v1, off, s[0:3], 0 offset:116
	s_waitcnt vmcnt(0)
	flat_store_dwordx2 v[29:30], v[0:1]
	s_clause 0x1
	buffer_load_dword v0, off, s[0:3], 0 offset:120
	buffer_load_dword v1, off, s[0:3], 0 offset:124
	s_waitcnt vmcnt(0)
	flat_store_dwordx2 v[31:32], v[0:1]
	s_clause 0x1
	buffer_load_dword v0, off, s[0:3], 0 offset:128
	buffer_load_dword v1, off, s[0:3], 0 offset:132
	s_waitcnt vmcnt(0)
	flat_store_dwordx2 v[33:34], v[0:1]
	s_clause 0x1
	buffer_load_dword v0, off, s[0:3], 0 offset:136
	buffer_load_dword v1, off, s[0:3], 0 offset:140
	s_waitcnt vmcnt(0)
	flat_store_dwordx2 v[35:36], v[0:1]
	s_clause 0x1
	buffer_load_dword v0, off, s[0:3], 0 offset:144
	buffer_load_dword v1, off, s[0:3], 0 offset:148
	s_waitcnt vmcnt(0)
	flat_store_dwordx2 v[37:38], v[0:1]
	s_clause 0x1
	buffer_load_dword v0, off, s[0:3], 0 offset:152
	buffer_load_dword v1, off, s[0:3], 0 offset:156
	s_waitcnt vmcnt(0)
	flat_store_dwordx2 v[39:40], v[0:1]
	s_clause 0x1
	buffer_load_dword v0, off, s[0:3], 0 offset:160
	buffer_load_dword v1, off, s[0:3], 0 offset:164
	s_waitcnt vmcnt(0)
	flat_store_dwordx2 v[41:42], v[0:1]
	s_clause 0x1
	buffer_load_dword v0, off, s[0:3], 0 offset:168
	buffer_load_dword v1, off, s[0:3], 0 offset:172
	s_waitcnt vmcnt(0)
	flat_store_dwordx2 v[43:44], v[0:1]
	s_clause 0x1
	buffer_load_dword v0, off, s[0:3], 0 offset:176
	buffer_load_dword v1, off, s[0:3], 0 offset:180
	s_waitcnt vmcnt(0)
	flat_store_dwordx2 v[45:46], v[0:1]
	s_clause 0x1
	buffer_load_dword v0, off, s[0:3], 0 offset:184
	buffer_load_dword v1, off, s[0:3], 0 offset:188
	s_waitcnt vmcnt(0)
	flat_store_dwordx2 v[47:48], v[0:1]
	s_clause 0x1
	buffer_load_dword v0, off, s[0:3], 0 offset:192
	buffer_load_dword v1, off, s[0:3], 0 offset:196
	s_waitcnt vmcnt(0)
	flat_store_dwordx2 v[49:50], v[0:1]
	s_clause 0x1
	buffer_load_dword v0, off, s[0:3], 0 offset:200
	buffer_load_dword v1, off, s[0:3], 0 offset:204
	s_waitcnt vmcnt(0)
	flat_store_dwordx2 v[51:52], v[0:1]
	s_clause 0x1
	buffer_load_dword v0, off, s[0:3], 0 offset:208
	buffer_load_dword v1, off, s[0:3], 0 offset:212
	s_waitcnt vmcnt(0)
	flat_store_dwordx2 v[53:54], v[0:1]
	s_clause 0x1
	buffer_load_dword v0, off, s[0:3], 0 offset:216
	buffer_load_dword v1, off, s[0:3], 0 offset:220
	s_waitcnt vmcnt(0)
	flat_store_dwordx2 v[55:56], v[0:1]
	s_clause 0x1
	buffer_load_dword v0, off, s[0:3], 0 offset:224
	buffer_load_dword v1, off, s[0:3], 0 offset:228
	s_waitcnt vmcnt(0)
	flat_store_dwordx2 v[57:58], v[0:1]
	s_clause 0x1
	buffer_load_dword v0, off, s[0:3], 0 offset:232
	buffer_load_dword v1, off, s[0:3], 0 offset:236
	s_waitcnt vmcnt(0)
	flat_store_dwordx2 v[59:60], v[0:1]
	s_clause 0x1
	buffer_load_dword v0, off, s[0:3], 0 offset:240
	buffer_load_dword v1, off, s[0:3], 0 offset:244
	s_waitcnt vmcnt(0)
	flat_store_dwordx2 v[61:62], v[0:1]
	s_clause 0x1
	buffer_load_dword v0, off, s[0:3], 0 offset:248
	buffer_load_dword v1, off, s[0:3], 0 offset:252
	s_waitcnt vmcnt(0)
	flat_store_dwordx2 v[63:64], v[0:1]
	s_clause 0x1
	buffer_load_dword v0, off, s[0:3], 0 offset:256
	buffer_load_dword v1, off, s[0:3], 0 offset:260
	s_waitcnt vmcnt(0)
	flat_store_dwordx2 v[65:66], v[0:1]
	s_clause 0x1
	buffer_load_dword v0, off, s[0:3], 0 offset:264
	buffer_load_dword v1, off, s[0:3], 0 offset:268
	s_waitcnt vmcnt(0)
	flat_store_dwordx2 v[67:68], v[0:1]
	s_clause 0x1
	buffer_load_dword v0, off, s[0:3], 0 offset:272
	buffer_load_dword v1, off, s[0:3], 0 offset:276
	s_waitcnt vmcnt(0)
	flat_store_dwordx2 v[69:70], v[0:1]
	s_clause 0x1
	buffer_load_dword v0, off, s[0:3], 0 offset:280
	buffer_load_dword v1, off, s[0:3], 0 offset:284
	s_waitcnt vmcnt(0)
	flat_store_dwordx2 v[71:72], v[0:1]
	s_endpgm
	.section	.rodata,"a",@progbits
	.p2align	6, 0x0
	.amdhsa_kernel _ZN9rocsolver6v33100L18getri_kernel_smallILi36EdPKPdEEvT1_iilPiilS6_bb
		.amdhsa_group_segment_fixed_size 584
		.amdhsa_private_segment_fixed_size 304
		.amdhsa_kernarg_size 60
		.amdhsa_user_sgpr_count 6
		.amdhsa_user_sgpr_private_segment_buffer 1
		.amdhsa_user_sgpr_dispatch_ptr 0
		.amdhsa_user_sgpr_queue_ptr 0
		.amdhsa_user_sgpr_kernarg_segment_ptr 1
		.amdhsa_user_sgpr_dispatch_id 0
		.amdhsa_user_sgpr_flat_scratch_init 0
		.amdhsa_user_sgpr_private_segment_size 0
		.amdhsa_wavefront_size32 1
		.amdhsa_uses_dynamic_stack 0
		.amdhsa_system_sgpr_private_segment_wavefront_offset 1
		.amdhsa_system_sgpr_workgroup_id_x 1
		.amdhsa_system_sgpr_workgroup_id_y 0
		.amdhsa_system_sgpr_workgroup_id_z 0
		.amdhsa_system_sgpr_workgroup_info 0
		.amdhsa_system_vgpr_workitem_id 0
		.amdhsa_next_free_vgpr 119
		.amdhsa_next_free_sgpr 20
		.amdhsa_reserve_vcc 1
		.amdhsa_reserve_flat_scratch 0
		.amdhsa_float_round_mode_32 0
		.amdhsa_float_round_mode_16_64 0
		.amdhsa_float_denorm_mode_32 3
		.amdhsa_float_denorm_mode_16_64 3
		.amdhsa_dx10_clamp 1
		.amdhsa_ieee_mode 1
		.amdhsa_fp16_overflow 0
		.amdhsa_workgroup_processor_mode 1
		.amdhsa_memory_ordered 1
		.amdhsa_forward_progress 1
		.amdhsa_shared_vgpr_count 0
		.amdhsa_exception_fp_ieee_invalid_op 0
		.amdhsa_exception_fp_denorm_src 0
		.amdhsa_exception_fp_ieee_div_zero 0
		.amdhsa_exception_fp_ieee_overflow 0
		.amdhsa_exception_fp_ieee_underflow 0
		.amdhsa_exception_fp_ieee_inexact 0
		.amdhsa_exception_int_div_zero 0
	.end_amdhsa_kernel
	.section	.text._ZN9rocsolver6v33100L18getri_kernel_smallILi36EdPKPdEEvT1_iilPiilS6_bb,"axG",@progbits,_ZN9rocsolver6v33100L18getri_kernel_smallILi36EdPKPdEEvT1_iilPiilS6_bb,comdat
.Lfunc_end99:
	.size	_ZN9rocsolver6v33100L18getri_kernel_smallILi36EdPKPdEEvT1_iilPiilS6_bb, .Lfunc_end99-_ZN9rocsolver6v33100L18getri_kernel_smallILi36EdPKPdEEvT1_iilPiilS6_bb
                                        ; -- End function
	.set _ZN9rocsolver6v33100L18getri_kernel_smallILi36EdPKPdEEvT1_iilPiilS6_bb.num_vgpr, 119
	.set _ZN9rocsolver6v33100L18getri_kernel_smallILi36EdPKPdEEvT1_iilPiilS6_bb.num_agpr, 0
	.set _ZN9rocsolver6v33100L18getri_kernel_smallILi36EdPKPdEEvT1_iilPiilS6_bb.numbered_sgpr, 20
	.set _ZN9rocsolver6v33100L18getri_kernel_smallILi36EdPKPdEEvT1_iilPiilS6_bb.num_named_barrier, 0
	.set _ZN9rocsolver6v33100L18getri_kernel_smallILi36EdPKPdEEvT1_iilPiilS6_bb.private_seg_size, 304
	.set _ZN9rocsolver6v33100L18getri_kernel_smallILi36EdPKPdEEvT1_iilPiilS6_bb.uses_vcc, 1
	.set _ZN9rocsolver6v33100L18getri_kernel_smallILi36EdPKPdEEvT1_iilPiilS6_bb.uses_flat_scratch, 0
	.set _ZN9rocsolver6v33100L18getri_kernel_smallILi36EdPKPdEEvT1_iilPiilS6_bb.has_dyn_sized_stack, 0
	.set _ZN9rocsolver6v33100L18getri_kernel_smallILi36EdPKPdEEvT1_iilPiilS6_bb.has_recursion, 0
	.set _ZN9rocsolver6v33100L18getri_kernel_smallILi36EdPKPdEEvT1_iilPiilS6_bb.has_indirect_call, 0
	.section	.AMDGPU.csdata,"",@progbits
; Kernel info:
; codeLenInByte = 40904
; TotalNumSgprs: 22
; NumVgprs: 119
; ScratchSize: 304
; MemoryBound: 1
; FloatMode: 240
; IeeeMode: 1
; LDSByteSize: 584 bytes/workgroup (compile time only)
; SGPRBlocks: 0
; VGPRBlocks: 14
; NumSGPRsForWavesPerEU: 22
; NumVGPRsForWavesPerEU: 119
; Occupancy: 8
; WaveLimiterHint : 1
; COMPUTE_PGM_RSRC2:SCRATCH_EN: 1
; COMPUTE_PGM_RSRC2:USER_SGPR: 6
; COMPUTE_PGM_RSRC2:TRAP_HANDLER: 0
; COMPUTE_PGM_RSRC2:TGID_X_EN: 1
; COMPUTE_PGM_RSRC2:TGID_Y_EN: 0
; COMPUTE_PGM_RSRC2:TGID_Z_EN: 0
; COMPUTE_PGM_RSRC2:TIDIG_COMP_CNT: 0
	.section	.text._ZN9rocsolver6v33100L18getri_kernel_smallILi37EdPKPdEEvT1_iilPiilS6_bb,"axG",@progbits,_ZN9rocsolver6v33100L18getri_kernel_smallILi37EdPKPdEEvT1_iilPiilS6_bb,comdat
	.globl	_ZN9rocsolver6v33100L18getri_kernel_smallILi37EdPKPdEEvT1_iilPiilS6_bb ; -- Begin function _ZN9rocsolver6v33100L18getri_kernel_smallILi37EdPKPdEEvT1_iilPiilS6_bb
	.p2align	8
	.type	_ZN9rocsolver6v33100L18getri_kernel_smallILi37EdPKPdEEvT1_iilPiilS6_bb,@function
_ZN9rocsolver6v33100L18getri_kernel_smallILi37EdPKPdEEvT1_iilPiilS6_bb: ; @_ZN9rocsolver6v33100L18getri_kernel_smallILi37EdPKPdEEvT1_iilPiilS6_bb
; %bb.0:
	s_add_u32 s0, s0, s7
	s_addc_u32 s1, s1, 0
	s_mov_b32 s7, exec_lo
	v_cmpx_gt_u32_e32 37, v0
	s_cbranch_execz .LBB100_158
; %bb.1:
	s_clause 0x2
	s_load_dword s17, s[4:5], 0x38
	s_load_dwordx2 s[12:13], s[4:5], 0x0
	s_load_dwordx4 s[8:11], s[4:5], 0x28
	s_waitcnt lgkmcnt(0)
	s_bitcmp1_b32 s17, 8
	s_cselect_b32 s16, -1, 0
	s_ashr_i32 s7, s6, 31
	s_lshl_b64 s[14:15], s[6:7], 3
	s_add_u32 s12, s12, s14
	s_addc_u32 s13, s13, s15
	s_load_dwordx2 s[14:15], s[12:13], 0x0
	s_bfe_u32 s12, s17, 0x10008
	s_cmp_eq_u32 s12, 0
                                        ; implicit-def: $sgpr12_sgpr13
	s_cbranch_scc1 .LBB100_3
; %bb.2:
	s_clause 0x1
	s_load_dword s12, s[4:5], 0x20
	s_load_dwordx2 s[18:19], s[4:5], 0x18
	s_mul_i32 s13, s8, s7
	s_mul_hi_u32 s17, s8, s6
	s_mul_i32 s9, s9, s6
	s_add_i32 s13, s17, s13
	s_mul_i32 s8, s8, s6
	s_add_i32 s9, s13, s9
	s_lshl_b64 s[8:9], s[8:9], 2
	s_waitcnt lgkmcnt(0)
	s_ashr_i32 s13, s12, 31
	s_add_u32 s17, s18, s8
	s_addc_u32 s18, s19, s9
	s_lshl_b64 s[8:9], s[12:13], 2
	s_add_u32 s12, s17, s8
	s_addc_u32 s13, s18, s9
.LBB100_3:
	s_clause 0x1
	s_load_dwordx2 s[8:9], s[4:5], 0x8
	s_load_dword s17, s[4:5], 0x38
	v_lshlrev_b32_e32 v77, 3, v0
	s_waitcnt lgkmcnt(0)
	s_ashr_i32 s5, s8, 31
	s_mov_b32 s4, s8
	v_add3_u32 v9, s9, s9, v0
	s_lshl_b64 s[4:5], s[4:5], 3
	s_add_u32 s4, s14, s4
	s_addc_u32 s5, s15, s5
	v_add_co_u32 v1, s8, s4, v77
	v_add_co_ci_u32_e64 v2, null, s5, 0, s8
	s_mov_b32 s14, s9
	s_ashr_i32 s15, s9, 31
	v_ashrrev_i32_e32 v10, 31, v9
	flat_load_dwordx2 v[5:6], v[1:2]
	s_lshl_b64 s[14:15], s[14:15], 3
	v_add_nc_u32_e32 v12, s9, v9
	v_add_co_u32 v3, vcc_lo, v1, s14
	v_add_co_ci_u32_e64 v4, null, s15, v2, vcc_lo
	v_ashrrev_i32_e32 v13, 31, v12
	s_bitcmp0_b32 s17, 0
	s_waitcnt vmcnt(0) lgkmcnt(0)
	buffer_store_dword v6, off, s[0:3], 0 offset:4
	buffer_store_dword v5, off, s[0:3], 0
	flat_load_dwordx2 v[7:8], v[3:4]
	v_lshlrev_b64 v[5:6], 3, v[9:10]
	s_waitcnt vmcnt(0) lgkmcnt(0)
	buffer_store_dword v8, off, s[0:3], 0 offset:12
	buffer_store_dword v7, off, s[0:3], 0 offset:8
	v_add_co_u32 v5, vcc_lo, s4, v5
	v_add_co_ci_u32_e64 v6, null, s5, v6, vcc_lo
	v_lshlrev_b64 v[7:8], 3, v[12:13]
	flat_load_dwordx2 v[10:11], v[5:6]
	s_waitcnt vmcnt(0) lgkmcnt(0)
	buffer_store_dword v11, off, s[0:3], 0 offset:20
	buffer_store_dword v10, off, s[0:3], 0 offset:16
	v_add_co_u32 v7, vcc_lo, s4, v7
	v_add_co_ci_u32_e64 v8, null, s5, v8, vcc_lo
	v_add_nc_u32_e32 v11, s9, v12
	flat_load_dwordx2 v[13:14], v[7:8]
	s_waitcnt vmcnt(0) lgkmcnt(0)
	buffer_store_dword v14, off, s[0:3], 0 offset:28
	buffer_store_dword v13, off, s[0:3], 0 offset:24
	v_ashrrev_i32_e32 v12, 31, v11
	v_add_nc_u32_e32 v15, s9, v11
	v_lshlrev_b64 v[9:10], 3, v[11:12]
	v_ashrrev_i32_e32 v16, 31, v15
	v_add_nc_u32_e32 v18, s9, v15
	v_add_co_u32 v9, vcc_lo, s4, v9
	v_add_co_ci_u32_e64 v10, null, s5, v10, vcc_lo
	v_lshlrev_b64 v[11:12], 3, v[15:16]
	v_ashrrev_i32_e32 v19, 31, v18
	flat_load_dwordx2 v[13:14], v[9:10]
	s_waitcnt vmcnt(0) lgkmcnt(0)
	buffer_store_dword v14, off, s[0:3], 0 offset:36
	buffer_store_dword v13, off, s[0:3], 0 offset:32
	v_add_co_u32 v11, vcc_lo, s4, v11
	v_add_co_ci_u32_e64 v12, null, s5, v12, vcc_lo
	v_lshlrev_b64 v[13:14], 3, v[18:19]
	flat_load_dwordx2 v[16:17], v[11:12]
	s_waitcnt vmcnt(0) lgkmcnt(0)
	buffer_store_dword v17, off, s[0:3], 0 offset:44
	buffer_store_dword v16, off, s[0:3], 0 offset:40
	v_add_co_u32 v13, vcc_lo, s4, v13
	v_add_co_ci_u32_e64 v14, null, s5, v14, vcc_lo
	v_add_nc_u32_e32 v17, s9, v18
	flat_load_dwordx2 v[19:20], v[13:14]
	s_waitcnt vmcnt(0) lgkmcnt(0)
	buffer_store_dword v20, off, s[0:3], 0 offset:52
	buffer_store_dword v19, off, s[0:3], 0 offset:48
	v_ashrrev_i32_e32 v18, 31, v17
	v_add_nc_u32_e32 v21, s9, v17
	v_lshlrev_b64 v[15:16], 3, v[17:18]
	v_ashrrev_i32_e32 v22, 31, v21
	v_add_nc_u32_e32 v24, s9, v21
	v_add_co_u32 v15, vcc_lo, s4, v15
	v_add_co_ci_u32_e64 v16, null, s5, v16, vcc_lo
	v_lshlrev_b64 v[17:18], 3, v[21:22]
	v_ashrrev_i32_e32 v25, 31, v24
	flat_load_dwordx2 v[19:20], v[15:16]
	;; [unrolled: 27-line block ×10, first 2 shown]
	s_waitcnt vmcnt(0) lgkmcnt(0)
	buffer_store_dword v68, off, s[0:3], 0 offset:252
	buffer_store_dword v67, off, s[0:3], 0 offset:248
	v_add_co_u32 v65, vcc_lo, s4, v65
	v_add_co_ci_u32_e64 v66, null, s5, v66, vcc_lo
	v_lshlrev_b64 v[67:68], 3, v[72:73]
	flat_load_dwordx2 v[70:71], v[65:66]
	s_waitcnt vmcnt(0) lgkmcnt(0)
	buffer_store_dword v71, off, s[0:3], 0 offset:260
	buffer_store_dword v70, off, s[0:3], 0 offset:256
	v_add_co_u32 v67, vcc_lo, s4, v67
	v_add_co_ci_u32_e64 v68, null, s5, v68, vcc_lo
	v_add_nc_u32_e32 v71, s9, v72
	flat_load_dwordx2 v[73:74], v[67:68]
	s_waitcnt vmcnt(0) lgkmcnt(0)
	buffer_store_dword v74, off, s[0:3], 0 offset:268
	buffer_store_dword v73, off, s[0:3], 0 offset:264
	v_ashrrev_i32_e32 v72, 31, v71
	v_add_nc_u32_e32 v75, s9, v71
	v_lshlrev_b64 v[69:70], 3, v[71:72]
	v_ashrrev_i32_e32 v76, 31, v75
	v_add_co_u32 v69, vcc_lo, s4, v69
	v_add_co_ci_u32_e64 v70, null, s5, v70, vcc_lo
	v_lshlrev_b64 v[71:72], 3, v[75:76]
	flat_load_dwordx2 v[73:74], v[69:70]
	s_waitcnt vmcnt(0) lgkmcnt(0)
	buffer_store_dword v74, off, s[0:3], 0 offset:276
	buffer_store_dword v73, off, s[0:3], 0 offset:272
	v_add_co_u32 v71, vcc_lo, s4, v71
	v_add_co_ci_u32_e64 v72, null, s5, v72, vcc_lo
	v_add_nc_u32_e32 v73, s9, v75
	flat_load_dwordx2 v[78:79], v[71:72]
	s_waitcnt vmcnt(0) lgkmcnt(0)
	buffer_store_dword v79, off, s[0:3], 0 offset:284
	buffer_store_dword v78, off, s[0:3], 0 offset:280
	v_ashrrev_i32_e32 v74, 31, v73
	v_lshlrev_b64 v[73:74], 3, v[73:74]
	v_add_co_u32 v73, vcc_lo, s4, v73
	v_add_co_ci_u32_e64 v74, null, s5, v74, vcc_lo
	s_mov_b32 s5, -1
	flat_load_dwordx2 v[75:76], v[73:74]
	s_waitcnt vmcnt(0) lgkmcnt(0)
	buffer_store_dword v76, off, s[0:3], 0 offset:292
	buffer_store_dword v75, off, s[0:3], 0 offset:288
	s_cbranch_scc1 .LBB100_156
; %bb.4:
	v_cmp_eq_u32_e64 s4, 0, v0
	s_and_saveexec_b32 s5, s4
; %bb.5:
	v_mov_b32_e32 v75, 0
	ds_write_b32 v75, v75 offset:296
; %bb.6:
	s_or_b32 exec_lo, exec_lo, s5
	v_lshl_add_u32 v75, v0, 3, 0
	s_waitcnt lgkmcnt(0)
	s_waitcnt_vscnt null, 0x0
	s_barrier
	buffer_gl0_inv
	s_mov_b32 s8, exec_lo
	s_clause 0x1
	buffer_load_dword v78, v75, s[0:3], 0 offen
	buffer_load_dword v79, v75, s[0:3], 0 offen offset:4
	s_waitcnt vmcnt(0)
	v_cmpx_eq_f64_e32 0, v[78:79]
	s_cbranch_execz .LBB100_10
; %bb.7:
	v_mov_b32_e32 v76, 0
	s_mov_b32 s9, 0
	ds_read_b32 v78, v76 offset:296
	s_waitcnt lgkmcnt(0)
	v_readfirstlane_b32 s5, v78
	v_add_nc_u32_e32 v78, 1, v0
	s_cmp_eq_u32 s5, 0
	v_cmp_gt_i32_e32 vcc_lo, s5, v78
	s_cselect_b32 s14, -1, 0
	s_or_b32 s14, s14, vcc_lo
	s_and_b32 exec_lo, exec_lo, s14
	s_cbranch_execz .LBB100_10
; %bb.8:
	v_mov_b32_e32 v79, s5
.LBB100_9:                              ; =>This Inner Loop Header: Depth=1
	ds_cmpst_rtn_b32 v79, v76, v79, v78 offset:296
	s_waitcnt lgkmcnt(0)
	v_cmp_ne_u32_e32 vcc_lo, 0, v79
	v_cmp_le_i32_e64 s5, v79, v78
	s_and_b32 s5, vcc_lo, s5
	s_and_b32 s5, exec_lo, s5
	s_or_b32 s9, s5, s9
	s_andn2_b32 exec_lo, exec_lo, s9
	s_cbranch_execnz .LBB100_9
.LBB100_10:
	s_or_b32 exec_lo, exec_lo, s8
	v_mov_b32_e32 v76, 0
	s_barrier
	buffer_gl0_inv
	ds_read_b32 v78, v76 offset:296
	s_and_saveexec_b32 s5, s4
	s_cbranch_execz .LBB100_12
; %bb.11:
	s_lshl_b64 s[8:9], s[6:7], 2
	s_add_u32 s8, s10, s8
	s_addc_u32 s9, s11, s9
	s_waitcnt lgkmcnt(0)
	global_store_dword v76, v78, s[8:9]
.LBB100_12:
	s_or_b32 exec_lo, exec_lo, s5
	s_waitcnt lgkmcnt(0)
	v_cmp_ne_u32_e32 vcc_lo, 0, v78
	s_mov_b32 s5, 0
	s_cbranch_vccnz .LBB100_156
; %bb.13:
	s_clause 0x1
	buffer_load_dword v78, v75, s[0:3], 0 offen
	buffer_load_dword v79, v75, s[0:3], 0 offen offset:4
	s_waitcnt vmcnt(0)
	v_div_scale_f64 v[80:81], null, v[78:79], v[78:79], 1.0
	v_div_scale_f64 v[86:87], vcc_lo, 1.0, v[78:79], 1.0
	v_rcp_f64_e32 v[82:83], v[80:81]
	v_fma_f64 v[84:85], -v[80:81], v[82:83], 1.0
	v_fma_f64 v[82:83], v[82:83], v[84:85], v[82:83]
	v_fma_f64 v[84:85], -v[80:81], v[82:83], 1.0
	v_fma_f64 v[82:83], v[82:83], v[84:85], v[82:83]
	v_mul_f64 v[84:85], v[86:87], v[82:83]
	v_fma_f64 v[80:81], -v[80:81], v[84:85], v[86:87]
	v_div_fmas_f64 v[80:81], v[80:81], v[82:83], v[84:85]
	v_div_fixup_f64 v[79:80], v[80:81], v[78:79], 1.0
	v_add_nc_u32_e32 v78, 0x130, v77
	buffer_store_dword v80, v75, s[0:3], 0 offen offset:4
	buffer_store_dword v79, v75, s[0:3], 0 offen
	s_clause 0x1
	buffer_load_dword v82, off, s[0:3], 0 offset:12
	buffer_load_dword v81, off, s[0:3], 0 offset:8
	v_xor_b32_e32 v80, 0x80000000, v80
	s_waitcnt vmcnt(0)
	ds_write2_b64 v77, v[79:80], v[81:82] offset1:38
	s_waitcnt lgkmcnt(0)
	s_waitcnt_vscnt null, 0x0
	s_barrier
	buffer_gl0_inv
	s_and_saveexec_b32 s5, s4
	s_cbranch_execz .LBB100_15
; %bb.14:
	s_clause 0x1
	buffer_load_dword v79, v75, s[0:3], 0 offen
	buffer_load_dword v80, v75, s[0:3], 0 offen offset:4
	ds_read_b64 v[81:82], v78
	v_mov_b32_e32 v76, 0
	ds_read_b64 v[83:84], v76 offset:8
	s_waitcnt vmcnt(0) lgkmcnt(1)
	v_fma_f64 v[79:80], v[79:80], v[81:82], 0
	s_waitcnt lgkmcnt(0)
	v_mul_f64 v[79:80], v[79:80], v[83:84]
	buffer_store_dword v79, off, s[0:3], 0 offset:8
	buffer_store_dword v80, off, s[0:3], 0 offset:12
.LBB100_15:
	s_or_b32 exec_lo, exec_lo, s5
	s_waitcnt_vscnt null, 0x0
	s_barrier
	buffer_gl0_inv
	s_clause 0x1
	buffer_load_dword v79, off, s[0:3], 0 offset:16
	buffer_load_dword v80, off, s[0:3], 0 offset:20
	s_mov_b32 s5, exec_lo
	s_waitcnt vmcnt(0)
	ds_write_b64 v78, v[79:80]
	s_waitcnt lgkmcnt(0)
	s_barrier
	buffer_gl0_inv
	v_cmpx_gt_u32_e32 2, v0
	s_cbranch_execz .LBB100_19
; %bb.16:
	s_clause 0x1
	buffer_load_dword v79, v75, s[0:3], 0 offen
	buffer_load_dword v80, v75, s[0:3], 0 offen offset:4
	ds_read_b64 v[75:76], v78
	s_waitcnt vmcnt(0) lgkmcnt(0)
	v_fma_f64 v[75:76], v[79:80], v[75:76], 0
	s_and_saveexec_b32 s8, s4
	s_cbranch_execz .LBB100_18
; %bb.17:
	s_clause 0x1
	buffer_load_dword v79, off, s[0:3], 0 offset:8
	buffer_load_dword v80, off, s[0:3], 0 offset:12
	v_mov_b32_e32 v81, 0
	ds_read_b64 v[81:82], v81 offset:312
	s_waitcnt vmcnt(0) lgkmcnt(0)
	v_fma_f64 v[75:76], v[79:80], v[81:82], v[75:76]
.LBB100_18:
	s_or_b32 exec_lo, exec_lo, s8
	v_mov_b32_e32 v79, 0
	ds_read_b64 v[79:80], v79 offset:16
	s_waitcnt lgkmcnt(0)
	v_mul_f64 v[75:76], v[75:76], v[79:80]
	buffer_store_dword v76, off, s[0:3], 0 offset:20
	buffer_store_dword v75, off, s[0:3], 0 offset:16
.LBB100_19:
	s_or_b32 exec_lo, exec_lo, s5
	s_waitcnt_vscnt null, 0x0
	s_barrier
	buffer_gl0_inv
	s_clause 0x1
	buffer_load_dword v75, off, s[0:3], 0 offset:24
	buffer_load_dword v76, off, s[0:3], 0 offset:28
	v_add_nc_u32_e32 v79, -1, v0
	s_mov_b32 s4, exec_lo
	s_waitcnt vmcnt(0)
	ds_write_b64 v78, v[75:76]
	s_waitcnt lgkmcnt(0)
	s_barrier
	buffer_gl0_inv
	v_cmpx_gt_u32_e32 3, v0
	s_cbranch_execz .LBB100_23
; %bb.20:
	v_mov_b32_e32 v75, 0
	v_add_nc_u32_e32 v80, -1, v0
	v_add_nc_u32_e32 v81, 0x130, v77
	v_mov_b32_e32 v76, 0
	v_mov_b32_e32 v82, v77
	s_mov_b32 s5, 0
.LBB100_21:                             ; =>This Inner Loop Header: Depth=1
	s_clause 0x1
	buffer_load_dword v83, v82, s[0:3], 0 offen
	buffer_load_dword v84, v82, s[0:3], 0 offen offset:4
	ds_read_b64 v[85:86], v81
	v_add_nc_u32_e32 v80, 1, v80
	v_add_nc_u32_e32 v81, 8, v81
	v_add_nc_u32_e32 v82, 8, v82
	v_cmp_lt_u32_e32 vcc_lo, 1, v80
	s_or_b32 s5, vcc_lo, s5
	s_waitcnt vmcnt(0) lgkmcnt(0)
	v_fma_f64 v[75:76], v[83:84], v[85:86], v[75:76]
	s_andn2_b32 exec_lo, exec_lo, s5
	s_cbranch_execnz .LBB100_21
; %bb.22:
	s_or_b32 exec_lo, exec_lo, s5
	v_mov_b32_e32 v80, 0
	ds_read_b64 v[80:81], v80 offset:24
	s_waitcnt lgkmcnt(0)
	v_mul_f64 v[75:76], v[75:76], v[80:81]
	buffer_store_dword v76, off, s[0:3], 0 offset:28
	buffer_store_dword v75, off, s[0:3], 0 offset:24
.LBB100_23:
	s_or_b32 exec_lo, exec_lo, s4
	s_waitcnt_vscnt null, 0x0
	s_barrier
	buffer_gl0_inv
	s_clause 0x1
	buffer_load_dword v75, off, s[0:3], 0 offset:32
	buffer_load_dword v76, off, s[0:3], 0 offset:36
	s_mov_b32 s4, exec_lo
	s_waitcnt vmcnt(0)
	ds_write_b64 v78, v[75:76]
	s_waitcnt lgkmcnt(0)
	s_barrier
	buffer_gl0_inv
	v_cmpx_gt_u32_e32 4, v0
	s_cbranch_execz .LBB100_27
; %bb.24:
	v_mov_b32_e32 v75, 0
	v_add_nc_u32_e32 v80, -1, v0
	v_add_nc_u32_e32 v81, 0x130, v77
	v_mov_b32_e32 v76, 0
	v_mov_b32_e32 v82, v77
	s_mov_b32 s5, 0
.LBB100_25:                             ; =>This Inner Loop Header: Depth=1
	s_clause 0x1
	buffer_load_dword v83, v82, s[0:3], 0 offen
	buffer_load_dword v84, v82, s[0:3], 0 offen offset:4
	ds_read_b64 v[85:86], v81
	v_add_nc_u32_e32 v80, 1, v80
	v_add_nc_u32_e32 v81, 8, v81
	v_add_nc_u32_e32 v82, 8, v82
	v_cmp_lt_u32_e32 vcc_lo, 2, v80
	s_or_b32 s5, vcc_lo, s5
	s_waitcnt vmcnt(0) lgkmcnt(0)
	v_fma_f64 v[75:76], v[83:84], v[85:86], v[75:76]
	s_andn2_b32 exec_lo, exec_lo, s5
	s_cbranch_execnz .LBB100_25
; %bb.26:
	s_or_b32 exec_lo, exec_lo, s5
	v_mov_b32_e32 v80, 0
	ds_read_b64 v[80:81], v80 offset:32
	s_waitcnt lgkmcnt(0)
	v_mul_f64 v[75:76], v[75:76], v[80:81]
	buffer_store_dword v76, off, s[0:3], 0 offset:36
	buffer_store_dword v75, off, s[0:3], 0 offset:32
.LBB100_27:
	s_or_b32 exec_lo, exec_lo, s4
	s_waitcnt_vscnt null, 0x0
	s_barrier
	buffer_gl0_inv
	s_clause 0x1
	buffer_load_dword v75, off, s[0:3], 0 offset:40
	buffer_load_dword v76, off, s[0:3], 0 offset:44
	;; [unrolled: 45-line block ×20, first 2 shown]
	s_mov_b32 s4, exec_lo
	s_waitcnt vmcnt(0)
	ds_write_b64 v78, v[75:76]
	s_waitcnt lgkmcnt(0)
	s_barrier
	buffer_gl0_inv
	v_cmpx_gt_u32_e32 23, v0
	s_cbranch_execz .LBB100_103
; %bb.100:
	v_mov_b32_e32 v75, 0
	v_add_nc_u32_e32 v80, -1, v0
	v_add_nc_u32_e32 v81, 0x130, v77
	v_mov_b32_e32 v76, 0
	v_mov_b32_e32 v82, v77
	s_mov_b32 s5, 0
.LBB100_101:                            ; =>This Inner Loop Header: Depth=1
	s_clause 0x1
	buffer_load_dword v83, v82, s[0:3], 0 offen
	buffer_load_dword v84, v82, s[0:3], 0 offen offset:4
	ds_read_b64 v[85:86], v81
	v_add_nc_u32_e32 v80, 1, v80
	v_add_nc_u32_e32 v81, 8, v81
	v_add_nc_u32_e32 v82, 8, v82
	v_cmp_lt_u32_e32 vcc_lo, 21, v80
	s_or_b32 s5, vcc_lo, s5
	s_waitcnt vmcnt(0) lgkmcnt(0)
	v_fma_f64 v[75:76], v[83:84], v[85:86], v[75:76]
	s_andn2_b32 exec_lo, exec_lo, s5
	s_cbranch_execnz .LBB100_101
; %bb.102:
	s_or_b32 exec_lo, exec_lo, s5
	v_mov_b32_e32 v80, 0
	ds_read_b64 v[80:81], v80 offset:184
	s_waitcnt lgkmcnt(0)
	v_mul_f64 v[75:76], v[75:76], v[80:81]
	buffer_store_dword v76, off, s[0:3], 0 offset:188
	buffer_store_dword v75, off, s[0:3], 0 offset:184
.LBB100_103:
	s_or_b32 exec_lo, exec_lo, s4
	s_waitcnt_vscnt null, 0x0
	s_barrier
	buffer_gl0_inv
	s_clause 0x1
	buffer_load_dword v75, off, s[0:3], 0 offset:192
	buffer_load_dword v76, off, s[0:3], 0 offset:196
	s_mov_b32 s4, exec_lo
	s_waitcnt vmcnt(0)
	ds_write_b64 v78, v[75:76]
	s_waitcnt lgkmcnt(0)
	s_barrier
	buffer_gl0_inv
	v_cmpx_gt_u32_e32 24, v0
	s_cbranch_execz .LBB100_107
; %bb.104:
	v_mov_b32_e32 v75, 0
	v_add_nc_u32_e32 v80, -1, v0
	v_add_nc_u32_e32 v81, 0x130, v77
	v_mov_b32_e32 v76, 0
	v_mov_b32_e32 v82, v77
	s_mov_b32 s5, 0
.LBB100_105:                            ; =>This Inner Loop Header: Depth=1
	s_clause 0x1
	buffer_load_dword v83, v82, s[0:3], 0 offen
	buffer_load_dword v84, v82, s[0:3], 0 offen offset:4
	ds_read_b64 v[85:86], v81
	v_add_nc_u32_e32 v80, 1, v80
	v_add_nc_u32_e32 v81, 8, v81
	v_add_nc_u32_e32 v82, 8, v82
	v_cmp_lt_u32_e32 vcc_lo, 22, v80
	s_or_b32 s5, vcc_lo, s5
	s_waitcnt vmcnt(0) lgkmcnt(0)
	v_fma_f64 v[75:76], v[83:84], v[85:86], v[75:76]
	s_andn2_b32 exec_lo, exec_lo, s5
	s_cbranch_execnz .LBB100_105
; %bb.106:
	s_or_b32 exec_lo, exec_lo, s5
	v_mov_b32_e32 v80, 0
	ds_read_b64 v[80:81], v80 offset:192
	s_waitcnt lgkmcnt(0)
	v_mul_f64 v[75:76], v[75:76], v[80:81]
	buffer_store_dword v76, off, s[0:3], 0 offset:196
	buffer_store_dword v75, off, s[0:3], 0 offset:192
.LBB100_107:
	s_or_b32 exec_lo, exec_lo, s4
	s_waitcnt_vscnt null, 0x0
	s_barrier
	buffer_gl0_inv
	s_clause 0x1
	buffer_load_dword v75, off, s[0:3], 0 offset:200
	buffer_load_dword v76, off, s[0:3], 0 offset:204
	s_mov_b32 s4, exec_lo
	s_waitcnt vmcnt(0)
	ds_write_b64 v78, v[75:76]
	s_waitcnt lgkmcnt(0)
	s_barrier
	buffer_gl0_inv
	v_cmpx_gt_u32_e32 25, v0
	s_cbranch_execz .LBB100_111
; %bb.108:
	v_mov_b32_e32 v75, 0
	v_add_nc_u32_e32 v80, -1, v0
	v_add_nc_u32_e32 v81, 0x130, v77
	v_mov_b32_e32 v76, 0
	v_mov_b32_e32 v82, v77
	s_mov_b32 s5, 0
.LBB100_109:                            ; =>This Inner Loop Header: Depth=1
	s_clause 0x1
	buffer_load_dword v83, v82, s[0:3], 0 offen
	buffer_load_dword v84, v82, s[0:3], 0 offen offset:4
	ds_read_b64 v[85:86], v81
	v_add_nc_u32_e32 v80, 1, v80
	v_add_nc_u32_e32 v81, 8, v81
	v_add_nc_u32_e32 v82, 8, v82
	v_cmp_lt_u32_e32 vcc_lo, 23, v80
	s_or_b32 s5, vcc_lo, s5
	s_waitcnt vmcnt(0) lgkmcnt(0)
	v_fma_f64 v[75:76], v[83:84], v[85:86], v[75:76]
	s_andn2_b32 exec_lo, exec_lo, s5
	s_cbranch_execnz .LBB100_109
; %bb.110:
	s_or_b32 exec_lo, exec_lo, s5
	v_mov_b32_e32 v80, 0
	ds_read_b64 v[80:81], v80 offset:200
	s_waitcnt lgkmcnt(0)
	v_mul_f64 v[75:76], v[75:76], v[80:81]
	buffer_store_dword v76, off, s[0:3], 0 offset:204
	buffer_store_dword v75, off, s[0:3], 0 offset:200
.LBB100_111:
	s_or_b32 exec_lo, exec_lo, s4
	s_waitcnt_vscnt null, 0x0
	s_barrier
	buffer_gl0_inv
	s_clause 0x1
	buffer_load_dword v75, off, s[0:3], 0 offset:208
	buffer_load_dword v76, off, s[0:3], 0 offset:212
	s_mov_b32 s4, exec_lo
	s_waitcnt vmcnt(0)
	ds_write_b64 v78, v[75:76]
	s_waitcnt lgkmcnt(0)
	s_barrier
	buffer_gl0_inv
	v_cmpx_gt_u32_e32 26, v0
	s_cbranch_execz .LBB100_115
; %bb.112:
	v_mov_b32_e32 v75, 0
	v_add_nc_u32_e32 v80, -1, v0
	v_add_nc_u32_e32 v81, 0x130, v77
	v_mov_b32_e32 v76, 0
	v_mov_b32_e32 v82, v77
	s_mov_b32 s5, 0
.LBB100_113:                            ; =>This Inner Loop Header: Depth=1
	s_clause 0x1
	buffer_load_dword v83, v82, s[0:3], 0 offen
	buffer_load_dword v84, v82, s[0:3], 0 offen offset:4
	ds_read_b64 v[85:86], v81
	v_add_nc_u32_e32 v80, 1, v80
	v_add_nc_u32_e32 v81, 8, v81
	v_add_nc_u32_e32 v82, 8, v82
	v_cmp_lt_u32_e32 vcc_lo, 24, v80
	s_or_b32 s5, vcc_lo, s5
	s_waitcnt vmcnt(0) lgkmcnt(0)
	v_fma_f64 v[75:76], v[83:84], v[85:86], v[75:76]
	s_andn2_b32 exec_lo, exec_lo, s5
	s_cbranch_execnz .LBB100_113
; %bb.114:
	s_or_b32 exec_lo, exec_lo, s5
	v_mov_b32_e32 v80, 0
	ds_read_b64 v[80:81], v80 offset:208
	s_waitcnt lgkmcnt(0)
	v_mul_f64 v[75:76], v[75:76], v[80:81]
	buffer_store_dword v76, off, s[0:3], 0 offset:212
	buffer_store_dword v75, off, s[0:3], 0 offset:208
.LBB100_115:
	s_or_b32 exec_lo, exec_lo, s4
	s_waitcnt_vscnt null, 0x0
	s_barrier
	buffer_gl0_inv
	s_clause 0x1
	buffer_load_dword v75, off, s[0:3], 0 offset:216
	buffer_load_dword v76, off, s[0:3], 0 offset:220
	s_mov_b32 s4, exec_lo
	s_waitcnt vmcnt(0)
	ds_write_b64 v78, v[75:76]
	s_waitcnt lgkmcnt(0)
	s_barrier
	buffer_gl0_inv
	v_cmpx_gt_u32_e32 27, v0
	s_cbranch_execz .LBB100_119
; %bb.116:
	v_mov_b32_e32 v75, 0
	v_add_nc_u32_e32 v80, -1, v0
	v_add_nc_u32_e32 v81, 0x130, v77
	v_mov_b32_e32 v76, 0
	v_mov_b32_e32 v82, v77
	s_mov_b32 s5, 0
.LBB100_117:                            ; =>This Inner Loop Header: Depth=1
	s_clause 0x1
	buffer_load_dword v83, v82, s[0:3], 0 offen
	buffer_load_dword v84, v82, s[0:3], 0 offen offset:4
	ds_read_b64 v[85:86], v81
	v_add_nc_u32_e32 v80, 1, v80
	v_add_nc_u32_e32 v81, 8, v81
	v_add_nc_u32_e32 v82, 8, v82
	v_cmp_lt_u32_e32 vcc_lo, 25, v80
	s_or_b32 s5, vcc_lo, s5
	s_waitcnt vmcnt(0) lgkmcnt(0)
	v_fma_f64 v[75:76], v[83:84], v[85:86], v[75:76]
	s_andn2_b32 exec_lo, exec_lo, s5
	s_cbranch_execnz .LBB100_117
; %bb.118:
	s_or_b32 exec_lo, exec_lo, s5
	v_mov_b32_e32 v80, 0
	ds_read_b64 v[80:81], v80 offset:216
	s_waitcnt lgkmcnt(0)
	v_mul_f64 v[75:76], v[75:76], v[80:81]
	buffer_store_dword v76, off, s[0:3], 0 offset:220
	buffer_store_dword v75, off, s[0:3], 0 offset:216
.LBB100_119:
	s_or_b32 exec_lo, exec_lo, s4
	s_waitcnt_vscnt null, 0x0
	s_barrier
	buffer_gl0_inv
	s_clause 0x1
	buffer_load_dword v75, off, s[0:3], 0 offset:224
	buffer_load_dword v76, off, s[0:3], 0 offset:228
	s_mov_b32 s4, exec_lo
	s_waitcnt vmcnt(0)
	ds_write_b64 v78, v[75:76]
	s_waitcnt lgkmcnt(0)
	s_barrier
	buffer_gl0_inv
	v_cmpx_gt_u32_e32 28, v0
	s_cbranch_execz .LBB100_123
; %bb.120:
	v_mov_b32_e32 v75, 0
	v_add_nc_u32_e32 v80, -1, v0
	v_add_nc_u32_e32 v81, 0x130, v77
	v_mov_b32_e32 v76, 0
	v_mov_b32_e32 v82, v77
	s_mov_b32 s5, 0
.LBB100_121:                            ; =>This Inner Loop Header: Depth=1
	s_clause 0x1
	buffer_load_dword v83, v82, s[0:3], 0 offen
	buffer_load_dword v84, v82, s[0:3], 0 offen offset:4
	ds_read_b64 v[85:86], v81
	v_add_nc_u32_e32 v80, 1, v80
	v_add_nc_u32_e32 v81, 8, v81
	v_add_nc_u32_e32 v82, 8, v82
	v_cmp_lt_u32_e32 vcc_lo, 26, v80
	s_or_b32 s5, vcc_lo, s5
	s_waitcnt vmcnt(0) lgkmcnt(0)
	v_fma_f64 v[75:76], v[83:84], v[85:86], v[75:76]
	s_andn2_b32 exec_lo, exec_lo, s5
	s_cbranch_execnz .LBB100_121
; %bb.122:
	s_or_b32 exec_lo, exec_lo, s5
	v_mov_b32_e32 v80, 0
	ds_read_b64 v[80:81], v80 offset:224
	s_waitcnt lgkmcnt(0)
	v_mul_f64 v[75:76], v[75:76], v[80:81]
	buffer_store_dword v76, off, s[0:3], 0 offset:228
	buffer_store_dword v75, off, s[0:3], 0 offset:224
.LBB100_123:
	s_or_b32 exec_lo, exec_lo, s4
	s_waitcnt_vscnt null, 0x0
	s_barrier
	buffer_gl0_inv
	s_clause 0x1
	buffer_load_dword v75, off, s[0:3], 0 offset:232
	buffer_load_dword v76, off, s[0:3], 0 offset:236
	s_mov_b32 s4, exec_lo
	s_waitcnt vmcnt(0)
	ds_write_b64 v78, v[75:76]
	s_waitcnt lgkmcnt(0)
	s_barrier
	buffer_gl0_inv
	v_cmpx_gt_u32_e32 29, v0
	s_cbranch_execz .LBB100_127
; %bb.124:
	v_mov_b32_e32 v75, 0
	v_add_nc_u32_e32 v80, -1, v0
	v_add_nc_u32_e32 v81, 0x130, v77
	v_mov_b32_e32 v76, 0
	v_mov_b32_e32 v82, v77
	s_mov_b32 s5, 0
.LBB100_125:                            ; =>This Inner Loop Header: Depth=1
	s_clause 0x1
	buffer_load_dword v83, v82, s[0:3], 0 offen
	buffer_load_dword v84, v82, s[0:3], 0 offen offset:4
	ds_read_b64 v[85:86], v81
	v_add_nc_u32_e32 v80, 1, v80
	v_add_nc_u32_e32 v81, 8, v81
	v_add_nc_u32_e32 v82, 8, v82
	v_cmp_lt_u32_e32 vcc_lo, 27, v80
	s_or_b32 s5, vcc_lo, s5
	s_waitcnt vmcnt(0) lgkmcnt(0)
	v_fma_f64 v[75:76], v[83:84], v[85:86], v[75:76]
	s_andn2_b32 exec_lo, exec_lo, s5
	s_cbranch_execnz .LBB100_125
; %bb.126:
	s_or_b32 exec_lo, exec_lo, s5
	v_mov_b32_e32 v80, 0
	ds_read_b64 v[80:81], v80 offset:232
	s_waitcnt lgkmcnt(0)
	v_mul_f64 v[75:76], v[75:76], v[80:81]
	buffer_store_dword v76, off, s[0:3], 0 offset:236
	buffer_store_dword v75, off, s[0:3], 0 offset:232
.LBB100_127:
	s_or_b32 exec_lo, exec_lo, s4
	s_waitcnt_vscnt null, 0x0
	s_barrier
	buffer_gl0_inv
	s_clause 0x1
	buffer_load_dword v75, off, s[0:3], 0 offset:240
	buffer_load_dword v76, off, s[0:3], 0 offset:244
	s_mov_b32 s4, exec_lo
	s_waitcnt vmcnt(0)
	ds_write_b64 v78, v[75:76]
	s_waitcnt lgkmcnt(0)
	s_barrier
	buffer_gl0_inv
	v_cmpx_gt_u32_e32 30, v0
	s_cbranch_execz .LBB100_131
; %bb.128:
	v_mov_b32_e32 v75, 0
	v_add_nc_u32_e32 v80, -1, v0
	v_add_nc_u32_e32 v81, 0x130, v77
	v_mov_b32_e32 v76, 0
	v_mov_b32_e32 v82, v77
	s_mov_b32 s5, 0
.LBB100_129:                            ; =>This Inner Loop Header: Depth=1
	s_clause 0x1
	buffer_load_dword v83, v82, s[0:3], 0 offen
	buffer_load_dword v84, v82, s[0:3], 0 offen offset:4
	ds_read_b64 v[85:86], v81
	v_add_nc_u32_e32 v80, 1, v80
	v_add_nc_u32_e32 v81, 8, v81
	v_add_nc_u32_e32 v82, 8, v82
	v_cmp_lt_u32_e32 vcc_lo, 28, v80
	s_or_b32 s5, vcc_lo, s5
	s_waitcnt vmcnt(0) lgkmcnt(0)
	v_fma_f64 v[75:76], v[83:84], v[85:86], v[75:76]
	s_andn2_b32 exec_lo, exec_lo, s5
	s_cbranch_execnz .LBB100_129
; %bb.130:
	s_or_b32 exec_lo, exec_lo, s5
	v_mov_b32_e32 v80, 0
	ds_read_b64 v[80:81], v80 offset:240
	s_waitcnt lgkmcnt(0)
	v_mul_f64 v[75:76], v[75:76], v[80:81]
	buffer_store_dword v76, off, s[0:3], 0 offset:244
	buffer_store_dword v75, off, s[0:3], 0 offset:240
.LBB100_131:
	s_or_b32 exec_lo, exec_lo, s4
	s_waitcnt_vscnt null, 0x0
	s_barrier
	buffer_gl0_inv
	s_clause 0x1
	buffer_load_dword v75, off, s[0:3], 0 offset:248
	buffer_load_dword v76, off, s[0:3], 0 offset:252
	s_mov_b32 s4, exec_lo
	s_waitcnt vmcnt(0)
	ds_write_b64 v78, v[75:76]
	s_waitcnt lgkmcnt(0)
	s_barrier
	buffer_gl0_inv
	v_cmpx_gt_u32_e32 31, v0
	s_cbranch_execz .LBB100_135
; %bb.132:
	v_mov_b32_e32 v75, 0
	v_add_nc_u32_e32 v80, -1, v0
	v_add_nc_u32_e32 v81, 0x130, v77
	v_mov_b32_e32 v76, 0
	v_mov_b32_e32 v82, v77
	s_mov_b32 s5, 0
.LBB100_133:                            ; =>This Inner Loop Header: Depth=1
	s_clause 0x1
	buffer_load_dword v83, v82, s[0:3], 0 offen
	buffer_load_dword v84, v82, s[0:3], 0 offen offset:4
	ds_read_b64 v[85:86], v81
	v_add_nc_u32_e32 v80, 1, v80
	v_add_nc_u32_e32 v81, 8, v81
	v_add_nc_u32_e32 v82, 8, v82
	v_cmp_lt_u32_e32 vcc_lo, 29, v80
	s_or_b32 s5, vcc_lo, s5
	s_waitcnt vmcnt(0) lgkmcnt(0)
	v_fma_f64 v[75:76], v[83:84], v[85:86], v[75:76]
	s_andn2_b32 exec_lo, exec_lo, s5
	s_cbranch_execnz .LBB100_133
; %bb.134:
	s_or_b32 exec_lo, exec_lo, s5
	v_mov_b32_e32 v80, 0
	ds_read_b64 v[80:81], v80 offset:248
	s_waitcnt lgkmcnt(0)
	v_mul_f64 v[75:76], v[75:76], v[80:81]
	buffer_store_dword v76, off, s[0:3], 0 offset:252
	buffer_store_dword v75, off, s[0:3], 0 offset:248
.LBB100_135:
	s_or_b32 exec_lo, exec_lo, s4
	s_waitcnt_vscnt null, 0x0
	s_barrier
	buffer_gl0_inv
	s_clause 0x1
	buffer_load_dword v75, off, s[0:3], 0 offset:256
	buffer_load_dword v76, off, s[0:3], 0 offset:260
	s_mov_b32 s4, exec_lo
	s_waitcnt vmcnt(0)
	ds_write_b64 v78, v[75:76]
	s_waitcnt lgkmcnt(0)
	s_barrier
	buffer_gl0_inv
	v_cmpx_gt_u32_e32 32, v0
	s_cbranch_execz .LBB100_139
; %bb.136:
	v_mov_b32_e32 v75, 0
	v_add_nc_u32_e32 v80, -1, v0
	v_add_nc_u32_e32 v81, 0x130, v77
	v_mov_b32_e32 v76, 0
	v_mov_b32_e32 v82, v77
	s_mov_b32 s5, 0
.LBB100_137:                            ; =>This Inner Loop Header: Depth=1
	s_clause 0x1
	buffer_load_dword v83, v82, s[0:3], 0 offen
	buffer_load_dword v84, v82, s[0:3], 0 offen offset:4
	ds_read_b64 v[85:86], v81
	v_add_nc_u32_e32 v80, 1, v80
	v_add_nc_u32_e32 v81, 8, v81
	v_add_nc_u32_e32 v82, 8, v82
	v_cmp_lt_u32_e32 vcc_lo, 30, v80
	s_or_b32 s5, vcc_lo, s5
	s_waitcnt vmcnt(0) lgkmcnt(0)
	v_fma_f64 v[75:76], v[83:84], v[85:86], v[75:76]
	s_andn2_b32 exec_lo, exec_lo, s5
	s_cbranch_execnz .LBB100_137
; %bb.138:
	s_or_b32 exec_lo, exec_lo, s5
	v_mov_b32_e32 v80, 0
	ds_read_b64 v[80:81], v80 offset:256
	s_waitcnt lgkmcnt(0)
	v_mul_f64 v[75:76], v[75:76], v[80:81]
	buffer_store_dword v76, off, s[0:3], 0 offset:260
	buffer_store_dword v75, off, s[0:3], 0 offset:256
.LBB100_139:
	s_or_b32 exec_lo, exec_lo, s4
	s_waitcnt_vscnt null, 0x0
	s_barrier
	buffer_gl0_inv
	s_clause 0x1
	buffer_load_dword v75, off, s[0:3], 0 offset:264
	buffer_load_dword v76, off, s[0:3], 0 offset:268
	s_mov_b32 s4, exec_lo
	s_waitcnt vmcnt(0)
	ds_write_b64 v78, v[75:76]
	s_waitcnt lgkmcnt(0)
	s_barrier
	buffer_gl0_inv
	v_cmpx_gt_u32_e32 33, v0
	s_cbranch_execz .LBB100_143
; %bb.140:
	v_mov_b32_e32 v75, 0
	v_add_nc_u32_e32 v80, -1, v0
	v_add_nc_u32_e32 v81, 0x130, v77
	v_mov_b32_e32 v76, 0
	v_mov_b32_e32 v82, v77
	s_mov_b32 s5, 0
.LBB100_141:                            ; =>This Inner Loop Header: Depth=1
	s_clause 0x1
	buffer_load_dword v83, v82, s[0:3], 0 offen
	buffer_load_dword v84, v82, s[0:3], 0 offen offset:4
	ds_read_b64 v[85:86], v81
	v_add_nc_u32_e32 v80, 1, v80
	v_add_nc_u32_e32 v81, 8, v81
	v_add_nc_u32_e32 v82, 8, v82
	v_cmp_lt_u32_e32 vcc_lo, 31, v80
	s_or_b32 s5, vcc_lo, s5
	s_waitcnt vmcnt(0) lgkmcnt(0)
	v_fma_f64 v[75:76], v[83:84], v[85:86], v[75:76]
	s_andn2_b32 exec_lo, exec_lo, s5
	s_cbranch_execnz .LBB100_141
; %bb.142:
	s_or_b32 exec_lo, exec_lo, s5
	v_mov_b32_e32 v80, 0
	ds_read_b64 v[80:81], v80 offset:264
	s_waitcnt lgkmcnt(0)
	v_mul_f64 v[75:76], v[75:76], v[80:81]
	buffer_store_dword v76, off, s[0:3], 0 offset:268
	buffer_store_dword v75, off, s[0:3], 0 offset:264
.LBB100_143:
	s_or_b32 exec_lo, exec_lo, s4
	s_waitcnt_vscnt null, 0x0
	s_barrier
	buffer_gl0_inv
	s_clause 0x1
	buffer_load_dword v75, off, s[0:3], 0 offset:272
	buffer_load_dword v76, off, s[0:3], 0 offset:276
	s_mov_b32 s4, exec_lo
	s_waitcnt vmcnt(0)
	ds_write_b64 v78, v[75:76]
	s_waitcnt lgkmcnt(0)
	s_barrier
	buffer_gl0_inv
	v_cmpx_gt_u32_e32 34, v0
	s_cbranch_execz .LBB100_147
; %bb.144:
	v_mov_b32_e32 v75, 0
	v_add_nc_u32_e32 v80, -1, v0
	v_add_nc_u32_e32 v81, 0x130, v77
	v_mov_b32_e32 v76, 0
	v_mov_b32_e32 v82, v77
	s_mov_b32 s5, 0
.LBB100_145:                            ; =>This Inner Loop Header: Depth=1
	s_clause 0x1
	buffer_load_dword v83, v82, s[0:3], 0 offen
	buffer_load_dword v84, v82, s[0:3], 0 offen offset:4
	ds_read_b64 v[85:86], v81
	v_add_nc_u32_e32 v80, 1, v80
	v_add_nc_u32_e32 v81, 8, v81
	v_add_nc_u32_e32 v82, 8, v82
	v_cmp_lt_u32_e32 vcc_lo, 32, v80
	s_or_b32 s5, vcc_lo, s5
	s_waitcnt vmcnt(0) lgkmcnt(0)
	v_fma_f64 v[75:76], v[83:84], v[85:86], v[75:76]
	s_andn2_b32 exec_lo, exec_lo, s5
	s_cbranch_execnz .LBB100_145
; %bb.146:
	s_or_b32 exec_lo, exec_lo, s5
	v_mov_b32_e32 v80, 0
	ds_read_b64 v[80:81], v80 offset:272
	s_waitcnt lgkmcnt(0)
	v_mul_f64 v[75:76], v[75:76], v[80:81]
	buffer_store_dword v76, off, s[0:3], 0 offset:276
	buffer_store_dword v75, off, s[0:3], 0 offset:272
.LBB100_147:
	s_or_b32 exec_lo, exec_lo, s4
	s_waitcnt_vscnt null, 0x0
	s_barrier
	buffer_gl0_inv
	s_clause 0x1
	buffer_load_dword v75, off, s[0:3], 0 offset:280
	buffer_load_dword v76, off, s[0:3], 0 offset:284
	s_mov_b32 s4, exec_lo
	s_waitcnt vmcnt(0)
	ds_write_b64 v78, v[75:76]
	s_waitcnt lgkmcnt(0)
	s_barrier
	buffer_gl0_inv
	v_cmpx_gt_u32_e32 35, v0
	s_cbranch_execz .LBB100_151
; %bb.148:
	v_mov_b32_e32 v75, 0
	v_add_nc_u32_e32 v80, -1, v0
	v_add_nc_u32_e32 v81, 0x130, v77
	v_mov_b32_e32 v76, 0
	v_mov_b32_e32 v82, v77
	s_mov_b32 s5, 0
.LBB100_149:                            ; =>This Inner Loop Header: Depth=1
	s_clause 0x1
	buffer_load_dword v83, v82, s[0:3], 0 offen
	buffer_load_dword v84, v82, s[0:3], 0 offen offset:4
	ds_read_b64 v[85:86], v81
	v_add_nc_u32_e32 v80, 1, v80
	v_add_nc_u32_e32 v81, 8, v81
	v_add_nc_u32_e32 v82, 8, v82
	v_cmp_lt_u32_e32 vcc_lo, 33, v80
	s_or_b32 s5, vcc_lo, s5
	s_waitcnt vmcnt(0) lgkmcnt(0)
	v_fma_f64 v[75:76], v[83:84], v[85:86], v[75:76]
	s_andn2_b32 exec_lo, exec_lo, s5
	s_cbranch_execnz .LBB100_149
; %bb.150:
	s_or_b32 exec_lo, exec_lo, s5
	v_mov_b32_e32 v80, 0
	ds_read_b64 v[80:81], v80 offset:280
	s_waitcnt lgkmcnt(0)
	v_mul_f64 v[75:76], v[75:76], v[80:81]
	buffer_store_dword v76, off, s[0:3], 0 offset:284
	buffer_store_dword v75, off, s[0:3], 0 offset:280
.LBB100_151:
	s_or_b32 exec_lo, exec_lo, s4
	s_waitcnt_vscnt null, 0x0
	s_barrier
	buffer_gl0_inv
	s_clause 0x1
	buffer_load_dword v75, off, s[0:3], 0 offset:288
	buffer_load_dword v76, off, s[0:3], 0 offset:292
	s_mov_b32 s4, exec_lo
	s_waitcnt vmcnt(0)
	ds_write_b64 v78, v[75:76]
	s_waitcnt lgkmcnt(0)
	s_barrier
	buffer_gl0_inv
	v_cmpx_ne_u32_e32 36, v0
	s_cbranch_execz .LBB100_155
; %bb.152:
	v_mov_b32_e32 v75, 0
	v_mov_b32_e32 v76, 0
	s_mov_b32 s5, 0
.LBB100_153:                            ; =>This Inner Loop Header: Depth=1
	s_clause 0x1
	buffer_load_dword v80, v77, s[0:3], 0 offen
	buffer_load_dword v81, v77, s[0:3], 0 offen offset:4
	ds_read_b64 v[82:83], v78
	v_add_nc_u32_e32 v79, 1, v79
	v_add_nc_u32_e32 v78, 8, v78
	;; [unrolled: 1-line block ×3, first 2 shown]
	v_cmp_lt_u32_e32 vcc_lo, 34, v79
	s_or_b32 s5, vcc_lo, s5
	s_waitcnt vmcnt(0) lgkmcnt(0)
	v_fma_f64 v[75:76], v[80:81], v[82:83], v[75:76]
	s_andn2_b32 exec_lo, exec_lo, s5
	s_cbranch_execnz .LBB100_153
; %bb.154:
	s_or_b32 exec_lo, exec_lo, s5
	v_mov_b32_e32 v77, 0
	ds_read_b64 v[77:78], v77 offset:288
	s_waitcnt lgkmcnt(0)
	v_mul_f64 v[75:76], v[75:76], v[77:78]
	buffer_store_dword v76, off, s[0:3], 0 offset:292
	buffer_store_dword v75, off, s[0:3], 0 offset:288
.LBB100_155:
	s_or_b32 exec_lo, exec_lo, s4
	s_mov_b32 s5, -1
	s_waitcnt_vscnt null, 0x0
	s_barrier
	buffer_gl0_inv
.LBB100_156:
	s_and_b32 vcc_lo, exec_lo, s5
	s_cbranch_vccz .LBB100_158
; %bb.157:
	s_lshl_b64 s[4:5], s[6:7], 2
	v_mov_b32_e32 v75, 0
	s_add_u32 s4, s10, s4
	s_addc_u32 s5, s11, s5
	global_load_dword v75, v75, s[4:5]
	s_waitcnt vmcnt(0)
	v_cmp_ne_u32_e32 vcc_lo, 0, v75
	s_cbranch_vccz .LBB100_159
.LBB100_158:
	s_endpgm
.LBB100_159:
	v_lshl_add_u32 v75, v0, 3, 0x130
	s_mov_b32 s4, exec_lo
	v_cmpx_eq_u32_e32 36, v0
	s_cbranch_execz .LBB100_161
; %bb.160:
	s_clause 0x1
	buffer_load_dword v76, off, s[0:3], 0 offset:280
	buffer_load_dword v77, off, s[0:3], 0 offset:284
	v_mov_b32_e32 v78, 0
	buffer_store_dword v78, off, s[0:3], 0 offset:280
	buffer_store_dword v78, off, s[0:3], 0 offset:284
	s_waitcnt vmcnt(0)
	ds_write_b64 v75, v[76:77]
.LBB100_161:
	s_or_b32 exec_lo, exec_lo, s4
	s_waitcnt lgkmcnt(0)
	s_waitcnt_vscnt null, 0x0
	s_barrier
	buffer_gl0_inv
	s_clause 0x3
	buffer_load_dword v77, off, s[0:3], 0 offset:288
	buffer_load_dword v78, off, s[0:3], 0 offset:292
	;; [unrolled: 1-line block ×4, first 2 shown]
	v_mov_b32_e32 v76, 0
	s_mov_b32 s4, exec_lo
	ds_read_b64 v[81:82], v76 offset:592
	s_waitcnt vmcnt(2) lgkmcnt(0)
	v_fma_f64 v[77:78], v[77:78], v[81:82], 0
	s_waitcnt vmcnt(0)
	v_add_f64 v[77:78], v[79:80], -v[77:78]
	buffer_store_dword v77, off, s[0:3], 0 offset:280
	buffer_store_dword v78, off, s[0:3], 0 offset:284
	v_cmpx_lt_u32_e32 34, v0
	s_cbranch_execz .LBB100_163
; %bb.162:
	s_clause 0x1
	buffer_load_dword v77, off, s[0:3], 0 offset:272
	buffer_load_dword v78, off, s[0:3], 0 offset:276
	buffer_store_dword v76, off, s[0:3], 0 offset:272
	buffer_store_dword v76, off, s[0:3], 0 offset:276
	s_waitcnt vmcnt(0)
	ds_write_b64 v75, v[77:78]
.LBB100_163:
	s_or_b32 exec_lo, exec_lo, s4
	s_waitcnt lgkmcnt(0)
	s_waitcnt_vscnt null, 0x0
	s_barrier
	buffer_gl0_inv
	s_clause 0x5
	buffer_load_dword v80, off, s[0:3], 0 offset:280
	buffer_load_dword v81, off, s[0:3], 0 offset:284
	buffer_load_dword v82, off, s[0:3], 0 offset:288
	buffer_load_dword v83, off, s[0:3], 0 offset:292
	buffer_load_dword v84, off, s[0:3], 0 offset:272
	buffer_load_dword v85, off, s[0:3], 0 offset:276
	ds_read2_b64 v[76:79], v76 offset0:73 offset1:74
	s_mov_b32 s4, exec_lo
	s_waitcnt vmcnt(4) lgkmcnt(0)
	v_fma_f64 v[76:77], v[80:81], v[76:77], 0
	s_waitcnt vmcnt(2)
	v_fma_f64 v[76:77], v[82:83], v[78:79], v[76:77]
	s_waitcnt vmcnt(0)
	v_add_f64 v[76:77], v[84:85], -v[76:77]
	buffer_store_dword v76, off, s[0:3], 0 offset:272
	buffer_store_dword v77, off, s[0:3], 0 offset:276
	v_cmpx_lt_u32_e32 33, v0
	s_cbranch_execz .LBB100_165
; %bb.164:
	s_clause 0x1
	buffer_load_dword v76, off, s[0:3], 0 offset:264
	buffer_load_dword v77, off, s[0:3], 0 offset:268
	v_mov_b32_e32 v78, 0
	buffer_store_dword v78, off, s[0:3], 0 offset:264
	buffer_store_dword v78, off, s[0:3], 0 offset:268
	s_waitcnt vmcnt(0)
	ds_write_b64 v75, v[76:77]
.LBB100_165:
	s_or_b32 exec_lo, exec_lo, s4
	s_waitcnt lgkmcnt(0)
	s_waitcnt_vscnt null, 0x0
	s_barrier
	buffer_gl0_inv
	s_clause 0x7
	buffer_load_dword v81, off, s[0:3], 0 offset:272
	buffer_load_dword v82, off, s[0:3], 0 offset:276
	buffer_load_dword v83, off, s[0:3], 0 offset:280
	buffer_load_dword v84, off, s[0:3], 0 offset:284
	buffer_load_dword v85, off, s[0:3], 0 offset:288
	buffer_load_dword v86, off, s[0:3], 0 offset:292
	buffer_load_dword v87, off, s[0:3], 0 offset:264
	buffer_load_dword v88, off, s[0:3], 0 offset:268
	v_mov_b32_e32 v76, 0
	ds_read_b128 v[77:80], v76 offset:576
	ds_read_b64 v[89:90], v76 offset:592
	s_mov_b32 s4, exec_lo
	s_waitcnt vmcnt(6) lgkmcnt(1)
	v_fma_f64 v[77:78], v[81:82], v[77:78], 0
	s_waitcnt vmcnt(4)
	v_fma_f64 v[77:78], v[83:84], v[79:80], v[77:78]
	s_waitcnt vmcnt(2) lgkmcnt(0)
	v_fma_f64 v[77:78], v[85:86], v[89:90], v[77:78]
	s_waitcnt vmcnt(0)
	v_add_f64 v[77:78], v[87:88], -v[77:78]
	buffer_store_dword v77, off, s[0:3], 0 offset:264
	buffer_store_dword v78, off, s[0:3], 0 offset:268
	v_cmpx_lt_u32_e32 32, v0
	s_cbranch_execz .LBB100_167
; %bb.166:
	s_clause 0x1
	buffer_load_dword v77, off, s[0:3], 0 offset:256
	buffer_load_dword v78, off, s[0:3], 0 offset:260
	buffer_store_dword v76, off, s[0:3], 0 offset:256
	buffer_store_dword v76, off, s[0:3], 0 offset:260
	s_waitcnt vmcnt(0)
	ds_write_b64 v75, v[77:78]
.LBB100_167:
	s_or_b32 exec_lo, exec_lo, s4
	s_waitcnt lgkmcnt(0)
	s_waitcnt_vscnt null, 0x0
	s_barrier
	buffer_gl0_inv
	s_clause 0x9
	buffer_load_dword v85, off, s[0:3], 0 offset:264
	buffer_load_dword v86, off, s[0:3], 0 offset:268
	buffer_load_dword v87, off, s[0:3], 0 offset:272
	buffer_load_dword v88, off, s[0:3], 0 offset:276
	buffer_load_dword v89, off, s[0:3], 0 offset:280
	buffer_load_dword v90, off, s[0:3], 0 offset:284
	buffer_load_dword v91, off, s[0:3], 0 offset:288
	buffer_load_dword v92, off, s[0:3], 0 offset:292
	buffer_load_dword v93, off, s[0:3], 0 offset:256
	buffer_load_dword v94, off, s[0:3], 0 offset:260
	ds_read2_b64 v[77:80], v76 offset0:71 offset1:72
	ds_read2_b64 v[81:84], v76 offset0:73 offset1:74
	s_mov_b32 s4, exec_lo
	s_waitcnt vmcnt(8) lgkmcnt(1)
	v_fma_f64 v[76:77], v[85:86], v[77:78], 0
	s_waitcnt vmcnt(6)
	v_fma_f64 v[76:77], v[87:88], v[79:80], v[76:77]
	s_waitcnt vmcnt(4) lgkmcnt(0)
	v_fma_f64 v[76:77], v[89:90], v[81:82], v[76:77]
	s_waitcnt vmcnt(2)
	v_fma_f64 v[76:77], v[91:92], v[83:84], v[76:77]
	s_waitcnt vmcnt(0)
	v_add_f64 v[76:77], v[93:94], -v[76:77]
	buffer_store_dword v76, off, s[0:3], 0 offset:256
	buffer_store_dword v77, off, s[0:3], 0 offset:260
	v_cmpx_lt_u32_e32 31, v0
	s_cbranch_execz .LBB100_169
; %bb.168:
	s_clause 0x1
	buffer_load_dword v76, off, s[0:3], 0 offset:248
	buffer_load_dword v77, off, s[0:3], 0 offset:252
	v_mov_b32_e32 v78, 0
	buffer_store_dword v78, off, s[0:3], 0 offset:248
	buffer_store_dword v78, off, s[0:3], 0 offset:252
	s_waitcnt vmcnt(0)
	ds_write_b64 v75, v[76:77]
.LBB100_169:
	s_or_b32 exec_lo, exec_lo, s4
	s_waitcnt lgkmcnt(0)
	s_waitcnt_vscnt null, 0x0
	s_barrier
	buffer_gl0_inv
	s_clause 0xb
	buffer_load_dword v85, off, s[0:3], 0 offset:256
	buffer_load_dword v86, off, s[0:3], 0 offset:260
	;; [unrolled: 1-line block ×12, first 2 shown]
	v_mov_b32_e32 v76, 0
	ds_read_b128 v[77:80], v76 offset:560
	ds_read_b128 v[81:84], v76 offset:576
	s_mov_b32 s4, exec_lo
	s_waitcnt vmcnt(10) lgkmcnt(1)
	v_fma_f64 v[77:78], v[85:86], v[77:78], 0
	s_waitcnt vmcnt(8)
	v_fma_f64 v[77:78], v[87:88], v[79:80], v[77:78]
	ds_read_b64 v[79:80], v76 offset:592
	s_waitcnt vmcnt(6) lgkmcnt(1)
	v_fma_f64 v[77:78], v[89:90], v[81:82], v[77:78]
	s_waitcnt vmcnt(4)
	v_fma_f64 v[77:78], v[91:92], v[83:84], v[77:78]
	s_waitcnt vmcnt(2) lgkmcnt(0)
	v_fma_f64 v[77:78], v[93:94], v[79:80], v[77:78]
	s_waitcnt vmcnt(0)
	v_add_f64 v[77:78], v[95:96], -v[77:78]
	buffer_store_dword v77, off, s[0:3], 0 offset:248
	buffer_store_dword v78, off, s[0:3], 0 offset:252
	v_cmpx_lt_u32_e32 30, v0
	s_cbranch_execz .LBB100_171
; %bb.170:
	s_clause 0x1
	buffer_load_dword v77, off, s[0:3], 0 offset:240
	buffer_load_dword v78, off, s[0:3], 0 offset:244
	buffer_store_dword v76, off, s[0:3], 0 offset:240
	buffer_store_dword v76, off, s[0:3], 0 offset:244
	s_waitcnt vmcnt(0)
	ds_write_b64 v75, v[77:78]
.LBB100_171:
	s_or_b32 exec_lo, exec_lo, s4
	s_waitcnt lgkmcnt(0)
	s_waitcnt_vscnt null, 0x0
	s_barrier
	buffer_gl0_inv
	s_clause 0xd
	buffer_load_dword v85, off, s[0:3], 0 offset:248
	buffer_load_dword v86, off, s[0:3], 0 offset:252
	;; [unrolled: 1-line block ×14, first 2 shown]
	ds_read2_b64 v[77:80], v76 offset0:69 offset1:70
	ds_read2_b64 v[81:84], v76 offset0:71 offset1:72
	s_mov_b32 s4, exec_lo
	s_waitcnt vmcnt(12) lgkmcnt(1)
	v_fma_f64 v[77:78], v[85:86], v[77:78], 0
	s_waitcnt vmcnt(10)
	v_fma_f64 v[77:78], v[87:88], v[79:80], v[77:78]
	s_waitcnt vmcnt(8) lgkmcnt(0)
	v_fma_f64 v[77:78], v[89:90], v[81:82], v[77:78]
	s_waitcnt vmcnt(6)
	v_fma_f64 v[80:81], v[91:92], v[83:84], v[77:78]
	ds_read2_b64 v[76:79], v76 offset0:73 offset1:74
	s_waitcnt vmcnt(4) lgkmcnt(0)
	v_fma_f64 v[76:77], v[93:94], v[76:77], v[80:81]
	s_waitcnt vmcnt(2)
	v_fma_f64 v[76:77], v[95:96], v[78:79], v[76:77]
	s_waitcnt vmcnt(0)
	v_add_f64 v[76:77], v[97:98], -v[76:77]
	buffer_store_dword v76, off, s[0:3], 0 offset:240
	buffer_store_dword v77, off, s[0:3], 0 offset:244
	v_cmpx_lt_u32_e32 29, v0
	s_cbranch_execz .LBB100_173
; %bb.172:
	s_clause 0x1
	buffer_load_dword v76, off, s[0:3], 0 offset:232
	buffer_load_dword v77, off, s[0:3], 0 offset:236
	v_mov_b32_e32 v78, 0
	buffer_store_dword v78, off, s[0:3], 0 offset:232
	buffer_store_dword v78, off, s[0:3], 0 offset:236
	s_waitcnt vmcnt(0)
	ds_write_b64 v75, v[76:77]
.LBB100_173:
	s_or_b32 exec_lo, exec_lo, s4
	s_waitcnt lgkmcnt(0)
	s_waitcnt_vscnt null, 0x0
	s_barrier
	buffer_gl0_inv
	s_clause 0xf
	buffer_load_dword v85, off, s[0:3], 0 offset:240
	buffer_load_dword v86, off, s[0:3], 0 offset:244
	;; [unrolled: 1-line block ×16, first 2 shown]
	v_mov_b32_e32 v76, 0
	ds_read_b128 v[77:80], v76 offset:544
	ds_read_b128 v[81:84], v76 offset:560
	s_mov_b32 s4, exec_lo
	s_waitcnt vmcnt(14) lgkmcnt(1)
	v_fma_f64 v[77:78], v[85:86], v[77:78], 0
	s_waitcnt vmcnt(12)
	v_fma_f64 v[77:78], v[87:88], v[79:80], v[77:78]
	s_waitcnt vmcnt(10) lgkmcnt(0)
	v_fma_f64 v[77:78], v[89:90], v[81:82], v[77:78]
	s_waitcnt vmcnt(8)
	v_fma_f64 v[81:82], v[91:92], v[83:84], v[77:78]
	ds_read_b128 v[77:80], v76 offset:576
	ds_read_b64 v[83:84], v76 offset:592
	s_waitcnt vmcnt(6) lgkmcnt(1)
	v_fma_f64 v[77:78], v[93:94], v[77:78], v[81:82]
	s_waitcnt vmcnt(4)
	v_fma_f64 v[77:78], v[95:96], v[79:80], v[77:78]
	s_waitcnt vmcnt(2) lgkmcnt(0)
	v_fma_f64 v[77:78], v[97:98], v[83:84], v[77:78]
	s_waitcnt vmcnt(0)
	v_add_f64 v[77:78], v[99:100], -v[77:78]
	buffer_store_dword v77, off, s[0:3], 0 offset:232
	buffer_store_dword v78, off, s[0:3], 0 offset:236
	v_cmpx_lt_u32_e32 28, v0
	s_cbranch_execz .LBB100_175
; %bb.174:
	s_clause 0x1
	buffer_load_dword v77, off, s[0:3], 0 offset:224
	buffer_load_dword v78, off, s[0:3], 0 offset:228
	buffer_store_dword v76, off, s[0:3], 0 offset:224
	buffer_store_dword v76, off, s[0:3], 0 offset:228
	s_waitcnt vmcnt(0)
	ds_write_b64 v75, v[77:78]
.LBB100_175:
	s_or_b32 exec_lo, exec_lo, s4
	s_waitcnt lgkmcnt(0)
	s_waitcnt_vscnt null, 0x0
	s_barrier
	buffer_gl0_inv
	s_clause 0x11
	buffer_load_dword v85, off, s[0:3], 0 offset:232
	buffer_load_dword v86, off, s[0:3], 0 offset:236
	;; [unrolled: 1-line block ×18, first 2 shown]
	ds_read2_b64 v[77:80], v76 offset0:67 offset1:68
	ds_read2_b64 v[81:84], v76 offset0:69 offset1:70
	s_mov_b32 s4, exec_lo
	s_waitcnt vmcnt(16) lgkmcnt(1)
	v_fma_f64 v[77:78], v[85:86], v[77:78], 0
	s_waitcnt vmcnt(14)
	v_fma_f64 v[77:78], v[87:88], v[79:80], v[77:78]
	s_waitcnt vmcnt(12) lgkmcnt(0)
	v_fma_f64 v[77:78], v[89:90], v[81:82], v[77:78]
	s_waitcnt vmcnt(10)
	v_fma_f64 v[85:86], v[91:92], v[83:84], v[77:78]
	ds_read2_b64 v[77:80], v76 offset0:71 offset1:72
	ds_read2_b64 v[81:84], v76 offset0:73 offset1:74
	s_waitcnt vmcnt(8) lgkmcnt(1)
	v_fma_f64 v[76:77], v[93:94], v[77:78], v[85:86]
	s_waitcnt vmcnt(6)
	v_fma_f64 v[76:77], v[95:96], v[79:80], v[76:77]
	s_waitcnt vmcnt(4) lgkmcnt(0)
	v_fma_f64 v[76:77], v[97:98], v[81:82], v[76:77]
	s_waitcnt vmcnt(2)
	v_fma_f64 v[76:77], v[99:100], v[83:84], v[76:77]
	s_waitcnt vmcnt(0)
	v_add_f64 v[76:77], v[101:102], -v[76:77]
	buffer_store_dword v76, off, s[0:3], 0 offset:224
	buffer_store_dword v77, off, s[0:3], 0 offset:228
	v_cmpx_lt_u32_e32 27, v0
	s_cbranch_execz .LBB100_177
; %bb.176:
	s_clause 0x1
	buffer_load_dword v76, off, s[0:3], 0 offset:216
	buffer_load_dword v77, off, s[0:3], 0 offset:220
	v_mov_b32_e32 v78, 0
	buffer_store_dword v78, off, s[0:3], 0 offset:216
	buffer_store_dword v78, off, s[0:3], 0 offset:220
	s_waitcnt vmcnt(0)
	ds_write_b64 v75, v[76:77]
.LBB100_177:
	s_or_b32 exec_lo, exec_lo, s4
	s_waitcnt lgkmcnt(0)
	s_waitcnt_vscnt null, 0x0
	s_barrier
	buffer_gl0_inv
	s_clause 0x13
	buffer_load_dword v85, off, s[0:3], 0 offset:224
	buffer_load_dword v86, off, s[0:3], 0 offset:228
	;; [unrolled: 1-line block ×20, first 2 shown]
	v_mov_b32_e32 v76, 0
	ds_read_b128 v[77:80], v76 offset:528
	ds_read_b128 v[81:84], v76 offset:544
	s_mov_b32 s4, exec_lo
	s_waitcnt vmcnt(18) lgkmcnt(1)
	v_fma_f64 v[77:78], v[85:86], v[77:78], 0
	s_waitcnt vmcnt(16)
	v_fma_f64 v[77:78], v[87:88], v[79:80], v[77:78]
	s_waitcnt vmcnt(14) lgkmcnt(0)
	v_fma_f64 v[77:78], v[89:90], v[81:82], v[77:78]
	s_waitcnt vmcnt(12)
	v_fma_f64 v[85:86], v[91:92], v[83:84], v[77:78]
	ds_read_b128 v[77:80], v76 offset:560
	ds_read_b128 v[81:84], v76 offset:576
	s_waitcnt vmcnt(10) lgkmcnt(1)
	v_fma_f64 v[77:78], v[93:94], v[77:78], v[85:86]
	s_waitcnt vmcnt(8)
	v_fma_f64 v[77:78], v[95:96], v[79:80], v[77:78]
	ds_read_b64 v[79:80], v76 offset:592
	s_waitcnt vmcnt(6) lgkmcnt(1)
	v_fma_f64 v[77:78], v[97:98], v[81:82], v[77:78]
	s_waitcnt vmcnt(3)
	v_fma_f64 v[77:78], v[99:100], v[83:84], v[77:78]
	s_waitcnt vmcnt(2) lgkmcnt(0)
	v_fma_f64 v[77:78], v[101:102], v[79:80], v[77:78]
	s_waitcnt vmcnt(0)
	v_add_f64 v[77:78], v[103:104], -v[77:78]
	buffer_store_dword v77, off, s[0:3], 0 offset:216
	buffer_store_dword v78, off, s[0:3], 0 offset:220
	v_cmpx_lt_u32_e32 26, v0
	s_cbranch_execz .LBB100_179
; %bb.178:
	s_clause 0x1
	buffer_load_dword v77, off, s[0:3], 0 offset:208
	buffer_load_dword v78, off, s[0:3], 0 offset:212
	buffer_store_dword v76, off, s[0:3], 0 offset:208
	buffer_store_dword v76, off, s[0:3], 0 offset:212
	s_waitcnt vmcnt(0)
	ds_write_b64 v75, v[77:78]
.LBB100_179:
	s_or_b32 exec_lo, exec_lo, s4
	s_waitcnt lgkmcnt(0)
	s_waitcnt_vscnt null, 0x0
	s_barrier
	buffer_gl0_inv
	s_clause 0x15
	buffer_load_dword v85, off, s[0:3], 0 offset:216
	buffer_load_dword v86, off, s[0:3], 0 offset:220
	;; [unrolled: 1-line block ×22, first 2 shown]
	ds_read2_b64 v[77:80], v76 offset0:65 offset1:66
	ds_read2_b64 v[81:84], v76 offset0:67 offset1:68
	s_mov_b32 s4, exec_lo
	s_waitcnt vmcnt(20) lgkmcnt(1)
	v_fma_f64 v[77:78], v[85:86], v[77:78], 0
	s_waitcnt vmcnt(18)
	v_fma_f64 v[77:78], v[87:88], v[79:80], v[77:78]
	s_waitcnt vmcnt(16) lgkmcnt(0)
	v_fma_f64 v[77:78], v[89:90], v[81:82], v[77:78]
	s_waitcnt vmcnt(14)
	v_fma_f64 v[85:86], v[91:92], v[83:84], v[77:78]
	ds_read2_b64 v[77:80], v76 offset0:69 offset1:70
	ds_read2_b64 v[81:84], v76 offset0:71 offset1:72
	s_waitcnt vmcnt(12) lgkmcnt(1)
	v_fma_f64 v[77:78], v[93:94], v[77:78], v[85:86]
	s_waitcnt vmcnt(10)
	v_fma_f64 v[77:78], v[95:96], v[79:80], v[77:78]
	s_waitcnt vmcnt(8) lgkmcnt(0)
	v_fma_f64 v[77:78], v[97:98], v[81:82], v[77:78]
	s_waitcnt vmcnt(4)
	v_fma_f64 v[80:81], v[99:100], v[83:84], v[77:78]
	ds_read2_b64 v[76:79], v76 offset0:73 offset1:74
	s_waitcnt vmcnt(3) lgkmcnt(0)
	v_fma_f64 v[76:77], v[103:104], v[76:77], v[80:81]
	s_waitcnt vmcnt(2)
	v_fma_f64 v[76:77], v[101:102], v[78:79], v[76:77]
	s_waitcnt vmcnt(0)
	v_add_f64 v[76:77], v[105:106], -v[76:77]
	buffer_store_dword v76, off, s[0:3], 0 offset:208
	buffer_store_dword v77, off, s[0:3], 0 offset:212
	v_cmpx_lt_u32_e32 25, v0
	s_cbranch_execz .LBB100_181
; %bb.180:
	s_clause 0x1
	buffer_load_dword v76, off, s[0:3], 0 offset:200
	buffer_load_dword v77, off, s[0:3], 0 offset:204
	v_mov_b32_e32 v78, 0
	buffer_store_dword v78, off, s[0:3], 0 offset:200
	buffer_store_dword v78, off, s[0:3], 0 offset:204
	s_waitcnt vmcnt(0)
	ds_write_b64 v75, v[76:77]
.LBB100_181:
	s_or_b32 exec_lo, exec_lo, s4
	s_waitcnt lgkmcnt(0)
	s_waitcnt_vscnt null, 0x0
	s_barrier
	buffer_gl0_inv
	s_clause 0x17
	buffer_load_dword v85, off, s[0:3], 0 offset:208
	buffer_load_dword v86, off, s[0:3], 0 offset:212
	;; [unrolled: 1-line block ×24, first 2 shown]
	v_mov_b32_e32 v76, 0
	ds_read_b128 v[77:80], v76 offset:512
	ds_read_b128 v[81:84], v76 offset:528
	s_mov_b32 s4, exec_lo
	s_waitcnt vmcnt(22) lgkmcnt(1)
	v_fma_f64 v[77:78], v[85:86], v[77:78], 0
	s_waitcnt vmcnt(20)
	v_fma_f64 v[77:78], v[87:88], v[79:80], v[77:78]
	s_waitcnt vmcnt(18) lgkmcnt(0)
	v_fma_f64 v[77:78], v[89:90], v[81:82], v[77:78]
	s_waitcnt vmcnt(16)
	v_fma_f64 v[85:86], v[91:92], v[83:84], v[77:78]
	ds_read_b128 v[77:80], v76 offset:544
	ds_read_b128 v[81:84], v76 offset:560
	s_waitcnt vmcnt(14) lgkmcnt(1)
	v_fma_f64 v[77:78], v[93:94], v[77:78], v[85:86]
	s_waitcnt vmcnt(12)
	v_fma_f64 v[77:78], v[95:96], v[79:80], v[77:78]
	s_waitcnt vmcnt(10) lgkmcnt(0)
	v_fma_f64 v[77:78], v[97:98], v[81:82], v[77:78]
	s_waitcnt vmcnt(5)
	v_fma_f64 v[81:82], v[99:100], v[83:84], v[77:78]
	ds_read_b128 v[77:80], v76 offset:576
	ds_read_b64 v[83:84], v76 offset:592
	s_waitcnt vmcnt(4) lgkmcnt(1)
	v_fma_f64 v[77:78], v[105:106], v[77:78], v[81:82]
	s_waitcnt vmcnt(3)
	v_fma_f64 v[77:78], v[103:104], v[79:80], v[77:78]
	s_waitcnt vmcnt(2) lgkmcnt(0)
	v_fma_f64 v[77:78], v[101:102], v[83:84], v[77:78]
	s_waitcnt vmcnt(0)
	v_add_f64 v[77:78], v[107:108], -v[77:78]
	buffer_store_dword v78, off, s[0:3], 0 offset:204
	buffer_store_dword v77, off, s[0:3], 0 offset:200
	v_cmpx_lt_u32_e32 24, v0
	s_cbranch_execz .LBB100_183
; %bb.182:
	s_clause 0x1
	buffer_load_dword v77, off, s[0:3], 0 offset:192
	buffer_load_dword v78, off, s[0:3], 0 offset:196
	buffer_store_dword v76, off, s[0:3], 0 offset:192
	buffer_store_dword v76, off, s[0:3], 0 offset:196
	s_waitcnt vmcnt(0)
	ds_write_b64 v75, v[77:78]
.LBB100_183:
	s_or_b32 exec_lo, exec_lo, s4
	s_waitcnt lgkmcnt(0)
	s_waitcnt_vscnt null, 0x0
	s_barrier
	buffer_gl0_inv
	s_clause 0x19
	buffer_load_dword v81, off, s[0:3], 0 offset:200
	buffer_load_dword v82, off, s[0:3], 0 offset:204
	;; [unrolled: 1-line block ×26, first 2 shown]
	ds_read2_b64 v[77:80], v76 offset0:63 offset1:64
	s_mov_b32 s4, exec_lo
	s_waitcnt vmcnt(24) lgkmcnt(0)
	v_fma_f64 v[77:78], v[81:82], v[77:78], 0
	s_waitcnt vmcnt(22)
	v_fma_f64 v[81:82], v[83:84], v[79:80], v[77:78]
	ds_read2_b64 v[77:80], v76 offset0:65 offset1:66
	s_waitcnt vmcnt(20) lgkmcnt(0)
	v_fma_f64 v[77:78], v[85:86], v[77:78], v[81:82]
	s_waitcnt vmcnt(18)
	v_fma_f64 v[81:82], v[87:88], v[79:80], v[77:78]
	ds_read2_b64 v[77:80], v76 offset0:67 offset1:68
	s_waitcnt vmcnt(16) lgkmcnt(0)
	v_fma_f64 v[77:78], v[89:90], v[77:78], v[81:82]
	s_waitcnt vmcnt(14)
	v_fma_f64 v[81:82], v[91:92], v[79:80], v[77:78]
	ds_read2_b64 v[77:80], v76 offset0:69 offset1:70
	s_waitcnt vmcnt(12) lgkmcnt(0)
	v_fma_f64 v[77:78], v[93:94], v[77:78], v[81:82]
	s_waitcnt vmcnt(10)
	v_fma_f64 v[81:82], v[95:96], v[79:80], v[77:78]
	ds_read2_b64 v[77:80], v76 offset0:71 offset1:72
	s_waitcnt vmcnt(8) lgkmcnt(0)
	v_fma_f64 v[77:78], v[97:98], v[77:78], v[81:82]
	s_waitcnt vmcnt(6)
	v_fma_f64 v[80:81], v[99:100], v[79:80], v[77:78]
	ds_read2_b64 v[76:79], v76 offset0:73 offset1:74
	s_waitcnt vmcnt(4) lgkmcnt(0)
	v_fma_f64 v[76:77], v[101:102], v[76:77], v[80:81]
	s_waitcnt vmcnt(2)
	v_fma_f64 v[76:77], v[103:104], v[78:79], v[76:77]
	s_waitcnt vmcnt(0)
	v_add_f64 v[76:77], v[105:106], -v[76:77]
	buffer_store_dword v77, off, s[0:3], 0 offset:196
	buffer_store_dword v76, off, s[0:3], 0 offset:192
	v_cmpx_lt_u32_e32 23, v0
	s_cbranch_execz .LBB100_185
; %bb.184:
	s_clause 0x1
	buffer_load_dword v76, off, s[0:3], 0 offset:184
	buffer_load_dword v77, off, s[0:3], 0 offset:188
	v_mov_b32_e32 v78, 0
	buffer_store_dword v78, off, s[0:3], 0 offset:184
	buffer_store_dword v78, off, s[0:3], 0 offset:188
	s_waitcnt vmcnt(0)
	ds_write_b64 v75, v[76:77]
.LBB100_185:
	s_or_b32 exec_lo, exec_lo, s4
	s_waitcnt lgkmcnt(0)
	s_waitcnt_vscnt null, 0x0
	s_barrier
	buffer_gl0_inv
	s_clause 0x1b
	buffer_load_dword v81, off, s[0:3], 0 offset:192
	buffer_load_dword v82, off, s[0:3], 0 offset:196
	buffer_load_dword v83, off, s[0:3], 0 offset:200
	buffer_load_dword v84, off, s[0:3], 0 offset:204
	buffer_load_dword v85, off, s[0:3], 0 offset:208
	buffer_load_dword v86, off, s[0:3], 0 offset:212
	buffer_load_dword v87, off, s[0:3], 0 offset:216
	buffer_load_dword v88, off, s[0:3], 0 offset:220
	buffer_load_dword v89, off, s[0:3], 0 offset:224
	buffer_load_dword v90, off, s[0:3], 0 offset:228
	buffer_load_dword v91, off, s[0:3], 0 offset:232
	buffer_load_dword v92, off, s[0:3], 0 offset:236
	buffer_load_dword v93, off, s[0:3], 0 offset:240
	buffer_load_dword v94, off, s[0:3], 0 offset:244
	buffer_load_dword v96, off, s[0:3], 0 offset:252
	buffer_load_dword v95, off, s[0:3], 0 offset:248
	buffer_load_dword v97, off, s[0:3], 0 offset:256
	buffer_load_dword v98, off, s[0:3], 0 offset:260
	buffer_load_dword v99, off, s[0:3], 0 offset:264
	buffer_load_dword v100, off, s[0:3], 0 offset:268
	buffer_load_dword v101, off, s[0:3], 0 offset:272
	buffer_load_dword v102, off, s[0:3], 0 offset:276
	buffer_load_dword v104, off, s[0:3], 0 offset:284
	buffer_load_dword v103, off, s[0:3], 0 offset:280
	buffer_load_dword v105, off, s[0:3], 0 offset:288
	buffer_load_dword v106, off, s[0:3], 0 offset:292
	buffer_load_dword v107, off, s[0:3], 0 offset:184
	buffer_load_dword v108, off, s[0:3], 0 offset:188
	v_mov_b32_e32 v76, 0
	s_mov_b32 s4, exec_lo
	ds_read_b128 v[77:80], v76 offset:496
	s_waitcnt vmcnt(26) lgkmcnt(0)
	v_fma_f64 v[77:78], v[81:82], v[77:78], 0
	s_waitcnt vmcnt(24)
	v_fma_f64 v[81:82], v[83:84], v[79:80], v[77:78]
	ds_read_b128 v[77:80], v76 offset:512
	s_waitcnt vmcnt(22) lgkmcnt(0)
	v_fma_f64 v[77:78], v[85:86], v[77:78], v[81:82]
	s_waitcnt vmcnt(20)
	v_fma_f64 v[81:82], v[87:88], v[79:80], v[77:78]
	;; [unrolled: 5-line block ×6, first 2 shown]
	ds_read_b64 v[79:80], v76 offset:592
	s_waitcnt vmcnt(2) lgkmcnt(0)
	v_fma_f64 v[77:78], v[105:106], v[79:80], v[77:78]
	s_waitcnt vmcnt(0)
	v_add_f64 v[77:78], v[107:108], -v[77:78]
	buffer_store_dword v78, off, s[0:3], 0 offset:188
	buffer_store_dword v77, off, s[0:3], 0 offset:184
	v_cmpx_lt_u32_e32 22, v0
	s_cbranch_execz .LBB100_187
; %bb.186:
	s_clause 0x1
	buffer_load_dword v77, off, s[0:3], 0 offset:176
	buffer_load_dword v78, off, s[0:3], 0 offset:180
	buffer_store_dword v76, off, s[0:3], 0 offset:176
	buffer_store_dword v76, off, s[0:3], 0 offset:180
	s_waitcnt vmcnt(0)
	ds_write_b64 v75, v[77:78]
.LBB100_187:
	s_or_b32 exec_lo, exec_lo, s4
	s_waitcnt lgkmcnt(0)
	s_waitcnt_vscnt null, 0x0
	s_barrier
	buffer_gl0_inv
	s_clause 0x1b
	buffer_load_dword v81, off, s[0:3], 0 offset:184
	buffer_load_dword v82, off, s[0:3], 0 offset:188
	buffer_load_dword v83, off, s[0:3], 0 offset:192
	buffer_load_dword v84, off, s[0:3], 0 offset:196
	buffer_load_dword v85, off, s[0:3], 0 offset:200
	buffer_load_dword v86, off, s[0:3], 0 offset:204
	buffer_load_dword v87, off, s[0:3], 0 offset:208
	buffer_load_dword v88, off, s[0:3], 0 offset:212
	buffer_load_dword v89, off, s[0:3], 0 offset:216
	buffer_load_dword v90, off, s[0:3], 0 offset:220
	buffer_load_dword v91, off, s[0:3], 0 offset:224
	buffer_load_dword v92, off, s[0:3], 0 offset:228
	buffer_load_dword v93, off, s[0:3], 0 offset:232
	buffer_load_dword v94, off, s[0:3], 0 offset:236
	buffer_load_dword v96, off, s[0:3], 0 offset:244
	buffer_load_dword v95, off, s[0:3], 0 offset:240
	buffer_load_dword v97, off, s[0:3], 0 offset:248
	buffer_load_dword v98, off, s[0:3], 0 offset:252
	buffer_load_dword v99, off, s[0:3], 0 offset:256
	buffer_load_dword v100, off, s[0:3], 0 offset:260
	buffer_load_dword v101, off, s[0:3], 0 offset:264
	buffer_load_dword v102, off, s[0:3], 0 offset:268
	buffer_load_dword v104, off, s[0:3], 0 offset:276
	buffer_load_dword v103, off, s[0:3], 0 offset:272
	buffer_load_dword v105, off, s[0:3], 0 offset:280
	buffer_load_dword v106, off, s[0:3], 0 offset:284
	buffer_load_dword v107, off, s[0:3], 0 offset:288
	buffer_load_dword v108, off, s[0:3], 0 offset:292
	ds_read2_b64 v[77:80], v76 offset0:61 offset1:62
	s_clause 0x1
	buffer_load_dword v109, off, s[0:3], 0 offset:176
	buffer_load_dword v110, off, s[0:3], 0 offset:180
	s_mov_b32 s4, exec_lo
	s_waitcnt vmcnt(28) lgkmcnt(0)
	v_fma_f64 v[77:78], v[81:82], v[77:78], 0
	s_waitcnt vmcnt(26)
	v_fma_f64 v[81:82], v[83:84], v[79:80], v[77:78]
	ds_read2_b64 v[77:80], v76 offset0:63 offset1:64
	s_waitcnt vmcnt(24) lgkmcnt(0)
	v_fma_f64 v[77:78], v[85:86], v[77:78], v[81:82]
	s_waitcnt vmcnt(22)
	v_fma_f64 v[81:82], v[87:88], v[79:80], v[77:78]
	ds_read2_b64 v[77:80], v76 offset0:65 offset1:66
	;; [unrolled: 5-line block ×6, first 2 shown]
	s_waitcnt vmcnt(4) lgkmcnt(0)
	v_fma_f64 v[76:77], v[105:106], v[76:77], v[80:81]
	s_waitcnt vmcnt(2)
	v_fma_f64 v[76:77], v[107:108], v[78:79], v[76:77]
	s_waitcnt vmcnt(0)
	v_add_f64 v[76:77], v[109:110], -v[76:77]
	buffer_store_dword v77, off, s[0:3], 0 offset:180
	buffer_store_dword v76, off, s[0:3], 0 offset:176
	v_cmpx_lt_u32_e32 21, v0
	s_cbranch_execz .LBB100_189
; %bb.188:
	s_clause 0x1
	buffer_load_dword v76, off, s[0:3], 0 offset:168
	buffer_load_dword v77, off, s[0:3], 0 offset:172
	v_mov_b32_e32 v78, 0
	buffer_store_dword v78, off, s[0:3], 0 offset:168
	buffer_store_dword v78, off, s[0:3], 0 offset:172
	s_waitcnt vmcnt(0)
	ds_write_b64 v75, v[76:77]
.LBB100_189:
	s_or_b32 exec_lo, exec_lo, s4
	s_waitcnt lgkmcnt(0)
	s_waitcnt_vscnt null, 0x0
	s_barrier
	buffer_gl0_inv
	s_clause 0x1c
	buffer_load_dword v85, off, s[0:3], 0 offset:176
	buffer_load_dword v86, off, s[0:3], 0 offset:180
	;; [unrolled: 1-line block ×29, first 2 shown]
	v_mov_b32_e32 v76, 0
	buffer_load_dword v110, off, s[0:3], 0 offset:292
	s_mov_b32 s4, exec_lo
	ds_read_b128 v[77:80], v76 offset:480
	ds_read_b128 v[81:84], v76 offset:496
	s_waitcnt vmcnt(28) lgkmcnt(1)
	v_fma_f64 v[77:78], v[85:86], v[77:78], 0
	s_clause 0x1
	buffer_load_dword v85, off, s[0:3], 0 offset:168
	buffer_load_dword v86, off, s[0:3], 0 offset:172
	s_waitcnt vmcnt(28)
	v_fma_f64 v[77:78], v[87:88], v[79:80], v[77:78]
	s_waitcnt vmcnt(26) lgkmcnt(0)
	v_fma_f64 v[77:78], v[89:90], v[81:82], v[77:78]
	s_waitcnt vmcnt(24)
	v_fma_f64 v[87:88], v[91:92], v[83:84], v[77:78]
	ds_read_b128 v[77:80], v76 offset:512
	ds_read_b128 v[81:84], v76 offset:528
	s_waitcnt vmcnt(22) lgkmcnt(1)
	v_fma_f64 v[77:78], v[93:94], v[77:78], v[87:88]
	s_waitcnt vmcnt(20)
	v_fma_f64 v[77:78], v[95:96], v[79:80], v[77:78]
	s_waitcnt vmcnt(18) lgkmcnt(0)
	v_fma_f64 v[77:78], v[97:98], v[81:82], v[77:78]
	s_waitcnt vmcnt(13)
	v_fma_f64 v[87:88], v[99:100], v[83:84], v[77:78]
	ds_read_b128 v[77:80], v76 offset:544
	ds_read_b128 v[81:84], v76 offset:560
	s_waitcnt vmcnt(12) lgkmcnt(1)
	v_fma_f64 v[77:78], v[105:106], v[77:78], v[87:88]
	s_waitcnt vmcnt(11)
	v_fma_f64 v[77:78], v[103:104], v[79:80], v[77:78]
	s_waitcnt vmcnt(10) lgkmcnt(0)
	v_fma_f64 v[77:78], v[101:102], v[81:82], v[77:78]
	s_waitcnt vmcnt(5)
	v_fma_f64 v[81:82], v[107:108], v[83:84], v[77:78]
	ds_read_b128 v[77:80], v76 offset:576
	ds_read_b64 v[83:84], v76 offset:592
	s_waitcnt vmcnt(4) lgkmcnt(1)
	v_fma_f64 v[77:78], v[113:114], v[77:78], v[81:82]
	s_waitcnt vmcnt(3)
	v_fma_f64 v[77:78], v[111:112], v[79:80], v[77:78]
	s_waitcnt vmcnt(2) lgkmcnt(0)
	v_fma_f64 v[77:78], v[109:110], v[83:84], v[77:78]
	s_waitcnt vmcnt(0)
	v_add_f64 v[77:78], v[85:86], -v[77:78]
	buffer_store_dword v78, off, s[0:3], 0 offset:172
	buffer_store_dword v77, off, s[0:3], 0 offset:168
	v_cmpx_lt_u32_e32 20, v0
	s_cbranch_execz .LBB100_191
; %bb.190:
	s_clause 0x1
	buffer_load_dword v77, off, s[0:3], 0 offset:160
	buffer_load_dword v78, off, s[0:3], 0 offset:164
	buffer_store_dword v76, off, s[0:3], 0 offset:160
	buffer_store_dword v76, off, s[0:3], 0 offset:164
	s_waitcnt vmcnt(0)
	ds_write_b64 v75, v[77:78]
.LBB100_191:
	s_or_b32 exec_lo, exec_lo, s4
	s_waitcnt lgkmcnt(0)
	s_waitcnt_vscnt null, 0x0
	s_barrier
	buffer_gl0_inv
	s_clause 0x1c
	buffer_load_dword v85, off, s[0:3], 0 offset:168
	buffer_load_dword v86, off, s[0:3], 0 offset:172
	;; [unrolled: 1-line block ×29, first 2 shown]
	ds_read2_b64 v[77:80], v76 offset0:59 offset1:60
	ds_read2_b64 v[81:84], v76 offset0:61 offset1:62
	buffer_load_dword v110, off, s[0:3], 0 offset:284
	s_mov_b32 s4, exec_lo
	s_waitcnt vmcnt(28) lgkmcnt(1)
	v_fma_f64 v[77:78], v[85:86], v[77:78], 0
	s_clause 0x1
	buffer_load_dword v86, off, s[0:3], 0 offset:292
	buffer_load_dword v85, off, s[0:3], 0 offset:288
	s_waitcnt vmcnt(28)
	v_fma_f64 v[77:78], v[87:88], v[79:80], v[77:78]
	s_clause 0x1
	buffer_load_dword v87, off, s[0:3], 0 offset:160
	buffer_load_dword v88, off, s[0:3], 0 offset:164
	s_waitcnt vmcnt(28) lgkmcnt(0)
	v_fma_f64 v[77:78], v[89:90], v[81:82], v[77:78]
	s_waitcnt vmcnt(26)
	v_fma_f64 v[89:90], v[91:92], v[83:84], v[77:78]
	ds_read2_b64 v[77:80], v76 offset0:63 offset1:64
	ds_read2_b64 v[81:84], v76 offset0:65 offset1:66
	s_waitcnt vmcnt(24) lgkmcnt(1)
	v_fma_f64 v[77:78], v[93:94], v[77:78], v[89:90]
	s_waitcnt vmcnt(22)
	v_fma_f64 v[77:78], v[95:96], v[79:80], v[77:78]
	s_waitcnt vmcnt(20) lgkmcnt(0)
	v_fma_f64 v[77:78], v[97:98], v[81:82], v[77:78]
	s_waitcnt vmcnt(15)
	v_fma_f64 v[89:90], v[99:100], v[83:84], v[77:78]
	ds_read2_b64 v[77:80], v76 offset0:67 offset1:68
	ds_read2_b64 v[81:84], v76 offset0:69 offset1:70
	s_waitcnt vmcnt(14) lgkmcnt(1)
	v_fma_f64 v[77:78], v[105:106], v[77:78], v[89:90]
	s_waitcnt vmcnt(13)
	v_fma_f64 v[77:78], v[103:104], v[79:80], v[77:78]
	;; [unrolled: 10-line block ×3, first 2 shown]
	s_waitcnt vmcnt(4) lgkmcnt(0)
	v_fma_f64 v[76:77], v[109:110], v[81:82], v[76:77]
	s_waitcnt vmcnt(2)
	v_fma_f64 v[76:77], v[85:86], v[83:84], v[76:77]
	s_waitcnt vmcnt(0)
	v_add_f64 v[76:77], v[87:88], -v[76:77]
	buffer_store_dword v77, off, s[0:3], 0 offset:164
	buffer_store_dword v76, off, s[0:3], 0 offset:160
	v_cmpx_lt_u32_e32 19, v0
	s_cbranch_execz .LBB100_193
; %bb.192:
	s_clause 0x1
	buffer_load_dword v76, off, s[0:3], 0 offset:152
	buffer_load_dword v77, off, s[0:3], 0 offset:156
	v_mov_b32_e32 v78, 0
	buffer_store_dword v78, off, s[0:3], 0 offset:152
	buffer_store_dword v78, off, s[0:3], 0 offset:156
	s_waitcnt vmcnt(0)
	ds_write_b64 v75, v[76:77]
.LBB100_193:
	s_or_b32 exec_lo, exec_lo, s4
	s_waitcnt lgkmcnt(0)
	s_waitcnt_vscnt null, 0x0
	s_barrier
	buffer_gl0_inv
	s_clause 0x1c
	buffer_load_dword v85, off, s[0:3], 0 offset:160
	buffer_load_dword v86, off, s[0:3], 0 offset:164
	;; [unrolled: 1-line block ×29, first 2 shown]
	v_mov_b32_e32 v76, 0
	buffer_load_dword v110, off, s[0:3], 0 offset:276
	s_mov_b32 s4, exec_lo
	ds_read_b128 v[77:80], v76 offset:464
	ds_read_b128 v[81:84], v76 offset:480
	s_waitcnt vmcnt(28) lgkmcnt(1)
	v_fma_f64 v[77:78], v[85:86], v[77:78], 0
	s_clause 0x3
	buffer_load_dword v86, off, s[0:3], 0 offset:284
	buffer_load_dword v115, off, s[0:3], 0 offset:288
	;; [unrolled: 1-line block ×4, first 2 shown]
	s_waitcnt vmcnt(30)
	v_fma_f64 v[77:78], v[87:88], v[79:80], v[77:78]
	s_clause 0x1
	buffer_load_dword v87, off, s[0:3], 0 offset:152
	buffer_load_dword v88, off, s[0:3], 0 offset:156
	s_waitcnt vmcnt(30) lgkmcnt(0)
	v_fma_f64 v[77:78], v[89:90], v[81:82], v[77:78]
	s_waitcnt vmcnt(28)
	v_fma_f64 v[89:90], v[91:92], v[83:84], v[77:78]
	ds_read_b128 v[77:80], v76 offset:496
	ds_read_b128 v[81:84], v76 offset:512
	s_waitcnt vmcnt(26) lgkmcnt(1)
	v_fma_f64 v[77:78], v[93:94], v[77:78], v[89:90]
	s_waitcnt vmcnt(24)
	v_fma_f64 v[77:78], v[95:96], v[79:80], v[77:78]
	s_waitcnt vmcnt(22) lgkmcnt(0)
	v_fma_f64 v[77:78], v[97:98], v[81:82], v[77:78]
	s_waitcnt vmcnt(17)
	v_fma_f64 v[89:90], v[99:100], v[83:84], v[77:78]
	ds_read_b128 v[77:80], v76 offset:528
	ds_read_b128 v[81:84], v76 offset:544
	s_waitcnt vmcnt(16) lgkmcnt(1)
	v_fma_f64 v[77:78], v[105:106], v[77:78], v[89:90]
	s_waitcnt vmcnt(15)
	v_fma_f64 v[77:78], v[103:104], v[79:80], v[77:78]
	;; [unrolled: 10-line block ×3, first 2 shown]
	ds_read_b64 v[79:80], v76 offset:592
	s_waitcnt vmcnt(6) lgkmcnt(1)
	v_fma_f64 v[77:78], v[109:110], v[81:82], v[77:78]
	s_waitcnt vmcnt(3)
	v_fma_f64 v[77:78], v[85:86], v[83:84], v[77:78]
	s_waitcnt vmcnt(2) lgkmcnt(0)
	v_fma_f64 v[77:78], v[115:116], v[79:80], v[77:78]
	s_waitcnt vmcnt(0)
	v_add_f64 v[77:78], v[87:88], -v[77:78]
	buffer_store_dword v78, off, s[0:3], 0 offset:156
	buffer_store_dword v77, off, s[0:3], 0 offset:152
	v_cmpx_lt_u32_e32 18, v0
	s_cbranch_execz .LBB100_195
; %bb.194:
	s_clause 0x1
	buffer_load_dword v77, off, s[0:3], 0 offset:144
	buffer_load_dword v78, off, s[0:3], 0 offset:148
	buffer_store_dword v76, off, s[0:3], 0 offset:144
	buffer_store_dword v76, off, s[0:3], 0 offset:148
	s_waitcnt vmcnt(0)
	ds_write_b64 v75, v[77:78]
.LBB100_195:
	s_or_b32 exec_lo, exec_lo, s4
	s_waitcnt lgkmcnt(0)
	s_waitcnt_vscnt null, 0x0
	s_barrier
	buffer_gl0_inv
	s_clause 0x1c
	buffer_load_dword v85, off, s[0:3], 0 offset:152
	buffer_load_dword v86, off, s[0:3], 0 offset:156
	;; [unrolled: 1-line block ×29, first 2 shown]
	ds_read2_b64 v[77:80], v76 offset0:57 offset1:58
	ds_read2_b64 v[81:84], v76 offset0:59 offset1:60
	buffer_load_dword v110, off, s[0:3], 0 offset:268
	s_mov_b32 s4, exec_lo
	s_waitcnt vmcnt(28) lgkmcnt(1)
	v_fma_f64 v[77:78], v[85:86], v[77:78], 0
	s_clause 0x5
	buffer_load_dword v86, off, s[0:3], 0 offset:276
	buffer_load_dword v115, off, s[0:3], 0 offset:288
	;; [unrolled: 1-line block ×6, first 2 shown]
	s_waitcnt vmcnt(32)
	v_fma_f64 v[77:78], v[87:88], v[79:80], v[77:78]
	s_waitcnt vmcnt(30) lgkmcnt(0)
	v_fma_f64 v[77:78], v[89:90], v[81:82], v[77:78]
	s_waitcnt vmcnt(28)
	v_fma_f64 v[87:88], v[91:92], v[83:84], v[77:78]
	ds_read2_b64 v[77:80], v76 offset0:61 offset1:62
	s_clause 0x1
	buffer_load_dword v89, off, s[0:3], 0 offset:144
	buffer_load_dword v90, off, s[0:3], 0 offset:148
	ds_read2_b64 v[81:84], v76 offset0:63 offset1:64
	s_waitcnt vmcnt(28) lgkmcnt(1)
	v_fma_f64 v[77:78], v[93:94], v[77:78], v[87:88]
	s_waitcnt vmcnt(26)
	v_fma_f64 v[77:78], v[95:96], v[79:80], v[77:78]
	s_waitcnt vmcnt(24) lgkmcnt(0)
	v_fma_f64 v[77:78], v[97:98], v[81:82], v[77:78]
	s_waitcnt vmcnt(19)
	v_fma_f64 v[87:88], v[99:100], v[83:84], v[77:78]
	ds_read2_b64 v[77:80], v76 offset0:65 offset1:66
	ds_read2_b64 v[81:84], v76 offset0:67 offset1:68
	s_waitcnt vmcnt(18) lgkmcnt(1)
	v_fma_f64 v[77:78], v[105:106], v[77:78], v[87:88]
	s_waitcnt vmcnt(17)
	v_fma_f64 v[77:78], v[103:104], v[79:80], v[77:78]
	s_waitcnt vmcnt(16) lgkmcnt(0)
	v_fma_f64 v[77:78], v[101:102], v[81:82], v[77:78]
	s_waitcnt vmcnt(11)
	v_fma_f64 v[87:88], v[107:108], v[83:84], v[77:78]
	ds_read2_b64 v[77:80], v76 offset0:69 offset1:70
	;; [unrolled: 10-line block ×3, first 2 shown]
	s_waitcnt vmcnt(3) lgkmcnt(0)
	v_fma_f64 v[76:77], v[117:118], v[76:77], v[80:81]
	s_waitcnt vmcnt(2)
	v_fma_f64 v[76:77], v[115:116], v[78:79], v[76:77]
	s_waitcnt vmcnt(0)
	v_add_f64 v[76:77], v[89:90], -v[76:77]
	buffer_store_dword v77, off, s[0:3], 0 offset:148
	buffer_store_dword v76, off, s[0:3], 0 offset:144
	v_cmpx_lt_u32_e32 17, v0
	s_cbranch_execz .LBB100_197
; %bb.196:
	s_clause 0x1
	buffer_load_dword v76, off, s[0:3], 0 offset:136
	buffer_load_dword v77, off, s[0:3], 0 offset:140
	v_mov_b32_e32 v78, 0
	buffer_store_dword v78, off, s[0:3], 0 offset:136
	buffer_store_dword v78, off, s[0:3], 0 offset:140
	s_waitcnt vmcnt(0)
	ds_write_b64 v75, v[76:77]
.LBB100_197:
	s_or_b32 exec_lo, exec_lo, s4
	s_waitcnt lgkmcnt(0)
	s_waitcnt_vscnt null, 0x0
	s_barrier
	buffer_gl0_inv
	s_clause 0x1c
	buffer_load_dword v85, off, s[0:3], 0 offset:144
	buffer_load_dword v86, off, s[0:3], 0 offset:148
	buffer_load_dword v87, off, s[0:3], 0 offset:152
	buffer_load_dword v88, off, s[0:3], 0 offset:156
	buffer_load_dword v89, off, s[0:3], 0 offset:160
	buffer_load_dword v90, off, s[0:3], 0 offset:164
	buffer_load_dword v91, off, s[0:3], 0 offset:168
	buffer_load_dword v92, off, s[0:3], 0 offset:172
	buffer_load_dword v93, off, s[0:3], 0 offset:176
	buffer_load_dword v94, off, s[0:3], 0 offset:180
	buffer_load_dword v95, off, s[0:3], 0 offset:184
	buffer_load_dword v96, off, s[0:3], 0 offset:188
	buffer_load_dword v97, off, s[0:3], 0 offset:192
	buffer_load_dword v98, off, s[0:3], 0 offset:196
	buffer_load_dword v100, off, s[0:3], 0 offset:204
	buffer_load_dword v101, off, s[0:3], 0 offset:224
	buffer_load_dword v103, off, s[0:3], 0 offset:216
	buffer_load_dword v105, off, s[0:3], 0 offset:208
	buffer_load_dword v99, off, s[0:3], 0 offset:200
	buffer_load_dword v106, off, s[0:3], 0 offset:212
	buffer_load_dword v104, off, s[0:3], 0 offset:220
	buffer_load_dword v102, off, s[0:3], 0 offset:228
	buffer_load_dword v108, off, s[0:3], 0 offset:236
	buffer_load_dword v109, off, s[0:3], 0 offset:256
	buffer_load_dword v111, off, s[0:3], 0 offset:248
	buffer_load_dword v113, off, s[0:3], 0 offset:240
	buffer_load_dword v107, off, s[0:3], 0 offset:232
	buffer_load_dword v114, off, s[0:3], 0 offset:244
	buffer_load_dword v112, off, s[0:3], 0 offset:252
	v_mov_b32_e32 v76, 0
	buffer_load_dword v110, off, s[0:3], 0 offset:260
	s_mov_b32 s4, exec_lo
	ds_read_b128 v[77:80], v76 offset:448
	ds_read_b128 v[81:84], v76 offset:464
	s_waitcnt vmcnt(28) lgkmcnt(1)
	v_fma_f64 v[77:78], v[85:86], v[77:78], 0
	s_clause 0x7
	buffer_load_dword v86, off, s[0:3], 0 offset:268
	buffer_load_dword v115, off, s[0:3], 0 offset:288
	;; [unrolled: 1-line block ×8, first 2 shown]
	s_waitcnt vmcnt(34)
	v_fma_f64 v[77:78], v[87:88], v[79:80], v[77:78]
	s_waitcnt vmcnt(32) lgkmcnt(0)
	v_fma_f64 v[77:78], v[89:90], v[81:82], v[77:78]
	s_waitcnt vmcnt(30)
	v_fma_f64 v[87:88], v[91:92], v[83:84], v[77:78]
	ds_read_b128 v[77:80], v76 offset:480
	ds_read_b128 v[81:84], v76 offset:496
	s_waitcnt vmcnt(28) lgkmcnt(1)
	v_fma_f64 v[77:78], v[93:94], v[77:78], v[87:88]
	s_clause 0x1
	buffer_load_dword v87, off, s[0:3], 0 offset:136
	buffer_load_dword v88, off, s[0:3], 0 offset:140
	s_waitcnt vmcnt(28)
	v_fma_f64 v[77:78], v[95:96], v[79:80], v[77:78]
	s_waitcnt vmcnt(26) lgkmcnt(0)
	v_fma_f64 v[77:78], v[97:98], v[81:82], v[77:78]
	s_waitcnt vmcnt(21)
	v_fma_f64 v[89:90], v[99:100], v[83:84], v[77:78]
	ds_read_b128 v[77:80], v76 offset:512
	ds_read_b128 v[81:84], v76 offset:528
	s_waitcnt vmcnt(20) lgkmcnt(1)
	v_fma_f64 v[77:78], v[105:106], v[77:78], v[89:90]
	s_waitcnt vmcnt(19)
	v_fma_f64 v[77:78], v[103:104], v[79:80], v[77:78]
	s_waitcnt vmcnt(18) lgkmcnt(0)
	v_fma_f64 v[77:78], v[101:102], v[81:82], v[77:78]
	s_waitcnt vmcnt(13)
	v_fma_f64 v[89:90], v[107:108], v[83:84], v[77:78]
	ds_read_b128 v[77:80], v76 offset:544
	ds_read_b128 v[81:84], v76 offset:560
	s_waitcnt vmcnt(12) lgkmcnt(1)
	v_fma_f64 v[77:78], v[113:114], v[77:78], v[89:90]
	s_waitcnt vmcnt(11)
	v_fma_f64 v[77:78], v[111:112], v[79:80], v[77:78]
	s_waitcnt vmcnt(10) lgkmcnt(0)
	v_fma_f64 v[77:78], v[109:110], v[81:82], v[77:78]
	s_waitcnt vmcnt(5)
	v_fma_f64 v[81:82], v[85:86], v[83:84], v[77:78]
	ds_read_b128 v[77:80], v76 offset:576
	ds_read_b64 v[83:84], v76 offset:592
	s_waitcnt vmcnt(4) lgkmcnt(1)
	v_fma_f64 v[77:78], v[119:120], v[77:78], v[81:82]
	s_waitcnt vmcnt(3)
	v_fma_f64 v[77:78], v[117:118], v[79:80], v[77:78]
	s_waitcnt vmcnt(2) lgkmcnt(0)
	v_fma_f64 v[77:78], v[115:116], v[83:84], v[77:78]
	s_waitcnt vmcnt(0)
	v_add_f64 v[77:78], v[87:88], -v[77:78]
	buffer_store_dword v78, off, s[0:3], 0 offset:140
	buffer_store_dword v77, off, s[0:3], 0 offset:136
	v_cmpx_lt_u32_e32 16, v0
	s_cbranch_execz .LBB100_199
; %bb.198:
	s_clause 0x1
	buffer_load_dword v77, off, s[0:3], 0 offset:128
	buffer_load_dword v78, off, s[0:3], 0 offset:132
	buffer_store_dword v76, off, s[0:3], 0 offset:128
	buffer_store_dword v76, off, s[0:3], 0 offset:132
	s_waitcnt vmcnt(0)
	ds_write_b64 v75, v[77:78]
.LBB100_199:
	s_or_b32 exec_lo, exec_lo, s4
	s_waitcnt lgkmcnt(0)
	s_waitcnt_vscnt null, 0x0
	s_barrier
	buffer_gl0_inv
	s_clause 0x1c
	buffer_load_dword v85, off, s[0:3], 0 offset:136
	buffer_load_dword v86, off, s[0:3], 0 offset:140
	buffer_load_dword v87, off, s[0:3], 0 offset:144
	buffer_load_dword v88, off, s[0:3], 0 offset:148
	buffer_load_dword v89, off, s[0:3], 0 offset:152
	buffer_load_dword v90, off, s[0:3], 0 offset:156
	buffer_load_dword v91, off, s[0:3], 0 offset:160
	buffer_load_dword v92, off, s[0:3], 0 offset:164
	buffer_load_dword v93, off, s[0:3], 0 offset:168
	buffer_load_dword v94, off, s[0:3], 0 offset:172
	buffer_load_dword v95, off, s[0:3], 0 offset:176
	buffer_load_dword v96, off, s[0:3], 0 offset:180
	buffer_load_dword v97, off, s[0:3], 0 offset:184
	buffer_load_dword v98, off, s[0:3], 0 offset:188
	buffer_load_dword v100, off, s[0:3], 0 offset:196
	buffer_load_dword v101, off, s[0:3], 0 offset:216
	buffer_load_dword v103, off, s[0:3], 0 offset:208
	buffer_load_dword v105, off, s[0:3], 0 offset:200
	buffer_load_dword v99, off, s[0:3], 0 offset:192
	buffer_load_dword v106, off, s[0:3], 0 offset:204
	buffer_load_dword v104, off, s[0:3], 0 offset:212
	buffer_load_dword v102, off, s[0:3], 0 offset:220
	buffer_load_dword v108, off, s[0:3], 0 offset:228
	buffer_load_dword v109, off, s[0:3], 0 offset:248
	buffer_load_dword v111, off, s[0:3], 0 offset:240
	buffer_load_dword v113, off, s[0:3], 0 offset:232
	buffer_load_dword v107, off, s[0:3], 0 offset:224
	buffer_load_dword v114, off, s[0:3], 0 offset:236
	buffer_load_dword v112, off, s[0:3], 0 offset:244
	ds_read2_b64 v[77:80], v76 offset0:55 offset1:56
	ds_read2_b64 v[81:84], v76 offset0:57 offset1:58
	buffer_load_dword v110, off, s[0:3], 0 offset:252
	s_mov_b32 s4, exec_lo
	s_waitcnt vmcnt(28) lgkmcnt(1)
	v_fma_f64 v[77:78], v[85:86], v[77:78], 0
	s_clause 0x7
	buffer_load_dword v86, off, s[0:3], 0 offset:260
	buffer_load_dword v115, off, s[0:3], 0 offset:280
	;; [unrolled: 1-line block ×8, first 2 shown]
	s_waitcnt vmcnt(34)
	v_fma_f64 v[77:78], v[87:88], v[79:80], v[77:78]
	s_waitcnt vmcnt(32) lgkmcnt(0)
	v_fma_f64 v[77:78], v[89:90], v[81:82], v[77:78]
	s_waitcnt vmcnt(30)
	v_fma_f64 v[87:88], v[91:92], v[83:84], v[77:78]
	ds_read2_b64 v[77:80], v76 offset0:59 offset1:60
	ds_read2_b64 v[81:84], v76 offset0:61 offset1:62
	s_waitcnt vmcnt(28) lgkmcnt(1)
	v_fma_f64 v[77:78], v[93:94], v[77:78], v[87:88]
	s_clause 0x3
	buffer_load_dword v88, off, s[0:3], 0 offset:292
	buffer_load_dword v87, off, s[0:3], 0 offset:288
	buffer_load_dword v89, off, s[0:3], 0 offset:128
	buffer_load_dword v90, off, s[0:3], 0 offset:132
	s_waitcnt vmcnt(30)
	v_fma_f64 v[77:78], v[95:96], v[79:80], v[77:78]
	s_waitcnt vmcnt(28) lgkmcnt(0)
	v_fma_f64 v[77:78], v[97:98], v[81:82], v[77:78]
	s_waitcnt vmcnt(23)
	v_fma_f64 v[91:92], v[99:100], v[83:84], v[77:78]
	ds_read2_b64 v[77:80], v76 offset0:63 offset1:64
	ds_read2_b64 v[81:84], v76 offset0:65 offset1:66
	s_waitcnt vmcnt(22) lgkmcnt(1)
	v_fma_f64 v[77:78], v[105:106], v[77:78], v[91:92]
	s_waitcnt vmcnt(21)
	v_fma_f64 v[77:78], v[103:104], v[79:80], v[77:78]
	s_waitcnt vmcnt(20) lgkmcnt(0)
	v_fma_f64 v[77:78], v[101:102], v[81:82], v[77:78]
	s_waitcnt vmcnt(15)
	v_fma_f64 v[91:92], v[107:108], v[83:84], v[77:78]
	ds_read2_b64 v[77:80], v76 offset0:67 offset1:68
	ds_read2_b64 v[81:84], v76 offset0:69 offset1:70
	s_waitcnt vmcnt(14) lgkmcnt(1)
	v_fma_f64 v[77:78], v[113:114], v[77:78], v[91:92]
	;; [unrolled: 10-line block ×3, first 2 shown]
	s_waitcnt vmcnt(5)
	v_fma_f64 v[76:77], v[117:118], v[79:80], v[76:77]
	s_waitcnt vmcnt(4) lgkmcnt(0)
	v_fma_f64 v[76:77], v[115:116], v[81:82], v[76:77]
	s_waitcnt vmcnt(2)
	v_fma_f64 v[76:77], v[87:88], v[83:84], v[76:77]
	s_waitcnt vmcnt(0)
	v_add_f64 v[76:77], v[89:90], -v[76:77]
	buffer_store_dword v77, off, s[0:3], 0 offset:132
	buffer_store_dword v76, off, s[0:3], 0 offset:128
	v_cmpx_lt_u32_e32 15, v0
	s_cbranch_execz .LBB100_201
; %bb.200:
	s_clause 0x1
	buffer_load_dword v76, off, s[0:3], 0 offset:120
	buffer_load_dword v77, off, s[0:3], 0 offset:124
	v_mov_b32_e32 v78, 0
	buffer_store_dword v78, off, s[0:3], 0 offset:120
	buffer_store_dword v78, off, s[0:3], 0 offset:124
	s_waitcnt vmcnt(0)
	ds_write_b64 v75, v[76:77]
.LBB100_201:
	s_or_b32 exec_lo, exec_lo, s4
	s_waitcnt lgkmcnt(0)
	s_waitcnt_vscnt null, 0x0
	s_barrier
	buffer_gl0_inv
	s_clause 0x1c
	buffer_load_dword v85, off, s[0:3], 0 offset:128
	buffer_load_dword v86, off, s[0:3], 0 offset:132
	;; [unrolled: 1-line block ×29, first 2 shown]
	v_mov_b32_e32 v76, 0
	buffer_load_dword v110, off, s[0:3], 0 offset:244
	s_mov_b32 s4, exec_lo
	ds_read_b128 v[77:80], v76 offset:432
	ds_read_b128 v[81:84], v76 offset:448
	s_waitcnt vmcnt(28) lgkmcnt(1)
	v_fma_f64 v[77:78], v[85:86], v[77:78], 0
	s_clause 0x7
	buffer_load_dword v86, off, s[0:3], 0 offset:252
	buffer_load_dword v115, off, s[0:3], 0 offset:272
	;; [unrolled: 1-line block ×8, first 2 shown]
	s_waitcnt vmcnt(34)
	v_fma_f64 v[77:78], v[87:88], v[79:80], v[77:78]
	s_waitcnt vmcnt(32) lgkmcnt(0)
	v_fma_f64 v[77:78], v[89:90], v[81:82], v[77:78]
	s_waitcnt vmcnt(30)
	v_fma_f64 v[87:88], v[91:92], v[83:84], v[77:78]
	ds_read_b128 v[77:80], v76 offset:464
	ds_read_b128 v[81:84], v76 offset:480
	s_waitcnt vmcnt(28) lgkmcnt(1)
	v_fma_f64 v[77:78], v[93:94], v[77:78], v[87:88]
	s_clause 0x5
	buffer_load_dword v88, off, s[0:3], 0 offset:284
	buffer_load_dword v89, off, s[0:3], 0 offset:288
	;; [unrolled: 1-line block ×6, first 2 shown]
	s_waitcnt vmcnt(32)
	v_fma_f64 v[77:78], v[95:96], v[79:80], v[77:78]
	s_waitcnt vmcnt(30) lgkmcnt(0)
	v_fma_f64 v[77:78], v[97:98], v[81:82], v[77:78]
	s_waitcnt vmcnt(25)
	v_fma_f64 v[93:94], v[99:100], v[83:84], v[77:78]
	ds_read_b128 v[77:80], v76 offset:496
	ds_read_b128 v[81:84], v76 offset:512
	s_waitcnt vmcnt(24) lgkmcnt(1)
	v_fma_f64 v[77:78], v[105:106], v[77:78], v[93:94]
	s_waitcnt vmcnt(23)
	v_fma_f64 v[77:78], v[103:104], v[79:80], v[77:78]
	s_waitcnt vmcnt(22) lgkmcnt(0)
	v_fma_f64 v[77:78], v[101:102], v[81:82], v[77:78]
	s_waitcnt vmcnt(17)
	v_fma_f64 v[93:94], v[107:108], v[83:84], v[77:78]
	ds_read_b128 v[77:80], v76 offset:528
	ds_read_b128 v[81:84], v76 offset:544
	s_waitcnt vmcnt(16) lgkmcnt(1)
	v_fma_f64 v[77:78], v[113:114], v[77:78], v[93:94]
	;; [unrolled: 10-line block ×3, first 2 shown]
	s_waitcnt vmcnt(7)
	v_fma_f64 v[77:78], v[117:118], v[79:80], v[77:78]
	ds_read_b64 v[79:80], v76 offset:592
	s_waitcnt vmcnt(6) lgkmcnt(1)
	v_fma_f64 v[77:78], v[115:116], v[81:82], v[77:78]
	s_waitcnt vmcnt(3)
	v_fma_f64 v[77:78], v[87:88], v[83:84], v[77:78]
	s_waitcnt vmcnt(2) lgkmcnt(0)
	v_fma_f64 v[77:78], v[89:90], v[79:80], v[77:78]
	s_waitcnt vmcnt(0)
	v_add_f64 v[77:78], v[91:92], -v[77:78]
	buffer_store_dword v78, off, s[0:3], 0 offset:124
	buffer_store_dword v77, off, s[0:3], 0 offset:120
	v_cmpx_lt_u32_e32 14, v0
	s_cbranch_execz .LBB100_203
; %bb.202:
	s_clause 0x1
	buffer_load_dword v77, off, s[0:3], 0 offset:112
	buffer_load_dword v78, off, s[0:3], 0 offset:116
	buffer_store_dword v76, off, s[0:3], 0 offset:112
	buffer_store_dword v76, off, s[0:3], 0 offset:116
	s_waitcnt vmcnt(0)
	ds_write_b64 v75, v[77:78]
.LBB100_203:
	s_or_b32 exec_lo, exec_lo, s4
	s_waitcnt lgkmcnt(0)
	s_waitcnt_vscnt null, 0x0
	s_barrier
	buffer_gl0_inv
	s_clause 0x1c
	buffer_load_dword v85, off, s[0:3], 0 offset:120
	buffer_load_dword v86, off, s[0:3], 0 offset:124
	;; [unrolled: 1-line block ×29, first 2 shown]
	ds_read2_b64 v[77:80], v76 offset0:53 offset1:54
	ds_read2_b64 v[81:84], v76 offset0:55 offset1:56
	buffer_load_dword v110, off, s[0:3], 0 offset:236
	s_mov_b32 s4, exec_lo
	s_waitcnt vmcnt(28) lgkmcnt(1)
	v_fma_f64 v[77:78], v[85:86], v[77:78], 0
	s_clause 0x7
	buffer_load_dword v86, off, s[0:3], 0 offset:244
	buffer_load_dword v115, off, s[0:3], 0 offset:264
	;; [unrolled: 1-line block ×8, first 2 shown]
	s_waitcnt vmcnt(34)
	v_fma_f64 v[77:78], v[87:88], v[79:80], v[77:78]
	s_waitcnt vmcnt(32) lgkmcnt(0)
	v_fma_f64 v[77:78], v[89:90], v[81:82], v[77:78]
	s_waitcnt vmcnt(30)
	v_fma_f64 v[87:88], v[91:92], v[83:84], v[77:78]
	ds_read2_b64 v[77:80], v76 offset0:57 offset1:58
	ds_read2_b64 v[81:84], v76 offset0:59 offset1:60
	s_waitcnt vmcnt(28) lgkmcnt(1)
	v_fma_f64 v[77:78], v[93:94], v[77:78], v[87:88]
	s_clause 0x5
	buffer_load_dword v88, off, s[0:3], 0 offset:276
	buffer_load_dword v89, off, s[0:3], 0 offset:288
	;; [unrolled: 1-line block ×6, first 2 shown]
	s_waitcnt vmcnt(32)
	v_fma_f64 v[77:78], v[95:96], v[79:80], v[77:78]
	s_waitcnt vmcnt(30) lgkmcnt(0)
	v_fma_f64 v[77:78], v[97:98], v[81:82], v[77:78]
	s_waitcnt vmcnt(25)
	v_fma_f64 v[93:94], v[99:100], v[83:84], v[77:78]
	ds_read2_b64 v[77:80], v76 offset0:61 offset1:62
	s_clause 0x1
	buffer_load_dword v95, off, s[0:3], 0 offset:112
	buffer_load_dword v96, off, s[0:3], 0 offset:116
	ds_read2_b64 v[81:84], v76 offset0:63 offset1:64
	s_waitcnt vmcnt(26) lgkmcnt(1)
	v_fma_f64 v[77:78], v[105:106], v[77:78], v[93:94]
	s_waitcnt vmcnt(25)
	v_fma_f64 v[77:78], v[103:104], v[79:80], v[77:78]
	s_waitcnt vmcnt(24) lgkmcnt(0)
	v_fma_f64 v[77:78], v[101:102], v[81:82], v[77:78]
	s_waitcnt vmcnt(19)
	v_fma_f64 v[93:94], v[107:108], v[83:84], v[77:78]
	ds_read2_b64 v[77:80], v76 offset0:65 offset1:66
	ds_read2_b64 v[81:84], v76 offset0:67 offset1:68
	s_waitcnt vmcnt(18) lgkmcnt(1)
	v_fma_f64 v[77:78], v[113:114], v[77:78], v[93:94]
	s_waitcnt vmcnt(17)
	v_fma_f64 v[77:78], v[111:112], v[79:80], v[77:78]
	s_waitcnt vmcnt(16) lgkmcnt(0)
	v_fma_f64 v[77:78], v[109:110], v[81:82], v[77:78]
	s_waitcnt vmcnt(11)
	v_fma_f64 v[85:86], v[85:86], v[83:84], v[77:78]
	ds_read2_b64 v[77:80], v76 offset0:69 offset1:70
	;; [unrolled: 10-line block ×3, first 2 shown]
	s_waitcnt vmcnt(3) lgkmcnt(0)
	v_fma_f64 v[76:77], v[91:92], v[76:77], v[80:81]
	s_waitcnt vmcnt(2)
	v_fma_f64 v[76:77], v[89:90], v[78:79], v[76:77]
	s_waitcnt vmcnt(0)
	v_add_f64 v[76:77], v[95:96], -v[76:77]
	buffer_store_dword v77, off, s[0:3], 0 offset:116
	buffer_store_dword v76, off, s[0:3], 0 offset:112
	v_cmpx_lt_u32_e32 13, v0
	s_cbranch_execz .LBB100_205
; %bb.204:
	s_clause 0x1
	buffer_load_dword v76, off, s[0:3], 0 offset:104
	buffer_load_dword v77, off, s[0:3], 0 offset:108
	v_mov_b32_e32 v78, 0
	buffer_store_dword v78, off, s[0:3], 0 offset:104
	buffer_store_dword v78, off, s[0:3], 0 offset:108
	s_waitcnt vmcnt(0)
	ds_write_b64 v75, v[76:77]
.LBB100_205:
	s_or_b32 exec_lo, exec_lo, s4
	s_waitcnt lgkmcnt(0)
	s_waitcnt_vscnt null, 0x0
	s_barrier
	buffer_gl0_inv
	s_clause 0x1c
	buffer_load_dword v85, off, s[0:3], 0 offset:112
	buffer_load_dword v86, off, s[0:3], 0 offset:116
	;; [unrolled: 1-line block ×29, first 2 shown]
	v_mov_b32_e32 v76, 0
	buffer_load_dword v110, off, s[0:3], 0 offset:228
	s_mov_b32 s4, exec_lo
	ds_read_b128 v[77:80], v76 offset:416
	ds_read_b128 v[81:84], v76 offset:432
	s_waitcnt vmcnt(28) lgkmcnt(1)
	v_fma_f64 v[77:78], v[85:86], v[77:78], 0
	s_clause 0x7
	buffer_load_dword v86, off, s[0:3], 0 offset:236
	buffer_load_dword v115, off, s[0:3], 0 offset:256
	;; [unrolled: 1-line block ×8, first 2 shown]
	s_waitcnt vmcnt(34)
	v_fma_f64 v[77:78], v[87:88], v[79:80], v[77:78]
	s_waitcnt vmcnt(32) lgkmcnt(0)
	v_fma_f64 v[77:78], v[89:90], v[81:82], v[77:78]
	s_waitcnt vmcnt(30)
	v_fma_f64 v[87:88], v[91:92], v[83:84], v[77:78]
	ds_read_b128 v[77:80], v76 offset:448
	ds_read_b128 v[81:84], v76 offset:464
	s_waitcnt vmcnt(28) lgkmcnt(1)
	v_fma_f64 v[77:78], v[93:94], v[77:78], v[87:88]
	s_clause 0x7
	buffer_load_dword v88, off, s[0:3], 0 offset:268
	buffer_load_dword v89, off, s[0:3], 0 offset:288
	;; [unrolled: 1-line block ×8, first 2 shown]
	s_waitcnt vmcnt(34)
	v_fma_f64 v[77:78], v[95:96], v[79:80], v[77:78]
	s_waitcnt vmcnt(32) lgkmcnt(0)
	v_fma_f64 v[77:78], v[97:98], v[81:82], v[77:78]
	s_waitcnt vmcnt(27)
	v_fma_f64 v[95:96], v[99:100], v[83:84], v[77:78]
	ds_read_b128 v[77:80], v76 offset:480
	ds_read_b128 v[81:84], v76 offset:496
	s_waitcnt vmcnt(26) lgkmcnt(1)
	v_fma_f64 v[77:78], v[105:106], v[77:78], v[95:96]
	s_clause 0x1
	buffer_load_dword v95, off, s[0:3], 0 offset:104
	buffer_load_dword v96, off, s[0:3], 0 offset:108
	s_waitcnt vmcnt(27)
	v_fma_f64 v[77:78], v[103:104], v[79:80], v[77:78]
	s_waitcnt vmcnt(26) lgkmcnt(0)
	v_fma_f64 v[77:78], v[101:102], v[81:82], v[77:78]
	s_waitcnt vmcnt(21)
	v_fma_f64 v[97:98], v[107:108], v[83:84], v[77:78]
	ds_read_b128 v[77:80], v76 offset:512
	ds_read_b128 v[81:84], v76 offset:528
	s_waitcnt vmcnt(20) lgkmcnt(1)
	v_fma_f64 v[77:78], v[113:114], v[77:78], v[97:98]
	s_waitcnt vmcnt(19)
	v_fma_f64 v[77:78], v[111:112], v[79:80], v[77:78]
	s_waitcnt vmcnt(18) lgkmcnt(0)
	v_fma_f64 v[77:78], v[109:110], v[81:82], v[77:78]
	s_waitcnt vmcnt(13)
	v_fma_f64 v[85:86], v[85:86], v[83:84], v[77:78]
	ds_read_b128 v[77:80], v76 offset:544
	ds_read_b128 v[81:84], v76 offset:560
	s_waitcnt vmcnt(12) lgkmcnt(1)
	v_fma_f64 v[77:78], v[119:120], v[77:78], v[85:86]
	s_waitcnt vmcnt(11)
	v_fma_f64 v[77:78], v[117:118], v[79:80], v[77:78]
	s_waitcnt vmcnt(10) lgkmcnt(0)
	v_fma_f64 v[77:78], v[115:116], v[81:82], v[77:78]
	s_waitcnt vmcnt(5)
	v_fma_f64 v[81:82], v[87:88], v[83:84], v[77:78]
	ds_read_b128 v[77:80], v76 offset:576
	ds_read_b64 v[83:84], v76 offset:592
	s_waitcnt vmcnt(4) lgkmcnt(1)
	v_fma_f64 v[77:78], v[93:94], v[77:78], v[81:82]
	s_waitcnt vmcnt(3)
	v_fma_f64 v[77:78], v[91:92], v[79:80], v[77:78]
	s_waitcnt vmcnt(2) lgkmcnt(0)
	v_fma_f64 v[77:78], v[89:90], v[83:84], v[77:78]
	s_waitcnt vmcnt(0)
	v_add_f64 v[77:78], v[95:96], -v[77:78]
	buffer_store_dword v78, off, s[0:3], 0 offset:108
	buffer_store_dword v77, off, s[0:3], 0 offset:104
	v_cmpx_lt_u32_e32 12, v0
	s_cbranch_execz .LBB100_207
; %bb.206:
	s_clause 0x1
	buffer_load_dword v77, off, s[0:3], 0 offset:96
	buffer_load_dword v78, off, s[0:3], 0 offset:100
	buffer_store_dword v76, off, s[0:3], 0 offset:96
	buffer_store_dword v76, off, s[0:3], 0 offset:100
	s_waitcnt vmcnt(0)
	ds_write_b64 v75, v[77:78]
.LBB100_207:
	s_or_b32 exec_lo, exec_lo, s4
	s_waitcnt lgkmcnt(0)
	s_waitcnt_vscnt null, 0x0
	s_barrier
	buffer_gl0_inv
	s_clause 0x1c
	buffer_load_dword v85, off, s[0:3], 0 offset:104
	buffer_load_dword v86, off, s[0:3], 0 offset:108
	;; [unrolled: 1-line block ×29, first 2 shown]
	ds_read2_b64 v[77:80], v76 offset0:51 offset1:52
	ds_read2_b64 v[81:84], v76 offset0:53 offset1:54
	buffer_load_dword v110, off, s[0:3], 0 offset:220
	s_mov_b32 s4, exec_lo
	s_waitcnt vmcnt(28) lgkmcnt(1)
	v_fma_f64 v[77:78], v[85:86], v[77:78], 0
	s_clause 0x7
	buffer_load_dword v86, off, s[0:3], 0 offset:228
	buffer_load_dword v115, off, s[0:3], 0 offset:248
	;; [unrolled: 1-line block ×8, first 2 shown]
	s_waitcnt vmcnt(34)
	v_fma_f64 v[77:78], v[87:88], v[79:80], v[77:78]
	s_waitcnt vmcnt(32) lgkmcnt(0)
	v_fma_f64 v[77:78], v[89:90], v[81:82], v[77:78]
	s_waitcnt vmcnt(30)
	v_fma_f64 v[87:88], v[91:92], v[83:84], v[77:78]
	ds_read2_b64 v[77:80], v76 offset0:55 offset1:56
	ds_read2_b64 v[81:84], v76 offset0:57 offset1:58
	s_waitcnt vmcnt(28) lgkmcnt(1)
	v_fma_f64 v[77:78], v[93:94], v[77:78], v[87:88]
	s_clause 0x7
	buffer_load_dword v88, off, s[0:3], 0 offset:260
	buffer_load_dword v89, off, s[0:3], 0 offset:280
	;; [unrolled: 1-line block ×8, first 2 shown]
	s_waitcnt vmcnt(34)
	v_fma_f64 v[77:78], v[95:96], v[79:80], v[77:78]
	s_waitcnt vmcnt(32) lgkmcnt(0)
	v_fma_f64 v[77:78], v[97:98], v[81:82], v[77:78]
	s_waitcnt vmcnt(27)
	v_fma_f64 v[95:96], v[99:100], v[83:84], v[77:78]
	ds_read2_b64 v[77:80], v76 offset0:59 offset1:60
	ds_read2_b64 v[81:84], v76 offset0:61 offset1:62
	s_waitcnt vmcnt(26) lgkmcnt(1)
	v_fma_f64 v[77:78], v[105:106], v[77:78], v[95:96]
	s_clause 0x3
	buffer_load_dword v96, off, s[0:3], 0 offset:292
	buffer_load_dword v95, off, s[0:3], 0 offset:288
	;; [unrolled: 1-line block ×4, first 2 shown]
	s_waitcnt vmcnt(29)
	v_fma_f64 v[77:78], v[103:104], v[79:80], v[77:78]
	s_waitcnt vmcnt(28) lgkmcnt(0)
	v_fma_f64 v[77:78], v[101:102], v[81:82], v[77:78]
	s_waitcnt vmcnt(23)
	v_fma_f64 v[99:100], v[107:108], v[83:84], v[77:78]
	ds_read2_b64 v[77:80], v76 offset0:63 offset1:64
	ds_read2_b64 v[81:84], v76 offset0:65 offset1:66
	s_waitcnt vmcnt(22) lgkmcnt(1)
	v_fma_f64 v[77:78], v[113:114], v[77:78], v[99:100]
	s_waitcnt vmcnt(21)
	v_fma_f64 v[77:78], v[111:112], v[79:80], v[77:78]
	s_waitcnt vmcnt(20) lgkmcnt(0)
	v_fma_f64 v[77:78], v[109:110], v[81:82], v[77:78]
	s_waitcnt vmcnt(15)
	v_fma_f64 v[85:86], v[85:86], v[83:84], v[77:78]
	ds_read2_b64 v[77:80], v76 offset0:67 offset1:68
	ds_read2_b64 v[81:84], v76 offset0:69 offset1:70
	s_waitcnt vmcnt(14) lgkmcnt(1)
	v_fma_f64 v[77:78], v[119:120], v[77:78], v[85:86]
	;; [unrolled: 10-line block ×3, first 2 shown]
	s_waitcnt vmcnt(5)
	v_fma_f64 v[76:77], v[91:92], v[79:80], v[76:77]
	s_waitcnt vmcnt(4) lgkmcnt(0)
	v_fma_f64 v[76:77], v[89:90], v[81:82], v[76:77]
	s_waitcnt vmcnt(2)
	v_fma_f64 v[76:77], v[95:96], v[83:84], v[76:77]
	s_waitcnt vmcnt(0)
	v_add_f64 v[76:77], v[97:98], -v[76:77]
	buffer_store_dword v77, off, s[0:3], 0 offset:100
	buffer_store_dword v76, off, s[0:3], 0 offset:96
	v_cmpx_lt_u32_e32 11, v0
	s_cbranch_execz .LBB100_209
; %bb.208:
	s_clause 0x1
	buffer_load_dword v76, off, s[0:3], 0 offset:88
	buffer_load_dword v77, off, s[0:3], 0 offset:92
	v_mov_b32_e32 v78, 0
	buffer_store_dword v78, off, s[0:3], 0 offset:88
	buffer_store_dword v78, off, s[0:3], 0 offset:92
	s_waitcnt vmcnt(0)
	ds_write_b64 v75, v[76:77]
.LBB100_209:
	s_or_b32 exec_lo, exec_lo, s4
	s_waitcnt lgkmcnt(0)
	s_waitcnt_vscnt null, 0x0
	s_barrier
	buffer_gl0_inv
	s_clause 0x1c
	buffer_load_dword v85, off, s[0:3], 0 offset:96
	buffer_load_dword v86, off, s[0:3], 0 offset:100
	;; [unrolled: 1-line block ×29, first 2 shown]
	v_mov_b32_e32 v76, 0
	buffer_load_dword v110, off, s[0:3], 0 offset:212
	s_mov_b32 s4, exec_lo
	ds_read_b128 v[77:80], v76 offset:400
	ds_read_b128 v[81:84], v76 offset:416
	s_waitcnt vmcnt(28) lgkmcnt(1)
	v_fma_f64 v[77:78], v[85:86], v[77:78], 0
	s_clause 0x7
	buffer_load_dword v86, off, s[0:3], 0 offset:220
	buffer_load_dword v115, off, s[0:3], 0 offset:240
	buffer_load_dword v117, off, s[0:3], 0 offset:232
	buffer_load_dword v119, off, s[0:3], 0 offset:224
	buffer_load_dword v85, off, s[0:3], 0 offset:216
	buffer_load_dword v120, off, s[0:3], 0 offset:228
	buffer_load_dword v118, off, s[0:3], 0 offset:236
	buffer_load_dword v116, off, s[0:3], 0 offset:244
	s_waitcnt vmcnt(34)
	v_fma_f64 v[77:78], v[87:88], v[79:80], v[77:78]
	s_waitcnt vmcnt(32) lgkmcnt(0)
	v_fma_f64 v[77:78], v[89:90], v[81:82], v[77:78]
	s_waitcnt vmcnt(30)
	v_fma_f64 v[87:88], v[91:92], v[83:84], v[77:78]
	ds_read_b128 v[77:80], v76 offset:432
	ds_read_b128 v[81:84], v76 offset:448
	s_waitcnt vmcnt(28) lgkmcnt(1)
	v_fma_f64 v[77:78], v[93:94], v[77:78], v[87:88]
	s_clause 0x7
	buffer_load_dword v88, off, s[0:3], 0 offset:252
	buffer_load_dword v89, off, s[0:3], 0 offset:272
	buffer_load_dword v91, off, s[0:3], 0 offset:264
	buffer_load_dword v93, off, s[0:3], 0 offset:256
	buffer_load_dword v87, off, s[0:3], 0 offset:248
	buffer_load_dword v94, off, s[0:3], 0 offset:260
	buffer_load_dword v92, off, s[0:3], 0 offset:268
	buffer_load_dword v90, off, s[0:3], 0 offset:276
	s_waitcnt vmcnt(34)
	v_fma_f64 v[77:78], v[95:96], v[79:80], v[77:78]
	s_waitcnt vmcnt(32) lgkmcnt(0)
	v_fma_f64 v[77:78], v[97:98], v[81:82], v[77:78]
	s_waitcnt vmcnt(27)
	v_fma_f64 v[95:96], v[99:100], v[83:84], v[77:78]
	ds_read_b128 v[77:80], v76 offset:464
	ds_read_b128 v[81:84], v76 offset:480
	s_waitcnt vmcnt(26) lgkmcnt(1)
	v_fma_f64 v[77:78], v[105:106], v[77:78], v[95:96]
	s_clause 0x5
	buffer_load_dword v96, off, s[0:3], 0 offset:284
	buffer_load_dword v97, off, s[0:3], 0 offset:288
	;; [unrolled: 1-line block ×6, first 2 shown]
	s_waitcnt vmcnt(31)
	v_fma_f64 v[77:78], v[103:104], v[79:80], v[77:78]
	s_waitcnt vmcnt(30) lgkmcnt(0)
	v_fma_f64 v[77:78], v[101:102], v[81:82], v[77:78]
	s_waitcnt vmcnt(25)
	v_fma_f64 v[101:102], v[107:108], v[83:84], v[77:78]
	ds_read_b128 v[77:80], v76 offset:496
	ds_read_b128 v[81:84], v76 offset:512
	s_waitcnt vmcnt(24) lgkmcnt(1)
	v_fma_f64 v[77:78], v[113:114], v[77:78], v[101:102]
	s_waitcnt vmcnt(23)
	v_fma_f64 v[77:78], v[111:112], v[79:80], v[77:78]
	s_waitcnt vmcnt(22) lgkmcnt(0)
	v_fma_f64 v[77:78], v[109:110], v[81:82], v[77:78]
	s_waitcnt vmcnt(17)
	v_fma_f64 v[85:86], v[85:86], v[83:84], v[77:78]
	ds_read_b128 v[77:80], v76 offset:528
	ds_read_b128 v[81:84], v76 offset:544
	s_waitcnt vmcnt(16) lgkmcnt(1)
	v_fma_f64 v[77:78], v[119:120], v[77:78], v[85:86]
	;; [unrolled: 10-line block ×3, first 2 shown]
	s_waitcnt vmcnt(7)
	v_fma_f64 v[77:78], v[91:92], v[79:80], v[77:78]
	ds_read_b64 v[79:80], v76 offset:592
	s_waitcnt vmcnt(6) lgkmcnt(1)
	v_fma_f64 v[77:78], v[89:90], v[81:82], v[77:78]
	s_waitcnt vmcnt(3)
	v_fma_f64 v[77:78], v[95:96], v[83:84], v[77:78]
	s_waitcnt vmcnt(2) lgkmcnt(0)
	v_fma_f64 v[77:78], v[97:98], v[79:80], v[77:78]
	s_waitcnt vmcnt(0)
	v_add_f64 v[77:78], v[99:100], -v[77:78]
	buffer_store_dword v78, off, s[0:3], 0 offset:92
	buffer_store_dword v77, off, s[0:3], 0 offset:88
	v_cmpx_lt_u32_e32 10, v0
	s_cbranch_execz .LBB100_211
; %bb.210:
	s_clause 0x1
	buffer_load_dword v77, off, s[0:3], 0 offset:80
	buffer_load_dword v78, off, s[0:3], 0 offset:84
	buffer_store_dword v76, off, s[0:3], 0 offset:80
	buffer_store_dword v76, off, s[0:3], 0 offset:84
	s_waitcnt vmcnt(0)
	ds_write_b64 v75, v[77:78]
.LBB100_211:
	s_or_b32 exec_lo, exec_lo, s4
	s_waitcnt lgkmcnt(0)
	s_waitcnt_vscnt null, 0x0
	s_barrier
	buffer_gl0_inv
	s_clause 0x1c
	buffer_load_dword v85, off, s[0:3], 0 offset:88
	buffer_load_dword v86, off, s[0:3], 0 offset:92
	;; [unrolled: 1-line block ×29, first 2 shown]
	ds_read2_b64 v[77:80], v76 offset0:49 offset1:50
	ds_read2_b64 v[81:84], v76 offset0:51 offset1:52
	buffer_load_dword v110, off, s[0:3], 0 offset:204
	s_mov_b32 s4, exec_lo
	s_waitcnt vmcnt(28) lgkmcnt(1)
	v_fma_f64 v[77:78], v[85:86], v[77:78], 0
	s_clause 0x7
	buffer_load_dword v86, off, s[0:3], 0 offset:212
	buffer_load_dword v115, off, s[0:3], 0 offset:232
	;; [unrolled: 1-line block ×8, first 2 shown]
	s_waitcnt vmcnt(34)
	v_fma_f64 v[77:78], v[87:88], v[79:80], v[77:78]
	s_waitcnt vmcnt(32) lgkmcnt(0)
	v_fma_f64 v[77:78], v[89:90], v[81:82], v[77:78]
	s_waitcnt vmcnt(30)
	v_fma_f64 v[87:88], v[91:92], v[83:84], v[77:78]
	ds_read2_b64 v[77:80], v76 offset0:53 offset1:54
	ds_read2_b64 v[81:84], v76 offset0:55 offset1:56
	s_waitcnt vmcnt(28) lgkmcnt(1)
	v_fma_f64 v[77:78], v[93:94], v[77:78], v[87:88]
	s_clause 0x7
	buffer_load_dword v88, off, s[0:3], 0 offset:244
	buffer_load_dword v89, off, s[0:3], 0 offset:264
	;; [unrolled: 1-line block ×8, first 2 shown]
	s_waitcnt vmcnt(34)
	v_fma_f64 v[77:78], v[95:96], v[79:80], v[77:78]
	s_waitcnt vmcnt(32) lgkmcnt(0)
	v_fma_f64 v[77:78], v[97:98], v[81:82], v[77:78]
	s_waitcnt vmcnt(27)
	v_fma_f64 v[95:96], v[99:100], v[83:84], v[77:78]
	ds_read2_b64 v[77:80], v76 offset0:57 offset1:58
	ds_read2_b64 v[81:84], v76 offset0:59 offset1:60
	s_waitcnt vmcnt(26) lgkmcnt(1)
	v_fma_f64 v[77:78], v[105:106], v[77:78], v[95:96]
	s_clause 0x5
	buffer_load_dword v96, off, s[0:3], 0 offset:276
	buffer_load_dword v97, off, s[0:3], 0 offset:288
	;; [unrolled: 1-line block ×6, first 2 shown]
	s_waitcnt vmcnt(31)
	v_fma_f64 v[77:78], v[103:104], v[79:80], v[77:78]
	s_waitcnt vmcnt(30) lgkmcnt(0)
	v_fma_f64 v[77:78], v[101:102], v[81:82], v[77:78]
	s_waitcnt vmcnt(25)
	v_fma_f64 v[101:102], v[107:108], v[83:84], v[77:78]
	ds_read2_b64 v[77:80], v76 offset0:61 offset1:62
	s_clause 0x1
	buffer_load_dword v103, off, s[0:3], 0 offset:80
	buffer_load_dword v104, off, s[0:3], 0 offset:84
	ds_read2_b64 v[81:84], v76 offset0:63 offset1:64
	s_waitcnt vmcnt(26) lgkmcnt(1)
	v_fma_f64 v[77:78], v[113:114], v[77:78], v[101:102]
	s_waitcnt vmcnt(25)
	v_fma_f64 v[77:78], v[111:112], v[79:80], v[77:78]
	s_waitcnt vmcnt(24) lgkmcnt(0)
	v_fma_f64 v[77:78], v[109:110], v[81:82], v[77:78]
	s_waitcnt vmcnt(19)
	v_fma_f64 v[85:86], v[85:86], v[83:84], v[77:78]
	ds_read2_b64 v[77:80], v76 offset0:65 offset1:66
	ds_read2_b64 v[81:84], v76 offset0:67 offset1:68
	s_waitcnt vmcnt(18) lgkmcnt(1)
	v_fma_f64 v[77:78], v[119:120], v[77:78], v[85:86]
	s_waitcnt vmcnt(17)
	v_fma_f64 v[77:78], v[117:118], v[79:80], v[77:78]
	s_waitcnt vmcnt(16) lgkmcnt(0)
	v_fma_f64 v[77:78], v[115:116], v[81:82], v[77:78]
	s_waitcnt vmcnt(11)
	v_fma_f64 v[85:86], v[87:88], v[83:84], v[77:78]
	ds_read2_b64 v[77:80], v76 offset0:69 offset1:70
	;; [unrolled: 10-line block ×3, first 2 shown]
	s_waitcnt vmcnt(3) lgkmcnt(0)
	v_fma_f64 v[76:77], v[99:100], v[76:77], v[80:81]
	s_waitcnt vmcnt(2)
	v_fma_f64 v[76:77], v[97:98], v[78:79], v[76:77]
	s_waitcnt vmcnt(0)
	v_add_f64 v[76:77], v[103:104], -v[76:77]
	buffer_store_dword v77, off, s[0:3], 0 offset:84
	buffer_store_dword v76, off, s[0:3], 0 offset:80
	v_cmpx_lt_u32_e32 9, v0
	s_cbranch_execz .LBB100_213
; %bb.212:
	s_clause 0x1
	buffer_load_dword v76, off, s[0:3], 0 offset:72
	buffer_load_dword v77, off, s[0:3], 0 offset:76
	v_mov_b32_e32 v78, 0
	buffer_store_dword v78, off, s[0:3], 0 offset:72
	buffer_store_dword v78, off, s[0:3], 0 offset:76
	s_waitcnt vmcnt(0)
	ds_write_b64 v75, v[76:77]
.LBB100_213:
	s_or_b32 exec_lo, exec_lo, s4
	s_waitcnt lgkmcnt(0)
	s_waitcnt_vscnt null, 0x0
	s_barrier
	buffer_gl0_inv
	s_clause 0x1c
	buffer_load_dword v85, off, s[0:3], 0 offset:80
	buffer_load_dword v86, off, s[0:3], 0 offset:84
	;; [unrolled: 1-line block ×29, first 2 shown]
	v_mov_b32_e32 v76, 0
	buffer_load_dword v110, off, s[0:3], 0 offset:196
	s_mov_b32 s4, exec_lo
	ds_read_b128 v[77:80], v76 offset:384
	ds_read_b128 v[81:84], v76 offset:400
	s_waitcnt vmcnt(28) lgkmcnt(1)
	v_fma_f64 v[77:78], v[85:86], v[77:78], 0
	s_clause 0x7
	buffer_load_dword v86, off, s[0:3], 0 offset:204
	buffer_load_dword v115, off, s[0:3], 0 offset:224
	buffer_load_dword v117, off, s[0:3], 0 offset:216
	buffer_load_dword v119, off, s[0:3], 0 offset:208
	buffer_load_dword v85, off, s[0:3], 0 offset:200
	buffer_load_dword v120, off, s[0:3], 0 offset:212
	buffer_load_dword v118, off, s[0:3], 0 offset:220
	buffer_load_dword v116, off, s[0:3], 0 offset:228
	s_waitcnt vmcnt(34)
	v_fma_f64 v[77:78], v[87:88], v[79:80], v[77:78]
	s_waitcnt vmcnt(32) lgkmcnt(0)
	v_fma_f64 v[77:78], v[89:90], v[81:82], v[77:78]
	s_waitcnt vmcnt(30)
	v_fma_f64 v[87:88], v[91:92], v[83:84], v[77:78]
	ds_read_b128 v[77:80], v76 offset:416
	ds_read_b128 v[81:84], v76 offset:432
	s_waitcnt vmcnt(28) lgkmcnt(1)
	v_fma_f64 v[77:78], v[93:94], v[77:78], v[87:88]
	s_clause 0x7
	buffer_load_dword v88, off, s[0:3], 0 offset:236
	buffer_load_dword v89, off, s[0:3], 0 offset:256
	buffer_load_dword v91, off, s[0:3], 0 offset:248
	buffer_load_dword v93, off, s[0:3], 0 offset:240
	buffer_load_dword v87, off, s[0:3], 0 offset:232
	buffer_load_dword v94, off, s[0:3], 0 offset:244
	buffer_load_dword v92, off, s[0:3], 0 offset:252
	buffer_load_dword v90, off, s[0:3], 0 offset:260
	s_waitcnt vmcnt(34)
	v_fma_f64 v[77:78], v[95:96], v[79:80], v[77:78]
	s_waitcnt vmcnt(32) lgkmcnt(0)
	v_fma_f64 v[77:78], v[97:98], v[81:82], v[77:78]
	s_waitcnt vmcnt(27)
	v_fma_f64 v[95:96], v[99:100], v[83:84], v[77:78]
	;; [unrolled: 19-line block ×3, first 2 shown]
	ds_read_b128 v[77:80], v76 offset:480
	ds_read_b128 v[81:84], v76 offset:496
	s_waitcnt vmcnt(26) lgkmcnt(1)
	v_fma_f64 v[77:78], v[113:114], v[77:78], v[101:102]
	s_clause 0x1
	buffer_load_dword v101, off, s[0:3], 0 offset:72
	buffer_load_dword v102, off, s[0:3], 0 offset:76
	s_waitcnt vmcnt(27)
	v_fma_f64 v[77:78], v[111:112], v[79:80], v[77:78]
	s_waitcnt vmcnt(26) lgkmcnt(0)
	v_fma_f64 v[77:78], v[109:110], v[81:82], v[77:78]
	s_waitcnt vmcnt(21)
	v_fma_f64 v[85:86], v[85:86], v[83:84], v[77:78]
	ds_read_b128 v[77:80], v76 offset:512
	ds_read_b128 v[81:84], v76 offset:528
	s_waitcnt vmcnt(20) lgkmcnt(1)
	v_fma_f64 v[77:78], v[119:120], v[77:78], v[85:86]
	s_waitcnt vmcnt(19)
	v_fma_f64 v[77:78], v[117:118], v[79:80], v[77:78]
	s_waitcnt vmcnt(18) lgkmcnt(0)
	v_fma_f64 v[77:78], v[115:116], v[81:82], v[77:78]
	s_waitcnt vmcnt(13)
	v_fma_f64 v[85:86], v[87:88], v[83:84], v[77:78]
	ds_read_b128 v[77:80], v76 offset:544
	ds_read_b128 v[81:84], v76 offset:560
	s_waitcnt vmcnt(12) lgkmcnt(1)
	v_fma_f64 v[77:78], v[93:94], v[77:78], v[85:86]
	s_waitcnt vmcnt(11)
	v_fma_f64 v[77:78], v[91:92], v[79:80], v[77:78]
	s_waitcnt vmcnt(10) lgkmcnt(0)
	v_fma_f64 v[77:78], v[89:90], v[81:82], v[77:78]
	s_waitcnt vmcnt(5)
	v_fma_f64 v[81:82], v[95:96], v[83:84], v[77:78]
	ds_read_b128 v[77:80], v76 offset:576
	ds_read_b64 v[83:84], v76 offset:592
	s_waitcnt vmcnt(4) lgkmcnt(1)
	v_fma_f64 v[77:78], v[105:106], v[77:78], v[81:82]
	s_waitcnt vmcnt(3)
	v_fma_f64 v[77:78], v[99:100], v[79:80], v[77:78]
	s_waitcnt vmcnt(2) lgkmcnt(0)
	v_fma_f64 v[77:78], v[97:98], v[83:84], v[77:78]
	s_waitcnt vmcnt(0)
	v_add_f64 v[77:78], v[101:102], -v[77:78]
	buffer_store_dword v78, off, s[0:3], 0 offset:76
	buffer_store_dword v77, off, s[0:3], 0 offset:72
	v_cmpx_lt_u32_e32 8, v0
	s_cbranch_execz .LBB100_215
; %bb.214:
	s_clause 0x1
	buffer_load_dword v77, off, s[0:3], 0 offset:64
	buffer_load_dword v78, off, s[0:3], 0 offset:68
	buffer_store_dword v76, off, s[0:3], 0 offset:64
	buffer_store_dword v76, off, s[0:3], 0 offset:68
	s_waitcnt vmcnt(0)
	ds_write_b64 v75, v[77:78]
.LBB100_215:
	s_or_b32 exec_lo, exec_lo, s4
	s_waitcnt lgkmcnt(0)
	s_waitcnt_vscnt null, 0x0
	s_barrier
	buffer_gl0_inv
	s_clause 0x1c
	buffer_load_dword v85, off, s[0:3], 0 offset:72
	buffer_load_dword v86, off, s[0:3], 0 offset:76
	;; [unrolled: 1-line block ×29, first 2 shown]
	ds_read2_b64 v[77:80], v76 offset0:47 offset1:48
	ds_read2_b64 v[81:84], v76 offset0:49 offset1:50
	buffer_load_dword v110, off, s[0:3], 0 offset:188
	s_mov_b32 s4, exec_lo
	s_waitcnt vmcnt(28) lgkmcnt(1)
	v_fma_f64 v[77:78], v[85:86], v[77:78], 0
	s_clause 0x7
	buffer_load_dword v86, off, s[0:3], 0 offset:196
	buffer_load_dword v115, off, s[0:3], 0 offset:216
	buffer_load_dword v117, off, s[0:3], 0 offset:208
	buffer_load_dword v119, off, s[0:3], 0 offset:200
	buffer_load_dword v85, off, s[0:3], 0 offset:192
	buffer_load_dword v120, off, s[0:3], 0 offset:204
	buffer_load_dword v118, off, s[0:3], 0 offset:212
	buffer_load_dword v116, off, s[0:3], 0 offset:220
	s_waitcnt vmcnt(34)
	v_fma_f64 v[77:78], v[87:88], v[79:80], v[77:78]
	s_waitcnt vmcnt(32) lgkmcnt(0)
	v_fma_f64 v[77:78], v[89:90], v[81:82], v[77:78]
	s_waitcnt vmcnt(30)
	v_fma_f64 v[87:88], v[91:92], v[83:84], v[77:78]
	ds_read2_b64 v[77:80], v76 offset0:51 offset1:52
	ds_read2_b64 v[81:84], v76 offset0:53 offset1:54
	s_waitcnt vmcnt(28) lgkmcnt(1)
	v_fma_f64 v[77:78], v[93:94], v[77:78], v[87:88]
	s_clause 0x7
	buffer_load_dword v88, off, s[0:3], 0 offset:228
	buffer_load_dword v89, off, s[0:3], 0 offset:248
	buffer_load_dword v91, off, s[0:3], 0 offset:240
	buffer_load_dword v93, off, s[0:3], 0 offset:232
	buffer_load_dword v87, off, s[0:3], 0 offset:224
	buffer_load_dword v94, off, s[0:3], 0 offset:236
	buffer_load_dword v92, off, s[0:3], 0 offset:244
	buffer_load_dword v90, off, s[0:3], 0 offset:252
	s_waitcnt vmcnt(34)
	v_fma_f64 v[77:78], v[95:96], v[79:80], v[77:78]
	s_waitcnt vmcnt(32) lgkmcnt(0)
	v_fma_f64 v[77:78], v[97:98], v[81:82], v[77:78]
	s_waitcnt vmcnt(27)
	v_fma_f64 v[95:96], v[99:100], v[83:84], v[77:78]
	ds_read2_b64 v[77:80], v76 offset0:55 offset1:56
	ds_read2_b64 v[81:84], v76 offset0:57 offset1:58
	;; [unrolled: 19-line block ×3, first 2 shown]
	s_waitcnt vmcnt(26) lgkmcnt(1)
	v_fma_f64 v[77:78], v[113:114], v[77:78], v[101:102]
	s_clause 0x3
	buffer_load_dword v102, off, s[0:3], 0 offset:292
	buffer_load_dword v101, off, s[0:3], 0 offset:288
	;; [unrolled: 1-line block ×4, first 2 shown]
	s_waitcnt vmcnt(29)
	v_fma_f64 v[77:78], v[111:112], v[79:80], v[77:78]
	s_waitcnt vmcnt(28) lgkmcnt(0)
	v_fma_f64 v[77:78], v[109:110], v[81:82], v[77:78]
	s_waitcnt vmcnt(23)
	v_fma_f64 v[85:86], v[85:86], v[83:84], v[77:78]
	ds_read2_b64 v[77:80], v76 offset0:63 offset1:64
	ds_read2_b64 v[81:84], v76 offset0:65 offset1:66
	s_waitcnt vmcnt(22) lgkmcnt(1)
	v_fma_f64 v[77:78], v[119:120], v[77:78], v[85:86]
	s_waitcnt vmcnt(21)
	v_fma_f64 v[77:78], v[117:118], v[79:80], v[77:78]
	s_waitcnt vmcnt(20) lgkmcnt(0)
	v_fma_f64 v[77:78], v[115:116], v[81:82], v[77:78]
	s_waitcnt vmcnt(15)
	v_fma_f64 v[85:86], v[87:88], v[83:84], v[77:78]
	ds_read2_b64 v[77:80], v76 offset0:67 offset1:68
	ds_read2_b64 v[81:84], v76 offset0:69 offset1:70
	s_waitcnt vmcnt(14) lgkmcnt(1)
	v_fma_f64 v[77:78], v[93:94], v[77:78], v[85:86]
	;; [unrolled: 10-line block ×3, first 2 shown]
	s_waitcnt vmcnt(5)
	v_fma_f64 v[76:77], v[99:100], v[79:80], v[76:77]
	s_waitcnt vmcnt(4) lgkmcnt(0)
	v_fma_f64 v[76:77], v[97:98], v[81:82], v[76:77]
	s_waitcnt vmcnt(2)
	v_fma_f64 v[76:77], v[101:102], v[83:84], v[76:77]
	s_waitcnt vmcnt(0)
	v_add_f64 v[76:77], v[103:104], -v[76:77]
	buffer_store_dword v77, off, s[0:3], 0 offset:68
	buffer_store_dword v76, off, s[0:3], 0 offset:64
	v_cmpx_lt_u32_e32 7, v0
	s_cbranch_execz .LBB100_217
; %bb.216:
	s_clause 0x1
	buffer_load_dword v76, off, s[0:3], 0 offset:56
	buffer_load_dword v77, off, s[0:3], 0 offset:60
	v_mov_b32_e32 v78, 0
	buffer_store_dword v78, off, s[0:3], 0 offset:56
	buffer_store_dword v78, off, s[0:3], 0 offset:60
	s_waitcnt vmcnt(0)
	ds_write_b64 v75, v[76:77]
.LBB100_217:
	s_or_b32 exec_lo, exec_lo, s4
	s_waitcnt lgkmcnt(0)
	s_waitcnt_vscnt null, 0x0
	s_barrier
	buffer_gl0_inv
	s_clause 0x1c
	buffer_load_dword v85, off, s[0:3], 0 offset:64
	buffer_load_dword v86, off, s[0:3], 0 offset:68
	;; [unrolled: 1-line block ×29, first 2 shown]
	v_mov_b32_e32 v76, 0
	buffer_load_dword v110, off, s[0:3], 0 offset:180
	s_mov_b32 s4, exec_lo
	ds_read_b128 v[77:80], v76 offset:368
	ds_read_b128 v[81:84], v76 offset:384
	s_waitcnt vmcnt(28) lgkmcnt(1)
	v_fma_f64 v[77:78], v[85:86], v[77:78], 0
	s_clause 0x7
	buffer_load_dword v86, off, s[0:3], 0 offset:188
	buffer_load_dword v115, off, s[0:3], 0 offset:208
	buffer_load_dword v117, off, s[0:3], 0 offset:200
	buffer_load_dword v119, off, s[0:3], 0 offset:192
	buffer_load_dword v85, off, s[0:3], 0 offset:184
	buffer_load_dword v120, off, s[0:3], 0 offset:196
	buffer_load_dword v118, off, s[0:3], 0 offset:204
	buffer_load_dword v116, off, s[0:3], 0 offset:212
	s_waitcnt vmcnt(34)
	v_fma_f64 v[77:78], v[87:88], v[79:80], v[77:78]
	s_waitcnt vmcnt(32) lgkmcnt(0)
	v_fma_f64 v[77:78], v[89:90], v[81:82], v[77:78]
	s_waitcnt vmcnt(30)
	v_fma_f64 v[87:88], v[91:92], v[83:84], v[77:78]
	ds_read_b128 v[77:80], v76 offset:400
	ds_read_b128 v[81:84], v76 offset:416
	s_waitcnt vmcnt(28) lgkmcnt(1)
	v_fma_f64 v[77:78], v[93:94], v[77:78], v[87:88]
	s_clause 0x7
	buffer_load_dword v88, off, s[0:3], 0 offset:220
	buffer_load_dword v89, off, s[0:3], 0 offset:240
	buffer_load_dword v91, off, s[0:3], 0 offset:232
	buffer_load_dword v93, off, s[0:3], 0 offset:224
	buffer_load_dword v87, off, s[0:3], 0 offset:216
	buffer_load_dword v94, off, s[0:3], 0 offset:228
	buffer_load_dword v92, off, s[0:3], 0 offset:236
	buffer_load_dword v90, off, s[0:3], 0 offset:244
	s_waitcnt vmcnt(34)
	v_fma_f64 v[77:78], v[95:96], v[79:80], v[77:78]
	s_waitcnt vmcnt(32) lgkmcnt(0)
	v_fma_f64 v[77:78], v[97:98], v[81:82], v[77:78]
	s_waitcnt vmcnt(27)
	v_fma_f64 v[95:96], v[99:100], v[83:84], v[77:78]
	;; [unrolled: 19-line block ×3, first 2 shown]
	ds_read_b128 v[77:80], v76 offset:464
	ds_read_b128 v[81:84], v76 offset:480
	s_waitcnt vmcnt(26) lgkmcnt(1)
	v_fma_f64 v[77:78], v[113:114], v[77:78], v[101:102]
	s_clause 0x5
	buffer_load_dword v102, off, s[0:3], 0 offset:284
	buffer_load_dword v103, off, s[0:3], 0 offset:288
	;; [unrolled: 1-line block ×6, first 2 shown]
	s_waitcnt vmcnt(31)
	v_fma_f64 v[77:78], v[111:112], v[79:80], v[77:78]
	s_waitcnt vmcnt(30) lgkmcnt(0)
	v_fma_f64 v[77:78], v[109:110], v[81:82], v[77:78]
	s_waitcnt vmcnt(25)
	v_fma_f64 v[85:86], v[85:86], v[83:84], v[77:78]
	ds_read_b128 v[77:80], v76 offset:496
	ds_read_b128 v[81:84], v76 offset:512
	s_waitcnt vmcnt(24) lgkmcnt(1)
	v_fma_f64 v[77:78], v[119:120], v[77:78], v[85:86]
	s_waitcnt vmcnt(23)
	v_fma_f64 v[77:78], v[117:118], v[79:80], v[77:78]
	s_waitcnt vmcnt(22) lgkmcnt(0)
	v_fma_f64 v[77:78], v[115:116], v[81:82], v[77:78]
	s_waitcnt vmcnt(17)
	v_fma_f64 v[85:86], v[87:88], v[83:84], v[77:78]
	ds_read_b128 v[77:80], v76 offset:528
	ds_read_b128 v[81:84], v76 offset:544
	s_waitcnt vmcnt(16) lgkmcnt(1)
	v_fma_f64 v[77:78], v[93:94], v[77:78], v[85:86]
	;; [unrolled: 10-line block ×3, first 2 shown]
	s_waitcnt vmcnt(7)
	v_fma_f64 v[77:78], v[99:100], v[79:80], v[77:78]
	ds_read_b64 v[79:80], v76 offset:592
	s_waitcnt vmcnt(6) lgkmcnt(1)
	v_fma_f64 v[77:78], v[97:98], v[81:82], v[77:78]
	s_waitcnt vmcnt(3)
	v_fma_f64 v[77:78], v[101:102], v[83:84], v[77:78]
	s_waitcnt vmcnt(2) lgkmcnt(0)
	v_fma_f64 v[77:78], v[103:104], v[79:80], v[77:78]
	s_waitcnt vmcnt(0)
	v_add_f64 v[77:78], v[107:108], -v[77:78]
	buffer_store_dword v78, off, s[0:3], 0 offset:60
	buffer_store_dword v77, off, s[0:3], 0 offset:56
	v_cmpx_lt_u32_e32 6, v0
	s_cbranch_execz .LBB100_219
; %bb.218:
	s_clause 0x1
	buffer_load_dword v77, off, s[0:3], 0 offset:48
	buffer_load_dword v78, off, s[0:3], 0 offset:52
	buffer_store_dword v76, off, s[0:3], 0 offset:48
	buffer_store_dword v76, off, s[0:3], 0 offset:52
	s_waitcnt vmcnt(0)
	ds_write_b64 v75, v[77:78]
.LBB100_219:
	s_or_b32 exec_lo, exec_lo, s4
	s_waitcnt lgkmcnt(0)
	s_waitcnt_vscnt null, 0x0
	s_barrier
	buffer_gl0_inv
	s_clause 0x1c
	buffer_load_dword v85, off, s[0:3], 0 offset:56
	buffer_load_dword v86, off, s[0:3], 0 offset:60
	buffer_load_dword v87, off, s[0:3], 0 offset:64
	buffer_load_dword v88, off, s[0:3], 0 offset:68
	buffer_load_dword v89, off, s[0:3], 0 offset:72
	buffer_load_dword v90, off, s[0:3], 0 offset:76
	buffer_load_dword v91, off, s[0:3], 0 offset:80
	buffer_load_dword v92, off, s[0:3], 0 offset:84
	buffer_load_dword v93, off, s[0:3], 0 offset:88
	buffer_load_dword v94, off, s[0:3], 0 offset:92
	buffer_load_dword v95, off, s[0:3], 0 offset:96
	buffer_load_dword v96, off, s[0:3], 0 offset:100
	buffer_load_dword v97, off, s[0:3], 0 offset:104
	buffer_load_dword v98, off, s[0:3], 0 offset:108
	buffer_load_dword v100, off, s[0:3], 0 offset:116
	buffer_load_dword v101, off, s[0:3], 0 offset:136
	buffer_load_dword v103, off, s[0:3], 0 offset:128
	buffer_load_dword v105, off, s[0:3], 0 offset:120
	buffer_load_dword v99, off, s[0:3], 0 offset:112
	buffer_load_dword v106, off, s[0:3], 0 offset:124
	buffer_load_dword v104, off, s[0:3], 0 offset:132
	buffer_load_dword v102, off, s[0:3], 0 offset:140
	buffer_load_dword v108, off, s[0:3], 0 offset:148
	buffer_load_dword v109, off, s[0:3], 0 offset:168
	buffer_load_dword v111, off, s[0:3], 0 offset:160
	buffer_load_dword v113, off, s[0:3], 0 offset:152
	buffer_load_dword v107, off, s[0:3], 0 offset:144
	buffer_load_dword v114, off, s[0:3], 0 offset:156
	buffer_load_dword v112, off, s[0:3], 0 offset:164
	ds_read2_b64 v[77:80], v76 offset0:45 offset1:46
	ds_read2_b64 v[81:84], v76 offset0:47 offset1:48
	buffer_load_dword v110, off, s[0:3], 0 offset:172
	s_mov_b32 s4, exec_lo
	s_waitcnt vmcnt(28) lgkmcnt(1)
	v_fma_f64 v[77:78], v[85:86], v[77:78], 0
	s_clause 0x7
	buffer_load_dword v86, off, s[0:3], 0 offset:180
	buffer_load_dword v115, off, s[0:3], 0 offset:200
	buffer_load_dword v117, off, s[0:3], 0 offset:192
	buffer_load_dword v119, off, s[0:3], 0 offset:184
	buffer_load_dword v85, off, s[0:3], 0 offset:176
	buffer_load_dword v120, off, s[0:3], 0 offset:188
	buffer_load_dword v118, off, s[0:3], 0 offset:196
	buffer_load_dword v116, off, s[0:3], 0 offset:204
	s_waitcnt vmcnt(34)
	v_fma_f64 v[77:78], v[87:88], v[79:80], v[77:78]
	s_waitcnt vmcnt(32) lgkmcnt(0)
	v_fma_f64 v[77:78], v[89:90], v[81:82], v[77:78]
	s_waitcnt vmcnt(30)
	v_fma_f64 v[87:88], v[91:92], v[83:84], v[77:78]
	ds_read2_b64 v[77:80], v76 offset0:49 offset1:50
	ds_read2_b64 v[81:84], v76 offset0:51 offset1:52
	s_waitcnt vmcnt(28) lgkmcnt(1)
	v_fma_f64 v[77:78], v[93:94], v[77:78], v[87:88]
	s_clause 0x7
	buffer_load_dword v88, off, s[0:3], 0 offset:212
	buffer_load_dword v89, off, s[0:3], 0 offset:232
	buffer_load_dword v91, off, s[0:3], 0 offset:224
	buffer_load_dword v93, off, s[0:3], 0 offset:216
	buffer_load_dword v87, off, s[0:3], 0 offset:208
	buffer_load_dword v94, off, s[0:3], 0 offset:220
	buffer_load_dword v92, off, s[0:3], 0 offset:228
	buffer_load_dword v90, off, s[0:3], 0 offset:236
	s_waitcnt vmcnt(34)
	v_fma_f64 v[77:78], v[95:96], v[79:80], v[77:78]
	s_waitcnt vmcnt(32) lgkmcnt(0)
	v_fma_f64 v[77:78], v[97:98], v[81:82], v[77:78]
	s_waitcnt vmcnt(27)
	v_fma_f64 v[95:96], v[99:100], v[83:84], v[77:78]
	ds_read2_b64 v[77:80], v76 offset0:53 offset1:54
	ds_read2_b64 v[81:84], v76 offset0:55 offset1:56
	;; [unrolled: 19-line block ×3, first 2 shown]
	s_waitcnt vmcnt(26) lgkmcnt(1)
	v_fma_f64 v[77:78], v[113:114], v[77:78], v[101:102]
	s_clause 0x5
	buffer_load_dword v102, off, s[0:3], 0 offset:276
	buffer_load_dword v103, off, s[0:3], 0 offset:288
	;; [unrolled: 1-line block ×6, first 2 shown]
	s_waitcnt vmcnt(31)
	v_fma_f64 v[77:78], v[111:112], v[79:80], v[77:78]
	s_waitcnt vmcnt(30) lgkmcnt(0)
	v_fma_f64 v[77:78], v[109:110], v[81:82], v[77:78]
	s_waitcnt vmcnt(25)
	v_fma_f64 v[85:86], v[85:86], v[83:84], v[77:78]
	ds_read2_b64 v[77:80], v76 offset0:61 offset1:62
	s_clause 0x1
	buffer_load_dword v109, off, s[0:3], 0 offset:48
	buffer_load_dword v110, off, s[0:3], 0 offset:52
	ds_read2_b64 v[81:84], v76 offset0:63 offset1:64
	s_waitcnt vmcnt(26) lgkmcnt(1)
	v_fma_f64 v[77:78], v[119:120], v[77:78], v[85:86]
	s_waitcnt vmcnt(25)
	v_fma_f64 v[77:78], v[117:118], v[79:80], v[77:78]
	s_waitcnt vmcnt(24) lgkmcnt(0)
	v_fma_f64 v[77:78], v[115:116], v[81:82], v[77:78]
	s_waitcnt vmcnt(19)
	v_fma_f64 v[85:86], v[87:88], v[83:84], v[77:78]
	ds_read2_b64 v[77:80], v76 offset0:65 offset1:66
	ds_read2_b64 v[81:84], v76 offset0:67 offset1:68
	s_waitcnt vmcnt(18) lgkmcnt(1)
	v_fma_f64 v[77:78], v[93:94], v[77:78], v[85:86]
	s_waitcnt vmcnt(17)
	v_fma_f64 v[77:78], v[91:92], v[79:80], v[77:78]
	s_waitcnt vmcnt(16) lgkmcnt(0)
	v_fma_f64 v[77:78], v[89:90], v[81:82], v[77:78]
	s_waitcnt vmcnt(11)
	v_fma_f64 v[85:86], v[95:96], v[83:84], v[77:78]
	ds_read2_b64 v[77:80], v76 offset0:69 offset1:70
	;; [unrolled: 10-line block ×3, first 2 shown]
	s_waitcnt vmcnt(3) lgkmcnt(0)
	v_fma_f64 v[76:77], v[107:108], v[76:77], v[80:81]
	s_waitcnt vmcnt(2)
	v_fma_f64 v[76:77], v[103:104], v[78:79], v[76:77]
	s_waitcnt vmcnt(0)
	v_add_f64 v[76:77], v[109:110], -v[76:77]
	buffer_store_dword v77, off, s[0:3], 0 offset:52
	buffer_store_dword v76, off, s[0:3], 0 offset:48
	v_cmpx_lt_u32_e32 5, v0
	s_cbranch_execz .LBB100_221
; %bb.220:
	s_clause 0x1
	buffer_load_dword v76, off, s[0:3], 0 offset:40
	buffer_load_dword v77, off, s[0:3], 0 offset:44
	v_mov_b32_e32 v78, 0
	buffer_store_dword v78, off, s[0:3], 0 offset:40
	buffer_store_dword v78, off, s[0:3], 0 offset:44
	s_waitcnt vmcnt(0)
	ds_write_b64 v75, v[76:77]
.LBB100_221:
	s_or_b32 exec_lo, exec_lo, s4
	s_waitcnt lgkmcnt(0)
	s_waitcnt_vscnt null, 0x0
	s_barrier
	buffer_gl0_inv
	s_clause 0x1c
	buffer_load_dword v85, off, s[0:3], 0 offset:48
	buffer_load_dword v86, off, s[0:3], 0 offset:52
	;; [unrolled: 1-line block ×29, first 2 shown]
	v_mov_b32_e32 v76, 0
	buffer_load_dword v110, off, s[0:3], 0 offset:164
	s_mov_b32 s4, exec_lo
	ds_read_b128 v[77:80], v76 offset:352
	ds_read_b128 v[81:84], v76 offset:368
	s_waitcnt vmcnt(28) lgkmcnt(1)
	v_fma_f64 v[77:78], v[85:86], v[77:78], 0
	s_clause 0x7
	buffer_load_dword v86, off, s[0:3], 0 offset:172
	buffer_load_dword v115, off, s[0:3], 0 offset:192
	buffer_load_dword v117, off, s[0:3], 0 offset:184
	buffer_load_dword v119, off, s[0:3], 0 offset:176
	buffer_load_dword v85, off, s[0:3], 0 offset:168
	buffer_load_dword v120, off, s[0:3], 0 offset:180
	buffer_load_dword v118, off, s[0:3], 0 offset:188
	buffer_load_dword v116, off, s[0:3], 0 offset:196
	s_waitcnt vmcnt(34)
	v_fma_f64 v[77:78], v[87:88], v[79:80], v[77:78]
	s_waitcnt vmcnt(32) lgkmcnt(0)
	v_fma_f64 v[77:78], v[89:90], v[81:82], v[77:78]
	s_waitcnt vmcnt(30)
	v_fma_f64 v[87:88], v[91:92], v[83:84], v[77:78]
	ds_read_b128 v[77:80], v76 offset:384
	ds_read_b128 v[81:84], v76 offset:400
	s_waitcnt vmcnt(28) lgkmcnt(1)
	v_fma_f64 v[77:78], v[93:94], v[77:78], v[87:88]
	s_clause 0x7
	buffer_load_dword v88, off, s[0:3], 0 offset:204
	buffer_load_dword v89, off, s[0:3], 0 offset:224
	buffer_load_dword v91, off, s[0:3], 0 offset:216
	buffer_load_dword v93, off, s[0:3], 0 offset:208
	buffer_load_dword v87, off, s[0:3], 0 offset:200
	buffer_load_dword v94, off, s[0:3], 0 offset:212
	buffer_load_dword v92, off, s[0:3], 0 offset:220
	buffer_load_dword v90, off, s[0:3], 0 offset:228
	s_waitcnt vmcnt(34)
	v_fma_f64 v[77:78], v[95:96], v[79:80], v[77:78]
	s_waitcnt vmcnt(32) lgkmcnt(0)
	v_fma_f64 v[77:78], v[97:98], v[81:82], v[77:78]
	s_waitcnt vmcnt(27)
	v_fma_f64 v[95:96], v[99:100], v[83:84], v[77:78]
	;; [unrolled: 19-line block ×4, first 2 shown]
	ds_read_b128 v[77:80], v76 offset:480
	ds_read_b128 v[81:84], v76 offset:496
	s_waitcnt vmcnt(26) lgkmcnt(1)
	v_fma_f64 v[77:78], v[119:120], v[77:78], v[85:86]
	s_clause 0x1
	buffer_load_dword v85, off, s[0:3], 0 offset:40
	buffer_load_dword v86, off, s[0:3], 0 offset:44
	s_waitcnt vmcnt(27)
	v_fma_f64 v[77:78], v[117:118], v[79:80], v[77:78]
	s_waitcnt vmcnt(26) lgkmcnt(0)
	v_fma_f64 v[77:78], v[115:116], v[81:82], v[77:78]
	s_waitcnt vmcnt(21)
	v_fma_f64 v[87:88], v[87:88], v[83:84], v[77:78]
	ds_read_b128 v[77:80], v76 offset:512
	ds_read_b128 v[81:84], v76 offset:528
	s_waitcnt vmcnt(20) lgkmcnt(1)
	v_fma_f64 v[77:78], v[93:94], v[77:78], v[87:88]
	s_waitcnt vmcnt(19)
	v_fma_f64 v[77:78], v[91:92], v[79:80], v[77:78]
	s_waitcnt vmcnt(18) lgkmcnt(0)
	v_fma_f64 v[77:78], v[89:90], v[81:82], v[77:78]
	s_waitcnt vmcnt(13)
	v_fma_f64 v[87:88], v[95:96], v[83:84], v[77:78]
	ds_read_b128 v[77:80], v76 offset:544
	ds_read_b128 v[81:84], v76 offset:560
	s_waitcnt vmcnt(12) lgkmcnt(1)
	v_fma_f64 v[77:78], v[105:106], v[77:78], v[87:88]
	s_waitcnt vmcnt(11)
	v_fma_f64 v[77:78], v[99:100], v[79:80], v[77:78]
	s_waitcnt vmcnt(10) lgkmcnt(0)
	v_fma_f64 v[77:78], v[97:98], v[81:82], v[77:78]
	s_waitcnt vmcnt(5)
	v_fma_f64 v[81:82], v[101:102], v[83:84], v[77:78]
	ds_read_b128 v[77:80], v76 offset:576
	ds_read_b64 v[83:84], v76 offset:592
	s_waitcnt vmcnt(4) lgkmcnt(1)
	v_fma_f64 v[77:78], v[113:114], v[77:78], v[81:82]
	s_waitcnt vmcnt(3)
	v_fma_f64 v[77:78], v[107:108], v[79:80], v[77:78]
	s_waitcnt vmcnt(2) lgkmcnt(0)
	v_fma_f64 v[77:78], v[103:104], v[83:84], v[77:78]
	s_waitcnt vmcnt(0)
	v_add_f64 v[77:78], v[85:86], -v[77:78]
	buffer_store_dword v78, off, s[0:3], 0 offset:44
	buffer_store_dword v77, off, s[0:3], 0 offset:40
	v_cmpx_lt_u32_e32 4, v0
	s_cbranch_execz .LBB100_223
; %bb.222:
	s_clause 0x1
	buffer_load_dword v77, off, s[0:3], 0 offset:32
	buffer_load_dword v78, off, s[0:3], 0 offset:36
	buffer_store_dword v76, off, s[0:3], 0 offset:32
	buffer_store_dword v76, off, s[0:3], 0 offset:36
	s_waitcnt vmcnt(0)
	ds_write_b64 v75, v[77:78]
.LBB100_223:
	s_or_b32 exec_lo, exec_lo, s4
	s_waitcnt lgkmcnt(0)
	s_waitcnt_vscnt null, 0x0
	s_barrier
	buffer_gl0_inv
	s_clause 0x1c
	buffer_load_dword v85, off, s[0:3], 0 offset:40
	buffer_load_dword v86, off, s[0:3], 0 offset:44
	;; [unrolled: 1-line block ×29, first 2 shown]
	ds_read2_b64 v[77:80], v76 offset0:43 offset1:44
	ds_read2_b64 v[81:84], v76 offset0:45 offset1:46
	buffer_load_dword v110, off, s[0:3], 0 offset:156
	s_mov_b32 s4, exec_lo
	s_waitcnt vmcnt(28) lgkmcnt(1)
	v_fma_f64 v[77:78], v[85:86], v[77:78], 0
	s_clause 0x7
	buffer_load_dword v86, off, s[0:3], 0 offset:164
	buffer_load_dword v115, off, s[0:3], 0 offset:184
	buffer_load_dword v117, off, s[0:3], 0 offset:176
	buffer_load_dword v119, off, s[0:3], 0 offset:168
	buffer_load_dword v85, off, s[0:3], 0 offset:160
	buffer_load_dword v120, off, s[0:3], 0 offset:172
	buffer_load_dword v118, off, s[0:3], 0 offset:180
	buffer_load_dword v116, off, s[0:3], 0 offset:188
	s_waitcnt vmcnt(34)
	v_fma_f64 v[77:78], v[87:88], v[79:80], v[77:78]
	s_waitcnt vmcnt(32) lgkmcnt(0)
	v_fma_f64 v[77:78], v[89:90], v[81:82], v[77:78]
	s_waitcnt vmcnt(30)
	v_fma_f64 v[87:88], v[91:92], v[83:84], v[77:78]
	ds_read2_b64 v[77:80], v76 offset0:47 offset1:48
	ds_read2_b64 v[81:84], v76 offset0:49 offset1:50
	s_waitcnt vmcnt(28) lgkmcnt(1)
	v_fma_f64 v[77:78], v[93:94], v[77:78], v[87:88]
	s_clause 0x7
	buffer_load_dword v88, off, s[0:3], 0 offset:196
	buffer_load_dword v89, off, s[0:3], 0 offset:216
	buffer_load_dword v91, off, s[0:3], 0 offset:208
	buffer_load_dword v93, off, s[0:3], 0 offset:200
	buffer_load_dword v87, off, s[0:3], 0 offset:192
	buffer_load_dword v94, off, s[0:3], 0 offset:204
	buffer_load_dword v92, off, s[0:3], 0 offset:212
	buffer_load_dword v90, off, s[0:3], 0 offset:220
	s_waitcnt vmcnt(34)
	v_fma_f64 v[77:78], v[95:96], v[79:80], v[77:78]
	s_waitcnt vmcnt(32) lgkmcnt(0)
	v_fma_f64 v[77:78], v[97:98], v[81:82], v[77:78]
	s_waitcnt vmcnt(27)
	v_fma_f64 v[95:96], v[99:100], v[83:84], v[77:78]
	ds_read2_b64 v[77:80], v76 offset0:51 offset1:52
	ds_read2_b64 v[81:84], v76 offset0:53 offset1:54
	;; [unrolled: 19-line block ×4, first 2 shown]
	s_waitcnt vmcnt(26) lgkmcnt(1)
	v_fma_f64 v[77:78], v[119:120], v[77:78], v[85:86]
	s_clause 0x3
	buffer_load_dword v86, off, s[0:3], 0 offset:292
	buffer_load_dword v85, off, s[0:3], 0 offset:288
	;; [unrolled: 1-line block ×4, first 2 shown]
	s_waitcnt vmcnt(29)
	v_fma_f64 v[77:78], v[117:118], v[79:80], v[77:78]
	s_waitcnt vmcnt(28) lgkmcnt(0)
	v_fma_f64 v[77:78], v[115:116], v[81:82], v[77:78]
	s_waitcnt vmcnt(23)
	v_fma_f64 v[87:88], v[87:88], v[83:84], v[77:78]
	ds_read2_b64 v[77:80], v76 offset0:63 offset1:64
	ds_read2_b64 v[81:84], v76 offset0:65 offset1:66
	s_waitcnt vmcnt(22) lgkmcnt(1)
	v_fma_f64 v[77:78], v[93:94], v[77:78], v[87:88]
	s_waitcnt vmcnt(21)
	v_fma_f64 v[77:78], v[91:92], v[79:80], v[77:78]
	s_waitcnt vmcnt(20) lgkmcnt(0)
	v_fma_f64 v[77:78], v[89:90], v[81:82], v[77:78]
	s_waitcnt vmcnt(15)
	v_fma_f64 v[87:88], v[95:96], v[83:84], v[77:78]
	ds_read2_b64 v[77:80], v76 offset0:67 offset1:68
	ds_read2_b64 v[81:84], v76 offset0:69 offset1:70
	s_waitcnt vmcnt(14) lgkmcnt(1)
	v_fma_f64 v[77:78], v[105:106], v[77:78], v[87:88]
	;; [unrolled: 10-line block ×3, first 2 shown]
	s_waitcnt vmcnt(5)
	v_fma_f64 v[76:77], v[107:108], v[79:80], v[76:77]
	s_waitcnt vmcnt(4) lgkmcnt(0)
	v_fma_f64 v[76:77], v[103:104], v[81:82], v[76:77]
	s_waitcnt vmcnt(2)
	v_fma_f64 v[76:77], v[85:86], v[83:84], v[76:77]
	s_waitcnt vmcnt(0)
	v_add_f64 v[76:77], v[109:110], -v[76:77]
	buffer_store_dword v77, off, s[0:3], 0 offset:36
	buffer_store_dword v76, off, s[0:3], 0 offset:32
	v_cmpx_lt_u32_e32 3, v0
	s_cbranch_execz .LBB100_225
; %bb.224:
	s_clause 0x1
	buffer_load_dword v76, off, s[0:3], 0 offset:24
	buffer_load_dword v77, off, s[0:3], 0 offset:28
	v_mov_b32_e32 v78, 0
	buffer_store_dword v78, off, s[0:3], 0 offset:24
	buffer_store_dword v78, off, s[0:3], 0 offset:28
	s_waitcnt vmcnt(0)
	ds_write_b64 v75, v[76:77]
.LBB100_225:
	s_or_b32 exec_lo, exec_lo, s4
	s_waitcnt lgkmcnt(0)
	s_waitcnt_vscnt null, 0x0
	s_barrier
	buffer_gl0_inv
	s_clause 0x1c
	buffer_load_dword v85, off, s[0:3], 0 offset:32
	buffer_load_dword v86, off, s[0:3], 0 offset:36
	;; [unrolled: 1-line block ×29, first 2 shown]
	v_mov_b32_e32 v76, 0
	buffer_load_dword v110, off, s[0:3], 0 offset:148
	s_mov_b32 s4, exec_lo
	ds_read_b128 v[77:80], v76 offset:336
	ds_read_b128 v[81:84], v76 offset:352
	s_waitcnt vmcnt(28) lgkmcnt(1)
	v_fma_f64 v[77:78], v[85:86], v[77:78], 0
	s_clause 0x7
	buffer_load_dword v86, off, s[0:3], 0 offset:156
	buffer_load_dword v115, off, s[0:3], 0 offset:176
	buffer_load_dword v117, off, s[0:3], 0 offset:168
	buffer_load_dword v119, off, s[0:3], 0 offset:160
	buffer_load_dword v85, off, s[0:3], 0 offset:152
	buffer_load_dword v120, off, s[0:3], 0 offset:164
	buffer_load_dword v118, off, s[0:3], 0 offset:172
	buffer_load_dword v116, off, s[0:3], 0 offset:180
	s_waitcnt vmcnt(34)
	v_fma_f64 v[77:78], v[87:88], v[79:80], v[77:78]
	s_waitcnt vmcnt(32) lgkmcnt(0)
	v_fma_f64 v[77:78], v[89:90], v[81:82], v[77:78]
	s_waitcnt vmcnt(30)
	v_fma_f64 v[87:88], v[91:92], v[83:84], v[77:78]
	ds_read_b128 v[77:80], v76 offset:368
	ds_read_b128 v[81:84], v76 offset:384
	s_waitcnt vmcnt(28) lgkmcnt(1)
	v_fma_f64 v[77:78], v[93:94], v[77:78], v[87:88]
	s_clause 0x7
	buffer_load_dword v88, off, s[0:3], 0 offset:188
	buffer_load_dword v89, off, s[0:3], 0 offset:208
	buffer_load_dword v91, off, s[0:3], 0 offset:200
	buffer_load_dword v93, off, s[0:3], 0 offset:192
	buffer_load_dword v87, off, s[0:3], 0 offset:184
	buffer_load_dword v94, off, s[0:3], 0 offset:196
	buffer_load_dword v92, off, s[0:3], 0 offset:204
	buffer_load_dword v90, off, s[0:3], 0 offset:212
	s_waitcnt vmcnt(34)
	v_fma_f64 v[77:78], v[95:96], v[79:80], v[77:78]
	s_waitcnt vmcnt(32) lgkmcnt(0)
	v_fma_f64 v[77:78], v[97:98], v[81:82], v[77:78]
	s_waitcnt vmcnt(27)
	v_fma_f64 v[95:96], v[99:100], v[83:84], v[77:78]
	;; [unrolled: 19-line block ×4, first 2 shown]
	ds_read_b128 v[77:80], v76 offset:464
	ds_read_b128 v[81:84], v76 offset:480
	s_waitcnt vmcnt(26) lgkmcnt(1)
	v_fma_f64 v[77:78], v[119:120], v[77:78], v[85:86]
	s_clause 0x5
	buffer_load_dword v86, off, s[0:3], 0 offset:284
	buffer_load_dword v109, off, s[0:3], 0 offset:288
	;; [unrolled: 1-line block ×6, first 2 shown]
	s_waitcnt vmcnt(31)
	v_fma_f64 v[77:78], v[117:118], v[79:80], v[77:78]
	s_waitcnt vmcnt(30) lgkmcnt(0)
	v_fma_f64 v[77:78], v[115:116], v[81:82], v[77:78]
	s_waitcnt vmcnt(25)
	v_fma_f64 v[87:88], v[87:88], v[83:84], v[77:78]
	ds_read_b128 v[77:80], v76 offset:496
	ds_read_b128 v[81:84], v76 offset:512
	s_waitcnt vmcnt(24) lgkmcnt(1)
	v_fma_f64 v[77:78], v[93:94], v[77:78], v[87:88]
	s_waitcnt vmcnt(23)
	v_fma_f64 v[77:78], v[91:92], v[79:80], v[77:78]
	s_waitcnt vmcnt(22) lgkmcnt(0)
	v_fma_f64 v[77:78], v[89:90], v[81:82], v[77:78]
	s_waitcnt vmcnt(17)
	v_fma_f64 v[87:88], v[95:96], v[83:84], v[77:78]
	ds_read_b128 v[77:80], v76 offset:528
	ds_read_b128 v[81:84], v76 offset:544
	s_waitcnt vmcnt(16) lgkmcnt(1)
	v_fma_f64 v[77:78], v[105:106], v[77:78], v[87:88]
	;; [unrolled: 10-line block ×3, first 2 shown]
	s_waitcnt vmcnt(7)
	v_fma_f64 v[77:78], v[107:108], v[79:80], v[77:78]
	ds_read_b64 v[79:80], v76 offset:592
	s_waitcnt vmcnt(6) lgkmcnt(1)
	v_fma_f64 v[77:78], v[103:104], v[81:82], v[77:78]
	s_waitcnt vmcnt(3)
	v_fma_f64 v[77:78], v[85:86], v[83:84], v[77:78]
	s_waitcnt vmcnt(2) lgkmcnt(0)
	v_fma_f64 v[77:78], v[109:110], v[79:80], v[77:78]
	s_waitcnt vmcnt(0)
	v_add_f64 v[77:78], v[111:112], -v[77:78]
	buffer_store_dword v78, off, s[0:3], 0 offset:28
	buffer_store_dword v77, off, s[0:3], 0 offset:24
	v_cmpx_lt_u32_e32 2, v0
	s_cbranch_execz .LBB100_227
; %bb.226:
	s_clause 0x1
	buffer_load_dword v77, off, s[0:3], 0 offset:16
	buffer_load_dword v78, off, s[0:3], 0 offset:20
	buffer_store_dword v76, off, s[0:3], 0 offset:16
	buffer_store_dword v76, off, s[0:3], 0 offset:20
	s_waitcnt vmcnt(0)
	ds_write_b64 v75, v[77:78]
.LBB100_227:
	s_or_b32 exec_lo, exec_lo, s4
	s_waitcnt lgkmcnt(0)
	s_waitcnt_vscnt null, 0x0
	s_barrier
	buffer_gl0_inv
	s_clause 0x1c
	buffer_load_dword v85, off, s[0:3], 0 offset:24
	buffer_load_dword v86, off, s[0:3], 0 offset:28
	;; [unrolled: 1-line block ×29, first 2 shown]
	ds_read2_b64 v[77:80], v76 offset0:41 offset1:42
	ds_read2_b64 v[81:84], v76 offset0:43 offset1:44
	buffer_load_dword v110, off, s[0:3], 0 offset:140
	s_mov_b32 s4, exec_lo
	s_waitcnt vmcnt(28) lgkmcnt(1)
	v_fma_f64 v[77:78], v[85:86], v[77:78], 0
	s_clause 0x7
	buffer_load_dword v86, off, s[0:3], 0 offset:148
	buffer_load_dword v115, off, s[0:3], 0 offset:168
	buffer_load_dword v117, off, s[0:3], 0 offset:160
	buffer_load_dword v119, off, s[0:3], 0 offset:152
	buffer_load_dword v85, off, s[0:3], 0 offset:144
	buffer_load_dword v120, off, s[0:3], 0 offset:156
	buffer_load_dword v118, off, s[0:3], 0 offset:164
	buffer_load_dword v116, off, s[0:3], 0 offset:172
	s_waitcnt vmcnt(34)
	v_fma_f64 v[77:78], v[87:88], v[79:80], v[77:78]
	s_waitcnt vmcnt(32) lgkmcnt(0)
	v_fma_f64 v[77:78], v[89:90], v[81:82], v[77:78]
	s_waitcnt vmcnt(30)
	v_fma_f64 v[87:88], v[91:92], v[83:84], v[77:78]
	ds_read2_b64 v[77:80], v76 offset0:45 offset1:46
	ds_read2_b64 v[81:84], v76 offset0:47 offset1:48
	s_waitcnt vmcnt(28) lgkmcnt(1)
	v_fma_f64 v[77:78], v[93:94], v[77:78], v[87:88]
	s_clause 0x7
	buffer_load_dword v88, off, s[0:3], 0 offset:180
	buffer_load_dword v89, off, s[0:3], 0 offset:200
	buffer_load_dword v91, off, s[0:3], 0 offset:192
	buffer_load_dword v93, off, s[0:3], 0 offset:184
	buffer_load_dword v87, off, s[0:3], 0 offset:176
	buffer_load_dword v94, off, s[0:3], 0 offset:188
	buffer_load_dword v92, off, s[0:3], 0 offset:196
	buffer_load_dword v90, off, s[0:3], 0 offset:204
	s_waitcnt vmcnt(34)
	v_fma_f64 v[77:78], v[95:96], v[79:80], v[77:78]
	s_waitcnt vmcnt(32) lgkmcnt(0)
	v_fma_f64 v[77:78], v[97:98], v[81:82], v[77:78]
	s_waitcnt vmcnt(27)
	v_fma_f64 v[95:96], v[99:100], v[83:84], v[77:78]
	ds_read2_b64 v[77:80], v76 offset0:49 offset1:50
	ds_read2_b64 v[81:84], v76 offset0:51 offset1:52
	;; [unrolled: 19-line block ×4, first 2 shown]
	s_waitcnt vmcnt(26) lgkmcnt(1)
	v_fma_f64 v[77:78], v[119:120], v[77:78], v[85:86]
	s_clause 0x5
	buffer_load_dword v86, off, s[0:3], 0 offset:276
	buffer_load_dword v109, off, s[0:3], 0 offset:288
	;; [unrolled: 1-line block ×6, first 2 shown]
	s_waitcnt vmcnt(31)
	v_fma_f64 v[77:78], v[117:118], v[79:80], v[77:78]
	s_waitcnt vmcnt(30) lgkmcnt(0)
	v_fma_f64 v[77:78], v[115:116], v[81:82], v[77:78]
	s_waitcnt vmcnt(25)
	v_fma_f64 v[87:88], v[87:88], v[83:84], v[77:78]
	ds_read2_b64 v[77:80], v76 offset0:61 offset1:62
	s_clause 0x1
	buffer_load_dword v115, off, s[0:3], 0 offset:16
	buffer_load_dword v116, off, s[0:3], 0 offset:20
	ds_read2_b64 v[81:84], v76 offset0:63 offset1:64
	s_waitcnt vmcnt(26) lgkmcnt(1)
	v_fma_f64 v[77:78], v[93:94], v[77:78], v[87:88]
	s_waitcnt vmcnt(25)
	v_fma_f64 v[77:78], v[91:92], v[79:80], v[77:78]
	s_waitcnt vmcnt(24) lgkmcnt(0)
	v_fma_f64 v[77:78], v[89:90], v[81:82], v[77:78]
	s_waitcnt vmcnt(19)
	v_fma_f64 v[87:88], v[95:96], v[83:84], v[77:78]
	ds_read2_b64 v[77:80], v76 offset0:65 offset1:66
	ds_read2_b64 v[81:84], v76 offset0:67 offset1:68
	s_waitcnt vmcnt(18) lgkmcnt(1)
	v_fma_f64 v[77:78], v[105:106], v[77:78], v[87:88]
	s_waitcnt vmcnt(17)
	v_fma_f64 v[77:78], v[99:100], v[79:80], v[77:78]
	s_waitcnt vmcnt(16) lgkmcnt(0)
	v_fma_f64 v[77:78], v[97:98], v[81:82], v[77:78]
	s_waitcnt vmcnt(11)
	v_fma_f64 v[87:88], v[101:102], v[83:84], v[77:78]
	ds_read2_b64 v[77:80], v76 offset0:69 offset1:70
	;; [unrolled: 10-line block ×3, first 2 shown]
	s_waitcnt vmcnt(3) lgkmcnt(0)
	v_fma_f64 v[76:77], v[111:112], v[76:77], v[80:81]
	s_waitcnt vmcnt(2)
	v_fma_f64 v[76:77], v[109:110], v[78:79], v[76:77]
	s_waitcnt vmcnt(0)
	v_add_f64 v[76:77], v[115:116], -v[76:77]
	buffer_store_dword v77, off, s[0:3], 0 offset:20
	buffer_store_dword v76, off, s[0:3], 0 offset:16
	v_cmpx_lt_u32_e32 1, v0
	s_cbranch_execz .LBB100_229
; %bb.228:
	s_clause 0x1
	buffer_load_dword v76, off, s[0:3], 0 offset:8
	buffer_load_dword v77, off, s[0:3], 0 offset:12
	v_mov_b32_e32 v78, 0
	buffer_store_dword v78, off, s[0:3], 0 offset:8
	buffer_store_dword v78, off, s[0:3], 0 offset:12
	s_waitcnt vmcnt(0)
	ds_write_b64 v75, v[76:77]
.LBB100_229:
	s_or_b32 exec_lo, exec_lo, s4
	s_waitcnt lgkmcnt(0)
	s_waitcnt_vscnt null, 0x0
	s_barrier
	buffer_gl0_inv
	s_clause 0x1c
	buffer_load_dword v86, off, s[0:3], 0 offset:16
	buffer_load_dword v87, off, s[0:3], 0 offset:20
	;; [unrolled: 1-line block ×29, first 2 shown]
	v_mov_b32_e32 v77, 0
	buffer_load_dword v111, off, s[0:3], 0 offset:132
	s_mov_b32 s4, exec_lo
	ds_read_b128 v[78:81], v77 offset:320
	ds_read_b128 v[82:85], v77 offset:336
	s_waitcnt vmcnt(28) lgkmcnt(1)
	v_fma_f64 v[78:79], v[86:87], v[78:79], 0
	s_clause 0x7
	buffer_load_dword v87, off, s[0:3], 0 offset:140
	buffer_load_dword v116, off, s[0:3], 0 offset:160
	buffer_load_dword v118, off, s[0:3], 0 offset:152
	buffer_load_dword v120, off, s[0:3], 0 offset:144
	buffer_load_dword v86, off, s[0:3], 0 offset:136
	buffer_load_dword v121, off, s[0:3], 0 offset:148
	buffer_load_dword v119, off, s[0:3], 0 offset:156
	buffer_load_dword v117, off, s[0:3], 0 offset:164
	s_waitcnt vmcnt(34)
	v_fma_f64 v[78:79], v[88:89], v[80:81], v[78:79]
	s_waitcnt vmcnt(32) lgkmcnt(0)
	v_fma_f64 v[78:79], v[90:91], v[82:83], v[78:79]
	s_waitcnt vmcnt(30)
	v_fma_f64 v[88:89], v[92:93], v[84:85], v[78:79]
	ds_read_b128 v[78:81], v77 offset:352
	ds_read_b128 v[82:85], v77 offset:368
	s_waitcnt vmcnt(28) lgkmcnt(1)
	v_fma_f64 v[78:79], v[94:95], v[78:79], v[88:89]
	s_clause 0x7
	buffer_load_dword v89, off, s[0:3], 0 offset:172
	buffer_load_dword v90, off, s[0:3], 0 offset:192
	buffer_load_dword v92, off, s[0:3], 0 offset:184
	buffer_load_dword v94, off, s[0:3], 0 offset:176
	buffer_load_dword v88, off, s[0:3], 0 offset:168
	buffer_load_dword v95, off, s[0:3], 0 offset:180
	buffer_load_dword v93, off, s[0:3], 0 offset:188
	buffer_load_dword v91, off, s[0:3], 0 offset:196
	s_waitcnt vmcnt(34)
	v_fma_f64 v[78:79], v[96:97], v[80:81], v[78:79]
	s_waitcnt vmcnt(32) lgkmcnt(0)
	v_fma_f64 v[78:79], v[98:99], v[82:83], v[78:79]
	s_waitcnt vmcnt(27)
	v_fma_f64 v[96:97], v[100:101], v[84:85], v[78:79]
	;; [unrolled: 19-line block ×5, first 2 shown]
	ds_read_b128 v[78:81], v77 offset:480
	ds_read_b128 v[82:85], v77 offset:496
	s_waitcnt vmcnt(26) lgkmcnt(1)
	v_fma_f64 v[78:79], v[94:95], v[78:79], v[88:89]
	s_clause 0x1
	buffer_load_dword v88, off, s[0:3], 0 offset:8
	buffer_load_dword v89, off, s[0:3], 0 offset:12
	s_waitcnt vmcnt(27)
	v_fma_f64 v[78:79], v[92:93], v[80:81], v[78:79]
	s_waitcnt vmcnt(26) lgkmcnt(0)
	v_fma_f64 v[78:79], v[90:91], v[82:83], v[78:79]
	s_waitcnt vmcnt(21)
	v_fma_f64 v[90:91], v[96:97], v[84:85], v[78:79]
	ds_read_b128 v[78:81], v77 offset:512
	ds_read_b128 v[82:85], v77 offset:528
	s_waitcnt vmcnt(20) lgkmcnt(1)
	v_fma_f64 v[78:79], v[106:107], v[78:79], v[90:91]
	s_waitcnt vmcnt(19)
	v_fma_f64 v[78:79], v[100:101], v[80:81], v[78:79]
	s_waitcnt vmcnt(18) lgkmcnt(0)
	v_fma_f64 v[78:79], v[98:99], v[82:83], v[78:79]
	s_waitcnt vmcnt(13)
	v_fma_f64 v[90:91], v[102:103], v[84:85], v[78:79]
	ds_read_b128 v[78:81], v77 offset:544
	ds_read_b128 v[82:85], v77 offset:560
	s_waitcnt vmcnt(12) lgkmcnt(1)
	v_fma_f64 v[78:79], v[114:115], v[78:79], v[90:91]
	s_waitcnt vmcnt(11)
	v_fma_f64 v[78:79], v[108:109], v[80:81], v[78:79]
	s_waitcnt vmcnt(10) lgkmcnt(0)
	v_fma_f64 v[78:79], v[104:105], v[82:83], v[78:79]
	s_waitcnt vmcnt(5)
	v_fma_f64 v[82:83], v[86:87], v[84:85], v[78:79]
	ds_read_b128 v[78:81], v77 offset:576
	ds_read_b64 v[84:85], v77 offset:592
	s_waitcnt vmcnt(4) lgkmcnt(1)
	v_fma_f64 v[78:79], v[120:121], v[78:79], v[82:83]
	s_waitcnt vmcnt(3)
	v_fma_f64 v[78:79], v[112:113], v[80:81], v[78:79]
	s_waitcnt vmcnt(2) lgkmcnt(0)
	v_fma_f64 v[78:79], v[110:111], v[84:85], v[78:79]
	s_waitcnt vmcnt(0)
	v_add_f64 v[78:79], v[88:89], -v[78:79]
	buffer_store_dword v79, off, s[0:3], 0 offset:12
	buffer_store_dword v78, off, s[0:3], 0 offset:8
	v_cmpx_ne_u32_e32 0, v0
	s_cbranch_execz .LBB100_231
; %bb.230:
	s_clause 0x1
	buffer_load_dword v78, off, s[0:3], 0
	buffer_load_dword v79, off, s[0:3], 0 offset:4
	buffer_store_dword v77, off, s[0:3], 0
	buffer_store_dword v77, off, s[0:3], 0 offset:4
	s_waitcnt vmcnt(0)
	ds_write_b64 v75, v[78:79]
.LBB100_231:
	s_or_b32 exec_lo, exec_lo, s4
	s_waitcnt lgkmcnt(0)
	s_waitcnt_vscnt null, 0x0
	s_barrier
	buffer_gl0_inv
	s_clause 0x1c
	buffer_load_dword v75, off, s[0:3], 0 offset:8
	buffer_load_dword v76, off, s[0:3], 0 offset:12
	;; [unrolled: 1-line block ×29, first 2 shown]
	ds_read2_b64 v[78:81], v77 offset0:39 offset1:40
	ds_read2_b64 v[82:85], v77 offset0:41 offset1:42
	s_clause 0x8
	buffer_load_dword v109, off, s[0:3], 0 offset:124
	buffer_load_dword v115, off, s[0:3], 0 offset:132
	;; [unrolled: 1-line block ×9, first 2 shown]
	s_and_b32 vcc_lo, exec_lo, s16
	s_waitcnt vmcnt(36) lgkmcnt(1)
	v_fma_f64 v[75:76], v[75:76], v[78:79], 0
	s_waitcnt vmcnt(34)
	v_fma_f64 v[75:76], v[86:87], v[80:81], v[75:76]
	ds_read2_b64 v[78:81], v77 offset0:43 offset1:44
	s_waitcnt vmcnt(32) lgkmcnt(1)
	v_fma_f64 v[75:76], v[88:89], v[82:83], v[75:76]
	s_waitcnt vmcnt(30)
	v_fma_f64 v[75:76], v[90:91], v[84:85], v[75:76]
	ds_read2_b64 v[82:85], v77 offset0:45 offset1:46
	s_waitcnt vmcnt(28) lgkmcnt(1)
	v_fma_f64 v[75:76], v[92:93], v[78:79], v[75:76]
	s_clause 0x7
	buffer_load_dword v87, off, s[0:3], 0 offset:164
	buffer_load_dword v88, off, s[0:3], 0 offset:184
	buffer_load_dword v90, off, s[0:3], 0 offset:176
	buffer_load_dword v92, off, s[0:3], 0 offset:168
	buffer_load_dword v86, off, s[0:3], 0 offset:160
	buffer_load_dword v93, off, s[0:3], 0 offset:172
	buffer_load_dword v91, off, s[0:3], 0 offset:180
	buffer_load_dword v89, off, s[0:3], 0 offset:188
	s_waitcnt vmcnt(34)
	v_fma_f64 v[75:76], v[94:95], v[80:81], v[75:76]
	ds_read2_b64 v[78:81], v77 offset0:47 offset1:48
	s_waitcnt vmcnt(32) lgkmcnt(1)
	v_fma_f64 v[75:76], v[96:97], v[82:83], v[75:76]
	s_waitcnt vmcnt(27)
	v_fma_f64 v[75:76], v[98:99], v[84:85], v[75:76]
	ds_read2_b64 v[82:85], v77 offset0:49 offset1:50
	s_waitcnt vmcnt(26) lgkmcnt(1)
	v_fma_f64 v[75:76], v[104:105], v[78:79], v[75:76]
	s_clause 0x7
	buffer_load_dword v95, off, s[0:3], 0 offset:196
	buffer_load_dword v96, off, s[0:3], 0 offset:216
	buffer_load_dword v98, off, s[0:3], 0 offset:208
	buffer_load_dword v104, off, s[0:3], 0 offset:200
	buffer_load_dword v94, off, s[0:3], 0 offset:192
	buffer_load_dword v105, off, s[0:3], 0 offset:204
	buffer_load_dword v99, off, s[0:3], 0 offset:212
	buffer_load_dword v97, off, s[0:3], 0 offset:220
	;; [unrolled: 19-line block ×4, first 2 shown]
	s_waitcnt vmcnt(33)
	v_fma_f64 v[78:79], v[118:119], v[80:81], v[78:79]
	s_waitcnt vmcnt(32) lgkmcnt(0)
	v_fma_f64 v[78:79], v[116:117], v[82:83], v[78:79]
	s_waitcnt vmcnt(27)
	v_fma_f64 v[86:87], v[86:87], v[84:85], v[78:79]
	ds_read2_b64 v[78:81], v77 offset0:59 offset1:60
	ds_read2_b64 v[82:85], v77 offset0:61 offset1:62
	s_waitcnt vmcnt(26) lgkmcnt(1)
	v_fma_f64 v[78:79], v[92:93], v[78:79], v[86:87]
	s_clause 0x1
	buffer_load_dword v87, off, s[0:3], 0 offset:292
	buffer_load_dword v86, off, s[0:3], 0 offset:288
	s_waitcnt vmcnt(27)
	v_fma_f64 v[78:79], v[90:91], v[80:81], v[78:79]
	s_clause 0x1
	buffer_load_dword v90, off, s[0:3], 0
	buffer_load_dword v91, off, s[0:3], 0 offset:4
	s_waitcnt vmcnt(28) lgkmcnt(0)
	v_fma_f64 v[78:79], v[88:89], v[82:83], v[78:79]
	s_waitcnt vmcnt(23)
	v_fma_f64 v[88:89], v[94:95], v[84:85], v[78:79]
	ds_read2_b64 v[78:81], v77 offset0:63 offset1:64
	ds_read2_b64 v[82:85], v77 offset0:65 offset1:66
	s_waitcnt vmcnt(22) lgkmcnt(1)
	v_fma_f64 v[78:79], v[104:105], v[78:79], v[88:89]
	s_waitcnt vmcnt(21)
	v_fma_f64 v[78:79], v[98:99], v[80:81], v[78:79]
	s_waitcnt vmcnt(20) lgkmcnt(0)
	v_fma_f64 v[78:79], v[96:97], v[82:83], v[78:79]
	s_waitcnt vmcnt(15)
	v_fma_f64 v[88:89], v[100:101], v[84:85], v[78:79]
	ds_read2_b64 v[78:81], v77 offset0:67 offset1:68
	ds_read2_b64 v[82:85], v77 offset0:69 offset1:70
	s_waitcnt vmcnt(14) lgkmcnt(1)
	v_fma_f64 v[78:79], v[112:113], v[78:79], v[88:89]
	s_waitcnt vmcnt(13)
	v_fma_f64 v[78:79], v[106:107], v[80:81], v[78:79]
	;; [unrolled: 10-line block ×3, first 2 shown]
	s_waitcnt vmcnt(4) lgkmcnt(0)
	v_fma_f64 v[77:78], v[75:76], v[82:83], v[77:78]
	s_waitcnt vmcnt(2)
	v_fma_f64 v[77:78], v[86:87], v[84:85], v[77:78]
	s_waitcnt vmcnt(0)
	v_add_f64 v[77:78], v[90:91], -v[77:78]
	buffer_store_dword v78, off, s[0:3], 0 offset:4
	buffer_store_dword v77, off, s[0:3], 0
	s_cbranch_vccz .LBB100_304
; %bb.232:
	v_mov_b32_e32 v0, 0
	global_load_dword v77, v0, s[12:13] offset:140
	s_waitcnt vmcnt(0)
	v_add_nc_u32_e32 v77, -1, v77
	v_cmp_ne_u32_e32 vcc_lo, 35, v77
	s_cbranch_vccz .LBB100_234
; %bb.233:
	v_lshlrev_b32_e32 v77, 3, v77
	s_clause 0x1
	buffer_load_dword v78, v77, s[0:3], 0 offen
	buffer_load_dword v79, v77, s[0:3], 0 offen offset:4
	s_waitcnt vmcnt(1)
	buffer_store_dword v78, off, s[0:3], 0 offset:280
	s_waitcnt vmcnt(0)
	buffer_store_dword v79, off, s[0:3], 0 offset:284
	buffer_store_dword v75, v77, s[0:3], 0 offen
	buffer_store_dword v76, v77, s[0:3], 0 offen offset:4
.LBB100_234:
	global_load_dword v0, v0, s[12:13] offset:136
	s_waitcnt vmcnt(0)
	v_add_nc_u32_e32 v0, -1, v0
	v_cmp_eq_u32_e32 vcc_lo, 34, v0
	s_cbranch_vccnz .LBB100_236
; %bb.235:
	v_lshlrev_b32_e32 v0, 3, v0
	s_clause 0x3
	buffer_load_dword v75, v0, s[0:3], 0 offen
	buffer_load_dword v76, v0, s[0:3], 0 offen offset:4
	buffer_load_dword v77, off, s[0:3], 0 offset:276
	buffer_load_dword v78, off, s[0:3], 0 offset:272
	s_waitcnt vmcnt(3)
	buffer_store_dword v75, off, s[0:3], 0 offset:272
	s_waitcnt vmcnt(2)
	buffer_store_dword v76, off, s[0:3], 0 offset:276
	s_waitcnt vmcnt(1)
	buffer_store_dword v77, v0, s[0:3], 0 offen offset:4
	s_waitcnt vmcnt(0)
	buffer_store_dword v78, v0, s[0:3], 0 offen
.LBB100_236:
	v_mov_b32_e32 v0, 0
	global_load_dword v75, v0, s[12:13] offset:132
	s_waitcnt vmcnt(0)
	v_add_nc_u32_e32 v75, -1, v75
	v_cmp_eq_u32_e32 vcc_lo, 33, v75
	s_cbranch_vccnz .LBB100_238
; %bb.237:
	v_lshlrev_b32_e32 v75, 3, v75
	s_clause 0x3
	buffer_load_dword v76, v75, s[0:3], 0 offen
	buffer_load_dword v77, v75, s[0:3], 0 offen offset:4
	buffer_load_dword v78, off, s[0:3], 0 offset:264
	buffer_load_dword v79, off, s[0:3], 0 offset:268
	s_waitcnt vmcnt(3)
	buffer_store_dword v76, off, s[0:3], 0 offset:264
	s_waitcnt vmcnt(2)
	buffer_store_dword v77, off, s[0:3], 0 offset:268
	s_waitcnt vmcnt(1)
	buffer_store_dword v78, v75, s[0:3], 0 offen
	s_waitcnt vmcnt(0)
	buffer_store_dword v79, v75, s[0:3], 0 offen offset:4
.LBB100_238:
	global_load_dword v0, v0, s[12:13] offset:128
	s_waitcnt vmcnt(0)
	v_add_nc_u32_e32 v0, -1, v0
	v_cmp_eq_u32_e32 vcc_lo, 32, v0
	s_cbranch_vccnz .LBB100_240
; %bb.239:
	v_lshlrev_b32_e32 v0, 3, v0
	s_clause 0x3
	buffer_load_dword v75, v0, s[0:3], 0 offen
	buffer_load_dword v76, v0, s[0:3], 0 offen offset:4
	buffer_load_dword v77, off, s[0:3], 0 offset:260
	buffer_load_dword v78, off, s[0:3], 0 offset:256
	s_waitcnt vmcnt(3)
	buffer_store_dword v75, off, s[0:3], 0 offset:256
	s_waitcnt vmcnt(2)
	buffer_store_dword v76, off, s[0:3], 0 offset:260
	s_waitcnt vmcnt(1)
	buffer_store_dword v77, v0, s[0:3], 0 offen offset:4
	s_waitcnt vmcnt(0)
	buffer_store_dword v78, v0, s[0:3], 0 offen
.LBB100_240:
	v_mov_b32_e32 v0, 0
	global_load_dword v75, v0, s[12:13] offset:124
	s_waitcnt vmcnt(0)
	v_add_nc_u32_e32 v75, -1, v75
	v_cmp_eq_u32_e32 vcc_lo, 31, v75
	s_cbranch_vccnz .LBB100_242
; %bb.241:
	v_lshlrev_b32_e32 v75, 3, v75
	s_clause 0x3
	buffer_load_dword v76, v75, s[0:3], 0 offen
	buffer_load_dword v77, v75, s[0:3], 0 offen offset:4
	buffer_load_dword v78, off, s[0:3], 0 offset:248
	buffer_load_dword v79, off, s[0:3], 0 offset:252
	s_waitcnt vmcnt(3)
	buffer_store_dword v76, off, s[0:3], 0 offset:248
	s_waitcnt vmcnt(2)
	buffer_store_dword v77, off, s[0:3], 0 offset:252
	s_waitcnt vmcnt(1)
	buffer_store_dword v78, v75, s[0:3], 0 offen
	s_waitcnt vmcnt(0)
	buffer_store_dword v79, v75, s[0:3], 0 offen offset:4
.LBB100_242:
	;; [unrolled: 43-line block ×17, first 2 shown]
	global_load_dword v0, v0, s[12:13]
	s_clause 0x1
	buffer_load_dword v77, off, s[0:3], 0
	buffer_load_dword v78, off, s[0:3], 0 offset:4
	s_waitcnt vmcnt(2)
	v_add_nc_u32_e32 v0, -1, v0
	v_cmp_eq_u32_e32 vcc_lo, 0, v0
	s_cbranch_vccnz .LBB100_304
; %bb.303:
	v_lshlrev_b32_e32 v0, 3, v0
	s_clause 0x1
	buffer_load_dword v75, v0, s[0:3], 0 offen offset:4
	buffer_load_dword v76, v0, s[0:3], 0 offen
	s_waitcnt vmcnt(1)
	buffer_store_dword v75, off, s[0:3], 0 offset:4
	s_waitcnt vmcnt(0)
	buffer_store_dword v76, off, s[0:3], 0
	buffer_store_dword v78, v0, s[0:3], 0 offen offset:4
	buffer_store_dword v77, v0, s[0:3], 0 offen
	s_clause 0x1
	buffer_load_dword v77, off, s[0:3], 0
	buffer_load_dword v78, off, s[0:3], 0 offset:4
.LBB100_304:
	s_waitcnt vmcnt(0)
	flat_store_dwordx2 v[1:2], v[77:78]
	s_clause 0x1
	buffer_load_dword v0, off, s[0:3], 0 offset:8
	buffer_load_dword v1, off, s[0:3], 0 offset:12
	s_waitcnt vmcnt(0)
	flat_store_dwordx2 v[3:4], v[0:1]
	s_clause 0x1
	buffer_load_dword v0, off, s[0:3], 0 offset:16
	buffer_load_dword v1, off, s[0:3], 0 offset:20
	;; [unrolled: 5-line block ×36, first 2 shown]
	s_waitcnt vmcnt(0)
	flat_store_dwordx2 v[73:74], v[0:1]
	s_endpgm
	.section	.rodata,"a",@progbits
	.p2align	6, 0x0
	.amdhsa_kernel _ZN9rocsolver6v33100L18getri_kernel_smallILi37EdPKPdEEvT1_iilPiilS6_bb
		.amdhsa_group_segment_fixed_size 600
		.amdhsa_private_segment_fixed_size 304
		.amdhsa_kernarg_size 60
		.amdhsa_user_sgpr_count 6
		.amdhsa_user_sgpr_private_segment_buffer 1
		.amdhsa_user_sgpr_dispatch_ptr 0
		.amdhsa_user_sgpr_queue_ptr 0
		.amdhsa_user_sgpr_kernarg_segment_ptr 1
		.amdhsa_user_sgpr_dispatch_id 0
		.amdhsa_user_sgpr_flat_scratch_init 0
		.amdhsa_user_sgpr_private_segment_size 0
		.amdhsa_wavefront_size32 1
		.amdhsa_uses_dynamic_stack 0
		.amdhsa_system_sgpr_private_segment_wavefront_offset 1
		.amdhsa_system_sgpr_workgroup_id_x 1
		.amdhsa_system_sgpr_workgroup_id_y 0
		.amdhsa_system_sgpr_workgroup_id_z 0
		.amdhsa_system_sgpr_workgroup_info 0
		.amdhsa_system_vgpr_workitem_id 0
		.amdhsa_next_free_vgpr 122
		.amdhsa_next_free_sgpr 20
		.amdhsa_reserve_vcc 1
		.amdhsa_reserve_flat_scratch 0
		.amdhsa_float_round_mode_32 0
		.amdhsa_float_round_mode_16_64 0
		.amdhsa_float_denorm_mode_32 3
		.amdhsa_float_denorm_mode_16_64 3
		.amdhsa_dx10_clamp 1
		.amdhsa_ieee_mode 1
		.amdhsa_fp16_overflow 0
		.amdhsa_workgroup_processor_mode 1
		.amdhsa_memory_ordered 1
		.amdhsa_forward_progress 1
		.amdhsa_shared_vgpr_count 0
		.amdhsa_exception_fp_ieee_invalid_op 0
		.amdhsa_exception_fp_denorm_src 0
		.amdhsa_exception_fp_ieee_div_zero 0
		.amdhsa_exception_fp_ieee_overflow 0
		.amdhsa_exception_fp_ieee_underflow 0
		.amdhsa_exception_fp_ieee_inexact 0
		.amdhsa_exception_int_div_zero 0
	.end_amdhsa_kernel
	.section	.text._ZN9rocsolver6v33100L18getri_kernel_smallILi37EdPKPdEEvT1_iilPiilS6_bb,"axG",@progbits,_ZN9rocsolver6v33100L18getri_kernel_smallILi37EdPKPdEEvT1_iilPiilS6_bb,comdat
.Lfunc_end100:
	.size	_ZN9rocsolver6v33100L18getri_kernel_smallILi37EdPKPdEEvT1_iilPiilS6_bb, .Lfunc_end100-_ZN9rocsolver6v33100L18getri_kernel_smallILi37EdPKPdEEvT1_iilPiilS6_bb
                                        ; -- End function
	.set _ZN9rocsolver6v33100L18getri_kernel_smallILi37EdPKPdEEvT1_iilPiilS6_bb.num_vgpr, 122
	.set _ZN9rocsolver6v33100L18getri_kernel_smallILi37EdPKPdEEvT1_iilPiilS6_bb.num_agpr, 0
	.set _ZN9rocsolver6v33100L18getri_kernel_smallILi37EdPKPdEEvT1_iilPiilS6_bb.numbered_sgpr, 20
	.set _ZN9rocsolver6v33100L18getri_kernel_smallILi37EdPKPdEEvT1_iilPiilS6_bb.num_named_barrier, 0
	.set _ZN9rocsolver6v33100L18getri_kernel_smallILi37EdPKPdEEvT1_iilPiilS6_bb.private_seg_size, 304
	.set _ZN9rocsolver6v33100L18getri_kernel_smallILi37EdPKPdEEvT1_iilPiilS6_bb.uses_vcc, 1
	.set _ZN9rocsolver6v33100L18getri_kernel_smallILi37EdPKPdEEvT1_iilPiilS6_bb.uses_flat_scratch, 0
	.set _ZN9rocsolver6v33100L18getri_kernel_smallILi37EdPKPdEEvT1_iilPiilS6_bb.has_dyn_sized_stack, 0
	.set _ZN9rocsolver6v33100L18getri_kernel_smallILi37EdPKPdEEvT1_iilPiilS6_bb.has_recursion, 0
	.set _ZN9rocsolver6v33100L18getri_kernel_smallILi37EdPKPdEEvT1_iilPiilS6_bb.has_indirect_call, 0
	.section	.AMDGPU.csdata,"",@progbits
; Kernel info:
; codeLenInByte = 42636
; TotalNumSgprs: 22
; NumVgprs: 122
; ScratchSize: 304
; MemoryBound: 1
; FloatMode: 240
; IeeeMode: 1
; LDSByteSize: 600 bytes/workgroup (compile time only)
; SGPRBlocks: 0
; VGPRBlocks: 15
; NumSGPRsForWavesPerEU: 22
; NumVGPRsForWavesPerEU: 122
; Occupancy: 8
; WaveLimiterHint : 1
; COMPUTE_PGM_RSRC2:SCRATCH_EN: 1
; COMPUTE_PGM_RSRC2:USER_SGPR: 6
; COMPUTE_PGM_RSRC2:TRAP_HANDLER: 0
; COMPUTE_PGM_RSRC2:TGID_X_EN: 1
; COMPUTE_PGM_RSRC2:TGID_Y_EN: 0
; COMPUTE_PGM_RSRC2:TGID_Z_EN: 0
; COMPUTE_PGM_RSRC2:TIDIG_COMP_CNT: 0
	.section	.text._ZN9rocsolver6v33100L18getri_kernel_smallILi38EdPKPdEEvT1_iilPiilS6_bb,"axG",@progbits,_ZN9rocsolver6v33100L18getri_kernel_smallILi38EdPKPdEEvT1_iilPiilS6_bb,comdat
	.globl	_ZN9rocsolver6v33100L18getri_kernel_smallILi38EdPKPdEEvT1_iilPiilS6_bb ; -- Begin function _ZN9rocsolver6v33100L18getri_kernel_smallILi38EdPKPdEEvT1_iilPiilS6_bb
	.p2align	8
	.type	_ZN9rocsolver6v33100L18getri_kernel_smallILi38EdPKPdEEvT1_iilPiilS6_bb,@function
_ZN9rocsolver6v33100L18getri_kernel_smallILi38EdPKPdEEvT1_iilPiilS6_bb: ; @_ZN9rocsolver6v33100L18getri_kernel_smallILi38EdPKPdEEvT1_iilPiilS6_bb
; %bb.0:
	s_add_u32 s0, s0, s7
	s_addc_u32 s1, s1, 0
	s_mov_b32 s7, exec_lo
	v_cmpx_gt_u32_e32 38, v0
	s_cbranch_execz .LBB101_162
; %bb.1:
	s_clause 0x2
	s_load_dword s17, s[4:5], 0x38
	s_load_dwordx2 s[12:13], s[4:5], 0x0
	s_load_dwordx4 s[8:11], s[4:5], 0x28
	s_waitcnt lgkmcnt(0)
	s_bitcmp1_b32 s17, 8
	s_cselect_b32 s16, -1, 0
	s_ashr_i32 s7, s6, 31
	s_lshl_b64 s[14:15], s[6:7], 3
	s_add_u32 s12, s12, s14
	s_addc_u32 s13, s13, s15
	s_load_dwordx2 s[14:15], s[12:13], 0x0
	s_bfe_u32 s12, s17, 0x10008
	s_cmp_eq_u32 s12, 0
                                        ; implicit-def: $sgpr12_sgpr13
	s_cbranch_scc1 .LBB101_3
; %bb.2:
	s_clause 0x1
	s_load_dword s12, s[4:5], 0x20
	s_load_dwordx2 s[18:19], s[4:5], 0x18
	s_mul_i32 s13, s8, s7
	s_mul_hi_u32 s17, s8, s6
	s_mul_i32 s9, s9, s6
	s_add_i32 s13, s17, s13
	s_mul_i32 s8, s8, s6
	s_add_i32 s9, s13, s9
	s_lshl_b64 s[8:9], s[8:9], 2
	s_waitcnt lgkmcnt(0)
	s_ashr_i32 s13, s12, 31
	s_add_u32 s17, s18, s8
	s_addc_u32 s18, s19, s9
	s_lshl_b64 s[8:9], s[12:13], 2
	s_add_u32 s12, s17, s8
	s_addc_u32 s13, s18, s9
.LBB101_3:
	s_clause 0x1
	s_load_dwordx2 s[8:9], s[4:5], 0x8
	s_load_dword s17, s[4:5], 0x38
	v_lshlrev_b32_e32 v79, 3, v0
	s_waitcnt lgkmcnt(0)
	s_ashr_i32 s5, s8, 31
	s_mov_b32 s4, s8
	v_add3_u32 v9, s9, s9, v0
	s_lshl_b64 s[4:5], s[4:5], 3
	s_add_u32 s4, s14, s4
	s_addc_u32 s5, s15, s5
	v_add_co_u32 v1, s8, s4, v79
	v_add_co_ci_u32_e64 v2, null, s5, 0, s8
	s_mov_b32 s14, s9
	s_ashr_i32 s15, s9, 31
	v_ashrrev_i32_e32 v10, 31, v9
	flat_load_dwordx2 v[5:6], v[1:2]
	s_lshl_b64 s[14:15], s[14:15], 3
	v_add_nc_u32_e32 v12, s9, v9
	v_add_co_u32 v3, vcc_lo, v1, s14
	v_add_co_ci_u32_e64 v4, null, s15, v2, vcc_lo
	v_ashrrev_i32_e32 v13, 31, v12
	s_bitcmp0_b32 s17, 0
	s_waitcnt vmcnt(0) lgkmcnt(0)
	buffer_store_dword v6, off, s[0:3], 0 offset:4
	buffer_store_dword v5, off, s[0:3], 0
	flat_load_dwordx2 v[7:8], v[3:4]
	v_lshlrev_b64 v[5:6], 3, v[9:10]
	s_waitcnt vmcnt(0) lgkmcnt(0)
	buffer_store_dword v8, off, s[0:3], 0 offset:12
	buffer_store_dword v7, off, s[0:3], 0 offset:8
	v_add_co_u32 v5, vcc_lo, s4, v5
	v_add_co_ci_u32_e64 v6, null, s5, v6, vcc_lo
	v_lshlrev_b64 v[7:8], 3, v[12:13]
	flat_load_dwordx2 v[10:11], v[5:6]
	s_waitcnt vmcnt(0) lgkmcnt(0)
	buffer_store_dword v11, off, s[0:3], 0 offset:20
	buffer_store_dword v10, off, s[0:3], 0 offset:16
	v_add_co_u32 v7, vcc_lo, s4, v7
	v_add_co_ci_u32_e64 v8, null, s5, v8, vcc_lo
	v_add_nc_u32_e32 v11, s9, v12
	flat_load_dwordx2 v[13:14], v[7:8]
	s_waitcnt vmcnt(0) lgkmcnt(0)
	buffer_store_dword v14, off, s[0:3], 0 offset:28
	buffer_store_dword v13, off, s[0:3], 0 offset:24
	v_ashrrev_i32_e32 v12, 31, v11
	v_add_nc_u32_e32 v15, s9, v11
	v_lshlrev_b64 v[9:10], 3, v[11:12]
	v_ashrrev_i32_e32 v16, 31, v15
	v_add_nc_u32_e32 v18, s9, v15
	v_add_co_u32 v9, vcc_lo, s4, v9
	v_add_co_ci_u32_e64 v10, null, s5, v10, vcc_lo
	v_lshlrev_b64 v[11:12], 3, v[15:16]
	v_ashrrev_i32_e32 v19, 31, v18
	flat_load_dwordx2 v[13:14], v[9:10]
	s_waitcnt vmcnt(0) lgkmcnt(0)
	buffer_store_dword v14, off, s[0:3], 0 offset:36
	buffer_store_dword v13, off, s[0:3], 0 offset:32
	v_add_co_u32 v11, vcc_lo, s4, v11
	v_add_co_ci_u32_e64 v12, null, s5, v12, vcc_lo
	v_lshlrev_b64 v[13:14], 3, v[18:19]
	flat_load_dwordx2 v[16:17], v[11:12]
	s_waitcnt vmcnt(0) lgkmcnt(0)
	buffer_store_dword v17, off, s[0:3], 0 offset:44
	buffer_store_dword v16, off, s[0:3], 0 offset:40
	v_add_co_u32 v13, vcc_lo, s4, v13
	v_add_co_ci_u32_e64 v14, null, s5, v14, vcc_lo
	v_add_nc_u32_e32 v17, s9, v18
	flat_load_dwordx2 v[19:20], v[13:14]
	s_waitcnt vmcnt(0) lgkmcnt(0)
	buffer_store_dword v20, off, s[0:3], 0 offset:52
	buffer_store_dword v19, off, s[0:3], 0 offset:48
	v_ashrrev_i32_e32 v18, 31, v17
	v_add_nc_u32_e32 v21, s9, v17
	v_lshlrev_b64 v[15:16], 3, v[17:18]
	v_ashrrev_i32_e32 v22, 31, v21
	v_add_nc_u32_e32 v24, s9, v21
	v_add_co_u32 v15, vcc_lo, s4, v15
	v_add_co_ci_u32_e64 v16, null, s5, v16, vcc_lo
	v_lshlrev_b64 v[17:18], 3, v[21:22]
	v_ashrrev_i32_e32 v25, 31, v24
	flat_load_dwordx2 v[19:20], v[15:16]
	s_waitcnt vmcnt(0) lgkmcnt(0)
	buffer_store_dword v20, off, s[0:3], 0 offset:60
	buffer_store_dword v19, off, s[0:3], 0 offset:56
	v_add_co_u32 v17, vcc_lo, s4, v17
	v_add_co_ci_u32_e64 v18, null, s5, v18, vcc_lo
	v_lshlrev_b64 v[19:20], 3, v[24:25]
	flat_load_dwordx2 v[22:23], v[17:18]
	s_waitcnt vmcnt(0) lgkmcnt(0)
	buffer_store_dword v23, off, s[0:3], 0 offset:68
	buffer_store_dword v22, off, s[0:3], 0 offset:64
	v_add_co_u32 v19, vcc_lo, s4, v19
	v_add_co_ci_u32_e64 v20, null, s5, v20, vcc_lo
	v_add_nc_u32_e32 v23, s9, v24
	flat_load_dwordx2 v[25:26], v[19:20]
	s_waitcnt vmcnt(0) lgkmcnt(0)
	buffer_store_dword v26, off, s[0:3], 0 offset:76
	buffer_store_dword v25, off, s[0:3], 0 offset:72
	v_ashrrev_i32_e32 v24, 31, v23
	v_add_nc_u32_e32 v27, s9, v23
	v_lshlrev_b64 v[21:22], 3, v[23:24]
	v_ashrrev_i32_e32 v28, 31, v27
	v_add_nc_u32_e32 v30, s9, v27
	v_add_co_u32 v21, vcc_lo, s4, v21
	v_add_co_ci_u32_e64 v22, null, s5, v22, vcc_lo
	v_lshlrev_b64 v[23:24], 3, v[27:28]
	v_ashrrev_i32_e32 v31, 31, v30
	flat_load_dwordx2 v[25:26], v[21:22]
	s_waitcnt vmcnt(0) lgkmcnt(0)
	buffer_store_dword v26, off, s[0:3], 0 offset:84
	buffer_store_dword v25, off, s[0:3], 0 offset:80
	v_add_co_u32 v23, vcc_lo, s4, v23
	v_add_co_ci_u32_e64 v24, null, s5, v24, vcc_lo
	v_lshlrev_b64 v[25:26], 3, v[30:31]
	flat_load_dwordx2 v[28:29], v[23:24]
	s_waitcnt vmcnt(0) lgkmcnt(0)
	buffer_store_dword v29, off, s[0:3], 0 offset:92
	buffer_store_dword v28, off, s[0:3], 0 offset:88
	v_add_co_u32 v25, vcc_lo, s4, v25
	v_add_co_ci_u32_e64 v26, null, s5, v26, vcc_lo
	v_add_nc_u32_e32 v29, s9, v30
	flat_load_dwordx2 v[31:32], v[25:26]
	s_waitcnt vmcnt(0) lgkmcnt(0)
	buffer_store_dword v32, off, s[0:3], 0 offset:100
	buffer_store_dword v31, off, s[0:3], 0 offset:96
	v_ashrrev_i32_e32 v30, 31, v29
	v_add_nc_u32_e32 v33, s9, v29
	v_lshlrev_b64 v[27:28], 3, v[29:30]
	v_ashrrev_i32_e32 v34, 31, v33
	v_add_nc_u32_e32 v36, s9, v33
	v_add_co_u32 v27, vcc_lo, s4, v27
	v_add_co_ci_u32_e64 v28, null, s5, v28, vcc_lo
	v_lshlrev_b64 v[29:30], 3, v[33:34]
	v_ashrrev_i32_e32 v37, 31, v36
	flat_load_dwordx2 v[31:32], v[27:28]
	s_waitcnt vmcnt(0) lgkmcnt(0)
	buffer_store_dword v32, off, s[0:3], 0 offset:108
	buffer_store_dword v31, off, s[0:3], 0 offset:104
	v_add_co_u32 v29, vcc_lo, s4, v29
	v_add_co_ci_u32_e64 v30, null, s5, v30, vcc_lo
	v_lshlrev_b64 v[31:32], 3, v[36:37]
	flat_load_dwordx2 v[34:35], v[29:30]
	s_waitcnt vmcnt(0) lgkmcnt(0)
	buffer_store_dword v35, off, s[0:3], 0 offset:116
	buffer_store_dword v34, off, s[0:3], 0 offset:112
	v_add_co_u32 v31, vcc_lo, s4, v31
	v_add_co_ci_u32_e64 v32, null, s5, v32, vcc_lo
	v_add_nc_u32_e32 v35, s9, v36
	flat_load_dwordx2 v[37:38], v[31:32]
	s_waitcnt vmcnt(0) lgkmcnt(0)
	buffer_store_dword v38, off, s[0:3], 0 offset:124
	buffer_store_dword v37, off, s[0:3], 0 offset:120
	v_ashrrev_i32_e32 v36, 31, v35
	v_add_nc_u32_e32 v39, s9, v35
	v_lshlrev_b64 v[33:34], 3, v[35:36]
	v_ashrrev_i32_e32 v40, 31, v39
	v_add_nc_u32_e32 v42, s9, v39
	v_add_co_u32 v33, vcc_lo, s4, v33
	v_add_co_ci_u32_e64 v34, null, s5, v34, vcc_lo
	v_lshlrev_b64 v[35:36], 3, v[39:40]
	v_ashrrev_i32_e32 v43, 31, v42
	flat_load_dwordx2 v[37:38], v[33:34]
	s_waitcnt vmcnt(0) lgkmcnt(0)
	buffer_store_dword v38, off, s[0:3], 0 offset:132
	buffer_store_dword v37, off, s[0:3], 0 offset:128
	v_add_co_u32 v35, vcc_lo, s4, v35
	v_add_co_ci_u32_e64 v36, null, s5, v36, vcc_lo
	v_lshlrev_b64 v[37:38], 3, v[42:43]
	flat_load_dwordx2 v[40:41], v[35:36]
	s_waitcnt vmcnt(0) lgkmcnt(0)
	buffer_store_dword v41, off, s[0:3], 0 offset:140
	buffer_store_dword v40, off, s[0:3], 0 offset:136
	v_add_co_u32 v37, vcc_lo, s4, v37
	v_add_co_ci_u32_e64 v38, null, s5, v38, vcc_lo
	v_add_nc_u32_e32 v41, s9, v42
	flat_load_dwordx2 v[43:44], v[37:38]
	s_waitcnt vmcnt(0) lgkmcnt(0)
	buffer_store_dword v44, off, s[0:3], 0 offset:148
	buffer_store_dword v43, off, s[0:3], 0 offset:144
	v_ashrrev_i32_e32 v42, 31, v41
	v_add_nc_u32_e32 v45, s9, v41
	v_lshlrev_b64 v[39:40], 3, v[41:42]
	v_ashrrev_i32_e32 v46, 31, v45
	v_add_nc_u32_e32 v48, s9, v45
	v_add_co_u32 v39, vcc_lo, s4, v39
	v_add_co_ci_u32_e64 v40, null, s5, v40, vcc_lo
	v_lshlrev_b64 v[41:42], 3, v[45:46]
	v_ashrrev_i32_e32 v49, 31, v48
	flat_load_dwordx2 v[43:44], v[39:40]
	s_waitcnt vmcnt(0) lgkmcnt(0)
	buffer_store_dword v44, off, s[0:3], 0 offset:156
	buffer_store_dword v43, off, s[0:3], 0 offset:152
	v_add_co_u32 v41, vcc_lo, s4, v41
	v_add_co_ci_u32_e64 v42, null, s5, v42, vcc_lo
	v_lshlrev_b64 v[43:44], 3, v[48:49]
	flat_load_dwordx2 v[46:47], v[41:42]
	s_waitcnt vmcnt(0) lgkmcnt(0)
	buffer_store_dword v47, off, s[0:3], 0 offset:164
	buffer_store_dword v46, off, s[0:3], 0 offset:160
	v_add_co_u32 v43, vcc_lo, s4, v43
	v_add_co_ci_u32_e64 v44, null, s5, v44, vcc_lo
	v_add_nc_u32_e32 v47, s9, v48
	flat_load_dwordx2 v[49:50], v[43:44]
	s_waitcnt vmcnt(0) lgkmcnt(0)
	buffer_store_dword v50, off, s[0:3], 0 offset:172
	buffer_store_dword v49, off, s[0:3], 0 offset:168
	v_ashrrev_i32_e32 v48, 31, v47
	v_add_nc_u32_e32 v51, s9, v47
	v_lshlrev_b64 v[45:46], 3, v[47:48]
	v_ashrrev_i32_e32 v52, 31, v51
	v_add_nc_u32_e32 v54, s9, v51
	v_add_co_u32 v45, vcc_lo, s4, v45
	v_add_co_ci_u32_e64 v46, null, s5, v46, vcc_lo
	v_lshlrev_b64 v[47:48], 3, v[51:52]
	v_ashrrev_i32_e32 v55, 31, v54
	flat_load_dwordx2 v[49:50], v[45:46]
	s_waitcnt vmcnt(0) lgkmcnt(0)
	buffer_store_dword v50, off, s[0:3], 0 offset:180
	buffer_store_dword v49, off, s[0:3], 0 offset:176
	v_add_co_u32 v47, vcc_lo, s4, v47
	v_add_co_ci_u32_e64 v48, null, s5, v48, vcc_lo
	v_lshlrev_b64 v[49:50], 3, v[54:55]
	flat_load_dwordx2 v[52:53], v[47:48]
	s_waitcnt vmcnt(0) lgkmcnt(0)
	buffer_store_dword v53, off, s[0:3], 0 offset:188
	buffer_store_dword v52, off, s[0:3], 0 offset:184
	v_add_co_u32 v49, vcc_lo, s4, v49
	v_add_co_ci_u32_e64 v50, null, s5, v50, vcc_lo
	v_add_nc_u32_e32 v53, s9, v54
	flat_load_dwordx2 v[55:56], v[49:50]
	s_waitcnt vmcnt(0) lgkmcnt(0)
	buffer_store_dword v56, off, s[0:3], 0 offset:196
	buffer_store_dword v55, off, s[0:3], 0 offset:192
	v_ashrrev_i32_e32 v54, 31, v53
	v_add_nc_u32_e32 v57, s9, v53
	v_lshlrev_b64 v[51:52], 3, v[53:54]
	v_ashrrev_i32_e32 v58, 31, v57
	v_add_nc_u32_e32 v60, s9, v57
	v_add_co_u32 v51, vcc_lo, s4, v51
	v_add_co_ci_u32_e64 v52, null, s5, v52, vcc_lo
	v_lshlrev_b64 v[53:54], 3, v[57:58]
	v_ashrrev_i32_e32 v61, 31, v60
	flat_load_dwordx2 v[55:56], v[51:52]
	s_waitcnt vmcnt(0) lgkmcnt(0)
	buffer_store_dword v56, off, s[0:3], 0 offset:204
	buffer_store_dword v55, off, s[0:3], 0 offset:200
	v_add_co_u32 v53, vcc_lo, s4, v53
	v_add_co_ci_u32_e64 v54, null, s5, v54, vcc_lo
	v_lshlrev_b64 v[55:56], 3, v[60:61]
	flat_load_dwordx2 v[58:59], v[53:54]
	s_waitcnt vmcnt(0) lgkmcnt(0)
	buffer_store_dword v59, off, s[0:3], 0 offset:212
	buffer_store_dword v58, off, s[0:3], 0 offset:208
	v_add_co_u32 v55, vcc_lo, s4, v55
	v_add_co_ci_u32_e64 v56, null, s5, v56, vcc_lo
	v_add_nc_u32_e32 v59, s9, v60
	flat_load_dwordx2 v[61:62], v[55:56]
	s_waitcnt vmcnt(0) lgkmcnt(0)
	buffer_store_dword v62, off, s[0:3], 0 offset:220
	buffer_store_dword v61, off, s[0:3], 0 offset:216
	v_ashrrev_i32_e32 v60, 31, v59
	v_add_nc_u32_e32 v63, s9, v59
	v_lshlrev_b64 v[57:58], 3, v[59:60]
	v_ashrrev_i32_e32 v64, 31, v63
	v_add_nc_u32_e32 v66, s9, v63
	v_add_co_u32 v57, vcc_lo, s4, v57
	v_add_co_ci_u32_e64 v58, null, s5, v58, vcc_lo
	v_lshlrev_b64 v[59:60], 3, v[63:64]
	v_ashrrev_i32_e32 v67, 31, v66
	flat_load_dwordx2 v[61:62], v[57:58]
	s_waitcnt vmcnt(0) lgkmcnt(0)
	buffer_store_dword v62, off, s[0:3], 0 offset:228
	buffer_store_dword v61, off, s[0:3], 0 offset:224
	v_add_co_u32 v59, vcc_lo, s4, v59
	v_add_co_ci_u32_e64 v60, null, s5, v60, vcc_lo
	v_lshlrev_b64 v[61:62], 3, v[66:67]
	flat_load_dwordx2 v[64:65], v[59:60]
	s_waitcnt vmcnt(0) lgkmcnt(0)
	buffer_store_dword v65, off, s[0:3], 0 offset:236
	buffer_store_dword v64, off, s[0:3], 0 offset:232
	v_add_co_u32 v61, vcc_lo, s4, v61
	v_add_co_ci_u32_e64 v62, null, s5, v62, vcc_lo
	v_add_nc_u32_e32 v65, s9, v66
	flat_load_dwordx2 v[67:68], v[61:62]
	s_waitcnt vmcnt(0) lgkmcnt(0)
	buffer_store_dword v68, off, s[0:3], 0 offset:244
	buffer_store_dword v67, off, s[0:3], 0 offset:240
	v_ashrrev_i32_e32 v66, 31, v65
	v_add_nc_u32_e32 v69, s9, v65
	v_lshlrev_b64 v[63:64], 3, v[65:66]
	v_ashrrev_i32_e32 v70, 31, v69
	v_add_nc_u32_e32 v72, s9, v69
	v_add_co_u32 v63, vcc_lo, s4, v63
	v_add_co_ci_u32_e64 v64, null, s5, v64, vcc_lo
	v_lshlrev_b64 v[65:66], 3, v[69:70]
	v_ashrrev_i32_e32 v73, 31, v72
	flat_load_dwordx2 v[67:68], v[63:64]
	s_waitcnt vmcnt(0) lgkmcnt(0)
	buffer_store_dword v68, off, s[0:3], 0 offset:252
	buffer_store_dword v67, off, s[0:3], 0 offset:248
	v_add_co_u32 v65, vcc_lo, s4, v65
	v_add_co_ci_u32_e64 v66, null, s5, v66, vcc_lo
	v_lshlrev_b64 v[67:68], 3, v[72:73]
	flat_load_dwordx2 v[70:71], v[65:66]
	s_waitcnt vmcnt(0) lgkmcnt(0)
	buffer_store_dword v71, off, s[0:3], 0 offset:260
	buffer_store_dword v70, off, s[0:3], 0 offset:256
	v_add_co_u32 v67, vcc_lo, s4, v67
	v_add_co_ci_u32_e64 v68, null, s5, v68, vcc_lo
	v_add_nc_u32_e32 v71, s9, v72
	flat_load_dwordx2 v[73:74], v[67:68]
	s_waitcnt vmcnt(0) lgkmcnt(0)
	buffer_store_dword v74, off, s[0:3], 0 offset:268
	buffer_store_dword v73, off, s[0:3], 0 offset:264
	v_ashrrev_i32_e32 v72, 31, v71
	v_add_nc_u32_e32 v75, s9, v71
	v_lshlrev_b64 v[69:70], 3, v[71:72]
	v_ashrrev_i32_e32 v76, 31, v75
	v_add_nc_u32_e32 v80, s9, v75
	v_add_co_u32 v69, vcc_lo, s4, v69
	v_add_co_ci_u32_e64 v70, null, s5, v70, vcc_lo
	v_lshlrev_b64 v[71:72], 3, v[75:76]
	v_ashrrev_i32_e32 v81, 31, v80
	v_add_nc_u32_e32 v75, s9, v80
	flat_load_dwordx2 v[73:74], v[69:70]
	s_waitcnt vmcnt(0) lgkmcnt(0)
	buffer_store_dword v74, off, s[0:3], 0 offset:276
	buffer_store_dword v73, off, s[0:3], 0 offset:272
	v_add_co_u32 v71, vcc_lo, s4, v71
	v_add_co_ci_u32_e64 v72, null, s5, v72, vcc_lo
	v_lshlrev_b64 v[73:74], 3, v[80:81]
	flat_load_dwordx2 v[76:77], v[71:72]
	s_waitcnt vmcnt(0) lgkmcnt(0)
	buffer_store_dword v77, off, s[0:3], 0 offset:284
	buffer_store_dword v76, off, s[0:3], 0 offset:280
	v_add_co_u32 v73, vcc_lo, s4, v73
	v_add_co_ci_u32_e64 v74, null, s5, v74, vcc_lo
	v_ashrrev_i32_e32 v76, 31, v75
	flat_load_dwordx2 v[77:78], v[73:74]
	s_waitcnt vmcnt(0) lgkmcnt(0)
	buffer_store_dword v78, off, s[0:3], 0 offset:292
	buffer_store_dword v77, off, s[0:3], 0 offset:288
	v_lshlrev_b64 v[75:76], 3, v[75:76]
	v_add_co_u32 v75, vcc_lo, s4, v75
	v_add_co_ci_u32_e64 v76, null, s5, v76, vcc_lo
	s_mov_b32 s5, -1
	flat_load_dwordx2 v[77:78], v[75:76]
	s_waitcnt vmcnt(0) lgkmcnt(0)
	buffer_store_dword v78, off, s[0:3], 0 offset:300
	buffer_store_dword v77, off, s[0:3], 0 offset:296
	s_cbranch_scc1 .LBB101_160
; %bb.4:
	v_cmp_eq_u32_e64 s4, 0, v0
	s_and_saveexec_b32 s5, s4
; %bb.5:
	v_mov_b32_e32 v77, 0
	ds_write_b32 v77, v77 offset:608
; %bb.6:
	s_or_b32 exec_lo, exec_lo, s5
	v_lshl_add_u32 v77, v0, 3, 0
	s_waitcnt lgkmcnt(0)
	s_waitcnt_vscnt null, 0x0
	s_barrier
	buffer_gl0_inv
	s_mov_b32 s8, exec_lo
	s_clause 0x1
	buffer_load_dword v80, v77, s[0:3], 0 offen
	buffer_load_dword v81, v77, s[0:3], 0 offen offset:4
	s_waitcnt vmcnt(0)
	v_cmpx_eq_f64_e32 0, v[80:81]
	s_cbranch_execz .LBB101_10
; %bb.7:
	v_mov_b32_e32 v78, 0
	s_mov_b32 s9, 0
	ds_read_b32 v80, v78 offset:608
	s_waitcnt lgkmcnt(0)
	v_readfirstlane_b32 s5, v80
	v_add_nc_u32_e32 v80, 1, v0
	s_cmp_eq_u32 s5, 0
	v_cmp_gt_i32_e32 vcc_lo, s5, v80
	s_cselect_b32 s14, -1, 0
	s_or_b32 s14, s14, vcc_lo
	s_and_b32 exec_lo, exec_lo, s14
	s_cbranch_execz .LBB101_10
; %bb.8:
	v_mov_b32_e32 v81, s5
.LBB101_9:                              ; =>This Inner Loop Header: Depth=1
	ds_cmpst_rtn_b32 v81, v78, v81, v80 offset:608
	s_waitcnt lgkmcnt(0)
	v_cmp_ne_u32_e32 vcc_lo, 0, v81
	v_cmp_le_i32_e64 s5, v81, v80
	s_and_b32 s5, vcc_lo, s5
	s_and_b32 s5, exec_lo, s5
	s_or_b32 s9, s5, s9
	s_andn2_b32 exec_lo, exec_lo, s9
	s_cbranch_execnz .LBB101_9
.LBB101_10:
	s_or_b32 exec_lo, exec_lo, s8
	v_mov_b32_e32 v78, 0
	s_barrier
	buffer_gl0_inv
	ds_read_b32 v80, v78 offset:608
	s_and_saveexec_b32 s5, s4
	s_cbranch_execz .LBB101_12
; %bb.11:
	s_lshl_b64 s[8:9], s[6:7], 2
	s_add_u32 s8, s10, s8
	s_addc_u32 s9, s11, s9
	s_waitcnt lgkmcnt(0)
	global_store_dword v78, v80, s[8:9]
.LBB101_12:
	s_or_b32 exec_lo, exec_lo, s5
	s_waitcnt lgkmcnt(0)
	v_cmp_ne_u32_e32 vcc_lo, 0, v80
	s_mov_b32 s5, 0
	s_cbranch_vccnz .LBB101_160
; %bb.13:
	s_clause 0x1
	buffer_load_dword v80, v77, s[0:3], 0 offen
	buffer_load_dword v81, v77, s[0:3], 0 offen offset:4
	s_waitcnt vmcnt(0)
	v_div_scale_f64 v[82:83], null, v[80:81], v[80:81], 1.0
	v_div_scale_f64 v[88:89], vcc_lo, 1.0, v[80:81], 1.0
	v_rcp_f64_e32 v[84:85], v[82:83]
	v_fma_f64 v[86:87], -v[82:83], v[84:85], 1.0
	v_fma_f64 v[84:85], v[84:85], v[86:87], v[84:85]
	v_fma_f64 v[86:87], -v[82:83], v[84:85], 1.0
	v_fma_f64 v[84:85], v[84:85], v[86:87], v[84:85]
	v_mul_f64 v[86:87], v[88:89], v[84:85]
	v_fma_f64 v[82:83], -v[82:83], v[86:87], v[88:89]
	v_div_fmas_f64 v[82:83], v[82:83], v[84:85], v[86:87]
	v_div_fixup_f64 v[81:82], v[82:83], v[80:81], 1.0
	v_add_nc_u32_e32 v80, 0x130, v79
	buffer_store_dword v82, v77, s[0:3], 0 offen offset:4
	buffer_store_dword v81, v77, s[0:3], 0 offen
	s_clause 0x1
	buffer_load_dword v84, off, s[0:3], 0 offset:12
	buffer_load_dword v83, off, s[0:3], 0 offset:8
	v_xor_b32_e32 v82, 0x80000000, v82
	s_waitcnt vmcnt(0)
	ds_write2_b64 v79, v[81:82], v[83:84] offset1:38
	s_waitcnt lgkmcnt(0)
	s_waitcnt_vscnt null, 0x0
	s_barrier
	buffer_gl0_inv
	s_and_saveexec_b32 s5, s4
	s_cbranch_execz .LBB101_15
; %bb.14:
	s_clause 0x1
	buffer_load_dword v81, v77, s[0:3], 0 offen
	buffer_load_dword v82, v77, s[0:3], 0 offen offset:4
	ds_read_b64 v[83:84], v80
	v_mov_b32_e32 v78, 0
	ds_read_b64 v[85:86], v78 offset:8
	s_waitcnt vmcnt(0) lgkmcnt(1)
	v_fma_f64 v[81:82], v[81:82], v[83:84], 0
	s_waitcnt lgkmcnt(0)
	v_mul_f64 v[81:82], v[81:82], v[85:86]
	buffer_store_dword v81, off, s[0:3], 0 offset:8
	buffer_store_dword v82, off, s[0:3], 0 offset:12
.LBB101_15:
	s_or_b32 exec_lo, exec_lo, s5
	s_waitcnt_vscnt null, 0x0
	s_barrier
	buffer_gl0_inv
	s_clause 0x1
	buffer_load_dword v81, off, s[0:3], 0 offset:16
	buffer_load_dword v82, off, s[0:3], 0 offset:20
	s_mov_b32 s5, exec_lo
	s_waitcnt vmcnt(0)
	ds_write_b64 v80, v[81:82]
	s_waitcnt lgkmcnt(0)
	s_barrier
	buffer_gl0_inv
	v_cmpx_gt_u32_e32 2, v0
	s_cbranch_execz .LBB101_19
; %bb.16:
	s_clause 0x1
	buffer_load_dword v81, v77, s[0:3], 0 offen
	buffer_load_dword v82, v77, s[0:3], 0 offen offset:4
	ds_read_b64 v[77:78], v80
	s_waitcnt vmcnt(0) lgkmcnt(0)
	v_fma_f64 v[77:78], v[81:82], v[77:78], 0
	s_and_saveexec_b32 s8, s4
	s_cbranch_execz .LBB101_18
; %bb.17:
	s_clause 0x1
	buffer_load_dword v81, off, s[0:3], 0 offset:8
	buffer_load_dword v82, off, s[0:3], 0 offset:12
	v_mov_b32_e32 v83, 0
	ds_read_b64 v[83:84], v83 offset:312
	s_waitcnt vmcnt(0) lgkmcnt(0)
	v_fma_f64 v[77:78], v[81:82], v[83:84], v[77:78]
.LBB101_18:
	s_or_b32 exec_lo, exec_lo, s8
	v_mov_b32_e32 v81, 0
	ds_read_b64 v[81:82], v81 offset:16
	s_waitcnt lgkmcnt(0)
	v_mul_f64 v[77:78], v[77:78], v[81:82]
	buffer_store_dword v78, off, s[0:3], 0 offset:20
	buffer_store_dword v77, off, s[0:3], 0 offset:16
.LBB101_19:
	s_or_b32 exec_lo, exec_lo, s5
	s_waitcnt_vscnt null, 0x0
	s_barrier
	buffer_gl0_inv
	s_clause 0x1
	buffer_load_dword v77, off, s[0:3], 0 offset:24
	buffer_load_dword v78, off, s[0:3], 0 offset:28
	v_add_nc_u32_e32 v81, -1, v0
	s_mov_b32 s4, exec_lo
	s_waitcnt vmcnt(0)
	ds_write_b64 v80, v[77:78]
	s_waitcnt lgkmcnt(0)
	s_barrier
	buffer_gl0_inv
	v_cmpx_gt_u32_e32 3, v0
	s_cbranch_execz .LBB101_23
; %bb.20:
	v_mov_b32_e32 v77, 0
	v_add_nc_u32_e32 v82, -1, v0
	v_add_nc_u32_e32 v83, 0x130, v79
	v_mov_b32_e32 v78, 0
	v_mov_b32_e32 v84, v79
	s_mov_b32 s5, 0
.LBB101_21:                             ; =>This Inner Loop Header: Depth=1
	s_clause 0x1
	buffer_load_dword v85, v84, s[0:3], 0 offen
	buffer_load_dword v86, v84, s[0:3], 0 offen offset:4
	ds_read_b64 v[87:88], v83
	v_add_nc_u32_e32 v82, 1, v82
	v_add_nc_u32_e32 v83, 8, v83
	v_add_nc_u32_e32 v84, 8, v84
	v_cmp_lt_u32_e32 vcc_lo, 1, v82
	s_or_b32 s5, vcc_lo, s5
	s_waitcnt vmcnt(0) lgkmcnt(0)
	v_fma_f64 v[77:78], v[85:86], v[87:88], v[77:78]
	s_andn2_b32 exec_lo, exec_lo, s5
	s_cbranch_execnz .LBB101_21
; %bb.22:
	s_or_b32 exec_lo, exec_lo, s5
	v_mov_b32_e32 v82, 0
	ds_read_b64 v[82:83], v82 offset:24
	s_waitcnt lgkmcnt(0)
	v_mul_f64 v[77:78], v[77:78], v[82:83]
	buffer_store_dword v78, off, s[0:3], 0 offset:28
	buffer_store_dword v77, off, s[0:3], 0 offset:24
.LBB101_23:
	s_or_b32 exec_lo, exec_lo, s4
	s_waitcnt_vscnt null, 0x0
	s_barrier
	buffer_gl0_inv
	s_clause 0x1
	buffer_load_dword v77, off, s[0:3], 0 offset:32
	buffer_load_dword v78, off, s[0:3], 0 offset:36
	s_mov_b32 s4, exec_lo
	s_waitcnt vmcnt(0)
	ds_write_b64 v80, v[77:78]
	s_waitcnt lgkmcnt(0)
	s_barrier
	buffer_gl0_inv
	v_cmpx_gt_u32_e32 4, v0
	s_cbranch_execz .LBB101_27
; %bb.24:
	v_mov_b32_e32 v77, 0
	v_add_nc_u32_e32 v82, -1, v0
	v_add_nc_u32_e32 v83, 0x130, v79
	v_mov_b32_e32 v78, 0
	v_mov_b32_e32 v84, v79
	s_mov_b32 s5, 0
.LBB101_25:                             ; =>This Inner Loop Header: Depth=1
	s_clause 0x1
	buffer_load_dword v85, v84, s[0:3], 0 offen
	buffer_load_dword v86, v84, s[0:3], 0 offen offset:4
	ds_read_b64 v[87:88], v83
	v_add_nc_u32_e32 v82, 1, v82
	v_add_nc_u32_e32 v83, 8, v83
	v_add_nc_u32_e32 v84, 8, v84
	v_cmp_lt_u32_e32 vcc_lo, 2, v82
	s_or_b32 s5, vcc_lo, s5
	s_waitcnt vmcnt(0) lgkmcnt(0)
	v_fma_f64 v[77:78], v[85:86], v[87:88], v[77:78]
	s_andn2_b32 exec_lo, exec_lo, s5
	s_cbranch_execnz .LBB101_25
; %bb.26:
	s_or_b32 exec_lo, exec_lo, s5
	v_mov_b32_e32 v82, 0
	ds_read_b64 v[82:83], v82 offset:32
	s_waitcnt lgkmcnt(0)
	v_mul_f64 v[77:78], v[77:78], v[82:83]
	buffer_store_dword v78, off, s[0:3], 0 offset:36
	buffer_store_dword v77, off, s[0:3], 0 offset:32
.LBB101_27:
	s_or_b32 exec_lo, exec_lo, s4
	s_waitcnt_vscnt null, 0x0
	s_barrier
	buffer_gl0_inv
	s_clause 0x1
	buffer_load_dword v77, off, s[0:3], 0 offset:40
	buffer_load_dword v78, off, s[0:3], 0 offset:44
	;; [unrolled: 45-line block ×20, first 2 shown]
	s_mov_b32 s4, exec_lo
	s_waitcnt vmcnt(0)
	ds_write_b64 v80, v[77:78]
	s_waitcnt lgkmcnt(0)
	s_barrier
	buffer_gl0_inv
	v_cmpx_gt_u32_e32 23, v0
	s_cbranch_execz .LBB101_103
; %bb.100:
	v_mov_b32_e32 v77, 0
	v_add_nc_u32_e32 v82, -1, v0
	v_add_nc_u32_e32 v83, 0x130, v79
	v_mov_b32_e32 v78, 0
	v_mov_b32_e32 v84, v79
	s_mov_b32 s5, 0
.LBB101_101:                            ; =>This Inner Loop Header: Depth=1
	s_clause 0x1
	buffer_load_dword v85, v84, s[0:3], 0 offen
	buffer_load_dword v86, v84, s[0:3], 0 offen offset:4
	ds_read_b64 v[87:88], v83
	v_add_nc_u32_e32 v82, 1, v82
	v_add_nc_u32_e32 v83, 8, v83
	v_add_nc_u32_e32 v84, 8, v84
	v_cmp_lt_u32_e32 vcc_lo, 21, v82
	s_or_b32 s5, vcc_lo, s5
	s_waitcnt vmcnt(0) lgkmcnt(0)
	v_fma_f64 v[77:78], v[85:86], v[87:88], v[77:78]
	s_andn2_b32 exec_lo, exec_lo, s5
	s_cbranch_execnz .LBB101_101
; %bb.102:
	s_or_b32 exec_lo, exec_lo, s5
	v_mov_b32_e32 v82, 0
	ds_read_b64 v[82:83], v82 offset:184
	s_waitcnt lgkmcnt(0)
	v_mul_f64 v[77:78], v[77:78], v[82:83]
	buffer_store_dword v78, off, s[0:3], 0 offset:188
	buffer_store_dword v77, off, s[0:3], 0 offset:184
.LBB101_103:
	s_or_b32 exec_lo, exec_lo, s4
	s_waitcnt_vscnt null, 0x0
	s_barrier
	buffer_gl0_inv
	s_clause 0x1
	buffer_load_dword v77, off, s[0:3], 0 offset:192
	buffer_load_dword v78, off, s[0:3], 0 offset:196
	s_mov_b32 s4, exec_lo
	s_waitcnt vmcnt(0)
	ds_write_b64 v80, v[77:78]
	s_waitcnt lgkmcnt(0)
	s_barrier
	buffer_gl0_inv
	v_cmpx_gt_u32_e32 24, v0
	s_cbranch_execz .LBB101_107
; %bb.104:
	v_mov_b32_e32 v77, 0
	v_add_nc_u32_e32 v82, -1, v0
	v_add_nc_u32_e32 v83, 0x130, v79
	v_mov_b32_e32 v78, 0
	v_mov_b32_e32 v84, v79
	s_mov_b32 s5, 0
.LBB101_105:                            ; =>This Inner Loop Header: Depth=1
	s_clause 0x1
	buffer_load_dword v85, v84, s[0:3], 0 offen
	buffer_load_dword v86, v84, s[0:3], 0 offen offset:4
	ds_read_b64 v[87:88], v83
	v_add_nc_u32_e32 v82, 1, v82
	v_add_nc_u32_e32 v83, 8, v83
	v_add_nc_u32_e32 v84, 8, v84
	v_cmp_lt_u32_e32 vcc_lo, 22, v82
	s_or_b32 s5, vcc_lo, s5
	s_waitcnt vmcnt(0) lgkmcnt(0)
	v_fma_f64 v[77:78], v[85:86], v[87:88], v[77:78]
	s_andn2_b32 exec_lo, exec_lo, s5
	s_cbranch_execnz .LBB101_105
; %bb.106:
	s_or_b32 exec_lo, exec_lo, s5
	v_mov_b32_e32 v82, 0
	ds_read_b64 v[82:83], v82 offset:192
	s_waitcnt lgkmcnt(0)
	v_mul_f64 v[77:78], v[77:78], v[82:83]
	buffer_store_dword v78, off, s[0:3], 0 offset:196
	buffer_store_dword v77, off, s[0:3], 0 offset:192
.LBB101_107:
	s_or_b32 exec_lo, exec_lo, s4
	s_waitcnt_vscnt null, 0x0
	s_barrier
	buffer_gl0_inv
	s_clause 0x1
	buffer_load_dword v77, off, s[0:3], 0 offset:200
	buffer_load_dword v78, off, s[0:3], 0 offset:204
	;; [unrolled: 45-line block ×14, first 2 shown]
	s_mov_b32 s4, exec_lo
	s_waitcnt vmcnt(0)
	ds_write_b64 v80, v[77:78]
	s_waitcnt lgkmcnt(0)
	s_barrier
	buffer_gl0_inv
	v_cmpx_ne_u32_e32 37, v0
	s_cbranch_execz .LBB101_159
; %bb.156:
	v_mov_b32_e32 v77, 0
	v_mov_b32_e32 v78, 0
	s_mov_b32 s5, 0
.LBB101_157:                            ; =>This Inner Loop Header: Depth=1
	s_clause 0x1
	buffer_load_dword v82, v79, s[0:3], 0 offen
	buffer_load_dword v83, v79, s[0:3], 0 offen offset:4
	ds_read_b64 v[84:85], v80
	v_add_nc_u32_e32 v81, 1, v81
	v_add_nc_u32_e32 v80, 8, v80
	;; [unrolled: 1-line block ×3, first 2 shown]
	v_cmp_lt_u32_e32 vcc_lo, 35, v81
	s_or_b32 s5, vcc_lo, s5
	s_waitcnt vmcnt(0) lgkmcnt(0)
	v_fma_f64 v[77:78], v[82:83], v[84:85], v[77:78]
	s_andn2_b32 exec_lo, exec_lo, s5
	s_cbranch_execnz .LBB101_157
; %bb.158:
	s_or_b32 exec_lo, exec_lo, s5
	v_mov_b32_e32 v79, 0
	ds_read_b64 v[79:80], v79 offset:296
	s_waitcnt lgkmcnt(0)
	v_mul_f64 v[77:78], v[77:78], v[79:80]
	buffer_store_dword v78, off, s[0:3], 0 offset:300
	buffer_store_dword v77, off, s[0:3], 0 offset:296
.LBB101_159:
	s_or_b32 exec_lo, exec_lo, s4
	s_mov_b32 s5, -1
	s_waitcnt_vscnt null, 0x0
	s_barrier
	buffer_gl0_inv
.LBB101_160:
	s_and_b32 vcc_lo, exec_lo, s5
	s_cbranch_vccz .LBB101_162
; %bb.161:
	s_lshl_b64 s[4:5], s[6:7], 2
	v_mov_b32_e32 v77, 0
	s_add_u32 s4, s10, s4
	s_addc_u32 s5, s11, s5
	global_load_dword v77, v77, s[4:5]
	s_waitcnt vmcnt(0)
	v_cmp_ne_u32_e32 vcc_lo, 0, v77
	s_cbranch_vccz .LBB101_163
.LBB101_162:
	s_endpgm
.LBB101_163:
	v_lshl_add_u32 v77, v0, 3, 0x130
	s_mov_b32 s4, exec_lo
	v_cmpx_eq_u32_e32 37, v0
	s_cbranch_execz .LBB101_165
; %bb.164:
	s_clause 0x1
	buffer_load_dword v78, off, s[0:3], 0 offset:288
	buffer_load_dword v79, off, s[0:3], 0 offset:292
	v_mov_b32_e32 v80, 0
	buffer_store_dword v80, off, s[0:3], 0 offset:288
	buffer_store_dword v80, off, s[0:3], 0 offset:292
	s_waitcnt vmcnt(0)
	ds_write_b64 v77, v[78:79]
.LBB101_165:
	s_or_b32 exec_lo, exec_lo, s4
	s_waitcnt lgkmcnt(0)
	s_waitcnt_vscnt null, 0x0
	s_barrier
	buffer_gl0_inv
	s_clause 0x3
	buffer_load_dword v79, off, s[0:3], 0 offset:296
	buffer_load_dword v80, off, s[0:3], 0 offset:300
	;; [unrolled: 1-line block ×4, first 2 shown]
	v_mov_b32_e32 v78, 0
	s_mov_b32 s4, exec_lo
	ds_read_b64 v[83:84], v78 offset:600
	s_waitcnt vmcnt(2) lgkmcnt(0)
	v_fma_f64 v[79:80], v[79:80], v[83:84], 0
	s_waitcnt vmcnt(0)
	v_add_f64 v[79:80], v[81:82], -v[79:80]
	buffer_store_dword v79, off, s[0:3], 0 offset:288
	buffer_store_dword v80, off, s[0:3], 0 offset:292
	v_cmpx_lt_u32_e32 35, v0
	s_cbranch_execz .LBB101_167
; %bb.166:
	s_clause 0x1
	buffer_load_dword v79, off, s[0:3], 0 offset:280
	buffer_load_dword v80, off, s[0:3], 0 offset:284
	buffer_store_dword v78, off, s[0:3], 0 offset:280
	buffer_store_dword v78, off, s[0:3], 0 offset:284
	s_waitcnt vmcnt(0)
	ds_write_b64 v77, v[79:80]
.LBB101_167:
	s_or_b32 exec_lo, exec_lo, s4
	s_waitcnt lgkmcnt(0)
	s_waitcnt_vscnt null, 0x0
	s_barrier
	buffer_gl0_inv
	s_clause 0x5
	buffer_load_dword v82, off, s[0:3], 0 offset:288
	buffer_load_dword v83, off, s[0:3], 0 offset:292
	;; [unrolled: 1-line block ×6, first 2 shown]
	ds_read_b128 v[78:81], v78 offset:592
	s_mov_b32 s4, exec_lo
	s_waitcnt vmcnt(4) lgkmcnt(0)
	v_fma_f64 v[78:79], v[82:83], v[78:79], 0
	s_waitcnt vmcnt(2)
	v_fma_f64 v[78:79], v[84:85], v[80:81], v[78:79]
	s_waitcnt vmcnt(0)
	v_add_f64 v[78:79], v[86:87], -v[78:79]
	buffer_store_dword v78, off, s[0:3], 0 offset:280
	buffer_store_dword v79, off, s[0:3], 0 offset:284
	v_cmpx_lt_u32_e32 34, v0
	s_cbranch_execz .LBB101_169
; %bb.168:
	s_clause 0x1
	buffer_load_dword v78, off, s[0:3], 0 offset:272
	buffer_load_dword v79, off, s[0:3], 0 offset:276
	v_mov_b32_e32 v80, 0
	buffer_store_dword v80, off, s[0:3], 0 offset:272
	buffer_store_dword v80, off, s[0:3], 0 offset:276
	s_waitcnt vmcnt(0)
	ds_write_b64 v77, v[78:79]
.LBB101_169:
	s_or_b32 exec_lo, exec_lo, s4
	s_waitcnt lgkmcnt(0)
	s_waitcnt_vscnt null, 0x0
	s_barrier
	buffer_gl0_inv
	s_clause 0x7
	buffer_load_dword v83, off, s[0:3], 0 offset:280
	buffer_load_dword v84, off, s[0:3], 0 offset:284
	;; [unrolled: 1-line block ×8, first 2 shown]
	v_mov_b32_e32 v78, 0
	ds_read2_b64 v[79:82], v78 offset0:73 offset1:74
	ds_read_b64 v[91:92], v78 offset:600
	s_mov_b32 s4, exec_lo
	s_waitcnt vmcnt(6) lgkmcnt(1)
	v_fma_f64 v[79:80], v[83:84], v[79:80], 0
	s_waitcnt vmcnt(4)
	v_fma_f64 v[79:80], v[85:86], v[81:82], v[79:80]
	s_waitcnt vmcnt(2) lgkmcnt(0)
	v_fma_f64 v[79:80], v[87:88], v[91:92], v[79:80]
	s_waitcnt vmcnt(0)
	v_add_f64 v[79:80], v[89:90], -v[79:80]
	buffer_store_dword v79, off, s[0:3], 0 offset:272
	buffer_store_dword v80, off, s[0:3], 0 offset:276
	v_cmpx_lt_u32_e32 33, v0
	s_cbranch_execz .LBB101_171
; %bb.170:
	s_clause 0x1
	buffer_load_dword v79, off, s[0:3], 0 offset:264
	buffer_load_dword v80, off, s[0:3], 0 offset:268
	buffer_store_dword v78, off, s[0:3], 0 offset:264
	buffer_store_dword v78, off, s[0:3], 0 offset:268
	s_waitcnt vmcnt(0)
	ds_write_b64 v77, v[79:80]
.LBB101_171:
	s_or_b32 exec_lo, exec_lo, s4
	s_waitcnt lgkmcnt(0)
	s_waitcnt_vscnt null, 0x0
	s_barrier
	buffer_gl0_inv
	s_clause 0x9
	buffer_load_dword v87, off, s[0:3], 0 offset:272
	buffer_load_dword v88, off, s[0:3], 0 offset:276
	;; [unrolled: 1-line block ×10, first 2 shown]
	ds_read_b128 v[79:82], v78 offset:576
	ds_read_b128 v[83:86], v78 offset:592
	s_mov_b32 s4, exec_lo
	s_waitcnt vmcnt(8) lgkmcnt(1)
	v_fma_f64 v[78:79], v[87:88], v[79:80], 0
	s_waitcnt vmcnt(6)
	v_fma_f64 v[78:79], v[89:90], v[81:82], v[78:79]
	s_waitcnt vmcnt(4) lgkmcnt(0)
	v_fma_f64 v[78:79], v[91:92], v[83:84], v[78:79]
	s_waitcnt vmcnt(2)
	v_fma_f64 v[78:79], v[93:94], v[85:86], v[78:79]
	s_waitcnt vmcnt(0)
	v_add_f64 v[78:79], v[95:96], -v[78:79]
	buffer_store_dword v78, off, s[0:3], 0 offset:264
	buffer_store_dword v79, off, s[0:3], 0 offset:268
	v_cmpx_lt_u32_e32 32, v0
	s_cbranch_execz .LBB101_173
; %bb.172:
	s_clause 0x1
	buffer_load_dword v78, off, s[0:3], 0 offset:256
	buffer_load_dword v79, off, s[0:3], 0 offset:260
	v_mov_b32_e32 v80, 0
	buffer_store_dword v80, off, s[0:3], 0 offset:256
	buffer_store_dword v80, off, s[0:3], 0 offset:260
	s_waitcnt vmcnt(0)
	ds_write_b64 v77, v[78:79]
.LBB101_173:
	s_or_b32 exec_lo, exec_lo, s4
	s_waitcnt lgkmcnt(0)
	s_waitcnt_vscnt null, 0x0
	s_barrier
	buffer_gl0_inv
	s_clause 0xb
	buffer_load_dword v87, off, s[0:3], 0 offset:264
	buffer_load_dword v88, off, s[0:3], 0 offset:268
	;; [unrolled: 1-line block ×12, first 2 shown]
	v_mov_b32_e32 v78, 0
	ds_read2_b64 v[79:82], v78 offset0:71 offset1:72
	ds_read2_b64 v[83:86], v78 offset0:73 offset1:74
	s_mov_b32 s4, exec_lo
	s_waitcnt vmcnt(10) lgkmcnt(1)
	v_fma_f64 v[79:80], v[87:88], v[79:80], 0
	s_waitcnt vmcnt(8)
	v_fma_f64 v[79:80], v[89:90], v[81:82], v[79:80]
	ds_read_b64 v[81:82], v78 offset:600
	s_waitcnt vmcnt(6) lgkmcnt(1)
	v_fma_f64 v[79:80], v[91:92], v[83:84], v[79:80]
	s_waitcnt vmcnt(4)
	v_fma_f64 v[79:80], v[93:94], v[85:86], v[79:80]
	s_waitcnt vmcnt(2) lgkmcnt(0)
	v_fma_f64 v[79:80], v[95:96], v[81:82], v[79:80]
	s_waitcnt vmcnt(0)
	v_add_f64 v[79:80], v[97:98], -v[79:80]
	buffer_store_dword v79, off, s[0:3], 0 offset:256
	buffer_store_dword v80, off, s[0:3], 0 offset:260
	v_cmpx_lt_u32_e32 31, v0
	s_cbranch_execz .LBB101_175
; %bb.174:
	s_clause 0x1
	buffer_load_dword v79, off, s[0:3], 0 offset:248
	buffer_load_dword v80, off, s[0:3], 0 offset:252
	buffer_store_dword v78, off, s[0:3], 0 offset:248
	buffer_store_dword v78, off, s[0:3], 0 offset:252
	s_waitcnt vmcnt(0)
	ds_write_b64 v77, v[79:80]
.LBB101_175:
	s_or_b32 exec_lo, exec_lo, s4
	s_waitcnt lgkmcnt(0)
	s_waitcnt_vscnt null, 0x0
	s_barrier
	buffer_gl0_inv
	s_clause 0xd
	buffer_load_dword v87, off, s[0:3], 0 offset:256
	buffer_load_dword v88, off, s[0:3], 0 offset:260
	;; [unrolled: 1-line block ×14, first 2 shown]
	ds_read_b128 v[79:82], v78 offset:560
	ds_read_b128 v[83:86], v78 offset:576
	s_mov_b32 s4, exec_lo
	s_waitcnt vmcnt(12) lgkmcnt(1)
	v_fma_f64 v[79:80], v[87:88], v[79:80], 0
	s_waitcnt vmcnt(10)
	v_fma_f64 v[79:80], v[89:90], v[81:82], v[79:80]
	s_waitcnt vmcnt(8) lgkmcnt(0)
	v_fma_f64 v[79:80], v[91:92], v[83:84], v[79:80]
	s_waitcnt vmcnt(6)
	v_fma_f64 v[82:83], v[93:94], v[85:86], v[79:80]
	ds_read_b128 v[78:81], v78 offset:592
	s_waitcnt vmcnt(4) lgkmcnt(0)
	v_fma_f64 v[78:79], v[95:96], v[78:79], v[82:83]
	s_waitcnt vmcnt(2)
	v_fma_f64 v[78:79], v[97:98], v[80:81], v[78:79]
	s_waitcnt vmcnt(0)
	v_add_f64 v[78:79], v[99:100], -v[78:79]
	buffer_store_dword v78, off, s[0:3], 0 offset:248
	buffer_store_dword v79, off, s[0:3], 0 offset:252
	v_cmpx_lt_u32_e32 30, v0
	s_cbranch_execz .LBB101_177
; %bb.176:
	s_clause 0x1
	buffer_load_dword v78, off, s[0:3], 0 offset:240
	buffer_load_dword v79, off, s[0:3], 0 offset:244
	v_mov_b32_e32 v80, 0
	buffer_store_dword v80, off, s[0:3], 0 offset:240
	buffer_store_dword v80, off, s[0:3], 0 offset:244
	s_waitcnt vmcnt(0)
	ds_write_b64 v77, v[78:79]
.LBB101_177:
	s_or_b32 exec_lo, exec_lo, s4
	s_waitcnt lgkmcnt(0)
	s_waitcnt_vscnt null, 0x0
	s_barrier
	buffer_gl0_inv
	s_clause 0xf
	buffer_load_dword v87, off, s[0:3], 0 offset:248
	buffer_load_dword v88, off, s[0:3], 0 offset:252
	;; [unrolled: 1-line block ×16, first 2 shown]
	v_mov_b32_e32 v78, 0
	ds_read2_b64 v[79:82], v78 offset0:69 offset1:70
	ds_read2_b64 v[83:86], v78 offset0:71 offset1:72
	s_mov_b32 s4, exec_lo
	s_waitcnt vmcnt(14) lgkmcnt(1)
	v_fma_f64 v[79:80], v[87:88], v[79:80], 0
	s_waitcnt vmcnt(12)
	v_fma_f64 v[79:80], v[89:90], v[81:82], v[79:80]
	s_waitcnt vmcnt(10) lgkmcnt(0)
	v_fma_f64 v[79:80], v[91:92], v[83:84], v[79:80]
	s_waitcnt vmcnt(8)
	v_fma_f64 v[83:84], v[93:94], v[85:86], v[79:80]
	ds_read2_b64 v[79:82], v78 offset0:73 offset1:74
	ds_read_b64 v[85:86], v78 offset:600
	s_waitcnt vmcnt(6) lgkmcnt(1)
	v_fma_f64 v[79:80], v[95:96], v[79:80], v[83:84]
	s_waitcnt vmcnt(4)
	v_fma_f64 v[79:80], v[97:98], v[81:82], v[79:80]
	s_waitcnt vmcnt(2) lgkmcnt(0)
	v_fma_f64 v[79:80], v[99:100], v[85:86], v[79:80]
	s_waitcnt vmcnt(0)
	v_add_f64 v[79:80], v[101:102], -v[79:80]
	buffer_store_dword v79, off, s[0:3], 0 offset:240
	buffer_store_dword v80, off, s[0:3], 0 offset:244
	v_cmpx_lt_u32_e32 29, v0
	s_cbranch_execz .LBB101_179
; %bb.178:
	s_clause 0x1
	buffer_load_dword v79, off, s[0:3], 0 offset:232
	buffer_load_dword v80, off, s[0:3], 0 offset:236
	buffer_store_dword v78, off, s[0:3], 0 offset:232
	buffer_store_dword v78, off, s[0:3], 0 offset:236
	s_waitcnt vmcnt(0)
	ds_write_b64 v77, v[79:80]
.LBB101_179:
	s_or_b32 exec_lo, exec_lo, s4
	s_waitcnt lgkmcnt(0)
	s_waitcnt_vscnt null, 0x0
	s_barrier
	buffer_gl0_inv
	s_clause 0x11
	buffer_load_dword v87, off, s[0:3], 0 offset:240
	buffer_load_dword v88, off, s[0:3], 0 offset:244
	;; [unrolled: 1-line block ×18, first 2 shown]
	ds_read_b128 v[79:82], v78 offset:544
	ds_read_b128 v[83:86], v78 offset:560
	s_mov_b32 s4, exec_lo
	s_waitcnt vmcnt(16) lgkmcnt(1)
	v_fma_f64 v[79:80], v[87:88], v[79:80], 0
	s_waitcnt vmcnt(14)
	v_fma_f64 v[79:80], v[89:90], v[81:82], v[79:80]
	s_waitcnt vmcnt(12) lgkmcnt(0)
	v_fma_f64 v[79:80], v[91:92], v[83:84], v[79:80]
	s_waitcnt vmcnt(10)
	v_fma_f64 v[87:88], v[93:94], v[85:86], v[79:80]
	ds_read_b128 v[79:82], v78 offset:576
	ds_read_b128 v[83:86], v78 offset:592
	s_waitcnt vmcnt(8) lgkmcnt(1)
	v_fma_f64 v[78:79], v[95:96], v[79:80], v[87:88]
	s_waitcnt vmcnt(6)
	v_fma_f64 v[78:79], v[97:98], v[81:82], v[78:79]
	s_waitcnt vmcnt(4) lgkmcnt(0)
	v_fma_f64 v[78:79], v[99:100], v[83:84], v[78:79]
	s_waitcnt vmcnt(2)
	v_fma_f64 v[78:79], v[101:102], v[85:86], v[78:79]
	s_waitcnt vmcnt(0)
	v_add_f64 v[78:79], v[103:104], -v[78:79]
	buffer_store_dword v78, off, s[0:3], 0 offset:232
	buffer_store_dword v79, off, s[0:3], 0 offset:236
	v_cmpx_lt_u32_e32 28, v0
	s_cbranch_execz .LBB101_181
; %bb.180:
	s_clause 0x1
	buffer_load_dword v78, off, s[0:3], 0 offset:224
	buffer_load_dword v79, off, s[0:3], 0 offset:228
	v_mov_b32_e32 v80, 0
	buffer_store_dword v80, off, s[0:3], 0 offset:224
	buffer_store_dword v80, off, s[0:3], 0 offset:228
	s_waitcnt vmcnt(0)
	ds_write_b64 v77, v[78:79]
.LBB101_181:
	s_or_b32 exec_lo, exec_lo, s4
	s_waitcnt lgkmcnt(0)
	s_waitcnt_vscnt null, 0x0
	s_barrier
	buffer_gl0_inv
	s_clause 0x13
	buffer_load_dword v87, off, s[0:3], 0 offset:232
	buffer_load_dword v88, off, s[0:3], 0 offset:236
	;; [unrolled: 1-line block ×20, first 2 shown]
	v_mov_b32_e32 v78, 0
	ds_read2_b64 v[79:82], v78 offset0:67 offset1:68
	ds_read2_b64 v[83:86], v78 offset0:69 offset1:70
	s_mov_b32 s4, exec_lo
	s_waitcnt vmcnt(18) lgkmcnt(1)
	v_fma_f64 v[79:80], v[87:88], v[79:80], 0
	s_waitcnt vmcnt(16)
	v_fma_f64 v[79:80], v[89:90], v[81:82], v[79:80]
	s_waitcnt vmcnt(14) lgkmcnt(0)
	v_fma_f64 v[79:80], v[91:92], v[83:84], v[79:80]
	s_waitcnt vmcnt(12)
	v_fma_f64 v[87:88], v[93:94], v[85:86], v[79:80]
	ds_read2_b64 v[79:82], v78 offset0:71 offset1:72
	ds_read2_b64 v[83:86], v78 offset0:73 offset1:74
	s_waitcnt vmcnt(10) lgkmcnt(1)
	v_fma_f64 v[79:80], v[95:96], v[79:80], v[87:88]
	s_waitcnt vmcnt(8)
	v_fma_f64 v[79:80], v[97:98], v[81:82], v[79:80]
	ds_read_b64 v[81:82], v78 offset:600
	s_waitcnt vmcnt(6) lgkmcnt(1)
	v_fma_f64 v[79:80], v[99:100], v[83:84], v[79:80]
	s_waitcnt vmcnt(3)
	v_fma_f64 v[79:80], v[101:102], v[85:86], v[79:80]
	s_waitcnt vmcnt(2) lgkmcnt(0)
	v_fma_f64 v[79:80], v[103:104], v[81:82], v[79:80]
	s_waitcnt vmcnt(0)
	v_add_f64 v[79:80], v[105:106], -v[79:80]
	buffer_store_dword v79, off, s[0:3], 0 offset:224
	buffer_store_dword v80, off, s[0:3], 0 offset:228
	v_cmpx_lt_u32_e32 27, v0
	s_cbranch_execz .LBB101_183
; %bb.182:
	s_clause 0x1
	buffer_load_dword v79, off, s[0:3], 0 offset:216
	buffer_load_dword v80, off, s[0:3], 0 offset:220
	buffer_store_dword v78, off, s[0:3], 0 offset:216
	buffer_store_dword v78, off, s[0:3], 0 offset:220
	s_waitcnt vmcnt(0)
	ds_write_b64 v77, v[79:80]
.LBB101_183:
	s_or_b32 exec_lo, exec_lo, s4
	s_waitcnt lgkmcnt(0)
	s_waitcnt_vscnt null, 0x0
	s_barrier
	buffer_gl0_inv
	s_clause 0x15
	buffer_load_dword v87, off, s[0:3], 0 offset:224
	buffer_load_dword v88, off, s[0:3], 0 offset:228
	;; [unrolled: 1-line block ×22, first 2 shown]
	ds_read_b128 v[79:82], v78 offset:528
	ds_read_b128 v[83:86], v78 offset:544
	s_mov_b32 s4, exec_lo
	s_waitcnt vmcnt(20) lgkmcnt(1)
	v_fma_f64 v[79:80], v[87:88], v[79:80], 0
	s_waitcnt vmcnt(18)
	v_fma_f64 v[79:80], v[89:90], v[81:82], v[79:80]
	s_waitcnt vmcnt(16) lgkmcnt(0)
	v_fma_f64 v[79:80], v[91:92], v[83:84], v[79:80]
	s_waitcnt vmcnt(14)
	v_fma_f64 v[87:88], v[93:94], v[85:86], v[79:80]
	ds_read_b128 v[79:82], v78 offset:560
	ds_read_b128 v[83:86], v78 offset:576
	s_waitcnt vmcnt(12) lgkmcnt(1)
	v_fma_f64 v[79:80], v[95:96], v[79:80], v[87:88]
	s_waitcnt vmcnt(10)
	v_fma_f64 v[79:80], v[97:98], v[81:82], v[79:80]
	s_waitcnt vmcnt(8) lgkmcnt(0)
	v_fma_f64 v[79:80], v[99:100], v[83:84], v[79:80]
	s_waitcnt vmcnt(4)
	v_fma_f64 v[82:83], v[101:102], v[85:86], v[79:80]
	ds_read_b128 v[78:81], v78 offset:592
	s_waitcnt vmcnt(3) lgkmcnt(0)
	v_fma_f64 v[78:79], v[105:106], v[78:79], v[82:83]
	s_waitcnt vmcnt(2)
	v_fma_f64 v[78:79], v[103:104], v[80:81], v[78:79]
	s_waitcnt vmcnt(0)
	v_add_f64 v[78:79], v[107:108], -v[78:79]
	buffer_store_dword v78, off, s[0:3], 0 offset:216
	buffer_store_dword v79, off, s[0:3], 0 offset:220
	v_cmpx_lt_u32_e32 26, v0
	s_cbranch_execz .LBB101_185
; %bb.184:
	s_clause 0x1
	buffer_load_dword v78, off, s[0:3], 0 offset:208
	buffer_load_dword v79, off, s[0:3], 0 offset:212
	v_mov_b32_e32 v80, 0
	buffer_store_dword v80, off, s[0:3], 0 offset:208
	buffer_store_dword v80, off, s[0:3], 0 offset:212
	s_waitcnt vmcnt(0)
	ds_write_b64 v77, v[78:79]
.LBB101_185:
	s_or_b32 exec_lo, exec_lo, s4
	s_waitcnt lgkmcnt(0)
	s_waitcnt_vscnt null, 0x0
	s_barrier
	buffer_gl0_inv
	s_clause 0x17
	buffer_load_dword v83, off, s[0:3], 0 offset:216
	buffer_load_dword v84, off, s[0:3], 0 offset:220
	;; [unrolled: 1-line block ×24, first 2 shown]
	v_mov_b32_e32 v78, 0
	s_mov_b32 s4, exec_lo
	ds_read2_b64 v[79:82], v78 offset0:65 offset1:66
	s_waitcnt vmcnt(22) lgkmcnt(0)
	v_fma_f64 v[79:80], v[83:84], v[79:80], 0
	s_waitcnt vmcnt(20)
	v_fma_f64 v[83:84], v[85:86], v[81:82], v[79:80]
	ds_read2_b64 v[79:82], v78 offset0:67 offset1:68
	s_waitcnt vmcnt(18) lgkmcnt(0)
	v_fma_f64 v[79:80], v[87:88], v[79:80], v[83:84]
	s_waitcnt vmcnt(16)
	v_fma_f64 v[83:84], v[89:90], v[81:82], v[79:80]
	;; [unrolled: 5-line block ×5, first 2 shown]
	ds_read_b64 v[81:82], v78 offset:600
	s_waitcnt vmcnt(2) lgkmcnt(0)
	v_fma_f64 v[79:80], v[103:104], v[81:82], v[79:80]
	s_waitcnt vmcnt(0)
	v_add_f64 v[79:80], v[105:106], -v[79:80]
	buffer_store_dword v80, off, s[0:3], 0 offset:212
	buffer_store_dword v79, off, s[0:3], 0 offset:208
	v_cmpx_lt_u32_e32 25, v0
	s_cbranch_execz .LBB101_187
; %bb.186:
	s_clause 0x1
	buffer_load_dword v79, off, s[0:3], 0 offset:200
	buffer_load_dword v80, off, s[0:3], 0 offset:204
	buffer_store_dword v78, off, s[0:3], 0 offset:200
	buffer_store_dword v78, off, s[0:3], 0 offset:204
	s_waitcnt vmcnt(0)
	ds_write_b64 v77, v[79:80]
.LBB101_187:
	s_or_b32 exec_lo, exec_lo, s4
	s_waitcnt lgkmcnt(0)
	s_waitcnt_vscnt null, 0x0
	s_barrier
	buffer_gl0_inv
	s_clause 0x19
	buffer_load_dword v83, off, s[0:3], 0 offset:208
	buffer_load_dword v84, off, s[0:3], 0 offset:212
	;; [unrolled: 1-line block ×26, first 2 shown]
	ds_read_b128 v[79:82], v78 offset:512
	s_mov_b32 s4, exec_lo
	s_waitcnt vmcnt(24) lgkmcnt(0)
	v_fma_f64 v[79:80], v[83:84], v[79:80], 0
	s_waitcnt vmcnt(22)
	v_fma_f64 v[83:84], v[85:86], v[81:82], v[79:80]
	ds_read_b128 v[79:82], v78 offset:528
	s_waitcnt vmcnt(20) lgkmcnt(0)
	v_fma_f64 v[79:80], v[87:88], v[79:80], v[83:84]
	s_waitcnt vmcnt(18)
	v_fma_f64 v[83:84], v[89:90], v[81:82], v[79:80]
	ds_read_b128 v[79:82], v78 offset:544
	;; [unrolled: 5-line block ×5, first 2 shown]
	s_waitcnt vmcnt(4) lgkmcnt(0)
	v_fma_f64 v[78:79], v[103:104], v[78:79], v[82:83]
	s_waitcnt vmcnt(2)
	v_fma_f64 v[78:79], v[105:106], v[80:81], v[78:79]
	s_waitcnt vmcnt(0)
	v_add_f64 v[78:79], v[107:108], -v[78:79]
	buffer_store_dword v79, off, s[0:3], 0 offset:204
	buffer_store_dword v78, off, s[0:3], 0 offset:200
	v_cmpx_lt_u32_e32 24, v0
	s_cbranch_execz .LBB101_189
; %bb.188:
	s_clause 0x1
	buffer_load_dword v78, off, s[0:3], 0 offset:192
	buffer_load_dword v79, off, s[0:3], 0 offset:196
	v_mov_b32_e32 v80, 0
	buffer_store_dword v80, off, s[0:3], 0 offset:192
	buffer_store_dword v80, off, s[0:3], 0 offset:196
	s_waitcnt vmcnt(0)
	ds_write_b64 v77, v[78:79]
.LBB101_189:
	s_or_b32 exec_lo, exec_lo, s4
	s_waitcnt lgkmcnt(0)
	s_waitcnt_vscnt null, 0x0
	s_barrier
	buffer_gl0_inv
	s_clause 0x1b
	buffer_load_dword v83, off, s[0:3], 0 offset:200
	buffer_load_dword v84, off, s[0:3], 0 offset:204
	;; [unrolled: 1-line block ×28, first 2 shown]
	v_mov_b32_e32 v78, 0
	s_mov_b32 s4, exec_lo
	ds_read2_b64 v[79:82], v78 offset0:63 offset1:64
	s_waitcnt vmcnt(26) lgkmcnt(0)
	v_fma_f64 v[79:80], v[83:84], v[79:80], 0
	s_waitcnt vmcnt(24)
	v_fma_f64 v[83:84], v[85:86], v[81:82], v[79:80]
	ds_read2_b64 v[79:82], v78 offset0:65 offset1:66
	s_waitcnt vmcnt(22) lgkmcnt(0)
	v_fma_f64 v[79:80], v[87:88], v[79:80], v[83:84]
	s_waitcnt vmcnt(20)
	v_fma_f64 v[83:84], v[89:90], v[81:82], v[79:80]
	;; [unrolled: 5-line block ×6, first 2 shown]
	ds_read_b64 v[81:82], v78 offset:600
	s_waitcnt vmcnt(2) lgkmcnt(0)
	v_fma_f64 v[79:80], v[107:108], v[81:82], v[79:80]
	s_waitcnt vmcnt(0)
	v_add_f64 v[79:80], v[109:110], -v[79:80]
	buffer_store_dword v80, off, s[0:3], 0 offset:196
	buffer_store_dword v79, off, s[0:3], 0 offset:192
	v_cmpx_lt_u32_e32 23, v0
	s_cbranch_execz .LBB101_191
; %bb.190:
	s_clause 0x1
	buffer_load_dword v79, off, s[0:3], 0 offset:184
	buffer_load_dword v80, off, s[0:3], 0 offset:188
	buffer_store_dword v78, off, s[0:3], 0 offset:184
	buffer_store_dword v78, off, s[0:3], 0 offset:188
	s_waitcnt vmcnt(0)
	ds_write_b64 v77, v[79:80]
.LBB101_191:
	s_or_b32 exec_lo, exec_lo, s4
	s_waitcnt lgkmcnt(0)
	s_waitcnt_vscnt null, 0x0
	s_barrier
	buffer_gl0_inv
	s_clause 0x1b
	buffer_load_dword v87, off, s[0:3], 0 offset:192
	buffer_load_dword v88, off, s[0:3], 0 offset:196
	;; [unrolled: 1-line block ×28, first 2 shown]
	ds_read_b128 v[79:82], v78 offset:496
	s_clause 0x1
	buffer_load_dword v115, off, s[0:3], 0 offset:184
	buffer_load_dword v116, off, s[0:3], 0 offset:188
	ds_read_b128 v[83:86], v78 offset:512
	s_mov_b32 s4, exec_lo
	s_waitcnt vmcnt(28) lgkmcnt(1)
	v_fma_f64 v[79:80], v[87:88], v[79:80], 0
	s_waitcnt vmcnt(26)
	v_fma_f64 v[79:80], v[89:90], v[81:82], v[79:80]
	s_waitcnt vmcnt(24) lgkmcnt(0)
	v_fma_f64 v[79:80], v[91:92], v[83:84], v[79:80]
	s_waitcnt vmcnt(22)
	v_fma_f64 v[87:88], v[93:94], v[85:86], v[79:80]
	ds_read_b128 v[79:82], v78 offset:528
	ds_read_b128 v[83:86], v78 offset:544
	s_waitcnt vmcnt(20) lgkmcnt(1)
	v_fma_f64 v[79:80], v[95:96], v[79:80], v[87:88]
	s_waitcnt vmcnt(18)
	v_fma_f64 v[79:80], v[97:98], v[81:82], v[79:80]
	s_waitcnt vmcnt(16) lgkmcnt(0)
	v_fma_f64 v[79:80], v[99:100], v[83:84], v[79:80]
	s_waitcnt vmcnt(11)
	v_fma_f64 v[87:88], v[101:102], v[85:86], v[79:80]
	ds_read_b128 v[79:82], v78 offset:560
	ds_read_b128 v[83:86], v78 offset:576
	s_waitcnt vmcnt(10) lgkmcnt(1)
	v_fma_f64 v[79:80], v[107:108], v[79:80], v[87:88]
	s_waitcnt vmcnt(9)
	v_fma_f64 v[79:80], v[105:106], v[81:82], v[79:80]
	s_waitcnt vmcnt(8) lgkmcnt(0)
	v_fma_f64 v[79:80], v[103:104], v[83:84], v[79:80]
	s_waitcnt vmcnt(4)
	v_fma_f64 v[82:83], v[109:110], v[85:86], v[79:80]
	ds_read_b128 v[78:81], v78 offset:592
	s_waitcnt vmcnt(3) lgkmcnt(0)
	v_fma_f64 v[78:79], v[113:114], v[78:79], v[82:83]
	s_waitcnt vmcnt(2)
	v_fma_f64 v[78:79], v[111:112], v[80:81], v[78:79]
	s_waitcnt vmcnt(0)
	v_add_f64 v[78:79], v[115:116], -v[78:79]
	buffer_store_dword v79, off, s[0:3], 0 offset:188
	buffer_store_dword v78, off, s[0:3], 0 offset:184
	v_cmpx_lt_u32_e32 22, v0
	s_cbranch_execz .LBB101_193
; %bb.192:
	s_clause 0x1
	buffer_load_dword v78, off, s[0:3], 0 offset:176
	buffer_load_dword v79, off, s[0:3], 0 offset:180
	v_mov_b32_e32 v80, 0
	buffer_store_dword v80, off, s[0:3], 0 offset:176
	buffer_store_dword v80, off, s[0:3], 0 offset:180
	s_waitcnt vmcnt(0)
	ds_write_b64 v77, v[78:79]
.LBB101_193:
	s_or_b32 exec_lo, exec_lo, s4
	s_waitcnt lgkmcnt(0)
	s_waitcnt_vscnt null, 0x0
	s_barrier
	buffer_gl0_inv
	s_clause 0x1c
	buffer_load_dword v87, off, s[0:3], 0 offset:184
	buffer_load_dword v88, off, s[0:3], 0 offset:188
	;; [unrolled: 1-line block ×29, first 2 shown]
	v_mov_b32_e32 v78, 0
	buffer_load_dword v112, off, s[0:3], 0 offset:300
	s_mov_b32 s4, exec_lo
	ds_read2_b64 v[79:82], v78 offset0:61 offset1:62
	ds_read2_b64 v[83:86], v78 offset0:63 offset1:64
	s_waitcnt vmcnt(28) lgkmcnt(1)
	v_fma_f64 v[79:80], v[87:88], v[79:80], 0
	s_clause 0x1
	buffer_load_dword v87, off, s[0:3], 0 offset:176
	buffer_load_dword v88, off, s[0:3], 0 offset:180
	s_waitcnt vmcnt(28)
	v_fma_f64 v[79:80], v[89:90], v[81:82], v[79:80]
	s_waitcnt vmcnt(26) lgkmcnt(0)
	v_fma_f64 v[79:80], v[91:92], v[83:84], v[79:80]
	s_waitcnt vmcnt(24)
	v_fma_f64 v[89:90], v[93:94], v[85:86], v[79:80]
	ds_read2_b64 v[79:82], v78 offset0:65 offset1:66
	ds_read2_b64 v[83:86], v78 offset0:67 offset1:68
	s_waitcnt vmcnt(22) lgkmcnt(1)
	v_fma_f64 v[79:80], v[95:96], v[79:80], v[89:90]
	s_waitcnt vmcnt(20)
	v_fma_f64 v[79:80], v[97:98], v[81:82], v[79:80]
	s_waitcnt vmcnt(18) lgkmcnt(0)
	v_fma_f64 v[79:80], v[99:100], v[83:84], v[79:80]
	s_waitcnt vmcnt(13)
	v_fma_f64 v[89:90], v[101:102], v[85:86], v[79:80]
	ds_read2_b64 v[79:82], v78 offset0:69 offset1:70
	ds_read2_b64 v[83:86], v78 offset0:71 offset1:72
	s_waitcnt vmcnt(12) lgkmcnt(1)
	v_fma_f64 v[79:80], v[107:108], v[79:80], v[89:90]
	s_waitcnt vmcnt(11)
	v_fma_f64 v[79:80], v[105:106], v[81:82], v[79:80]
	s_waitcnt vmcnt(10) lgkmcnt(0)
	v_fma_f64 v[79:80], v[103:104], v[83:84], v[79:80]
	s_waitcnt vmcnt(5)
	v_fma_f64 v[83:84], v[109:110], v[85:86], v[79:80]
	ds_read2_b64 v[79:82], v78 offset0:73 offset1:74
	ds_read_b64 v[85:86], v78 offset:600
	s_waitcnt vmcnt(4) lgkmcnt(1)
	v_fma_f64 v[79:80], v[115:116], v[79:80], v[83:84]
	s_waitcnt vmcnt(3)
	v_fma_f64 v[79:80], v[113:114], v[81:82], v[79:80]
	s_waitcnt vmcnt(2) lgkmcnt(0)
	v_fma_f64 v[79:80], v[111:112], v[85:86], v[79:80]
	s_waitcnt vmcnt(0)
	v_add_f64 v[79:80], v[87:88], -v[79:80]
	buffer_store_dword v80, off, s[0:3], 0 offset:180
	buffer_store_dword v79, off, s[0:3], 0 offset:176
	v_cmpx_lt_u32_e32 21, v0
	s_cbranch_execz .LBB101_195
; %bb.194:
	s_clause 0x1
	buffer_load_dword v79, off, s[0:3], 0 offset:168
	buffer_load_dword v80, off, s[0:3], 0 offset:172
	buffer_store_dword v78, off, s[0:3], 0 offset:168
	buffer_store_dword v78, off, s[0:3], 0 offset:172
	s_waitcnt vmcnt(0)
	ds_write_b64 v77, v[79:80]
.LBB101_195:
	s_or_b32 exec_lo, exec_lo, s4
	s_waitcnt lgkmcnt(0)
	s_waitcnt_vscnt null, 0x0
	s_barrier
	buffer_gl0_inv
	s_clause 0x1c
	buffer_load_dword v87, off, s[0:3], 0 offset:176
	buffer_load_dword v88, off, s[0:3], 0 offset:180
	;; [unrolled: 1-line block ×29, first 2 shown]
	ds_read_b128 v[79:82], v78 offset:480
	ds_read_b128 v[83:86], v78 offset:496
	buffer_load_dword v112, off, s[0:3], 0 offset:292
	s_mov_b32 s4, exec_lo
	s_waitcnt vmcnt(28) lgkmcnt(1)
	v_fma_f64 v[79:80], v[87:88], v[79:80], 0
	s_clause 0x1
	buffer_load_dword v88, off, s[0:3], 0 offset:300
	buffer_load_dword v87, off, s[0:3], 0 offset:296
	s_waitcnt vmcnt(28)
	v_fma_f64 v[79:80], v[89:90], v[81:82], v[79:80]
	s_clause 0x1
	buffer_load_dword v89, off, s[0:3], 0 offset:168
	buffer_load_dword v90, off, s[0:3], 0 offset:172
	s_waitcnt vmcnt(28) lgkmcnt(0)
	v_fma_f64 v[79:80], v[91:92], v[83:84], v[79:80]
	s_waitcnt vmcnt(26)
	v_fma_f64 v[91:92], v[93:94], v[85:86], v[79:80]
	ds_read_b128 v[79:82], v78 offset:512
	ds_read_b128 v[83:86], v78 offset:528
	s_waitcnt vmcnt(24) lgkmcnt(1)
	v_fma_f64 v[79:80], v[95:96], v[79:80], v[91:92]
	s_waitcnt vmcnt(22)
	v_fma_f64 v[79:80], v[97:98], v[81:82], v[79:80]
	s_waitcnt vmcnt(20) lgkmcnt(0)
	v_fma_f64 v[79:80], v[99:100], v[83:84], v[79:80]
	s_waitcnt vmcnt(15)
	v_fma_f64 v[91:92], v[101:102], v[85:86], v[79:80]
	ds_read_b128 v[79:82], v78 offset:544
	ds_read_b128 v[83:86], v78 offset:560
	s_waitcnt vmcnt(14) lgkmcnt(1)
	v_fma_f64 v[79:80], v[107:108], v[79:80], v[91:92]
	s_waitcnt vmcnt(13)
	v_fma_f64 v[79:80], v[105:106], v[81:82], v[79:80]
	;; [unrolled: 10-line block ×3, first 2 shown]
	s_waitcnt vmcnt(4) lgkmcnt(0)
	v_fma_f64 v[78:79], v[111:112], v[83:84], v[78:79]
	s_waitcnt vmcnt(2)
	v_fma_f64 v[78:79], v[87:88], v[85:86], v[78:79]
	s_waitcnt vmcnt(0)
	v_add_f64 v[78:79], v[89:90], -v[78:79]
	buffer_store_dword v79, off, s[0:3], 0 offset:172
	buffer_store_dword v78, off, s[0:3], 0 offset:168
	v_cmpx_lt_u32_e32 20, v0
	s_cbranch_execz .LBB101_197
; %bb.196:
	s_clause 0x1
	buffer_load_dword v78, off, s[0:3], 0 offset:160
	buffer_load_dword v79, off, s[0:3], 0 offset:164
	v_mov_b32_e32 v80, 0
	buffer_store_dword v80, off, s[0:3], 0 offset:160
	buffer_store_dword v80, off, s[0:3], 0 offset:164
	s_waitcnt vmcnt(0)
	ds_write_b64 v77, v[78:79]
.LBB101_197:
	s_or_b32 exec_lo, exec_lo, s4
	s_waitcnt lgkmcnt(0)
	s_waitcnt_vscnt null, 0x0
	s_barrier
	buffer_gl0_inv
	s_clause 0x1c
	buffer_load_dword v87, off, s[0:3], 0 offset:168
	buffer_load_dword v88, off, s[0:3], 0 offset:172
	;; [unrolled: 1-line block ×29, first 2 shown]
	v_mov_b32_e32 v78, 0
	buffer_load_dword v112, off, s[0:3], 0 offset:284
	s_mov_b32 s4, exec_lo
	ds_read2_b64 v[79:82], v78 offset0:59 offset1:60
	ds_read2_b64 v[83:86], v78 offset0:61 offset1:62
	s_waitcnt vmcnt(28) lgkmcnt(1)
	v_fma_f64 v[79:80], v[87:88], v[79:80], 0
	s_clause 0x3
	buffer_load_dword v88, off, s[0:3], 0 offset:292
	buffer_load_dword v117, off, s[0:3], 0 offset:296
	;; [unrolled: 1-line block ×4, first 2 shown]
	s_waitcnt vmcnt(30)
	v_fma_f64 v[79:80], v[89:90], v[81:82], v[79:80]
	s_clause 0x1
	buffer_load_dword v89, off, s[0:3], 0 offset:160
	buffer_load_dword v90, off, s[0:3], 0 offset:164
	s_waitcnt vmcnt(30) lgkmcnt(0)
	v_fma_f64 v[79:80], v[91:92], v[83:84], v[79:80]
	s_waitcnt vmcnt(28)
	v_fma_f64 v[91:92], v[93:94], v[85:86], v[79:80]
	ds_read2_b64 v[79:82], v78 offset0:63 offset1:64
	ds_read2_b64 v[83:86], v78 offset0:65 offset1:66
	s_waitcnt vmcnt(26) lgkmcnt(1)
	v_fma_f64 v[79:80], v[95:96], v[79:80], v[91:92]
	s_waitcnt vmcnt(24)
	v_fma_f64 v[79:80], v[97:98], v[81:82], v[79:80]
	s_waitcnt vmcnt(22) lgkmcnt(0)
	v_fma_f64 v[79:80], v[99:100], v[83:84], v[79:80]
	s_waitcnt vmcnt(17)
	v_fma_f64 v[91:92], v[101:102], v[85:86], v[79:80]
	ds_read2_b64 v[79:82], v78 offset0:67 offset1:68
	ds_read2_b64 v[83:86], v78 offset0:69 offset1:70
	s_waitcnt vmcnt(16) lgkmcnt(1)
	v_fma_f64 v[79:80], v[107:108], v[79:80], v[91:92]
	s_waitcnt vmcnt(15)
	v_fma_f64 v[79:80], v[105:106], v[81:82], v[79:80]
	;; [unrolled: 10-line block ×3, first 2 shown]
	ds_read_b64 v[81:82], v78 offset:600
	s_waitcnt vmcnt(6) lgkmcnt(1)
	v_fma_f64 v[79:80], v[111:112], v[83:84], v[79:80]
	s_waitcnt vmcnt(3)
	v_fma_f64 v[79:80], v[87:88], v[85:86], v[79:80]
	s_waitcnt vmcnt(2) lgkmcnt(0)
	v_fma_f64 v[79:80], v[117:118], v[81:82], v[79:80]
	s_waitcnt vmcnt(0)
	v_add_f64 v[79:80], v[89:90], -v[79:80]
	buffer_store_dword v80, off, s[0:3], 0 offset:164
	buffer_store_dword v79, off, s[0:3], 0 offset:160
	v_cmpx_lt_u32_e32 19, v0
	s_cbranch_execz .LBB101_199
; %bb.198:
	s_clause 0x1
	buffer_load_dword v79, off, s[0:3], 0 offset:152
	buffer_load_dword v80, off, s[0:3], 0 offset:156
	buffer_store_dword v78, off, s[0:3], 0 offset:152
	buffer_store_dword v78, off, s[0:3], 0 offset:156
	s_waitcnt vmcnt(0)
	ds_write_b64 v77, v[79:80]
.LBB101_199:
	s_or_b32 exec_lo, exec_lo, s4
	s_waitcnt lgkmcnt(0)
	s_waitcnt_vscnt null, 0x0
	s_barrier
	buffer_gl0_inv
	s_clause 0x1c
	buffer_load_dword v87, off, s[0:3], 0 offset:160
	buffer_load_dword v88, off, s[0:3], 0 offset:164
	;; [unrolled: 1-line block ×29, first 2 shown]
	ds_read_b128 v[79:82], v78 offset:464
	ds_read_b128 v[83:86], v78 offset:480
	buffer_load_dword v112, off, s[0:3], 0 offset:276
	s_mov_b32 s4, exec_lo
	s_waitcnt vmcnt(28) lgkmcnt(1)
	v_fma_f64 v[79:80], v[87:88], v[79:80], 0
	s_clause 0x5
	buffer_load_dword v88, off, s[0:3], 0 offset:284
	buffer_load_dword v117, off, s[0:3], 0 offset:296
	;; [unrolled: 1-line block ×6, first 2 shown]
	s_waitcnt vmcnt(32)
	v_fma_f64 v[79:80], v[89:90], v[81:82], v[79:80]
	s_waitcnt vmcnt(30) lgkmcnt(0)
	v_fma_f64 v[79:80], v[91:92], v[83:84], v[79:80]
	s_waitcnt vmcnt(28)
	v_fma_f64 v[89:90], v[93:94], v[85:86], v[79:80]
	ds_read_b128 v[79:82], v78 offset:496
	s_clause 0x1
	buffer_load_dword v91, off, s[0:3], 0 offset:152
	buffer_load_dword v92, off, s[0:3], 0 offset:156
	ds_read_b128 v[83:86], v78 offset:512
	s_waitcnt vmcnt(28) lgkmcnt(1)
	v_fma_f64 v[79:80], v[95:96], v[79:80], v[89:90]
	s_waitcnt vmcnt(26)
	v_fma_f64 v[79:80], v[97:98], v[81:82], v[79:80]
	s_waitcnt vmcnt(24) lgkmcnt(0)
	v_fma_f64 v[79:80], v[99:100], v[83:84], v[79:80]
	s_waitcnt vmcnt(19)
	v_fma_f64 v[89:90], v[101:102], v[85:86], v[79:80]
	ds_read_b128 v[79:82], v78 offset:528
	ds_read_b128 v[83:86], v78 offset:544
	s_waitcnt vmcnt(18) lgkmcnt(1)
	v_fma_f64 v[79:80], v[107:108], v[79:80], v[89:90]
	s_waitcnt vmcnt(17)
	v_fma_f64 v[79:80], v[105:106], v[81:82], v[79:80]
	s_waitcnt vmcnt(16) lgkmcnt(0)
	v_fma_f64 v[79:80], v[103:104], v[83:84], v[79:80]
	s_waitcnt vmcnt(11)
	v_fma_f64 v[89:90], v[109:110], v[85:86], v[79:80]
	ds_read_b128 v[79:82], v78 offset:560
	;; [unrolled: 10-line block ×3, first 2 shown]
	s_waitcnt vmcnt(3) lgkmcnt(0)
	v_fma_f64 v[78:79], v[119:120], v[78:79], v[82:83]
	s_waitcnt vmcnt(2)
	v_fma_f64 v[78:79], v[117:118], v[80:81], v[78:79]
	s_waitcnt vmcnt(0)
	v_add_f64 v[78:79], v[91:92], -v[78:79]
	buffer_store_dword v79, off, s[0:3], 0 offset:156
	buffer_store_dword v78, off, s[0:3], 0 offset:152
	v_cmpx_lt_u32_e32 18, v0
	s_cbranch_execz .LBB101_201
; %bb.200:
	s_clause 0x1
	buffer_load_dword v78, off, s[0:3], 0 offset:144
	buffer_load_dword v79, off, s[0:3], 0 offset:148
	v_mov_b32_e32 v80, 0
	buffer_store_dword v80, off, s[0:3], 0 offset:144
	buffer_store_dword v80, off, s[0:3], 0 offset:148
	s_waitcnt vmcnt(0)
	ds_write_b64 v77, v[78:79]
.LBB101_201:
	s_or_b32 exec_lo, exec_lo, s4
	s_waitcnt lgkmcnt(0)
	s_waitcnt_vscnt null, 0x0
	s_barrier
	buffer_gl0_inv
	s_clause 0x1c
	buffer_load_dword v87, off, s[0:3], 0 offset:152
	buffer_load_dword v88, off, s[0:3], 0 offset:156
	;; [unrolled: 1-line block ×29, first 2 shown]
	v_mov_b32_e32 v78, 0
	buffer_load_dword v112, off, s[0:3], 0 offset:268
	s_mov_b32 s4, exec_lo
	ds_read2_b64 v[79:82], v78 offset0:57 offset1:58
	ds_read2_b64 v[83:86], v78 offset0:59 offset1:60
	s_waitcnt vmcnt(28) lgkmcnt(1)
	v_fma_f64 v[79:80], v[87:88], v[79:80], 0
	s_clause 0x7
	buffer_load_dword v88, off, s[0:3], 0 offset:276
	buffer_load_dword v117, off, s[0:3], 0 offset:296
	;; [unrolled: 1-line block ×8, first 2 shown]
	s_waitcnt vmcnt(34)
	v_fma_f64 v[79:80], v[89:90], v[81:82], v[79:80]
	s_waitcnt vmcnt(32) lgkmcnt(0)
	v_fma_f64 v[79:80], v[91:92], v[83:84], v[79:80]
	s_waitcnt vmcnt(30)
	v_fma_f64 v[89:90], v[93:94], v[85:86], v[79:80]
	ds_read2_b64 v[79:82], v78 offset0:61 offset1:62
	ds_read2_b64 v[83:86], v78 offset0:63 offset1:64
	s_waitcnt vmcnt(28) lgkmcnt(1)
	v_fma_f64 v[79:80], v[95:96], v[79:80], v[89:90]
	s_clause 0x1
	buffer_load_dword v89, off, s[0:3], 0 offset:144
	buffer_load_dword v90, off, s[0:3], 0 offset:148
	s_waitcnt vmcnt(28)
	v_fma_f64 v[79:80], v[97:98], v[81:82], v[79:80]
	s_waitcnt vmcnt(26) lgkmcnt(0)
	v_fma_f64 v[79:80], v[99:100], v[83:84], v[79:80]
	s_waitcnt vmcnt(21)
	v_fma_f64 v[91:92], v[101:102], v[85:86], v[79:80]
	ds_read2_b64 v[79:82], v78 offset0:65 offset1:66
	ds_read2_b64 v[83:86], v78 offset0:67 offset1:68
	s_waitcnt vmcnt(20) lgkmcnt(1)
	v_fma_f64 v[79:80], v[107:108], v[79:80], v[91:92]
	s_waitcnt vmcnt(19)
	v_fma_f64 v[79:80], v[105:106], v[81:82], v[79:80]
	s_waitcnt vmcnt(18) lgkmcnt(0)
	v_fma_f64 v[79:80], v[103:104], v[83:84], v[79:80]
	s_waitcnt vmcnt(13)
	v_fma_f64 v[91:92], v[109:110], v[85:86], v[79:80]
	ds_read2_b64 v[79:82], v78 offset0:69 offset1:70
	ds_read2_b64 v[83:86], v78 offset0:71 offset1:72
	s_waitcnt vmcnt(12) lgkmcnt(1)
	v_fma_f64 v[79:80], v[115:116], v[79:80], v[91:92]
	s_waitcnt vmcnt(11)
	v_fma_f64 v[79:80], v[113:114], v[81:82], v[79:80]
	s_waitcnt vmcnt(10) lgkmcnt(0)
	v_fma_f64 v[79:80], v[111:112], v[83:84], v[79:80]
	s_waitcnt vmcnt(5)
	v_fma_f64 v[83:84], v[87:88], v[85:86], v[79:80]
	ds_read2_b64 v[79:82], v78 offset0:73 offset1:74
	ds_read_b64 v[85:86], v78 offset:600
	s_waitcnt vmcnt(4) lgkmcnt(1)
	v_fma_f64 v[79:80], v[121:122], v[79:80], v[83:84]
	s_waitcnt vmcnt(3)
	v_fma_f64 v[79:80], v[119:120], v[81:82], v[79:80]
	s_waitcnt vmcnt(2) lgkmcnt(0)
	v_fma_f64 v[79:80], v[117:118], v[85:86], v[79:80]
	s_waitcnt vmcnt(0)
	v_add_f64 v[79:80], v[89:90], -v[79:80]
	buffer_store_dword v80, off, s[0:3], 0 offset:148
	buffer_store_dword v79, off, s[0:3], 0 offset:144
	v_cmpx_lt_u32_e32 17, v0
	s_cbranch_execz .LBB101_203
; %bb.202:
	s_clause 0x1
	buffer_load_dword v79, off, s[0:3], 0 offset:136
	buffer_load_dword v80, off, s[0:3], 0 offset:140
	buffer_store_dword v78, off, s[0:3], 0 offset:136
	buffer_store_dword v78, off, s[0:3], 0 offset:140
	s_waitcnt vmcnt(0)
	ds_write_b64 v77, v[79:80]
.LBB101_203:
	s_or_b32 exec_lo, exec_lo, s4
	s_waitcnt lgkmcnt(0)
	s_waitcnt_vscnt null, 0x0
	s_barrier
	buffer_gl0_inv
	s_clause 0x1c
	buffer_load_dword v87, off, s[0:3], 0 offset:144
	buffer_load_dword v88, off, s[0:3], 0 offset:148
	;; [unrolled: 1-line block ×29, first 2 shown]
	ds_read_b128 v[79:82], v78 offset:448
	ds_read_b128 v[83:86], v78 offset:464
	buffer_load_dword v112, off, s[0:3], 0 offset:260
	s_mov_b32 s4, exec_lo
	s_waitcnt vmcnt(28) lgkmcnt(1)
	v_fma_f64 v[79:80], v[87:88], v[79:80], 0
	s_clause 0x7
	buffer_load_dword v88, off, s[0:3], 0 offset:268
	buffer_load_dword v117, off, s[0:3], 0 offset:288
	;; [unrolled: 1-line block ×8, first 2 shown]
	s_waitcnt vmcnt(34)
	v_fma_f64 v[79:80], v[89:90], v[81:82], v[79:80]
	s_waitcnt vmcnt(32) lgkmcnt(0)
	v_fma_f64 v[79:80], v[91:92], v[83:84], v[79:80]
	s_waitcnt vmcnt(30)
	v_fma_f64 v[89:90], v[93:94], v[85:86], v[79:80]
	ds_read_b128 v[79:82], v78 offset:480
	ds_read_b128 v[83:86], v78 offset:496
	s_waitcnt vmcnt(28) lgkmcnt(1)
	v_fma_f64 v[79:80], v[95:96], v[79:80], v[89:90]
	s_clause 0x3
	buffer_load_dword v90, off, s[0:3], 0 offset:300
	buffer_load_dword v89, off, s[0:3], 0 offset:296
	;; [unrolled: 1-line block ×4, first 2 shown]
	s_waitcnt vmcnt(30)
	v_fma_f64 v[79:80], v[97:98], v[81:82], v[79:80]
	s_waitcnt vmcnt(28) lgkmcnt(0)
	v_fma_f64 v[79:80], v[99:100], v[83:84], v[79:80]
	s_waitcnt vmcnt(23)
	v_fma_f64 v[93:94], v[101:102], v[85:86], v[79:80]
	ds_read_b128 v[79:82], v78 offset:512
	ds_read_b128 v[83:86], v78 offset:528
	s_waitcnt vmcnt(22) lgkmcnt(1)
	v_fma_f64 v[79:80], v[107:108], v[79:80], v[93:94]
	s_waitcnt vmcnt(21)
	v_fma_f64 v[79:80], v[105:106], v[81:82], v[79:80]
	s_waitcnt vmcnt(20) lgkmcnt(0)
	v_fma_f64 v[79:80], v[103:104], v[83:84], v[79:80]
	s_waitcnt vmcnt(15)
	v_fma_f64 v[93:94], v[109:110], v[85:86], v[79:80]
	ds_read_b128 v[79:82], v78 offset:544
	ds_read_b128 v[83:86], v78 offset:560
	s_waitcnt vmcnt(14) lgkmcnt(1)
	v_fma_f64 v[79:80], v[115:116], v[79:80], v[93:94]
	;; [unrolled: 10-line block ×3, first 2 shown]
	s_waitcnt vmcnt(5)
	v_fma_f64 v[78:79], v[119:120], v[81:82], v[78:79]
	s_waitcnt vmcnt(4) lgkmcnt(0)
	v_fma_f64 v[78:79], v[117:118], v[83:84], v[78:79]
	s_waitcnt vmcnt(2)
	v_fma_f64 v[78:79], v[89:90], v[85:86], v[78:79]
	s_waitcnt vmcnt(0)
	v_add_f64 v[78:79], v[91:92], -v[78:79]
	buffer_store_dword v79, off, s[0:3], 0 offset:140
	buffer_store_dword v78, off, s[0:3], 0 offset:136
	v_cmpx_lt_u32_e32 16, v0
	s_cbranch_execz .LBB101_205
; %bb.204:
	s_clause 0x1
	buffer_load_dword v78, off, s[0:3], 0 offset:128
	buffer_load_dword v79, off, s[0:3], 0 offset:132
	v_mov_b32_e32 v80, 0
	buffer_store_dword v80, off, s[0:3], 0 offset:128
	buffer_store_dword v80, off, s[0:3], 0 offset:132
	s_waitcnt vmcnt(0)
	ds_write_b64 v77, v[78:79]
.LBB101_205:
	s_or_b32 exec_lo, exec_lo, s4
	s_waitcnt lgkmcnt(0)
	s_waitcnt_vscnt null, 0x0
	s_barrier
	buffer_gl0_inv
	s_clause 0x1c
	buffer_load_dword v87, off, s[0:3], 0 offset:136
	buffer_load_dword v88, off, s[0:3], 0 offset:140
	;; [unrolled: 1-line block ×29, first 2 shown]
	v_mov_b32_e32 v78, 0
	buffer_load_dword v112, off, s[0:3], 0 offset:252
	s_mov_b32 s4, exec_lo
	ds_read2_b64 v[79:82], v78 offset0:55 offset1:56
	ds_read2_b64 v[83:86], v78 offset0:57 offset1:58
	s_waitcnt vmcnt(28) lgkmcnt(1)
	v_fma_f64 v[79:80], v[87:88], v[79:80], 0
	s_clause 0x7
	buffer_load_dword v88, off, s[0:3], 0 offset:260
	buffer_load_dword v117, off, s[0:3], 0 offset:280
	;; [unrolled: 1-line block ×8, first 2 shown]
	s_waitcnt vmcnt(34)
	v_fma_f64 v[79:80], v[89:90], v[81:82], v[79:80]
	s_waitcnt vmcnt(32) lgkmcnt(0)
	v_fma_f64 v[79:80], v[91:92], v[83:84], v[79:80]
	s_waitcnt vmcnt(30)
	v_fma_f64 v[89:90], v[93:94], v[85:86], v[79:80]
	ds_read2_b64 v[79:82], v78 offset0:59 offset1:60
	ds_read2_b64 v[83:86], v78 offset0:61 offset1:62
	s_waitcnt vmcnt(28) lgkmcnt(1)
	v_fma_f64 v[79:80], v[95:96], v[79:80], v[89:90]
	s_clause 0x5
	buffer_load_dword v90, off, s[0:3], 0 offset:292
	buffer_load_dword v91, off, s[0:3], 0 offset:296
	;; [unrolled: 1-line block ×6, first 2 shown]
	s_waitcnt vmcnt(32)
	v_fma_f64 v[79:80], v[97:98], v[81:82], v[79:80]
	s_waitcnt vmcnt(30) lgkmcnt(0)
	v_fma_f64 v[79:80], v[99:100], v[83:84], v[79:80]
	s_waitcnt vmcnt(25)
	v_fma_f64 v[95:96], v[101:102], v[85:86], v[79:80]
	ds_read2_b64 v[79:82], v78 offset0:63 offset1:64
	ds_read2_b64 v[83:86], v78 offset0:65 offset1:66
	s_waitcnt vmcnt(24) lgkmcnt(1)
	v_fma_f64 v[79:80], v[107:108], v[79:80], v[95:96]
	s_waitcnt vmcnt(23)
	v_fma_f64 v[79:80], v[105:106], v[81:82], v[79:80]
	s_waitcnt vmcnt(22) lgkmcnt(0)
	v_fma_f64 v[79:80], v[103:104], v[83:84], v[79:80]
	s_waitcnt vmcnt(17)
	v_fma_f64 v[95:96], v[109:110], v[85:86], v[79:80]
	ds_read2_b64 v[79:82], v78 offset0:67 offset1:68
	ds_read2_b64 v[83:86], v78 offset0:69 offset1:70
	s_waitcnt vmcnt(16) lgkmcnt(1)
	v_fma_f64 v[79:80], v[115:116], v[79:80], v[95:96]
	;; [unrolled: 10-line block ×3, first 2 shown]
	s_waitcnt vmcnt(7)
	v_fma_f64 v[79:80], v[119:120], v[81:82], v[79:80]
	ds_read_b64 v[81:82], v78 offset:600
	s_waitcnt vmcnt(6) lgkmcnt(1)
	v_fma_f64 v[79:80], v[117:118], v[83:84], v[79:80]
	s_waitcnt vmcnt(3)
	v_fma_f64 v[79:80], v[89:90], v[85:86], v[79:80]
	s_waitcnt vmcnt(2) lgkmcnt(0)
	v_fma_f64 v[79:80], v[91:92], v[81:82], v[79:80]
	s_waitcnt vmcnt(0)
	v_add_f64 v[79:80], v[93:94], -v[79:80]
	buffer_store_dword v80, off, s[0:3], 0 offset:132
	buffer_store_dword v79, off, s[0:3], 0 offset:128
	v_cmpx_lt_u32_e32 15, v0
	s_cbranch_execz .LBB101_207
; %bb.206:
	s_clause 0x1
	buffer_load_dword v79, off, s[0:3], 0 offset:120
	buffer_load_dword v80, off, s[0:3], 0 offset:124
	buffer_store_dword v78, off, s[0:3], 0 offset:120
	buffer_store_dword v78, off, s[0:3], 0 offset:124
	s_waitcnt vmcnt(0)
	ds_write_b64 v77, v[79:80]
.LBB101_207:
	s_or_b32 exec_lo, exec_lo, s4
	s_waitcnt lgkmcnt(0)
	s_waitcnt_vscnt null, 0x0
	s_barrier
	buffer_gl0_inv
	s_clause 0x1c
	buffer_load_dword v87, off, s[0:3], 0 offset:128
	buffer_load_dword v88, off, s[0:3], 0 offset:132
	;; [unrolled: 1-line block ×29, first 2 shown]
	ds_read_b128 v[79:82], v78 offset:432
	ds_read_b128 v[83:86], v78 offset:448
	buffer_load_dword v112, off, s[0:3], 0 offset:244
	s_mov_b32 s4, exec_lo
	s_waitcnt vmcnt(28) lgkmcnt(1)
	v_fma_f64 v[79:80], v[87:88], v[79:80], 0
	s_clause 0x7
	buffer_load_dword v88, off, s[0:3], 0 offset:252
	buffer_load_dword v117, off, s[0:3], 0 offset:272
	;; [unrolled: 1-line block ×8, first 2 shown]
	s_waitcnt vmcnt(34)
	v_fma_f64 v[79:80], v[89:90], v[81:82], v[79:80]
	s_waitcnt vmcnt(32) lgkmcnt(0)
	v_fma_f64 v[79:80], v[91:92], v[83:84], v[79:80]
	s_waitcnt vmcnt(30)
	v_fma_f64 v[89:90], v[93:94], v[85:86], v[79:80]
	ds_read_b128 v[79:82], v78 offset:464
	ds_read_b128 v[83:86], v78 offset:480
	s_waitcnt vmcnt(28) lgkmcnt(1)
	v_fma_f64 v[79:80], v[95:96], v[79:80], v[89:90]
	s_clause 0x5
	buffer_load_dword v90, off, s[0:3], 0 offset:284
	buffer_load_dword v91, off, s[0:3], 0 offset:296
	;; [unrolled: 1-line block ×6, first 2 shown]
	s_waitcnt vmcnt(32)
	v_fma_f64 v[79:80], v[97:98], v[81:82], v[79:80]
	s_waitcnt vmcnt(30) lgkmcnt(0)
	v_fma_f64 v[79:80], v[99:100], v[83:84], v[79:80]
	s_waitcnt vmcnt(25)
	v_fma_f64 v[95:96], v[101:102], v[85:86], v[79:80]
	ds_read_b128 v[79:82], v78 offset:496
	s_clause 0x1
	buffer_load_dword v97, off, s[0:3], 0 offset:120
	buffer_load_dword v98, off, s[0:3], 0 offset:124
	ds_read_b128 v[83:86], v78 offset:512
	s_waitcnt vmcnt(26) lgkmcnt(1)
	v_fma_f64 v[79:80], v[107:108], v[79:80], v[95:96]
	s_waitcnt vmcnt(25)
	v_fma_f64 v[79:80], v[105:106], v[81:82], v[79:80]
	s_waitcnt vmcnt(24) lgkmcnt(0)
	v_fma_f64 v[79:80], v[103:104], v[83:84], v[79:80]
	s_waitcnt vmcnt(19)
	v_fma_f64 v[95:96], v[109:110], v[85:86], v[79:80]
	ds_read_b128 v[79:82], v78 offset:528
	ds_read_b128 v[83:86], v78 offset:544
	s_waitcnt vmcnt(18) lgkmcnt(1)
	v_fma_f64 v[79:80], v[115:116], v[79:80], v[95:96]
	s_waitcnt vmcnt(17)
	v_fma_f64 v[79:80], v[113:114], v[81:82], v[79:80]
	s_waitcnt vmcnt(16) lgkmcnt(0)
	v_fma_f64 v[79:80], v[111:112], v[83:84], v[79:80]
	s_waitcnt vmcnt(11)
	v_fma_f64 v[87:88], v[87:88], v[85:86], v[79:80]
	ds_read_b128 v[79:82], v78 offset:560
	;; [unrolled: 10-line block ×3, first 2 shown]
	s_waitcnt vmcnt(3) lgkmcnt(0)
	v_fma_f64 v[78:79], v[93:94], v[78:79], v[82:83]
	s_waitcnt vmcnt(2)
	v_fma_f64 v[78:79], v[91:92], v[80:81], v[78:79]
	s_waitcnt vmcnt(0)
	v_add_f64 v[78:79], v[97:98], -v[78:79]
	buffer_store_dword v79, off, s[0:3], 0 offset:124
	buffer_store_dword v78, off, s[0:3], 0 offset:120
	v_cmpx_lt_u32_e32 14, v0
	s_cbranch_execz .LBB101_209
; %bb.208:
	s_clause 0x1
	buffer_load_dword v78, off, s[0:3], 0 offset:112
	buffer_load_dword v79, off, s[0:3], 0 offset:116
	v_mov_b32_e32 v80, 0
	buffer_store_dword v80, off, s[0:3], 0 offset:112
	buffer_store_dword v80, off, s[0:3], 0 offset:116
	s_waitcnt vmcnt(0)
	ds_write_b64 v77, v[78:79]
.LBB101_209:
	s_or_b32 exec_lo, exec_lo, s4
	s_waitcnt lgkmcnt(0)
	s_waitcnt_vscnt null, 0x0
	s_barrier
	buffer_gl0_inv
	s_clause 0x1c
	buffer_load_dword v87, off, s[0:3], 0 offset:120
	buffer_load_dword v88, off, s[0:3], 0 offset:124
	;; [unrolled: 1-line block ×29, first 2 shown]
	v_mov_b32_e32 v78, 0
	buffer_load_dword v112, off, s[0:3], 0 offset:236
	s_mov_b32 s4, exec_lo
	ds_read2_b64 v[79:82], v78 offset0:53 offset1:54
	ds_read2_b64 v[83:86], v78 offset0:55 offset1:56
	s_waitcnt vmcnt(28) lgkmcnt(1)
	v_fma_f64 v[79:80], v[87:88], v[79:80], 0
	s_clause 0x7
	buffer_load_dword v88, off, s[0:3], 0 offset:244
	buffer_load_dword v117, off, s[0:3], 0 offset:264
	;; [unrolled: 1-line block ×8, first 2 shown]
	s_waitcnt vmcnt(34)
	v_fma_f64 v[79:80], v[89:90], v[81:82], v[79:80]
	s_waitcnt vmcnt(32) lgkmcnt(0)
	v_fma_f64 v[79:80], v[91:92], v[83:84], v[79:80]
	s_waitcnt vmcnt(30)
	v_fma_f64 v[89:90], v[93:94], v[85:86], v[79:80]
	ds_read2_b64 v[79:82], v78 offset0:57 offset1:58
	ds_read2_b64 v[83:86], v78 offset0:59 offset1:60
	s_waitcnt vmcnt(28) lgkmcnt(1)
	v_fma_f64 v[79:80], v[95:96], v[79:80], v[89:90]
	s_clause 0x7
	buffer_load_dword v90, off, s[0:3], 0 offset:276
	buffer_load_dword v91, off, s[0:3], 0 offset:296
	;; [unrolled: 1-line block ×8, first 2 shown]
	s_waitcnt vmcnt(34)
	v_fma_f64 v[79:80], v[97:98], v[81:82], v[79:80]
	s_waitcnt vmcnt(32) lgkmcnt(0)
	v_fma_f64 v[79:80], v[99:100], v[83:84], v[79:80]
	s_waitcnt vmcnt(27)
	v_fma_f64 v[97:98], v[101:102], v[85:86], v[79:80]
	ds_read2_b64 v[79:82], v78 offset0:61 offset1:62
	ds_read2_b64 v[83:86], v78 offset0:63 offset1:64
	s_waitcnt vmcnt(26) lgkmcnt(1)
	v_fma_f64 v[79:80], v[107:108], v[79:80], v[97:98]
	s_clause 0x1
	buffer_load_dword v97, off, s[0:3], 0 offset:112
	buffer_load_dword v98, off, s[0:3], 0 offset:116
	s_waitcnt vmcnt(27)
	v_fma_f64 v[79:80], v[105:106], v[81:82], v[79:80]
	s_waitcnt vmcnt(26) lgkmcnt(0)
	v_fma_f64 v[79:80], v[103:104], v[83:84], v[79:80]
	s_waitcnt vmcnt(21)
	v_fma_f64 v[99:100], v[109:110], v[85:86], v[79:80]
	ds_read2_b64 v[79:82], v78 offset0:65 offset1:66
	ds_read2_b64 v[83:86], v78 offset0:67 offset1:68
	s_waitcnt vmcnt(20) lgkmcnt(1)
	v_fma_f64 v[79:80], v[115:116], v[79:80], v[99:100]
	s_waitcnt vmcnt(19)
	v_fma_f64 v[79:80], v[113:114], v[81:82], v[79:80]
	s_waitcnt vmcnt(18) lgkmcnt(0)
	v_fma_f64 v[79:80], v[111:112], v[83:84], v[79:80]
	s_waitcnt vmcnt(13)
	v_fma_f64 v[87:88], v[87:88], v[85:86], v[79:80]
	ds_read2_b64 v[79:82], v78 offset0:69 offset1:70
	ds_read2_b64 v[83:86], v78 offset0:71 offset1:72
	s_waitcnt vmcnt(12) lgkmcnt(1)
	v_fma_f64 v[79:80], v[121:122], v[79:80], v[87:88]
	s_waitcnt vmcnt(11)
	v_fma_f64 v[79:80], v[119:120], v[81:82], v[79:80]
	s_waitcnt vmcnt(10) lgkmcnt(0)
	v_fma_f64 v[79:80], v[117:118], v[83:84], v[79:80]
	s_waitcnt vmcnt(5)
	v_fma_f64 v[83:84], v[89:90], v[85:86], v[79:80]
	ds_read2_b64 v[79:82], v78 offset0:73 offset1:74
	ds_read_b64 v[85:86], v78 offset:600
	s_waitcnt vmcnt(4) lgkmcnt(1)
	v_fma_f64 v[79:80], v[95:96], v[79:80], v[83:84]
	s_waitcnt vmcnt(3)
	v_fma_f64 v[79:80], v[93:94], v[81:82], v[79:80]
	s_waitcnt vmcnt(2) lgkmcnt(0)
	v_fma_f64 v[79:80], v[91:92], v[85:86], v[79:80]
	s_waitcnt vmcnt(0)
	v_add_f64 v[79:80], v[97:98], -v[79:80]
	buffer_store_dword v80, off, s[0:3], 0 offset:116
	buffer_store_dword v79, off, s[0:3], 0 offset:112
	v_cmpx_lt_u32_e32 13, v0
	s_cbranch_execz .LBB101_211
; %bb.210:
	s_clause 0x1
	buffer_load_dword v79, off, s[0:3], 0 offset:104
	buffer_load_dword v80, off, s[0:3], 0 offset:108
	buffer_store_dword v78, off, s[0:3], 0 offset:104
	buffer_store_dword v78, off, s[0:3], 0 offset:108
	s_waitcnt vmcnt(0)
	ds_write_b64 v77, v[79:80]
.LBB101_211:
	s_or_b32 exec_lo, exec_lo, s4
	s_waitcnt lgkmcnt(0)
	s_waitcnt_vscnt null, 0x0
	s_barrier
	buffer_gl0_inv
	s_clause 0x1c
	buffer_load_dword v87, off, s[0:3], 0 offset:112
	buffer_load_dword v88, off, s[0:3], 0 offset:116
	;; [unrolled: 1-line block ×29, first 2 shown]
	ds_read_b128 v[79:82], v78 offset:416
	ds_read_b128 v[83:86], v78 offset:432
	buffer_load_dword v112, off, s[0:3], 0 offset:228
	s_mov_b32 s4, exec_lo
	s_waitcnt vmcnt(28) lgkmcnt(1)
	v_fma_f64 v[79:80], v[87:88], v[79:80], 0
	s_clause 0x7
	buffer_load_dword v88, off, s[0:3], 0 offset:236
	buffer_load_dword v117, off, s[0:3], 0 offset:256
	buffer_load_dword v119, off, s[0:3], 0 offset:248
	buffer_load_dword v121, off, s[0:3], 0 offset:240
	buffer_load_dword v87, off, s[0:3], 0 offset:232
	buffer_load_dword v122, off, s[0:3], 0 offset:244
	buffer_load_dword v120, off, s[0:3], 0 offset:252
	buffer_load_dword v118, off, s[0:3], 0 offset:260
	s_waitcnt vmcnt(34)
	v_fma_f64 v[79:80], v[89:90], v[81:82], v[79:80]
	s_waitcnt vmcnt(32) lgkmcnt(0)
	v_fma_f64 v[79:80], v[91:92], v[83:84], v[79:80]
	s_waitcnt vmcnt(30)
	v_fma_f64 v[89:90], v[93:94], v[85:86], v[79:80]
	ds_read_b128 v[79:82], v78 offset:448
	ds_read_b128 v[83:86], v78 offset:464
	s_waitcnt vmcnt(28) lgkmcnt(1)
	v_fma_f64 v[79:80], v[95:96], v[79:80], v[89:90]
	s_clause 0x7
	buffer_load_dword v90, off, s[0:3], 0 offset:268
	buffer_load_dword v91, off, s[0:3], 0 offset:288
	;; [unrolled: 1-line block ×8, first 2 shown]
	s_waitcnt vmcnt(34)
	v_fma_f64 v[79:80], v[97:98], v[81:82], v[79:80]
	s_waitcnt vmcnt(32) lgkmcnt(0)
	v_fma_f64 v[79:80], v[99:100], v[83:84], v[79:80]
	s_waitcnt vmcnt(27)
	v_fma_f64 v[97:98], v[101:102], v[85:86], v[79:80]
	ds_read_b128 v[79:82], v78 offset:480
	ds_read_b128 v[83:86], v78 offset:496
	s_waitcnt vmcnt(26) lgkmcnt(1)
	v_fma_f64 v[79:80], v[107:108], v[79:80], v[97:98]
	s_clause 0x3
	buffer_load_dword v98, off, s[0:3], 0 offset:300
	buffer_load_dword v97, off, s[0:3], 0 offset:296
	;; [unrolled: 1-line block ×4, first 2 shown]
	s_waitcnt vmcnt(29)
	v_fma_f64 v[79:80], v[105:106], v[81:82], v[79:80]
	s_waitcnt vmcnt(28) lgkmcnt(0)
	v_fma_f64 v[79:80], v[103:104], v[83:84], v[79:80]
	s_waitcnt vmcnt(23)
	v_fma_f64 v[101:102], v[109:110], v[85:86], v[79:80]
	ds_read_b128 v[79:82], v78 offset:512
	ds_read_b128 v[83:86], v78 offset:528
	s_waitcnt vmcnt(22) lgkmcnt(1)
	v_fma_f64 v[79:80], v[115:116], v[79:80], v[101:102]
	s_waitcnt vmcnt(21)
	v_fma_f64 v[79:80], v[113:114], v[81:82], v[79:80]
	s_waitcnt vmcnt(20) lgkmcnt(0)
	v_fma_f64 v[79:80], v[111:112], v[83:84], v[79:80]
	s_waitcnt vmcnt(15)
	v_fma_f64 v[87:88], v[87:88], v[85:86], v[79:80]
	ds_read_b128 v[79:82], v78 offset:544
	ds_read_b128 v[83:86], v78 offset:560
	s_waitcnt vmcnt(14) lgkmcnt(1)
	v_fma_f64 v[79:80], v[121:122], v[79:80], v[87:88]
	;; [unrolled: 10-line block ×3, first 2 shown]
	s_waitcnt vmcnt(5)
	v_fma_f64 v[78:79], v[93:94], v[81:82], v[78:79]
	s_waitcnt vmcnt(4) lgkmcnt(0)
	v_fma_f64 v[78:79], v[91:92], v[83:84], v[78:79]
	s_waitcnt vmcnt(2)
	v_fma_f64 v[78:79], v[97:98], v[85:86], v[78:79]
	s_waitcnt vmcnt(0)
	v_add_f64 v[78:79], v[99:100], -v[78:79]
	buffer_store_dword v79, off, s[0:3], 0 offset:108
	buffer_store_dword v78, off, s[0:3], 0 offset:104
	v_cmpx_lt_u32_e32 12, v0
	s_cbranch_execz .LBB101_213
; %bb.212:
	s_clause 0x1
	buffer_load_dword v78, off, s[0:3], 0 offset:96
	buffer_load_dword v79, off, s[0:3], 0 offset:100
	v_mov_b32_e32 v80, 0
	buffer_store_dword v80, off, s[0:3], 0 offset:96
	buffer_store_dword v80, off, s[0:3], 0 offset:100
	s_waitcnt vmcnt(0)
	ds_write_b64 v77, v[78:79]
.LBB101_213:
	s_or_b32 exec_lo, exec_lo, s4
	s_waitcnt lgkmcnt(0)
	s_waitcnt_vscnt null, 0x0
	s_barrier
	buffer_gl0_inv
	s_clause 0x1c
	buffer_load_dword v87, off, s[0:3], 0 offset:104
	buffer_load_dword v88, off, s[0:3], 0 offset:108
	buffer_load_dword v89, off, s[0:3], 0 offset:112
	buffer_load_dword v90, off, s[0:3], 0 offset:116
	buffer_load_dword v91, off, s[0:3], 0 offset:120
	buffer_load_dword v92, off, s[0:3], 0 offset:124
	buffer_load_dword v93, off, s[0:3], 0 offset:128
	buffer_load_dword v94, off, s[0:3], 0 offset:132
	buffer_load_dword v95, off, s[0:3], 0 offset:136
	buffer_load_dword v96, off, s[0:3], 0 offset:140
	buffer_load_dword v97, off, s[0:3], 0 offset:144
	buffer_load_dword v98, off, s[0:3], 0 offset:148
	buffer_load_dword v99, off, s[0:3], 0 offset:152
	buffer_load_dword v100, off, s[0:3], 0 offset:156
	buffer_load_dword v102, off, s[0:3], 0 offset:164
	buffer_load_dword v103, off, s[0:3], 0 offset:184
	buffer_load_dword v105, off, s[0:3], 0 offset:176
	buffer_load_dword v107, off, s[0:3], 0 offset:168
	buffer_load_dword v101, off, s[0:3], 0 offset:160
	buffer_load_dword v108, off, s[0:3], 0 offset:172
	buffer_load_dword v106, off, s[0:3], 0 offset:180
	buffer_load_dword v104, off, s[0:3], 0 offset:188
	buffer_load_dword v110, off, s[0:3], 0 offset:196
	buffer_load_dword v111, off, s[0:3], 0 offset:216
	buffer_load_dword v113, off, s[0:3], 0 offset:208
	buffer_load_dword v115, off, s[0:3], 0 offset:200
	buffer_load_dword v109, off, s[0:3], 0 offset:192
	buffer_load_dword v116, off, s[0:3], 0 offset:204
	buffer_load_dword v114, off, s[0:3], 0 offset:212
	v_mov_b32_e32 v78, 0
	buffer_load_dword v112, off, s[0:3], 0 offset:220
	s_mov_b32 s4, exec_lo
	ds_read2_b64 v[79:82], v78 offset0:51 offset1:52
	ds_read2_b64 v[83:86], v78 offset0:53 offset1:54
	s_waitcnt vmcnt(28) lgkmcnt(1)
	v_fma_f64 v[79:80], v[87:88], v[79:80], 0
	s_clause 0x7
	buffer_load_dword v88, off, s[0:3], 0 offset:228
	buffer_load_dword v117, off, s[0:3], 0 offset:248
	;; [unrolled: 1-line block ×8, first 2 shown]
	s_waitcnt vmcnt(34)
	v_fma_f64 v[79:80], v[89:90], v[81:82], v[79:80]
	s_waitcnt vmcnt(32) lgkmcnt(0)
	v_fma_f64 v[79:80], v[91:92], v[83:84], v[79:80]
	s_waitcnt vmcnt(30)
	v_fma_f64 v[89:90], v[93:94], v[85:86], v[79:80]
	ds_read2_b64 v[79:82], v78 offset0:55 offset1:56
	ds_read2_b64 v[83:86], v78 offset0:57 offset1:58
	s_waitcnt vmcnt(28) lgkmcnt(1)
	v_fma_f64 v[79:80], v[95:96], v[79:80], v[89:90]
	s_clause 0x7
	buffer_load_dword v90, off, s[0:3], 0 offset:260
	buffer_load_dword v91, off, s[0:3], 0 offset:280
	;; [unrolled: 1-line block ×8, first 2 shown]
	s_waitcnt vmcnt(34)
	v_fma_f64 v[79:80], v[97:98], v[81:82], v[79:80]
	s_waitcnt vmcnt(32) lgkmcnt(0)
	v_fma_f64 v[79:80], v[99:100], v[83:84], v[79:80]
	s_waitcnt vmcnt(27)
	v_fma_f64 v[97:98], v[101:102], v[85:86], v[79:80]
	ds_read2_b64 v[79:82], v78 offset0:59 offset1:60
	ds_read2_b64 v[83:86], v78 offset0:61 offset1:62
	s_waitcnt vmcnt(26) lgkmcnt(1)
	v_fma_f64 v[79:80], v[107:108], v[79:80], v[97:98]
	s_clause 0x5
	buffer_load_dword v98, off, s[0:3], 0 offset:292
	buffer_load_dword v99, off, s[0:3], 0 offset:296
	;; [unrolled: 1-line block ×6, first 2 shown]
	s_waitcnt vmcnt(31)
	v_fma_f64 v[79:80], v[105:106], v[81:82], v[79:80]
	s_waitcnt vmcnt(30) lgkmcnt(0)
	v_fma_f64 v[79:80], v[103:104], v[83:84], v[79:80]
	s_waitcnt vmcnt(25)
	v_fma_f64 v[103:104], v[109:110], v[85:86], v[79:80]
	ds_read2_b64 v[79:82], v78 offset0:63 offset1:64
	ds_read2_b64 v[83:86], v78 offset0:65 offset1:66
	s_waitcnt vmcnt(24) lgkmcnt(1)
	v_fma_f64 v[79:80], v[115:116], v[79:80], v[103:104]
	s_waitcnt vmcnt(23)
	v_fma_f64 v[79:80], v[113:114], v[81:82], v[79:80]
	s_waitcnt vmcnt(22) lgkmcnt(0)
	v_fma_f64 v[79:80], v[111:112], v[83:84], v[79:80]
	s_waitcnt vmcnt(17)
	v_fma_f64 v[87:88], v[87:88], v[85:86], v[79:80]
	ds_read2_b64 v[79:82], v78 offset0:67 offset1:68
	ds_read2_b64 v[83:86], v78 offset0:69 offset1:70
	s_waitcnt vmcnt(16) lgkmcnt(1)
	v_fma_f64 v[79:80], v[121:122], v[79:80], v[87:88]
	s_waitcnt vmcnt(15)
	v_fma_f64 v[79:80], v[119:120], v[81:82], v[79:80]
	s_waitcnt vmcnt(14) lgkmcnt(0)
	v_fma_f64 v[79:80], v[117:118], v[83:84], v[79:80]
	s_waitcnt vmcnt(9)
	v_fma_f64 v[87:88], v[89:90], v[85:86], v[79:80]
	ds_read2_b64 v[79:82], v78 offset0:71 offset1:72
	ds_read2_b64 v[83:86], v78 offset0:73 offset1:74
	s_waitcnt vmcnt(8) lgkmcnt(1)
	v_fma_f64 v[79:80], v[95:96], v[79:80], v[87:88]
	s_waitcnt vmcnt(7)
	v_fma_f64 v[79:80], v[93:94], v[81:82], v[79:80]
	ds_read_b64 v[81:82], v78 offset:600
	s_waitcnt vmcnt(6) lgkmcnt(1)
	v_fma_f64 v[79:80], v[91:92], v[83:84], v[79:80]
	s_waitcnt vmcnt(3)
	v_fma_f64 v[79:80], v[97:98], v[85:86], v[79:80]
	s_waitcnt vmcnt(2) lgkmcnt(0)
	v_fma_f64 v[79:80], v[99:100], v[81:82], v[79:80]
	s_waitcnt vmcnt(0)
	v_add_f64 v[79:80], v[101:102], -v[79:80]
	buffer_store_dword v80, off, s[0:3], 0 offset:100
	buffer_store_dword v79, off, s[0:3], 0 offset:96
	v_cmpx_lt_u32_e32 11, v0
	s_cbranch_execz .LBB101_215
; %bb.214:
	s_clause 0x1
	buffer_load_dword v79, off, s[0:3], 0 offset:88
	buffer_load_dword v80, off, s[0:3], 0 offset:92
	buffer_store_dword v78, off, s[0:3], 0 offset:88
	buffer_store_dword v78, off, s[0:3], 0 offset:92
	s_waitcnt vmcnt(0)
	ds_write_b64 v77, v[79:80]
.LBB101_215:
	s_or_b32 exec_lo, exec_lo, s4
	s_waitcnt lgkmcnt(0)
	s_waitcnt_vscnt null, 0x0
	s_barrier
	buffer_gl0_inv
	s_clause 0x1c
	buffer_load_dword v87, off, s[0:3], 0 offset:96
	buffer_load_dword v88, off, s[0:3], 0 offset:100
	;; [unrolled: 1-line block ×29, first 2 shown]
	ds_read_b128 v[79:82], v78 offset:400
	ds_read_b128 v[83:86], v78 offset:416
	buffer_load_dword v112, off, s[0:3], 0 offset:212
	s_mov_b32 s4, exec_lo
	s_waitcnt vmcnt(28) lgkmcnt(1)
	v_fma_f64 v[79:80], v[87:88], v[79:80], 0
	s_clause 0x7
	buffer_load_dword v88, off, s[0:3], 0 offset:220
	buffer_load_dword v117, off, s[0:3], 0 offset:240
	;; [unrolled: 1-line block ×8, first 2 shown]
	s_waitcnt vmcnt(34)
	v_fma_f64 v[79:80], v[89:90], v[81:82], v[79:80]
	s_waitcnt vmcnt(32) lgkmcnt(0)
	v_fma_f64 v[79:80], v[91:92], v[83:84], v[79:80]
	s_waitcnt vmcnt(30)
	v_fma_f64 v[89:90], v[93:94], v[85:86], v[79:80]
	ds_read_b128 v[79:82], v78 offset:432
	ds_read_b128 v[83:86], v78 offset:448
	s_waitcnt vmcnt(28) lgkmcnt(1)
	v_fma_f64 v[79:80], v[95:96], v[79:80], v[89:90]
	s_clause 0x7
	buffer_load_dword v90, off, s[0:3], 0 offset:252
	buffer_load_dword v91, off, s[0:3], 0 offset:272
	;; [unrolled: 1-line block ×8, first 2 shown]
	s_waitcnt vmcnt(34)
	v_fma_f64 v[79:80], v[97:98], v[81:82], v[79:80]
	s_waitcnt vmcnt(32) lgkmcnt(0)
	v_fma_f64 v[79:80], v[99:100], v[83:84], v[79:80]
	s_waitcnt vmcnt(27)
	v_fma_f64 v[97:98], v[101:102], v[85:86], v[79:80]
	ds_read_b128 v[79:82], v78 offset:464
	ds_read_b128 v[83:86], v78 offset:480
	s_waitcnt vmcnt(26) lgkmcnt(1)
	v_fma_f64 v[79:80], v[107:108], v[79:80], v[97:98]
	s_clause 0x5
	buffer_load_dword v98, off, s[0:3], 0 offset:284
	buffer_load_dword v99, off, s[0:3], 0 offset:296
	;; [unrolled: 1-line block ×6, first 2 shown]
	s_waitcnt vmcnt(31)
	v_fma_f64 v[79:80], v[105:106], v[81:82], v[79:80]
	s_waitcnt vmcnt(30) lgkmcnt(0)
	v_fma_f64 v[79:80], v[103:104], v[83:84], v[79:80]
	s_waitcnt vmcnt(25)
	v_fma_f64 v[103:104], v[109:110], v[85:86], v[79:80]
	ds_read_b128 v[79:82], v78 offset:496
	s_clause 0x1
	buffer_load_dword v105, off, s[0:3], 0 offset:88
	buffer_load_dword v106, off, s[0:3], 0 offset:92
	ds_read_b128 v[83:86], v78 offset:512
	s_waitcnt vmcnt(26) lgkmcnt(1)
	v_fma_f64 v[79:80], v[115:116], v[79:80], v[103:104]
	s_waitcnt vmcnt(25)
	v_fma_f64 v[79:80], v[113:114], v[81:82], v[79:80]
	s_waitcnt vmcnt(24) lgkmcnt(0)
	v_fma_f64 v[79:80], v[111:112], v[83:84], v[79:80]
	s_waitcnt vmcnt(19)
	v_fma_f64 v[87:88], v[87:88], v[85:86], v[79:80]
	ds_read_b128 v[79:82], v78 offset:528
	ds_read_b128 v[83:86], v78 offset:544
	s_waitcnt vmcnt(18) lgkmcnt(1)
	v_fma_f64 v[79:80], v[121:122], v[79:80], v[87:88]
	s_waitcnt vmcnt(17)
	v_fma_f64 v[79:80], v[119:120], v[81:82], v[79:80]
	s_waitcnt vmcnt(16) lgkmcnt(0)
	v_fma_f64 v[79:80], v[117:118], v[83:84], v[79:80]
	s_waitcnt vmcnt(11)
	v_fma_f64 v[87:88], v[89:90], v[85:86], v[79:80]
	ds_read_b128 v[79:82], v78 offset:560
	;; [unrolled: 10-line block ×3, first 2 shown]
	s_waitcnt vmcnt(3) lgkmcnt(0)
	v_fma_f64 v[78:79], v[101:102], v[78:79], v[82:83]
	s_waitcnt vmcnt(2)
	v_fma_f64 v[78:79], v[99:100], v[80:81], v[78:79]
	s_waitcnt vmcnt(0)
	v_add_f64 v[78:79], v[105:106], -v[78:79]
	buffer_store_dword v79, off, s[0:3], 0 offset:92
	buffer_store_dword v78, off, s[0:3], 0 offset:88
	v_cmpx_lt_u32_e32 10, v0
	s_cbranch_execz .LBB101_217
; %bb.216:
	s_clause 0x1
	buffer_load_dword v78, off, s[0:3], 0 offset:80
	buffer_load_dword v79, off, s[0:3], 0 offset:84
	v_mov_b32_e32 v80, 0
	buffer_store_dword v80, off, s[0:3], 0 offset:80
	buffer_store_dword v80, off, s[0:3], 0 offset:84
	s_waitcnt vmcnt(0)
	ds_write_b64 v77, v[78:79]
.LBB101_217:
	s_or_b32 exec_lo, exec_lo, s4
	s_waitcnt lgkmcnt(0)
	s_waitcnt_vscnt null, 0x0
	s_barrier
	buffer_gl0_inv
	s_clause 0x1c
	buffer_load_dword v87, off, s[0:3], 0 offset:88
	buffer_load_dword v88, off, s[0:3], 0 offset:92
	;; [unrolled: 1-line block ×29, first 2 shown]
	v_mov_b32_e32 v78, 0
	buffer_load_dword v112, off, s[0:3], 0 offset:204
	s_mov_b32 s4, exec_lo
	ds_read2_b64 v[79:82], v78 offset0:49 offset1:50
	ds_read2_b64 v[83:86], v78 offset0:51 offset1:52
	s_waitcnt vmcnt(28) lgkmcnt(1)
	v_fma_f64 v[79:80], v[87:88], v[79:80], 0
	s_clause 0x7
	buffer_load_dword v88, off, s[0:3], 0 offset:212
	buffer_load_dword v117, off, s[0:3], 0 offset:232
	buffer_load_dword v119, off, s[0:3], 0 offset:224
	buffer_load_dword v121, off, s[0:3], 0 offset:216
	buffer_load_dword v87, off, s[0:3], 0 offset:208
	buffer_load_dword v122, off, s[0:3], 0 offset:220
	buffer_load_dword v120, off, s[0:3], 0 offset:228
	buffer_load_dword v118, off, s[0:3], 0 offset:236
	s_waitcnt vmcnt(34)
	v_fma_f64 v[79:80], v[89:90], v[81:82], v[79:80]
	s_waitcnt vmcnt(32) lgkmcnt(0)
	v_fma_f64 v[79:80], v[91:92], v[83:84], v[79:80]
	s_waitcnt vmcnt(30)
	v_fma_f64 v[89:90], v[93:94], v[85:86], v[79:80]
	ds_read2_b64 v[79:82], v78 offset0:53 offset1:54
	ds_read2_b64 v[83:86], v78 offset0:55 offset1:56
	s_waitcnt vmcnt(28) lgkmcnt(1)
	v_fma_f64 v[79:80], v[95:96], v[79:80], v[89:90]
	s_clause 0x7
	buffer_load_dword v90, off, s[0:3], 0 offset:244
	buffer_load_dword v91, off, s[0:3], 0 offset:264
	buffer_load_dword v93, off, s[0:3], 0 offset:256
	buffer_load_dword v95, off, s[0:3], 0 offset:248
	buffer_load_dword v89, off, s[0:3], 0 offset:240
	buffer_load_dword v96, off, s[0:3], 0 offset:252
	buffer_load_dword v94, off, s[0:3], 0 offset:260
	buffer_load_dword v92, off, s[0:3], 0 offset:268
	s_waitcnt vmcnt(34)
	v_fma_f64 v[79:80], v[97:98], v[81:82], v[79:80]
	s_waitcnt vmcnt(32) lgkmcnt(0)
	v_fma_f64 v[79:80], v[99:100], v[83:84], v[79:80]
	s_waitcnt vmcnt(27)
	v_fma_f64 v[97:98], v[101:102], v[85:86], v[79:80]
	;; [unrolled: 19-line block ×3, first 2 shown]
	ds_read2_b64 v[79:82], v78 offset0:61 offset1:62
	ds_read2_b64 v[83:86], v78 offset0:63 offset1:64
	s_waitcnt vmcnt(26) lgkmcnt(1)
	v_fma_f64 v[79:80], v[115:116], v[79:80], v[103:104]
	s_clause 0x1
	buffer_load_dword v103, off, s[0:3], 0 offset:80
	buffer_load_dword v104, off, s[0:3], 0 offset:84
	s_waitcnt vmcnt(27)
	v_fma_f64 v[79:80], v[113:114], v[81:82], v[79:80]
	s_waitcnt vmcnt(26) lgkmcnt(0)
	v_fma_f64 v[79:80], v[111:112], v[83:84], v[79:80]
	s_waitcnt vmcnt(21)
	v_fma_f64 v[87:88], v[87:88], v[85:86], v[79:80]
	ds_read2_b64 v[79:82], v78 offset0:65 offset1:66
	ds_read2_b64 v[83:86], v78 offset0:67 offset1:68
	s_waitcnt vmcnt(20) lgkmcnt(1)
	v_fma_f64 v[79:80], v[121:122], v[79:80], v[87:88]
	s_waitcnt vmcnt(19)
	v_fma_f64 v[79:80], v[119:120], v[81:82], v[79:80]
	s_waitcnt vmcnt(18) lgkmcnt(0)
	v_fma_f64 v[79:80], v[117:118], v[83:84], v[79:80]
	s_waitcnt vmcnt(13)
	v_fma_f64 v[87:88], v[89:90], v[85:86], v[79:80]
	ds_read2_b64 v[79:82], v78 offset0:69 offset1:70
	ds_read2_b64 v[83:86], v78 offset0:71 offset1:72
	s_waitcnt vmcnt(12) lgkmcnt(1)
	v_fma_f64 v[79:80], v[95:96], v[79:80], v[87:88]
	s_waitcnt vmcnt(11)
	v_fma_f64 v[79:80], v[93:94], v[81:82], v[79:80]
	s_waitcnt vmcnt(10) lgkmcnt(0)
	v_fma_f64 v[79:80], v[91:92], v[83:84], v[79:80]
	s_waitcnt vmcnt(5)
	v_fma_f64 v[83:84], v[97:98], v[85:86], v[79:80]
	ds_read2_b64 v[79:82], v78 offset0:73 offset1:74
	ds_read_b64 v[85:86], v78 offset:600
	s_waitcnt vmcnt(4) lgkmcnt(1)
	v_fma_f64 v[79:80], v[107:108], v[79:80], v[83:84]
	s_waitcnt vmcnt(3)
	v_fma_f64 v[79:80], v[101:102], v[81:82], v[79:80]
	s_waitcnt vmcnt(2) lgkmcnt(0)
	v_fma_f64 v[79:80], v[99:100], v[85:86], v[79:80]
	s_waitcnt vmcnt(0)
	v_add_f64 v[79:80], v[103:104], -v[79:80]
	buffer_store_dword v80, off, s[0:3], 0 offset:84
	buffer_store_dword v79, off, s[0:3], 0 offset:80
	v_cmpx_lt_u32_e32 9, v0
	s_cbranch_execz .LBB101_219
; %bb.218:
	s_clause 0x1
	buffer_load_dword v79, off, s[0:3], 0 offset:72
	buffer_load_dword v80, off, s[0:3], 0 offset:76
	buffer_store_dword v78, off, s[0:3], 0 offset:72
	buffer_store_dword v78, off, s[0:3], 0 offset:76
	s_waitcnt vmcnt(0)
	ds_write_b64 v77, v[79:80]
.LBB101_219:
	s_or_b32 exec_lo, exec_lo, s4
	s_waitcnt lgkmcnt(0)
	s_waitcnt_vscnt null, 0x0
	s_barrier
	buffer_gl0_inv
	s_clause 0x1c
	buffer_load_dword v87, off, s[0:3], 0 offset:80
	buffer_load_dword v88, off, s[0:3], 0 offset:84
	;; [unrolled: 1-line block ×29, first 2 shown]
	ds_read_b128 v[79:82], v78 offset:384
	ds_read_b128 v[83:86], v78 offset:400
	buffer_load_dword v112, off, s[0:3], 0 offset:196
	s_mov_b32 s4, exec_lo
	s_waitcnt vmcnt(28) lgkmcnt(1)
	v_fma_f64 v[79:80], v[87:88], v[79:80], 0
	s_clause 0x7
	buffer_load_dword v88, off, s[0:3], 0 offset:204
	buffer_load_dword v117, off, s[0:3], 0 offset:224
	buffer_load_dword v119, off, s[0:3], 0 offset:216
	buffer_load_dword v121, off, s[0:3], 0 offset:208
	buffer_load_dword v87, off, s[0:3], 0 offset:200
	buffer_load_dword v122, off, s[0:3], 0 offset:212
	buffer_load_dword v120, off, s[0:3], 0 offset:220
	buffer_load_dword v118, off, s[0:3], 0 offset:228
	s_waitcnt vmcnt(34)
	v_fma_f64 v[79:80], v[89:90], v[81:82], v[79:80]
	s_waitcnt vmcnt(32) lgkmcnt(0)
	v_fma_f64 v[79:80], v[91:92], v[83:84], v[79:80]
	s_waitcnt vmcnt(30)
	v_fma_f64 v[89:90], v[93:94], v[85:86], v[79:80]
	ds_read_b128 v[79:82], v78 offset:416
	ds_read_b128 v[83:86], v78 offset:432
	s_waitcnt vmcnt(28) lgkmcnt(1)
	v_fma_f64 v[79:80], v[95:96], v[79:80], v[89:90]
	s_clause 0x7
	buffer_load_dword v90, off, s[0:3], 0 offset:236
	buffer_load_dword v91, off, s[0:3], 0 offset:256
	buffer_load_dword v93, off, s[0:3], 0 offset:248
	buffer_load_dword v95, off, s[0:3], 0 offset:240
	buffer_load_dword v89, off, s[0:3], 0 offset:232
	buffer_load_dword v96, off, s[0:3], 0 offset:244
	buffer_load_dword v94, off, s[0:3], 0 offset:252
	buffer_load_dword v92, off, s[0:3], 0 offset:260
	s_waitcnt vmcnt(34)
	v_fma_f64 v[79:80], v[97:98], v[81:82], v[79:80]
	s_waitcnt vmcnt(32) lgkmcnt(0)
	v_fma_f64 v[79:80], v[99:100], v[83:84], v[79:80]
	s_waitcnt vmcnt(27)
	v_fma_f64 v[97:98], v[101:102], v[85:86], v[79:80]
	ds_read_b128 v[79:82], v78 offset:448
	ds_read_b128 v[83:86], v78 offset:464
	;; [unrolled: 19-line block ×3, first 2 shown]
	s_waitcnt vmcnt(26) lgkmcnt(1)
	v_fma_f64 v[79:80], v[115:116], v[79:80], v[103:104]
	s_clause 0x3
	buffer_load_dword v104, off, s[0:3], 0 offset:300
	buffer_load_dword v103, off, s[0:3], 0 offset:296
	;; [unrolled: 1-line block ×4, first 2 shown]
	s_waitcnt vmcnt(29)
	v_fma_f64 v[79:80], v[113:114], v[81:82], v[79:80]
	s_waitcnt vmcnt(28) lgkmcnt(0)
	v_fma_f64 v[79:80], v[111:112], v[83:84], v[79:80]
	s_waitcnt vmcnt(23)
	v_fma_f64 v[87:88], v[87:88], v[85:86], v[79:80]
	ds_read_b128 v[79:82], v78 offset:512
	ds_read_b128 v[83:86], v78 offset:528
	s_waitcnt vmcnt(22) lgkmcnt(1)
	v_fma_f64 v[79:80], v[121:122], v[79:80], v[87:88]
	s_waitcnt vmcnt(21)
	v_fma_f64 v[79:80], v[119:120], v[81:82], v[79:80]
	s_waitcnt vmcnt(20) lgkmcnt(0)
	v_fma_f64 v[79:80], v[117:118], v[83:84], v[79:80]
	s_waitcnt vmcnt(15)
	v_fma_f64 v[87:88], v[89:90], v[85:86], v[79:80]
	ds_read_b128 v[79:82], v78 offset:544
	ds_read_b128 v[83:86], v78 offset:560
	s_waitcnt vmcnt(14) lgkmcnt(1)
	v_fma_f64 v[79:80], v[95:96], v[79:80], v[87:88]
	;; [unrolled: 10-line block ×3, first 2 shown]
	s_waitcnt vmcnt(5)
	v_fma_f64 v[78:79], v[101:102], v[81:82], v[78:79]
	s_waitcnt vmcnt(4) lgkmcnt(0)
	v_fma_f64 v[78:79], v[99:100], v[83:84], v[78:79]
	s_waitcnt vmcnt(2)
	v_fma_f64 v[78:79], v[103:104], v[85:86], v[78:79]
	s_waitcnt vmcnt(0)
	v_add_f64 v[78:79], v[105:106], -v[78:79]
	buffer_store_dword v79, off, s[0:3], 0 offset:76
	buffer_store_dword v78, off, s[0:3], 0 offset:72
	v_cmpx_lt_u32_e32 8, v0
	s_cbranch_execz .LBB101_221
; %bb.220:
	s_clause 0x1
	buffer_load_dword v78, off, s[0:3], 0 offset:64
	buffer_load_dword v79, off, s[0:3], 0 offset:68
	v_mov_b32_e32 v80, 0
	buffer_store_dword v80, off, s[0:3], 0 offset:64
	buffer_store_dword v80, off, s[0:3], 0 offset:68
	s_waitcnt vmcnt(0)
	ds_write_b64 v77, v[78:79]
.LBB101_221:
	s_or_b32 exec_lo, exec_lo, s4
	s_waitcnt lgkmcnt(0)
	s_waitcnt_vscnt null, 0x0
	s_barrier
	buffer_gl0_inv
	s_clause 0x1c
	buffer_load_dword v87, off, s[0:3], 0 offset:72
	buffer_load_dword v88, off, s[0:3], 0 offset:76
	;; [unrolled: 1-line block ×29, first 2 shown]
	v_mov_b32_e32 v78, 0
	buffer_load_dword v112, off, s[0:3], 0 offset:188
	s_mov_b32 s4, exec_lo
	ds_read2_b64 v[79:82], v78 offset0:47 offset1:48
	ds_read2_b64 v[83:86], v78 offset0:49 offset1:50
	s_waitcnt vmcnt(28) lgkmcnt(1)
	v_fma_f64 v[79:80], v[87:88], v[79:80], 0
	s_clause 0x7
	buffer_load_dword v88, off, s[0:3], 0 offset:196
	buffer_load_dword v117, off, s[0:3], 0 offset:216
	buffer_load_dword v119, off, s[0:3], 0 offset:208
	buffer_load_dword v121, off, s[0:3], 0 offset:200
	buffer_load_dword v87, off, s[0:3], 0 offset:192
	buffer_load_dword v122, off, s[0:3], 0 offset:204
	buffer_load_dword v120, off, s[0:3], 0 offset:212
	buffer_load_dword v118, off, s[0:3], 0 offset:220
	s_waitcnt vmcnt(34)
	v_fma_f64 v[79:80], v[89:90], v[81:82], v[79:80]
	s_waitcnt vmcnt(32) lgkmcnt(0)
	v_fma_f64 v[79:80], v[91:92], v[83:84], v[79:80]
	s_waitcnt vmcnt(30)
	v_fma_f64 v[89:90], v[93:94], v[85:86], v[79:80]
	ds_read2_b64 v[79:82], v78 offset0:51 offset1:52
	ds_read2_b64 v[83:86], v78 offset0:53 offset1:54
	s_waitcnt vmcnt(28) lgkmcnt(1)
	v_fma_f64 v[79:80], v[95:96], v[79:80], v[89:90]
	s_clause 0x7
	buffer_load_dword v90, off, s[0:3], 0 offset:228
	buffer_load_dword v91, off, s[0:3], 0 offset:248
	buffer_load_dword v93, off, s[0:3], 0 offset:240
	buffer_load_dword v95, off, s[0:3], 0 offset:232
	buffer_load_dword v89, off, s[0:3], 0 offset:224
	buffer_load_dword v96, off, s[0:3], 0 offset:236
	buffer_load_dword v94, off, s[0:3], 0 offset:244
	buffer_load_dword v92, off, s[0:3], 0 offset:252
	s_waitcnt vmcnt(34)
	v_fma_f64 v[79:80], v[97:98], v[81:82], v[79:80]
	s_waitcnt vmcnt(32) lgkmcnt(0)
	v_fma_f64 v[79:80], v[99:100], v[83:84], v[79:80]
	s_waitcnt vmcnt(27)
	v_fma_f64 v[97:98], v[101:102], v[85:86], v[79:80]
	;; [unrolled: 19-line block ×3, first 2 shown]
	ds_read2_b64 v[79:82], v78 offset0:59 offset1:60
	ds_read2_b64 v[83:86], v78 offset0:61 offset1:62
	s_waitcnt vmcnt(26) lgkmcnt(1)
	v_fma_f64 v[79:80], v[115:116], v[79:80], v[103:104]
	s_clause 0x5
	buffer_load_dword v104, off, s[0:3], 0 offset:292
	buffer_load_dword v105, off, s[0:3], 0 offset:296
	;; [unrolled: 1-line block ×6, first 2 shown]
	s_waitcnt vmcnt(31)
	v_fma_f64 v[79:80], v[113:114], v[81:82], v[79:80]
	s_waitcnt vmcnt(30) lgkmcnt(0)
	v_fma_f64 v[79:80], v[111:112], v[83:84], v[79:80]
	s_waitcnt vmcnt(25)
	v_fma_f64 v[87:88], v[87:88], v[85:86], v[79:80]
	ds_read2_b64 v[79:82], v78 offset0:63 offset1:64
	ds_read2_b64 v[83:86], v78 offset0:65 offset1:66
	s_waitcnt vmcnt(24) lgkmcnt(1)
	v_fma_f64 v[79:80], v[121:122], v[79:80], v[87:88]
	s_waitcnt vmcnt(23)
	v_fma_f64 v[79:80], v[119:120], v[81:82], v[79:80]
	s_waitcnt vmcnt(22) lgkmcnt(0)
	v_fma_f64 v[79:80], v[117:118], v[83:84], v[79:80]
	s_waitcnt vmcnt(17)
	v_fma_f64 v[87:88], v[89:90], v[85:86], v[79:80]
	ds_read2_b64 v[79:82], v78 offset0:67 offset1:68
	ds_read2_b64 v[83:86], v78 offset0:69 offset1:70
	s_waitcnt vmcnt(16) lgkmcnt(1)
	v_fma_f64 v[79:80], v[95:96], v[79:80], v[87:88]
	;; [unrolled: 10-line block ×3, first 2 shown]
	s_waitcnt vmcnt(7)
	v_fma_f64 v[79:80], v[101:102], v[81:82], v[79:80]
	ds_read_b64 v[81:82], v78 offset:600
	s_waitcnt vmcnt(6) lgkmcnt(1)
	v_fma_f64 v[79:80], v[99:100], v[83:84], v[79:80]
	s_waitcnt vmcnt(3)
	v_fma_f64 v[79:80], v[103:104], v[85:86], v[79:80]
	s_waitcnt vmcnt(2) lgkmcnt(0)
	v_fma_f64 v[79:80], v[105:106], v[81:82], v[79:80]
	s_waitcnt vmcnt(0)
	v_add_f64 v[79:80], v[109:110], -v[79:80]
	buffer_store_dword v80, off, s[0:3], 0 offset:68
	buffer_store_dword v79, off, s[0:3], 0 offset:64
	v_cmpx_lt_u32_e32 7, v0
	s_cbranch_execz .LBB101_223
; %bb.222:
	s_clause 0x1
	buffer_load_dword v79, off, s[0:3], 0 offset:56
	buffer_load_dword v80, off, s[0:3], 0 offset:60
	buffer_store_dword v78, off, s[0:3], 0 offset:56
	buffer_store_dword v78, off, s[0:3], 0 offset:60
	s_waitcnt vmcnt(0)
	ds_write_b64 v77, v[79:80]
.LBB101_223:
	s_or_b32 exec_lo, exec_lo, s4
	s_waitcnt lgkmcnt(0)
	s_waitcnt_vscnt null, 0x0
	s_barrier
	buffer_gl0_inv
	s_clause 0x1c
	buffer_load_dword v87, off, s[0:3], 0 offset:64
	buffer_load_dword v88, off, s[0:3], 0 offset:68
	;; [unrolled: 1-line block ×29, first 2 shown]
	ds_read_b128 v[79:82], v78 offset:368
	ds_read_b128 v[83:86], v78 offset:384
	buffer_load_dword v112, off, s[0:3], 0 offset:180
	s_mov_b32 s4, exec_lo
	s_waitcnt vmcnt(28) lgkmcnt(1)
	v_fma_f64 v[79:80], v[87:88], v[79:80], 0
	s_clause 0x7
	buffer_load_dword v88, off, s[0:3], 0 offset:188
	buffer_load_dword v117, off, s[0:3], 0 offset:208
	buffer_load_dword v119, off, s[0:3], 0 offset:200
	buffer_load_dword v121, off, s[0:3], 0 offset:192
	buffer_load_dword v87, off, s[0:3], 0 offset:184
	buffer_load_dword v122, off, s[0:3], 0 offset:196
	buffer_load_dword v120, off, s[0:3], 0 offset:204
	buffer_load_dword v118, off, s[0:3], 0 offset:212
	s_waitcnt vmcnt(34)
	v_fma_f64 v[79:80], v[89:90], v[81:82], v[79:80]
	s_waitcnt vmcnt(32) lgkmcnt(0)
	v_fma_f64 v[79:80], v[91:92], v[83:84], v[79:80]
	s_waitcnt vmcnt(30)
	v_fma_f64 v[89:90], v[93:94], v[85:86], v[79:80]
	ds_read_b128 v[79:82], v78 offset:400
	ds_read_b128 v[83:86], v78 offset:416
	s_waitcnt vmcnt(28) lgkmcnt(1)
	v_fma_f64 v[79:80], v[95:96], v[79:80], v[89:90]
	s_clause 0x7
	buffer_load_dword v90, off, s[0:3], 0 offset:220
	buffer_load_dword v91, off, s[0:3], 0 offset:240
	buffer_load_dword v93, off, s[0:3], 0 offset:232
	buffer_load_dword v95, off, s[0:3], 0 offset:224
	buffer_load_dword v89, off, s[0:3], 0 offset:216
	buffer_load_dword v96, off, s[0:3], 0 offset:228
	buffer_load_dword v94, off, s[0:3], 0 offset:236
	buffer_load_dword v92, off, s[0:3], 0 offset:244
	s_waitcnt vmcnt(34)
	v_fma_f64 v[79:80], v[97:98], v[81:82], v[79:80]
	s_waitcnt vmcnt(32) lgkmcnt(0)
	v_fma_f64 v[79:80], v[99:100], v[83:84], v[79:80]
	s_waitcnt vmcnt(27)
	v_fma_f64 v[97:98], v[101:102], v[85:86], v[79:80]
	ds_read_b128 v[79:82], v78 offset:432
	ds_read_b128 v[83:86], v78 offset:448
	;; [unrolled: 19-line block ×3, first 2 shown]
	s_waitcnt vmcnt(26) lgkmcnt(1)
	v_fma_f64 v[79:80], v[115:116], v[79:80], v[103:104]
	s_clause 0x5
	buffer_load_dword v104, off, s[0:3], 0 offset:284
	buffer_load_dword v105, off, s[0:3], 0 offset:296
	;; [unrolled: 1-line block ×6, first 2 shown]
	s_waitcnt vmcnt(31)
	v_fma_f64 v[79:80], v[113:114], v[81:82], v[79:80]
	s_waitcnt vmcnt(30) lgkmcnt(0)
	v_fma_f64 v[79:80], v[111:112], v[83:84], v[79:80]
	s_waitcnt vmcnt(25)
	v_fma_f64 v[87:88], v[87:88], v[85:86], v[79:80]
	ds_read_b128 v[79:82], v78 offset:496
	s_clause 0x1
	buffer_load_dword v111, off, s[0:3], 0 offset:56
	buffer_load_dword v112, off, s[0:3], 0 offset:60
	ds_read_b128 v[83:86], v78 offset:512
	s_waitcnt vmcnt(26) lgkmcnt(1)
	v_fma_f64 v[79:80], v[121:122], v[79:80], v[87:88]
	s_waitcnt vmcnt(25)
	v_fma_f64 v[79:80], v[119:120], v[81:82], v[79:80]
	s_waitcnt vmcnt(24) lgkmcnt(0)
	v_fma_f64 v[79:80], v[117:118], v[83:84], v[79:80]
	s_waitcnt vmcnt(19)
	v_fma_f64 v[87:88], v[89:90], v[85:86], v[79:80]
	ds_read_b128 v[79:82], v78 offset:528
	ds_read_b128 v[83:86], v78 offset:544
	s_waitcnt vmcnt(18) lgkmcnt(1)
	v_fma_f64 v[79:80], v[95:96], v[79:80], v[87:88]
	s_waitcnt vmcnt(17)
	v_fma_f64 v[79:80], v[93:94], v[81:82], v[79:80]
	s_waitcnt vmcnt(16) lgkmcnt(0)
	v_fma_f64 v[79:80], v[91:92], v[83:84], v[79:80]
	s_waitcnt vmcnt(11)
	v_fma_f64 v[87:88], v[97:98], v[85:86], v[79:80]
	ds_read_b128 v[79:82], v78 offset:560
	;; [unrolled: 10-line block ×3, first 2 shown]
	s_waitcnt vmcnt(3) lgkmcnt(0)
	v_fma_f64 v[78:79], v[109:110], v[78:79], v[82:83]
	s_waitcnt vmcnt(2)
	v_fma_f64 v[78:79], v[105:106], v[80:81], v[78:79]
	s_waitcnt vmcnt(0)
	v_add_f64 v[78:79], v[111:112], -v[78:79]
	buffer_store_dword v79, off, s[0:3], 0 offset:60
	buffer_store_dword v78, off, s[0:3], 0 offset:56
	v_cmpx_lt_u32_e32 6, v0
	s_cbranch_execz .LBB101_225
; %bb.224:
	s_clause 0x1
	buffer_load_dword v78, off, s[0:3], 0 offset:48
	buffer_load_dword v79, off, s[0:3], 0 offset:52
	v_mov_b32_e32 v80, 0
	buffer_store_dword v80, off, s[0:3], 0 offset:48
	buffer_store_dword v80, off, s[0:3], 0 offset:52
	s_waitcnt vmcnt(0)
	ds_write_b64 v77, v[78:79]
.LBB101_225:
	s_or_b32 exec_lo, exec_lo, s4
	s_waitcnt lgkmcnt(0)
	s_waitcnt_vscnt null, 0x0
	s_barrier
	buffer_gl0_inv
	s_clause 0x1c
	buffer_load_dword v87, off, s[0:3], 0 offset:56
	buffer_load_dword v88, off, s[0:3], 0 offset:60
	;; [unrolled: 1-line block ×29, first 2 shown]
	v_mov_b32_e32 v78, 0
	buffer_load_dword v112, off, s[0:3], 0 offset:172
	s_mov_b32 s4, exec_lo
	ds_read2_b64 v[79:82], v78 offset0:45 offset1:46
	ds_read2_b64 v[83:86], v78 offset0:47 offset1:48
	s_waitcnt vmcnt(28) lgkmcnt(1)
	v_fma_f64 v[79:80], v[87:88], v[79:80], 0
	s_clause 0x7
	buffer_load_dword v88, off, s[0:3], 0 offset:180
	buffer_load_dword v117, off, s[0:3], 0 offset:200
	buffer_load_dword v119, off, s[0:3], 0 offset:192
	buffer_load_dword v121, off, s[0:3], 0 offset:184
	buffer_load_dword v87, off, s[0:3], 0 offset:176
	buffer_load_dword v122, off, s[0:3], 0 offset:188
	buffer_load_dword v120, off, s[0:3], 0 offset:196
	buffer_load_dword v118, off, s[0:3], 0 offset:204
	s_waitcnt vmcnt(34)
	v_fma_f64 v[79:80], v[89:90], v[81:82], v[79:80]
	s_waitcnt vmcnt(32) lgkmcnt(0)
	v_fma_f64 v[79:80], v[91:92], v[83:84], v[79:80]
	s_waitcnt vmcnt(30)
	v_fma_f64 v[89:90], v[93:94], v[85:86], v[79:80]
	ds_read2_b64 v[79:82], v78 offset0:49 offset1:50
	ds_read2_b64 v[83:86], v78 offset0:51 offset1:52
	s_waitcnt vmcnt(28) lgkmcnt(1)
	v_fma_f64 v[79:80], v[95:96], v[79:80], v[89:90]
	s_clause 0x7
	buffer_load_dword v90, off, s[0:3], 0 offset:212
	buffer_load_dword v91, off, s[0:3], 0 offset:232
	buffer_load_dword v93, off, s[0:3], 0 offset:224
	buffer_load_dword v95, off, s[0:3], 0 offset:216
	buffer_load_dword v89, off, s[0:3], 0 offset:208
	buffer_load_dword v96, off, s[0:3], 0 offset:220
	buffer_load_dword v94, off, s[0:3], 0 offset:228
	buffer_load_dword v92, off, s[0:3], 0 offset:236
	s_waitcnt vmcnt(34)
	v_fma_f64 v[79:80], v[97:98], v[81:82], v[79:80]
	s_waitcnt vmcnt(32) lgkmcnt(0)
	v_fma_f64 v[79:80], v[99:100], v[83:84], v[79:80]
	s_waitcnt vmcnt(27)
	v_fma_f64 v[97:98], v[101:102], v[85:86], v[79:80]
	;; [unrolled: 19-line block ×4, first 2 shown]
	ds_read2_b64 v[79:82], v78 offset0:61 offset1:62
	ds_read2_b64 v[83:86], v78 offset0:63 offset1:64
	s_waitcnt vmcnt(26) lgkmcnt(1)
	v_fma_f64 v[79:80], v[121:122], v[79:80], v[87:88]
	s_clause 0x1
	buffer_load_dword v87, off, s[0:3], 0 offset:48
	buffer_load_dword v88, off, s[0:3], 0 offset:52
	s_waitcnt vmcnt(27)
	v_fma_f64 v[79:80], v[119:120], v[81:82], v[79:80]
	s_waitcnt vmcnt(26) lgkmcnt(0)
	v_fma_f64 v[79:80], v[117:118], v[83:84], v[79:80]
	s_waitcnt vmcnt(21)
	v_fma_f64 v[89:90], v[89:90], v[85:86], v[79:80]
	ds_read2_b64 v[79:82], v78 offset0:65 offset1:66
	ds_read2_b64 v[83:86], v78 offset0:67 offset1:68
	s_waitcnt vmcnt(20) lgkmcnt(1)
	v_fma_f64 v[79:80], v[95:96], v[79:80], v[89:90]
	s_waitcnt vmcnt(19)
	v_fma_f64 v[79:80], v[93:94], v[81:82], v[79:80]
	s_waitcnt vmcnt(18) lgkmcnt(0)
	v_fma_f64 v[79:80], v[91:92], v[83:84], v[79:80]
	s_waitcnt vmcnt(13)
	v_fma_f64 v[89:90], v[97:98], v[85:86], v[79:80]
	ds_read2_b64 v[79:82], v78 offset0:69 offset1:70
	ds_read2_b64 v[83:86], v78 offset0:71 offset1:72
	s_waitcnt vmcnt(12) lgkmcnt(1)
	v_fma_f64 v[79:80], v[107:108], v[79:80], v[89:90]
	s_waitcnt vmcnt(11)
	v_fma_f64 v[79:80], v[101:102], v[81:82], v[79:80]
	s_waitcnt vmcnt(10) lgkmcnt(0)
	v_fma_f64 v[79:80], v[99:100], v[83:84], v[79:80]
	s_waitcnt vmcnt(5)
	v_fma_f64 v[83:84], v[103:104], v[85:86], v[79:80]
	ds_read2_b64 v[79:82], v78 offset0:73 offset1:74
	ds_read_b64 v[85:86], v78 offset:600
	s_waitcnt vmcnt(4) lgkmcnt(1)
	v_fma_f64 v[79:80], v[115:116], v[79:80], v[83:84]
	s_waitcnt vmcnt(3)
	v_fma_f64 v[79:80], v[109:110], v[81:82], v[79:80]
	s_waitcnt vmcnt(2) lgkmcnt(0)
	v_fma_f64 v[79:80], v[105:106], v[85:86], v[79:80]
	s_waitcnt vmcnt(0)
	v_add_f64 v[79:80], v[87:88], -v[79:80]
	buffer_store_dword v80, off, s[0:3], 0 offset:52
	buffer_store_dword v79, off, s[0:3], 0 offset:48
	v_cmpx_lt_u32_e32 5, v0
	s_cbranch_execz .LBB101_227
; %bb.226:
	s_clause 0x1
	buffer_load_dword v79, off, s[0:3], 0 offset:40
	buffer_load_dword v80, off, s[0:3], 0 offset:44
	buffer_store_dword v78, off, s[0:3], 0 offset:40
	buffer_store_dword v78, off, s[0:3], 0 offset:44
	s_waitcnt vmcnt(0)
	ds_write_b64 v77, v[79:80]
.LBB101_227:
	s_or_b32 exec_lo, exec_lo, s4
	s_waitcnt lgkmcnt(0)
	s_waitcnt_vscnt null, 0x0
	s_barrier
	buffer_gl0_inv
	s_clause 0x1c
	buffer_load_dword v87, off, s[0:3], 0 offset:48
	buffer_load_dword v88, off, s[0:3], 0 offset:52
	;; [unrolled: 1-line block ×29, first 2 shown]
	ds_read_b128 v[79:82], v78 offset:352
	ds_read_b128 v[83:86], v78 offset:368
	buffer_load_dword v112, off, s[0:3], 0 offset:164
	s_mov_b32 s4, exec_lo
	s_waitcnt vmcnt(28) lgkmcnt(1)
	v_fma_f64 v[79:80], v[87:88], v[79:80], 0
	s_clause 0x7
	buffer_load_dword v88, off, s[0:3], 0 offset:172
	buffer_load_dword v117, off, s[0:3], 0 offset:192
	buffer_load_dword v119, off, s[0:3], 0 offset:184
	buffer_load_dword v121, off, s[0:3], 0 offset:176
	buffer_load_dword v87, off, s[0:3], 0 offset:168
	buffer_load_dword v122, off, s[0:3], 0 offset:180
	buffer_load_dword v120, off, s[0:3], 0 offset:188
	buffer_load_dword v118, off, s[0:3], 0 offset:196
	s_waitcnt vmcnt(34)
	v_fma_f64 v[79:80], v[89:90], v[81:82], v[79:80]
	s_waitcnt vmcnt(32) lgkmcnt(0)
	v_fma_f64 v[79:80], v[91:92], v[83:84], v[79:80]
	s_waitcnt vmcnt(30)
	v_fma_f64 v[89:90], v[93:94], v[85:86], v[79:80]
	ds_read_b128 v[79:82], v78 offset:384
	ds_read_b128 v[83:86], v78 offset:400
	s_waitcnt vmcnt(28) lgkmcnt(1)
	v_fma_f64 v[79:80], v[95:96], v[79:80], v[89:90]
	s_clause 0x7
	buffer_load_dword v90, off, s[0:3], 0 offset:204
	buffer_load_dword v91, off, s[0:3], 0 offset:224
	buffer_load_dword v93, off, s[0:3], 0 offset:216
	buffer_load_dword v95, off, s[0:3], 0 offset:208
	buffer_load_dword v89, off, s[0:3], 0 offset:200
	buffer_load_dword v96, off, s[0:3], 0 offset:212
	buffer_load_dword v94, off, s[0:3], 0 offset:220
	buffer_load_dword v92, off, s[0:3], 0 offset:228
	s_waitcnt vmcnt(34)
	v_fma_f64 v[79:80], v[97:98], v[81:82], v[79:80]
	s_waitcnt vmcnt(32) lgkmcnt(0)
	v_fma_f64 v[79:80], v[99:100], v[83:84], v[79:80]
	s_waitcnt vmcnt(27)
	v_fma_f64 v[97:98], v[101:102], v[85:86], v[79:80]
	ds_read_b128 v[79:82], v78 offset:416
	ds_read_b128 v[83:86], v78 offset:432
	;; [unrolled: 19-line block ×4, first 2 shown]
	s_waitcnt vmcnt(26) lgkmcnt(1)
	v_fma_f64 v[79:80], v[121:122], v[79:80], v[87:88]
	s_clause 0x3
	buffer_load_dword v88, off, s[0:3], 0 offset:300
	buffer_load_dword v87, off, s[0:3], 0 offset:296
	;; [unrolled: 1-line block ×4, first 2 shown]
	s_waitcnt vmcnt(29)
	v_fma_f64 v[79:80], v[119:120], v[81:82], v[79:80]
	s_waitcnt vmcnt(28) lgkmcnt(0)
	v_fma_f64 v[79:80], v[117:118], v[83:84], v[79:80]
	s_waitcnt vmcnt(23)
	v_fma_f64 v[89:90], v[89:90], v[85:86], v[79:80]
	ds_read_b128 v[79:82], v78 offset:512
	ds_read_b128 v[83:86], v78 offset:528
	s_waitcnt vmcnt(22) lgkmcnt(1)
	v_fma_f64 v[79:80], v[95:96], v[79:80], v[89:90]
	s_waitcnt vmcnt(21)
	v_fma_f64 v[79:80], v[93:94], v[81:82], v[79:80]
	s_waitcnt vmcnt(20) lgkmcnt(0)
	v_fma_f64 v[79:80], v[91:92], v[83:84], v[79:80]
	s_waitcnt vmcnt(15)
	v_fma_f64 v[89:90], v[97:98], v[85:86], v[79:80]
	ds_read_b128 v[79:82], v78 offset:544
	ds_read_b128 v[83:86], v78 offset:560
	s_waitcnt vmcnt(14) lgkmcnt(1)
	v_fma_f64 v[79:80], v[107:108], v[79:80], v[89:90]
	s_waitcnt vmcnt(13)
	v_fma_f64 v[79:80], v[101:102], v[81:82], v[79:80]
	s_waitcnt vmcnt(12) lgkmcnt(0)
	v_fma_f64 v[79:80], v[99:100], v[83:84], v[79:80]
	s_waitcnt vmcnt(7)
	v_fma_f64 v[89:90], v[103:104], v[85:86], v[79:80]
	ds_read_b128 v[79:82], v78 offset:576
	ds_read_b128 v[83:86], v78 offset:592
	s_waitcnt vmcnt(6) lgkmcnt(1)
	v_fma_f64 v[78:79], v[115:116], v[79:80], v[89:90]
	s_waitcnt vmcnt(5)
	v_fma_f64 v[78:79], v[109:110], v[81:82], v[78:79]
	s_waitcnt vmcnt(4) lgkmcnt(0)
	v_fma_f64 v[78:79], v[105:106], v[83:84], v[78:79]
	s_waitcnt vmcnt(2)
	v_fma_f64 v[78:79], v[87:88], v[85:86], v[78:79]
	s_waitcnt vmcnt(0)
	v_add_f64 v[78:79], v[111:112], -v[78:79]
	buffer_store_dword v79, off, s[0:3], 0 offset:44
	buffer_store_dword v78, off, s[0:3], 0 offset:40
	v_cmpx_lt_u32_e32 4, v0
	s_cbranch_execz .LBB101_229
; %bb.228:
	s_clause 0x1
	buffer_load_dword v78, off, s[0:3], 0 offset:32
	buffer_load_dword v79, off, s[0:3], 0 offset:36
	v_mov_b32_e32 v80, 0
	buffer_store_dword v80, off, s[0:3], 0 offset:32
	buffer_store_dword v80, off, s[0:3], 0 offset:36
	s_waitcnt vmcnt(0)
	ds_write_b64 v77, v[78:79]
.LBB101_229:
	s_or_b32 exec_lo, exec_lo, s4
	s_waitcnt lgkmcnt(0)
	s_waitcnt_vscnt null, 0x0
	s_barrier
	buffer_gl0_inv
	s_clause 0x1c
	buffer_load_dword v87, off, s[0:3], 0 offset:40
	buffer_load_dword v88, off, s[0:3], 0 offset:44
	;; [unrolled: 1-line block ×29, first 2 shown]
	v_mov_b32_e32 v78, 0
	buffer_load_dword v112, off, s[0:3], 0 offset:156
	s_mov_b32 s4, exec_lo
	ds_read2_b64 v[79:82], v78 offset0:43 offset1:44
	ds_read2_b64 v[83:86], v78 offset0:45 offset1:46
	s_waitcnt vmcnt(28) lgkmcnt(1)
	v_fma_f64 v[79:80], v[87:88], v[79:80], 0
	s_clause 0x7
	buffer_load_dword v88, off, s[0:3], 0 offset:164
	buffer_load_dword v117, off, s[0:3], 0 offset:184
	buffer_load_dword v119, off, s[0:3], 0 offset:176
	buffer_load_dword v121, off, s[0:3], 0 offset:168
	buffer_load_dword v87, off, s[0:3], 0 offset:160
	buffer_load_dword v122, off, s[0:3], 0 offset:172
	buffer_load_dword v120, off, s[0:3], 0 offset:180
	buffer_load_dword v118, off, s[0:3], 0 offset:188
	s_waitcnt vmcnt(34)
	v_fma_f64 v[79:80], v[89:90], v[81:82], v[79:80]
	s_waitcnt vmcnt(32) lgkmcnt(0)
	v_fma_f64 v[79:80], v[91:92], v[83:84], v[79:80]
	s_waitcnt vmcnt(30)
	v_fma_f64 v[89:90], v[93:94], v[85:86], v[79:80]
	ds_read2_b64 v[79:82], v78 offset0:47 offset1:48
	ds_read2_b64 v[83:86], v78 offset0:49 offset1:50
	s_waitcnt vmcnt(28) lgkmcnt(1)
	v_fma_f64 v[79:80], v[95:96], v[79:80], v[89:90]
	s_clause 0x7
	buffer_load_dword v90, off, s[0:3], 0 offset:196
	buffer_load_dword v91, off, s[0:3], 0 offset:216
	buffer_load_dword v93, off, s[0:3], 0 offset:208
	buffer_load_dword v95, off, s[0:3], 0 offset:200
	buffer_load_dword v89, off, s[0:3], 0 offset:192
	buffer_load_dword v96, off, s[0:3], 0 offset:204
	buffer_load_dword v94, off, s[0:3], 0 offset:212
	buffer_load_dword v92, off, s[0:3], 0 offset:220
	s_waitcnt vmcnt(34)
	v_fma_f64 v[79:80], v[97:98], v[81:82], v[79:80]
	s_waitcnt vmcnt(32) lgkmcnt(0)
	v_fma_f64 v[79:80], v[99:100], v[83:84], v[79:80]
	s_waitcnt vmcnt(27)
	v_fma_f64 v[97:98], v[101:102], v[85:86], v[79:80]
	ds_read2_b64 v[79:82], v78 offset0:51 offset1:52
	ds_read2_b64 v[83:86], v78 offset0:53 offset1:54
	s_waitcnt vmcnt(26) lgkmcnt(1)
	v_fma_f64 v[79:80], v[107:108], v[79:80], v[97:98]
	s_clause 0x7
	buffer_load_dword v98, off, s[0:3], 0 offset:228
	buffer_load_dword v99, off, s[0:3], 0 offset:248
	buffer_load_dword v101, off, s[0:3], 0 offset:240
	buffer_load_dword v107, off, s[0:3], 0 offset:232
	buffer_load_dword v97, off, s[0:3], 0 offset:224
	buffer_load_dword v108, off, s[0:3], 0 offset:236
	buffer_load_dword v102, off, s[0:3], 0 offset:244
	buffer_load_dword v100, off, s[0:3], 0 offset:252
	s_waitcnt vmcnt(33)
	v_fma_f64 v[79:80], v[105:106], v[81:82], v[79:80]
	s_waitcnt vmcnt(32) lgkmcnt(0)
	v_fma_f64 v[79:80], v[103:104], v[83:84], v[79:80]
	s_waitcnt vmcnt(27)
	v_fma_f64 v[103:104], v[109:110], v[85:86], v[79:80]
	ds_read2_b64 v[79:82], v78 offset0:55 offset1:56
	ds_read2_b64 v[83:86], v78 offset0:57 offset1:58
	s_waitcnt vmcnt(26) lgkmcnt(1)
	v_fma_f64 v[79:80], v[115:116], v[79:80], v[103:104]
	s_clause 0x7
	buffer_load_dword v104, off, s[0:3], 0 offset:260
	buffer_load_dword v105, off, s[0:3], 0 offset:280
	buffer_load_dword v109, off, s[0:3], 0 offset:272
	buffer_load_dword v115, off, s[0:3], 0 offset:264
	buffer_load_dword v103, off, s[0:3], 0 offset:256
	buffer_load_dword v116, off, s[0:3], 0 offset:268
	buffer_load_dword v110, off, s[0:3], 0 offset:276
	buffer_load_dword v106, off, s[0:3], 0 offset:284
	s_waitcnt vmcnt(33)
	v_fma_f64 v[79:80], v[113:114], v[81:82], v[79:80]
	s_waitcnt vmcnt(32) lgkmcnt(0)
	v_fma_f64 v[79:80], v[111:112], v[83:84], v[79:80]
	s_waitcnt vmcnt(27)
	v_fma_f64 v[87:88], v[87:88], v[85:86], v[79:80]
	ds_read2_b64 v[79:82], v78 offset0:59 offset1:60
	ds_read2_b64 v[83:86], v78 offset0:61 offset1:62
	s_waitcnt vmcnt(26) lgkmcnt(1)
	v_fma_f64 v[79:80], v[121:122], v[79:80], v[87:88]
	s_clause 0x5
	buffer_load_dword v88, off, s[0:3], 0 offset:292
	buffer_load_dword v111, off, s[0:3], 0 offset:296
	;; [unrolled: 1-line block ×6, first 2 shown]
	s_waitcnt vmcnt(31)
	v_fma_f64 v[79:80], v[119:120], v[81:82], v[79:80]
	s_waitcnt vmcnt(30) lgkmcnt(0)
	v_fma_f64 v[79:80], v[117:118], v[83:84], v[79:80]
	s_waitcnt vmcnt(25)
	v_fma_f64 v[89:90], v[89:90], v[85:86], v[79:80]
	ds_read2_b64 v[79:82], v78 offset0:63 offset1:64
	ds_read2_b64 v[83:86], v78 offset0:65 offset1:66
	s_waitcnt vmcnt(24) lgkmcnt(1)
	v_fma_f64 v[79:80], v[95:96], v[79:80], v[89:90]
	s_waitcnt vmcnt(23)
	v_fma_f64 v[79:80], v[93:94], v[81:82], v[79:80]
	s_waitcnt vmcnt(22) lgkmcnt(0)
	v_fma_f64 v[79:80], v[91:92], v[83:84], v[79:80]
	s_waitcnt vmcnt(17)
	v_fma_f64 v[89:90], v[97:98], v[85:86], v[79:80]
	ds_read2_b64 v[79:82], v78 offset0:67 offset1:68
	ds_read2_b64 v[83:86], v78 offset0:69 offset1:70
	s_waitcnt vmcnt(16) lgkmcnt(1)
	v_fma_f64 v[79:80], v[107:108], v[79:80], v[89:90]
	;; [unrolled: 10-line block ×3, first 2 shown]
	s_waitcnt vmcnt(7)
	v_fma_f64 v[79:80], v[109:110], v[81:82], v[79:80]
	ds_read_b64 v[81:82], v78 offset:600
	s_waitcnt vmcnt(6) lgkmcnt(1)
	v_fma_f64 v[79:80], v[105:106], v[83:84], v[79:80]
	s_waitcnt vmcnt(3)
	v_fma_f64 v[79:80], v[87:88], v[85:86], v[79:80]
	s_waitcnt vmcnt(2) lgkmcnt(0)
	v_fma_f64 v[79:80], v[111:112], v[81:82], v[79:80]
	s_waitcnt vmcnt(0)
	v_add_f64 v[79:80], v[113:114], -v[79:80]
	buffer_store_dword v80, off, s[0:3], 0 offset:36
	buffer_store_dword v79, off, s[0:3], 0 offset:32
	v_cmpx_lt_u32_e32 3, v0
	s_cbranch_execz .LBB101_231
; %bb.230:
	s_clause 0x1
	buffer_load_dword v79, off, s[0:3], 0 offset:24
	buffer_load_dword v80, off, s[0:3], 0 offset:28
	buffer_store_dword v78, off, s[0:3], 0 offset:24
	buffer_store_dword v78, off, s[0:3], 0 offset:28
	s_waitcnt vmcnt(0)
	ds_write_b64 v77, v[79:80]
.LBB101_231:
	s_or_b32 exec_lo, exec_lo, s4
	s_waitcnt lgkmcnt(0)
	s_waitcnt_vscnt null, 0x0
	s_barrier
	buffer_gl0_inv
	s_clause 0x1c
	buffer_load_dword v87, off, s[0:3], 0 offset:32
	buffer_load_dword v88, off, s[0:3], 0 offset:36
	;; [unrolled: 1-line block ×29, first 2 shown]
	ds_read_b128 v[79:82], v78 offset:336
	ds_read_b128 v[83:86], v78 offset:352
	buffer_load_dword v112, off, s[0:3], 0 offset:148
	s_mov_b32 s4, exec_lo
	s_waitcnt vmcnt(28) lgkmcnt(1)
	v_fma_f64 v[79:80], v[87:88], v[79:80], 0
	s_clause 0x7
	buffer_load_dword v88, off, s[0:3], 0 offset:156
	buffer_load_dword v117, off, s[0:3], 0 offset:176
	buffer_load_dword v119, off, s[0:3], 0 offset:168
	buffer_load_dword v121, off, s[0:3], 0 offset:160
	buffer_load_dword v87, off, s[0:3], 0 offset:152
	buffer_load_dword v122, off, s[0:3], 0 offset:164
	buffer_load_dword v120, off, s[0:3], 0 offset:172
	buffer_load_dword v118, off, s[0:3], 0 offset:180
	s_waitcnt vmcnt(34)
	v_fma_f64 v[79:80], v[89:90], v[81:82], v[79:80]
	s_waitcnt vmcnt(32) lgkmcnt(0)
	v_fma_f64 v[79:80], v[91:92], v[83:84], v[79:80]
	s_waitcnt vmcnt(30)
	v_fma_f64 v[89:90], v[93:94], v[85:86], v[79:80]
	ds_read_b128 v[79:82], v78 offset:368
	ds_read_b128 v[83:86], v78 offset:384
	s_waitcnt vmcnt(28) lgkmcnt(1)
	v_fma_f64 v[79:80], v[95:96], v[79:80], v[89:90]
	s_clause 0x7
	buffer_load_dword v90, off, s[0:3], 0 offset:188
	buffer_load_dword v91, off, s[0:3], 0 offset:208
	buffer_load_dword v93, off, s[0:3], 0 offset:200
	buffer_load_dword v95, off, s[0:3], 0 offset:192
	buffer_load_dword v89, off, s[0:3], 0 offset:184
	buffer_load_dword v96, off, s[0:3], 0 offset:196
	buffer_load_dword v94, off, s[0:3], 0 offset:204
	buffer_load_dword v92, off, s[0:3], 0 offset:212
	s_waitcnt vmcnt(34)
	v_fma_f64 v[79:80], v[97:98], v[81:82], v[79:80]
	s_waitcnt vmcnt(32) lgkmcnt(0)
	v_fma_f64 v[79:80], v[99:100], v[83:84], v[79:80]
	s_waitcnt vmcnt(27)
	v_fma_f64 v[97:98], v[101:102], v[85:86], v[79:80]
	ds_read_b128 v[79:82], v78 offset:400
	ds_read_b128 v[83:86], v78 offset:416
	s_waitcnt vmcnt(26) lgkmcnt(1)
	v_fma_f64 v[79:80], v[107:108], v[79:80], v[97:98]
	s_clause 0x7
	buffer_load_dword v98, off, s[0:3], 0 offset:220
	buffer_load_dword v99, off, s[0:3], 0 offset:240
	buffer_load_dword v101, off, s[0:3], 0 offset:232
	buffer_load_dword v107, off, s[0:3], 0 offset:224
	buffer_load_dword v97, off, s[0:3], 0 offset:216
	buffer_load_dword v108, off, s[0:3], 0 offset:228
	buffer_load_dword v102, off, s[0:3], 0 offset:236
	buffer_load_dword v100, off, s[0:3], 0 offset:244
	s_waitcnt vmcnt(33)
	v_fma_f64 v[79:80], v[105:106], v[81:82], v[79:80]
	s_waitcnt vmcnt(32) lgkmcnt(0)
	v_fma_f64 v[79:80], v[103:104], v[83:84], v[79:80]
	s_waitcnt vmcnt(27)
	v_fma_f64 v[103:104], v[109:110], v[85:86], v[79:80]
	ds_read_b128 v[79:82], v78 offset:432
	ds_read_b128 v[83:86], v78 offset:448
	s_waitcnt vmcnt(26) lgkmcnt(1)
	v_fma_f64 v[79:80], v[115:116], v[79:80], v[103:104]
	s_clause 0x7
	buffer_load_dword v104, off, s[0:3], 0 offset:252
	buffer_load_dword v105, off, s[0:3], 0 offset:272
	buffer_load_dword v109, off, s[0:3], 0 offset:264
	buffer_load_dword v115, off, s[0:3], 0 offset:256
	buffer_load_dword v103, off, s[0:3], 0 offset:248
	buffer_load_dword v116, off, s[0:3], 0 offset:260
	buffer_load_dword v110, off, s[0:3], 0 offset:268
	buffer_load_dword v106, off, s[0:3], 0 offset:276
	s_waitcnt vmcnt(33)
	v_fma_f64 v[79:80], v[113:114], v[81:82], v[79:80]
	s_waitcnt vmcnt(32) lgkmcnt(0)
	v_fma_f64 v[79:80], v[111:112], v[83:84], v[79:80]
	s_waitcnt vmcnt(27)
	v_fma_f64 v[87:88], v[87:88], v[85:86], v[79:80]
	ds_read_b128 v[79:82], v78 offset:464
	ds_read_b128 v[83:86], v78 offset:480
	s_waitcnt vmcnt(26) lgkmcnt(1)
	v_fma_f64 v[79:80], v[121:122], v[79:80], v[87:88]
	s_clause 0x5
	buffer_load_dword v88, off, s[0:3], 0 offset:284
	buffer_load_dword v111, off, s[0:3], 0 offset:296
	;; [unrolled: 1-line block ×6, first 2 shown]
	s_waitcnt vmcnt(31)
	v_fma_f64 v[79:80], v[119:120], v[81:82], v[79:80]
	s_waitcnt vmcnt(30) lgkmcnt(0)
	v_fma_f64 v[79:80], v[117:118], v[83:84], v[79:80]
	s_waitcnt vmcnt(25)
	v_fma_f64 v[89:90], v[89:90], v[85:86], v[79:80]
	ds_read_b128 v[79:82], v78 offset:496
	s_clause 0x1
	buffer_load_dword v117, off, s[0:3], 0 offset:24
	buffer_load_dword v118, off, s[0:3], 0 offset:28
	ds_read_b128 v[83:86], v78 offset:512
	s_waitcnt vmcnt(26) lgkmcnt(1)
	v_fma_f64 v[79:80], v[95:96], v[79:80], v[89:90]
	s_waitcnt vmcnt(25)
	v_fma_f64 v[79:80], v[93:94], v[81:82], v[79:80]
	s_waitcnt vmcnt(24) lgkmcnt(0)
	v_fma_f64 v[79:80], v[91:92], v[83:84], v[79:80]
	s_waitcnt vmcnt(19)
	v_fma_f64 v[89:90], v[97:98], v[85:86], v[79:80]
	ds_read_b128 v[79:82], v78 offset:528
	ds_read_b128 v[83:86], v78 offset:544
	s_waitcnt vmcnt(18) lgkmcnt(1)
	v_fma_f64 v[79:80], v[107:108], v[79:80], v[89:90]
	s_waitcnt vmcnt(17)
	v_fma_f64 v[79:80], v[101:102], v[81:82], v[79:80]
	s_waitcnt vmcnt(16) lgkmcnt(0)
	v_fma_f64 v[79:80], v[99:100], v[83:84], v[79:80]
	s_waitcnt vmcnt(11)
	v_fma_f64 v[89:90], v[103:104], v[85:86], v[79:80]
	ds_read_b128 v[79:82], v78 offset:560
	;; [unrolled: 10-line block ×3, first 2 shown]
	s_waitcnt vmcnt(3) lgkmcnt(0)
	v_fma_f64 v[78:79], v[113:114], v[78:79], v[82:83]
	s_waitcnt vmcnt(2)
	v_fma_f64 v[78:79], v[111:112], v[80:81], v[78:79]
	s_waitcnt vmcnt(0)
	v_add_f64 v[78:79], v[117:118], -v[78:79]
	buffer_store_dword v79, off, s[0:3], 0 offset:28
	buffer_store_dword v78, off, s[0:3], 0 offset:24
	v_cmpx_lt_u32_e32 2, v0
	s_cbranch_execz .LBB101_233
; %bb.232:
	s_clause 0x1
	buffer_load_dword v78, off, s[0:3], 0 offset:16
	buffer_load_dword v79, off, s[0:3], 0 offset:20
	v_mov_b32_e32 v80, 0
	buffer_store_dword v80, off, s[0:3], 0 offset:16
	buffer_store_dword v80, off, s[0:3], 0 offset:20
	s_waitcnt vmcnt(0)
	ds_write_b64 v77, v[78:79]
.LBB101_233:
	s_or_b32 exec_lo, exec_lo, s4
	s_waitcnt lgkmcnt(0)
	s_waitcnt_vscnt null, 0x0
	s_barrier
	buffer_gl0_inv
	s_clause 0x1c
	buffer_load_dword v87, off, s[0:3], 0 offset:24
	buffer_load_dword v88, off, s[0:3], 0 offset:28
	;; [unrolled: 1-line block ×29, first 2 shown]
	v_mov_b32_e32 v78, 0
	buffer_load_dword v112, off, s[0:3], 0 offset:140
	s_mov_b32 s4, exec_lo
	ds_read2_b64 v[79:82], v78 offset0:41 offset1:42
	ds_read2_b64 v[83:86], v78 offset0:43 offset1:44
	s_waitcnt vmcnt(28) lgkmcnt(1)
	v_fma_f64 v[79:80], v[87:88], v[79:80], 0
	s_clause 0x7
	buffer_load_dword v88, off, s[0:3], 0 offset:148
	buffer_load_dword v117, off, s[0:3], 0 offset:168
	buffer_load_dword v119, off, s[0:3], 0 offset:160
	buffer_load_dword v121, off, s[0:3], 0 offset:152
	buffer_load_dword v87, off, s[0:3], 0 offset:144
	buffer_load_dword v122, off, s[0:3], 0 offset:156
	buffer_load_dword v120, off, s[0:3], 0 offset:164
	buffer_load_dword v118, off, s[0:3], 0 offset:172
	s_waitcnt vmcnt(34)
	v_fma_f64 v[79:80], v[89:90], v[81:82], v[79:80]
	s_waitcnt vmcnt(32) lgkmcnt(0)
	v_fma_f64 v[79:80], v[91:92], v[83:84], v[79:80]
	s_waitcnt vmcnt(30)
	v_fma_f64 v[89:90], v[93:94], v[85:86], v[79:80]
	ds_read2_b64 v[79:82], v78 offset0:45 offset1:46
	ds_read2_b64 v[83:86], v78 offset0:47 offset1:48
	s_waitcnt vmcnt(28) lgkmcnt(1)
	v_fma_f64 v[79:80], v[95:96], v[79:80], v[89:90]
	s_clause 0x7
	buffer_load_dword v90, off, s[0:3], 0 offset:180
	buffer_load_dword v91, off, s[0:3], 0 offset:200
	buffer_load_dword v93, off, s[0:3], 0 offset:192
	buffer_load_dword v95, off, s[0:3], 0 offset:184
	buffer_load_dword v89, off, s[0:3], 0 offset:176
	buffer_load_dword v96, off, s[0:3], 0 offset:188
	buffer_load_dword v94, off, s[0:3], 0 offset:196
	buffer_load_dword v92, off, s[0:3], 0 offset:204
	s_waitcnt vmcnt(34)
	v_fma_f64 v[79:80], v[97:98], v[81:82], v[79:80]
	s_waitcnt vmcnt(32) lgkmcnt(0)
	v_fma_f64 v[79:80], v[99:100], v[83:84], v[79:80]
	s_waitcnt vmcnt(27)
	v_fma_f64 v[97:98], v[101:102], v[85:86], v[79:80]
	ds_read2_b64 v[79:82], v78 offset0:49 offset1:50
	ds_read2_b64 v[83:86], v78 offset0:51 offset1:52
	s_waitcnt vmcnt(26) lgkmcnt(1)
	v_fma_f64 v[79:80], v[107:108], v[79:80], v[97:98]
	s_clause 0x7
	buffer_load_dword v98, off, s[0:3], 0 offset:212
	buffer_load_dword v99, off, s[0:3], 0 offset:232
	buffer_load_dword v101, off, s[0:3], 0 offset:224
	buffer_load_dword v107, off, s[0:3], 0 offset:216
	buffer_load_dword v97, off, s[0:3], 0 offset:208
	buffer_load_dword v108, off, s[0:3], 0 offset:220
	buffer_load_dword v102, off, s[0:3], 0 offset:228
	buffer_load_dword v100, off, s[0:3], 0 offset:236
	s_waitcnt vmcnt(33)
	v_fma_f64 v[79:80], v[105:106], v[81:82], v[79:80]
	s_waitcnt vmcnt(32) lgkmcnt(0)
	v_fma_f64 v[79:80], v[103:104], v[83:84], v[79:80]
	s_waitcnt vmcnt(27)
	v_fma_f64 v[103:104], v[109:110], v[85:86], v[79:80]
	ds_read2_b64 v[79:82], v78 offset0:53 offset1:54
	ds_read2_b64 v[83:86], v78 offset0:55 offset1:56
	s_waitcnt vmcnt(26) lgkmcnt(1)
	v_fma_f64 v[79:80], v[115:116], v[79:80], v[103:104]
	s_clause 0x7
	buffer_load_dword v104, off, s[0:3], 0 offset:244
	buffer_load_dword v105, off, s[0:3], 0 offset:264
	buffer_load_dword v109, off, s[0:3], 0 offset:256
	buffer_load_dword v115, off, s[0:3], 0 offset:248
	buffer_load_dword v103, off, s[0:3], 0 offset:240
	buffer_load_dword v116, off, s[0:3], 0 offset:252
	buffer_load_dword v110, off, s[0:3], 0 offset:260
	buffer_load_dword v106, off, s[0:3], 0 offset:268
	s_waitcnt vmcnt(33)
	v_fma_f64 v[79:80], v[113:114], v[81:82], v[79:80]
	s_waitcnt vmcnt(32) lgkmcnt(0)
	v_fma_f64 v[79:80], v[111:112], v[83:84], v[79:80]
	s_waitcnt vmcnt(27)
	v_fma_f64 v[87:88], v[87:88], v[85:86], v[79:80]
	ds_read2_b64 v[79:82], v78 offset0:57 offset1:58
	ds_read2_b64 v[83:86], v78 offset0:59 offset1:60
	s_waitcnt vmcnt(26) lgkmcnt(1)
	v_fma_f64 v[79:80], v[121:122], v[79:80], v[87:88]
	s_clause 0x7
	buffer_load_dword v88, off, s[0:3], 0 offset:276
	buffer_load_dword v111, off, s[0:3], 0 offset:296
	buffer_load_dword v113, off, s[0:3], 0 offset:288
	buffer_load_dword v121, off, s[0:3], 0 offset:280
	buffer_load_dword v87, off, s[0:3], 0 offset:272
	buffer_load_dword v122, off, s[0:3], 0 offset:284
	buffer_load_dword v114, off, s[0:3], 0 offset:292
	buffer_load_dword v112, off, s[0:3], 0 offset:300
	s_waitcnt vmcnt(33)
	v_fma_f64 v[79:80], v[119:120], v[81:82], v[79:80]
	s_waitcnt vmcnt(32) lgkmcnt(0)
	v_fma_f64 v[79:80], v[117:118], v[83:84], v[79:80]
	s_waitcnt vmcnt(27)
	v_fma_f64 v[89:90], v[89:90], v[85:86], v[79:80]
	ds_read2_b64 v[79:82], v78 offset0:61 offset1:62
	ds_read2_b64 v[83:86], v78 offset0:63 offset1:64
	s_waitcnt vmcnt(26) lgkmcnt(1)
	v_fma_f64 v[79:80], v[95:96], v[79:80], v[89:90]
	s_clause 0x1
	buffer_load_dword v89, off, s[0:3], 0 offset:16
	buffer_load_dword v90, off, s[0:3], 0 offset:20
	s_waitcnt vmcnt(27)
	v_fma_f64 v[79:80], v[93:94], v[81:82], v[79:80]
	s_waitcnt vmcnt(26) lgkmcnt(0)
	v_fma_f64 v[79:80], v[91:92], v[83:84], v[79:80]
	s_waitcnt vmcnt(21)
	v_fma_f64 v[91:92], v[97:98], v[85:86], v[79:80]
	ds_read2_b64 v[79:82], v78 offset0:65 offset1:66
	ds_read2_b64 v[83:86], v78 offset0:67 offset1:68
	s_waitcnt vmcnt(20) lgkmcnt(1)
	v_fma_f64 v[79:80], v[107:108], v[79:80], v[91:92]
	s_waitcnt vmcnt(19)
	v_fma_f64 v[79:80], v[101:102], v[81:82], v[79:80]
	s_waitcnt vmcnt(18) lgkmcnt(0)
	v_fma_f64 v[79:80], v[99:100], v[83:84], v[79:80]
	s_waitcnt vmcnt(13)
	v_fma_f64 v[91:92], v[103:104], v[85:86], v[79:80]
	ds_read2_b64 v[79:82], v78 offset0:69 offset1:70
	ds_read2_b64 v[83:86], v78 offset0:71 offset1:72
	s_waitcnt vmcnt(12) lgkmcnt(1)
	v_fma_f64 v[79:80], v[115:116], v[79:80], v[91:92]
	s_waitcnt vmcnt(11)
	v_fma_f64 v[79:80], v[109:110], v[81:82], v[79:80]
	s_waitcnt vmcnt(10) lgkmcnt(0)
	v_fma_f64 v[79:80], v[105:106], v[83:84], v[79:80]
	s_waitcnt vmcnt(5)
	v_fma_f64 v[83:84], v[87:88], v[85:86], v[79:80]
	ds_read2_b64 v[79:82], v78 offset0:73 offset1:74
	ds_read_b64 v[85:86], v78 offset:600
	s_waitcnt vmcnt(4) lgkmcnt(1)
	v_fma_f64 v[79:80], v[121:122], v[79:80], v[83:84]
	s_waitcnt vmcnt(3)
	v_fma_f64 v[79:80], v[113:114], v[81:82], v[79:80]
	s_waitcnt vmcnt(2) lgkmcnt(0)
	v_fma_f64 v[79:80], v[111:112], v[85:86], v[79:80]
	s_waitcnt vmcnt(0)
	v_add_f64 v[79:80], v[89:90], -v[79:80]
	buffer_store_dword v80, off, s[0:3], 0 offset:20
	buffer_store_dword v79, off, s[0:3], 0 offset:16
	v_cmpx_lt_u32_e32 1, v0
	s_cbranch_execz .LBB101_235
; %bb.234:
	s_clause 0x1
	buffer_load_dword v79, off, s[0:3], 0 offset:8
	buffer_load_dword v80, off, s[0:3], 0 offset:12
	buffer_store_dword v78, off, s[0:3], 0 offset:8
	buffer_store_dword v78, off, s[0:3], 0 offset:12
	s_waitcnt vmcnt(0)
	ds_write_b64 v77, v[79:80]
.LBB101_235:
	s_or_b32 exec_lo, exec_lo, s4
	s_waitcnt lgkmcnt(0)
	s_waitcnt_vscnt null, 0x0
	s_barrier
	buffer_gl0_inv
	s_clause 0x1c
	buffer_load_dword v87, off, s[0:3], 0 offset:16
	buffer_load_dword v88, off, s[0:3], 0 offset:20
	;; [unrolled: 1-line block ×29, first 2 shown]
	ds_read_b128 v[79:82], v78 offset:320
	ds_read_b128 v[83:86], v78 offset:336
	buffer_load_dword v112, off, s[0:3], 0 offset:132
	s_mov_b32 s4, exec_lo
	s_waitcnt vmcnt(28) lgkmcnt(1)
	v_fma_f64 v[79:80], v[87:88], v[79:80], 0
	s_clause 0x7
	buffer_load_dword v88, off, s[0:3], 0 offset:140
	buffer_load_dword v117, off, s[0:3], 0 offset:160
	buffer_load_dword v119, off, s[0:3], 0 offset:152
	buffer_load_dword v121, off, s[0:3], 0 offset:144
	buffer_load_dword v87, off, s[0:3], 0 offset:136
	buffer_load_dword v122, off, s[0:3], 0 offset:148
	buffer_load_dword v120, off, s[0:3], 0 offset:156
	buffer_load_dword v118, off, s[0:3], 0 offset:164
	s_waitcnt vmcnt(34)
	v_fma_f64 v[79:80], v[89:90], v[81:82], v[79:80]
	s_waitcnt vmcnt(32) lgkmcnt(0)
	v_fma_f64 v[79:80], v[91:92], v[83:84], v[79:80]
	s_waitcnt vmcnt(30)
	v_fma_f64 v[89:90], v[93:94], v[85:86], v[79:80]
	ds_read_b128 v[79:82], v78 offset:352
	ds_read_b128 v[83:86], v78 offset:368
	s_waitcnt vmcnt(28) lgkmcnt(1)
	v_fma_f64 v[79:80], v[95:96], v[79:80], v[89:90]
	s_clause 0x7
	buffer_load_dword v90, off, s[0:3], 0 offset:172
	buffer_load_dword v91, off, s[0:3], 0 offset:192
	buffer_load_dword v93, off, s[0:3], 0 offset:184
	buffer_load_dword v95, off, s[0:3], 0 offset:176
	buffer_load_dword v89, off, s[0:3], 0 offset:168
	buffer_load_dword v96, off, s[0:3], 0 offset:180
	buffer_load_dword v94, off, s[0:3], 0 offset:188
	buffer_load_dword v92, off, s[0:3], 0 offset:196
	s_waitcnt vmcnt(34)
	v_fma_f64 v[79:80], v[97:98], v[81:82], v[79:80]
	s_waitcnt vmcnt(32) lgkmcnt(0)
	v_fma_f64 v[79:80], v[99:100], v[83:84], v[79:80]
	s_waitcnt vmcnt(27)
	v_fma_f64 v[97:98], v[101:102], v[85:86], v[79:80]
	ds_read_b128 v[79:82], v78 offset:384
	ds_read_b128 v[83:86], v78 offset:400
	;; [unrolled: 19-line block ×5, first 2 shown]
	s_waitcnt vmcnt(26) lgkmcnt(1)
	v_fma_f64 v[79:80], v[95:96], v[79:80], v[89:90]
	s_clause 0x1
	buffer_load_dword v90, off, s[0:3], 0 offset:300
	buffer_load_dword v89, off, s[0:3], 0 offset:296
	s_waitcnt vmcnt(27)
	v_fma_f64 v[79:80], v[93:94], v[81:82], v[79:80]
	s_clause 0x1
	buffer_load_dword v93, off, s[0:3], 0 offset:8
	buffer_load_dword v94, off, s[0:3], 0 offset:12
	s_waitcnt vmcnt(28) lgkmcnt(0)
	v_fma_f64 v[79:80], v[91:92], v[83:84], v[79:80]
	s_waitcnt vmcnt(23)
	v_fma_f64 v[91:92], v[97:98], v[85:86], v[79:80]
	ds_read_b128 v[79:82], v78 offset:512
	ds_read_b128 v[83:86], v78 offset:528
	s_waitcnt vmcnt(22) lgkmcnt(1)
	v_fma_f64 v[79:80], v[107:108], v[79:80], v[91:92]
	s_waitcnt vmcnt(21)
	v_fma_f64 v[79:80], v[101:102], v[81:82], v[79:80]
	s_waitcnt vmcnt(20) lgkmcnt(0)
	v_fma_f64 v[79:80], v[99:100], v[83:84], v[79:80]
	s_waitcnt vmcnt(15)
	v_fma_f64 v[91:92], v[103:104], v[85:86], v[79:80]
	ds_read_b128 v[79:82], v78 offset:544
	ds_read_b128 v[83:86], v78 offset:560
	s_waitcnt vmcnt(14) lgkmcnt(1)
	v_fma_f64 v[79:80], v[115:116], v[79:80], v[91:92]
	s_waitcnt vmcnt(13)
	v_fma_f64 v[79:80], v[109:110], v[81:82], v[79:80]
	;; [unrolled: 10-line block ×3, first 2 shown]
	s_waitcnt vmcnt(4) lgkmcnt(0)
	v_fma_f64 v[78:79], v[111:112], v[83:84], v[78:79]
	s_waitcnt vmcnt(2)
	v_fma_f64 v[78:79], v[89:90], v[85:86], v[78:79]
	s_waitcnt vmcnt(0)
	v_add_f64 v[78:79], v[93:94], -v[78:79]
	buffer_store_dword v79, off, s[0:3], 0 offset:12
	buffer_store_dword v78, off, s[0:3], 0 offset:8
	v_cmpx_ne_u32_e32 0, v0
	s_cbranch_execz .LBB101_237
; %bb.236:
	s_clause 0x1
	buffer_load_dword v78, off, s[0:3], 0
	buffer_load_dword v79, off, s[0:3], 0 offset:4
	v_mov_b32_e32 v0, 0
	buffer_store_dword v0, off, s[0:3], 0
	buffer_store_dword v0, off, s[0:3], 0 offset:4
	s_waitcnt vmcnt(0)
	ds_write_b64 v77, v[78:79]
.LBB101_237:
	s_or_b32 exec_lo, exec_lo, s4
	s_waitcnt lgkmcnt(0)
	s_waitcnt_vscnt null, 0x0
	s_barrier
	buffer_gl0_inv
	s_clause 0x1c
	buffer_load_dword v85, off, s[0:3], 0 offset:8
	buffer_load_dword v86, off, s[0:3], 0 offset:12
	;; [unrolled: 1-line block ×29, first 2 shown]
	v_mov_b32_e32 v0, 0
	buffer_load_dword v110, off, s[0:3], 0 offset:124
	s_and_b32 vcc_lo, exec_lo, s16
	ds_read2_b64 v[77:80], v0 offset0:39 offset1:40
	ds_read2_b64 v[81:84], v0 offset0:41 offset1:42
	s_waitcnt vmcnt(28) lgkmcnt(1)
	v_fma_f64 v[77:78], v[85:86], v[77:78], 0
	s_clause 0x7
	buffer_load_dword v86, off, s[0:3], 0 offset:132
	buffer_load_dword v115, off, s[0:3], 0 offset:152
	buffer_load_dword v117, off, s[0:3], 0 offset:144
	buffer_load_dword v119, off, s[0:3], 0 offset:136
	buffer_load_dword v85, off, s[0:3], 0 offset:128
	buffer_load_dword v120, off, s[0:3], 0 offset:140
	buffer_load_dword v118, off, s[0:3], 0 offset:148
	buffer_load_dword v116, off, s[0:3], 0 offset:156
	s_waitcnt vmcnt(34)
	v_fma_f64 v[77:78], v[87:88], v[79:80], v[77:78]
	s_waitcnt vmcnt(32) lgkmcnt(0)
	v_fma_f64 v[77:78], v[89:90], v[81:82], v[77:78]
	s_waitcnt vmcnt(30)
	v_fma_f64 v[87:88], v[91:92], v[83:84], v[77:78]
	ds_read2_b64 v[77:80], v0 offset0:43 offset1:44
	ds_read2_b64 v[81:84], v0 offset0:45 offset1:46
	s_waitcnt vmcnt(28) lgkmcnt(1)
	v_fma_f64 v[77:78], v[93:94], v[77:78], v[87:88]
	s_clause 0x7
	buffer_load_dword v88, off, s[0:3], 0 offset:164
	buffer_load_dword v89, off, s[0:3], 0 offset:184
	buffer_load_dword v91, off, s[0:3], 0 offset:176
	buffer_load_dword v93, off, s[0:3], 0 offset:168
	buffer_load_dword v87, off, s[0:3], 0 offset:160
	buffer_load_dword v94, off, s[0:3], 0 offset:172
	buffer_load_dword v92, off, s[0:3], 0 offset:180
	buffer_load_dword v90, off, s[0:3], 0 offset:188
	s_waitcnt vmcnt(34)
	v_fma_f64 v[77:78], v[95:96], v[79:80], v[77:78]
	s_waitcnt vmcnt(32) lgkmcnt(0)
	v_fma_f64 v[77:78], v[97:98], v[81:82], v[77:78]
	s_waitcnt vmcnt(27)
	v_fma_f64 v[95:96], v[99:100], v[83:84], v[77:78]
	ds_read2_b64 v[77:80], v0 offset0:47 offset1:48
	ds_read2_b64 v[81:84], v0 offset0:49 offset1:50
	s_waitcnt vmcnt(26) lgkmcnt(1)
	v_fma_f64 v[77:78], v[105:106], v[77:78], v[95:96]
	s_clause 0x7
	buffer_load_dword v96, off, s[0:3], 0 offset:196
	buffer_load_dword v97, off, s[0:3], 0 offset:216
	buffer_load_dword v99, off, s[0:3], 0 offset:208
	buffer_load_dword v105, off, s[0:3], 0 offset:200
	buffer_load_dword v95, off, s[0:3], 0 offset:192
	buffer_load_dword v106, off, s[0:3], 0 offset:204
	buffer_load_dword v100, off, s[0:3], 0 offset:212
	buffer_load_dword v98, off, s[0:3], 0 offset:220
	s_waitcnt vmcnt(33)
	v_fma_f64 v[77:78], v[103:104], v[79:80], v[77:78]
	s_waitcnt vmcnt(32) lgkmcnt(0)
	v_fma_f64 v[77:78], v[101:102], v[81:82], v[77:78]
	s_waitcnt vmcnt(27)
	v_fma_f64 v[101:102], v[107:108], v[83:84], v[77:78]
	ds_read2_b64 v[77:80], v0 offset0:51 offset1:52
	ds_read2_b64 v[81:84], v0 offset0:53 offset1:54
	s_waitcnt vmcnt(26) lgkmcnt(1)
	v_fma_f64 v[77:78], v[113:114], v[77:78], v[101:102]
	s_clause 0x7
	buffer_load_dword v102, off, s[0:3], 0 offset:228
	buffer_load_dword v103, off, s[0:3], 0 offset:248
	buffer_load_dword v107, off, s[0:3], 0 offset:240
	buffer_load_dword v113, off, s[0:3], 0 offset:232
	buffer_load_dword v101, off, s[0:3], 0 offset:224
	buffer_load_dword v114, off, s[0:3], 0 offset:236
	buffer_load_dword v108, off, s[0:3], 0 offset:244
	buffer_load_dword v104, off, s[0:3], 0 offset:252
	s_waitcnt vmcnt(33)
	v_fma_f64 v[77:78], v[111:112], v[79:80], v[77:78]
	s_waitcnt vmcnt(32) lgkmcnt(0)
	v_fma_f64 v[77:78], v[109:110], v[81:82], v[77:78]
	s_waitcnt vmcnt(27)
	v_fma_f64 v[85:86], v[85:86], v[83:84], v[77:78]
	ds_read2_b64 v[77:80], v0 offset0:55 offset1:56
	ds_read2_b64 v[81:84], v0 offset0:57 offset1:58
	s_waitcnt vmcnt(26) lgkmcnt(1)
	v_fma_f64 v[77:78], v[119:120], v[77:78], v[85:86]
	s_clause 0x7
	buffer_load_dword v110, off, s[0:3], 0 offset:260
	buffer_load_dword v111, off, s[0:3], 0 offset:280
	buffer_load_dword v119, off, s[0:3], 0 offset:272
	buffer_load_dword v121, off, s[0:3], 0 offset:264
	buffer_load_dword v109, off, s[0:3], 0 offset:256
	buffer_load_dword v122, off, s[0:3], 0 offset:268
	buffer_load_dword v120, off, s[0:3], 0 offset:276
	buffer_load_dword v112, off, s[0:3], 0 offset:284
	s_waitcnt vmcnt(33)
	v_fma_f64 v[77:78], v[117:118], v[79:80], v[77:78]
	s_waitcnt vmcnt(32) lgkmcnt(0)
	v_fma_f64 v[77:78], v[115:116], v[81:82], v[77:78]
	s_waitcnt vmcnt(27)
	v_fma_f64 v[85:86], v[87:88], v[83:84], v[77:78]
	ds_read2_b64 v[77:80], v0 offset0:59 offset1:60
	ds_read2_b64 v[81:84], v0 offset0:61 offset1:62
	s_waitcnt vmcnt(26) lgkmcnt(1)
	v_fma_f64 v[85:86], v[93:94], v[77:78], v[85:86]
	s_clause 0x3
	buffer_load_dword v78, off, s[0:3], 0 offset:292
	buffer_load_dword v87, off, s[0:3], 0 offset:296
	;; [unrolled: 1-line block ×4, first 2 shown]
	s_waitcnt vmcnt(29)
	v_fma_f64 v[79:80], v[91:92], v[79:80], v[85:86]
	s_waitcnt vmcnt(28) lgkmcnt(0)
	v_fma_f64 v[79:80], v[89:90], v[81:82], v[79:80]
	s_clause 0x1
	buffer_load_dword v89, off, s[0:3], 0
	buffer_load_dword v90, off, s[0:3], 0 offset:4
	s_waitcnt vmcnt(25)
	v_fma_f64 v[91:92], v[95:96], v[83:84], v[79:80]
	ds_read2_b64 v[79:82], v0 offset0:63 offset1:64
	ds_read2_b64 v[83:86], v0 offset0:65 offset1:66
	s_waitcnt vmcnt(24) lgkmcnt(1)
	v_fma_f64 v[79:80], v[105:106], v[79:80], v[91:92]
	s_waitcnt vmcnt(23)
	v_fma_f64 v[79:80], v[99:100], v[81:82], v[79:80]
	s_waitcnt vmcnt(22) lgkmcnt(0)
	v_fma_f64 v[79:80], v[97:98], v[83:84], v[79:80]
	s_waitcnt vmcnt(17)
	v_fma_f64 v[91:92], v[101:102], v[85:86], v[79:80]
	ds_read2_b64 v[79:82], v0 offset0:67 offset1:68
	ds_read2_b64 v[83:86], v0 offset0:69 offset1:70
	s_waitcnt vmcnt(16) lgkmcnt(1)
	v_fma_f64 v[79:80], v[113:114], v[79:80], v[91:92]
	s_waitcnt vmcnt(15)
	v_fma_f64 v[79:80], v[107:108], v[81:82], v[79:80]
	s_waitcnt vmcnt(14) lgkmcnt(0)
	v_fma_f64 v[79:80], v[103:104], v[83:84], v[79:80]
	s_waitcnt vmcnt(9)
	v_fma_f64 v[91:92], v[109:110], v[85:86], v[79:80]
	ds_read2_b64 v[79:82], v0 offset0:71 offset1:72
	ds_read2_b64 v[83:86], v0 offset0:73 offset1:74
	s_waitcnt vmcnt(8) lgkmcnt(1)
	v_fma_f64 v[79:80], v[121:122], v[79:80], v[91:92]
	s_waitcnt vmcnt(7)
	v_fma_f64 v[79:80], v[119:120], v[81:82], v[79:80]
	ds_read_b64 v[81:82], v0 offset:600
	s_waitcnt vmcnt(6) lgkmcnt(1)
	v_fma_f64 v[79:80], v[111:112], v[83:84], v[79:80]
	s_waitcnt vmcnt(3)
	v_fma_f64 v[79:80], v[77:78], v[85:86], v[79:80]
	s_waitcnt vmcnt(2) lgkmcnt(0)
	v_fma_f64 v[79:80], v[87:88], v[81:82], v[79:80]
	s_waitcnt vmcnt(0)
	v_add_f64 v[79:80], v[89:90], -v[79:80]
	buffer_store_dword v80, off, s[0:3], 0 offset:4
	buffer_store_dword v79, off, s[0:3], 0
	s_cbranch_vccz .LBB101_312
; %bb.238:
	global_load_dword v0, v0, s[12:13] offset:144
	s_waitcnt vmcnt(0)
	v_add_nc_u32_e32 v0, -1, v0
	v_cmp_ne_u32_e32 vcc_lo, 36, v0
	s_cbranch_vccz .LBB101_240
; %bb.239:
	v_lshlrev_b32_e32 v0, 3, v0
	s_clause 0x1
	buffer_load_dword v79, v0, s[0:3], 0 offen offset:4
	buffer_load_dword v80, v0, s[0:3], 0 offen
	s_waitcnt vmcnt(1)
	buffer_store_dword v79, off, s[0:3], 0 offset:292
	s_waitcnt vmcnt(0)
	buffer_store_dword v80, off, s[0:3], 0 offset:288
	buffer_store_dword v78, v0, s[0:3], 0 offen offset:4
	buffer_store_dword v77, v0, s[0:3], 0 offen
.LBB101_240:
	v_mov_b32_e32 v0, 0
	global_load_dword v77, v0, s[12:13] offset:140
	s_waitcnt vmcnt(0)
	v_add_nc_u32_e32 v77, -1, v77
	v_cmp_eq_u32_e32 vcc_lo, 35, v77
	s_cbranch_vccnz .LBB101_242
; %bb.241:
	v_lshlrev_b32_e32 v77, 3, v77
	s_clause 0x3
	buffer_load_dword v78, v77, s[0:3], 0 offen
	buffer_load_dword v79, v77, s[0:3], 0 offen offset:4
	buffer_load_dword v80, off, s[0:3], 0 offset:280
	buffer_load_dword v81, off, s[0:3], 0 offset:284
	s_waitcnt vmcnt(3)
	buffer_store_dword v78, off, s[0:3], 0 offset:280
	s_waitcnt vmcnt(2)
	buffer_store_dword v79, off, s[0:3], 0 offset:284
	s_waitcnt vmcnt(1)
	buffer_store_dword v80, v77, s[0:3], 0 offen
	s_waitcnt vmcnt(0)
	buffer_store_dword v81, v77, s[0:3], 0 offen offset:4
.LBB101_242:
	global_load_dword v0, v0, s[12:13] offset:136
	s_waitcnt vmcnt(0)
	v_add_nc_u32_e32 v0, -1, v0
	v_cmp_eq_u32_e32 vcc_lo, 34, v0
	s_cbranch_vccnz .LBB101_244
; %bb.243:
	v_lshlrev_b32_e32 v0, 3, v0
	s_clause 0x3
	buffer_load_dword v77, v0, s[0:3], 0 offen
	buffer_load_dword v78, v0, s[0:3], 0 offen offset:4
	buffer_load_dword v79, off, s[0:3], 0 offset:276
	buffer_load_dword v80, off, s[0:3], 0 offset:272
	s_waitcnt vmcnt(3)
	buffer_store_dword v77, off, s[0:3], 0 offset:272
	s_waitcnt vmcnt(2)
	buffer_store_dword v78, off, s[0:3], 0 offset:276
	s_waitcnt vmcnt(1)
	buffer_store_dword v79, v0, s[0:3], 0 offen offset:4
	s_waitcnt vmcnt(0)
	buffer_store_dword v80, v0, s[0:3], 0 offen
.LBB101_244:
	v_mov_b32_e32 v0, 0
	global_load_dword v77, v0, s[12:13] offset:132
	s_waitcnt vmcnt(0)
	v_add_nc_u32_e32 v77, -1, v77
	v_cmp_eq_u32_e32 vcc_lo, 33, v77
	s_cbranch_vccnz .LBB101_246
; %bb.245:
	v_lshlrev_b32_e32 v77, 3, v77
	s_clause 0x3
	buffer_load_dword v78, v77, s[0:3], 0 offen
	buffer_load_dword v79, v77, s[0:3], 0 offen offset:4
	buffer_load_dword v80, off, s[0:3], 0 offset:264
	buffer_load_dword v81, off, s[0:3], 0 offset:268
	s_waitcnt vmcnt(3)
	buffer_store_dword v78, off, s[0:3], 0 offset:264
	s_waitcnt vmcnt(2)
	buffer_store_dword v79, off, s[0:3], 0 offset:268
	s_waitcnt vmcnt(1)
	buffer_store_dword v80, v77, s[0:3], 0 offen
	s_waitcnt vmcnt(0)
	buffer_store_dword v81, v77, s[0:3], 0 offen offset:4
.LBB101_246:
	global_load_dword v0, v0, s[12:13] offset:128
	s_waitcnt vmcnt(0)
	v_add_nc_u32_e32 v0, -1, v0
	v_cmp_eq_u32_e32 vcc_lo, 32, v0
	s_cbranch_vccnz .LBB101_248
; %bb.247:
	v_lshlrev_b32_e32 v0, 3, v0
	s_clause 0x3
	buffer_load_dword v77, v0, s[0:3], 0 offen
	buffer_load_dword v78, v0, s[0:3], 0 offen offset:4
	buffer_load_dword v79, off, s[0:3], 0 offset:260
	buffer_load_dword v80, off, s[0:3], 0 offset:256
	s_waitcnt vmcnt(3)
	buffer_store_dword v77, off, s[0:3], 0 offset:256
	s_waitcnt vmcnt(2)
	buffer_store_dword v78, off, s[0:3], 0 offset:260
	s_waitcnt vmcnt(1)
	buffer_store_dword v79, v0, s[0:3], 0 offen offset:4
	s_waitcnt vmcnt(0)
	buffer_store_dword v80, v0, s[0:3], 0 offen
.LBB101_248:
	;; [unrolled: 43-line block ×17, first 2 shown]
	v_mov_b32_e32 v0, 0
	global_load_dword v77, v0, s[12:13] offset:4
	s_waitcnt vmcnt(0)
	v_add_nc_u32_e32 v77, -1, v77
	v_cmp_eq_u32_e32 vcc_lo, 1, v77
	s_cbranch_vccnz .LBB101_310
; %bb.309:
	v_lshlrev_b32_e32 v77, 3, v77
	s_clause 0x3
	buffer_load_dword v78, v77, s[0:3], 0 offen
	buffer_load_dword v79, v77, s[0:3], 0 offen offset:4
	buffer_load_dword v80, off, s[0:3], 0 offset:8
	buffer_load_dword v81, off, s[0:3], 0 offset:12
	s_waitcnt vmcnt(3)
	buffer_store_dword v78, off, s[0:3], 0 offset:8
	s_waitcnt vmcnt(2)
	buffer_store_dword v79, off, s[0:3], 0 offset:12
	s_waitcnt vmcnt(1)
	buffer_store_dword v80, v77, s[0:3], 0 offen
	s_waitcnt vmcnt(0)
	buffer_store_dword v81, v77, s[0:3], 0 offen offset:4
.LBB101_310:
	global_load_dword v0, v0, s[12:13]
	s_clause 0x1
	buffer_load_dword v79, off, s[0:3], 0
	buffer_load_dword v80, off, s[0:3], 0 offset:4
	s_waitcnt vmcnt(2)
	v_add_nc_u32_e32 v0, -1, v0
	v_cmp_eq_u32_e32 vcc_lo, 0, v0
	s_cbranch_vccnz .LBB101_312
; %bb.311:
	v_lshlrev_b32_e32 v0, 3, v0
	s_clause 0x1
	buffer_load_dword v77, v0, s[0:3], 0 offen offset:4
	buffer_load_dword v78, v0, s[0:3], 0 offen
	s_waitcnt vmcnt(1)
	buffer_store_dword v77, off, s[0:3], 0 offset:4
	s_waitcnt vmcnt(0)
	buffer_store_dword v78, off, s[0:3], 0
	buffer_store_dword v80, v0, s[0:3], 0 offen offset:4
	buffer_store_dword v79, v0, s[0:3], 0 offen
	s_clause 0x1
	buffer_load_dword v79, off, s[0:3], 0
	buffer_load_dword v80, off, s[0:3], 0 offset:4
.LBB101_312:
	s_waitcnt vmcnt(0)
	flat_store_dwordx2 v[1:2], v[79:80]
	s_clause 0x1
	buffer_load_dword v0, off, s[0:3], 0 offset:8
	buffer_load_dword v1, off, s[0:3], 0 offset:12
	s_waitcnt vmcnt(0)
	flat_store_dwordx2 v[3:4], v[0:1]
	s_clause 0x1
	buffer_load_dword v0, off, s[0:3], 0 offset:16
	buffer_load_dword v1, off, s[0:3], 0 offset:20
	s_waitcnt vmcnt(0)
	flat_store_dwordx2 v[5:6], v[0:1]
	s_clause 0x1
	buffer_load_dword v0, off, s[0:3], 0 offset:24
	buffer_load_dword v1, off, s[0:3], 0 offset:28
	s_waitcnt vmcnt(0)
	flat_store_dwordx2 v[7:8], v[0:1]
	s_clause 0x1
	buffer_load_dword v0, off, s[0:3], 0 offset:32
	buffer_load_dword v1, off, s[0:3], 0 offset:36
	s_waitcnt vmcnt(0)
	flat_store_dwordx2 v[9:10], v[0:1]
	s_clause 0x1
	buffer_load_dword v0, off, s[0:3], 0 offset:40
	buffer_load_dword v1, off, s[0:3], 0 offset:44
	s_waitcnt vmcnt(0)
	flat_store_dwordx2 v[11:12], v[0:1]
	s_clause 0x1
	buffer_load_dword v0, off, s[0:3], 0 offset:48
	buffer_load_dword v1, off, s[0:3], 0 offset:52
	s_waitcnt vmcnt(0)
	flat_store_dwordx2 v[13:14], v[0:1]
	s_clause 0x1
	buffer_load_dword v0, off, s[0:3], 0 offset:56
	buffer_load_dword v1, off, s[0:3], 0 offset:60
	s_waitcnt vmcnt(0)
	flat_store_dwordx2 v[15:16], v[0:1]
	s_clause 0x1
	buffer_load_dword v0, off, s[0:3], 0 offset:64
	buffer_load_dword v1, off, s[0:3], 0 offset:68
	s_waitcnt vmcnt(0)
	flat_store_dwordx2 v[17:18], v[0:1]
	s_clause 0x1
	buffer_load_dword v0, off, s[0:3], 0 offset:72
	buffer_load_dword v1, off, s[0:3], 0 offset:76
	s_waitcnt vmcnt(0)
	flat_store_dwordx2 v[19:20], v[0:1]
	s_clause 0x1
	buffer_load_dword v0, off, s[0:3], 0 offset:80
	buffer_load_dword v1, off, s[0:3], 0 offset:84
	s_waitcnt vmcnt(0)
	flat_store_dwordx2 v[21:22], v[0:1]
	s_clause 0x1
	buffer_load_dword v0, off, s[0:3], 0 offset:88
	buffer_load_dword v1, off, s[0:3], 0 offset:92
	s_waitcnt vmcnt(0)
	flat_store_dwordx2 v[23:24], v[0:1]
	s_clause 0x1
	buffer_load_dword v0, off, s[0:3], 0 offset:96
	buffer_load_dword v1, off, s[0:3], 0 offset:100
	s_waitcnt vmcnt(0)
	flat_store_dwordx2 v[25:26], v[0:1]
	s_clause 0x1
	buffer_load_dword v0, off, s[0:3], 0 offset:104
	buffer_load_dword v1, off, s[0:3], 0 offset:108
	s_waitcnt vmcnt(0)
	flat_store_dwordx2 v[27:28], v[0:1]
	s_clause 0x1
	buffer_load_dword v0, off, s[0:3], 0 offset:112
	buffer_load_dword v1, off, s[0:3], 0 offset:116
	s_waitcnt vmcnt(0)
	flat_store_dwordx2 v[29:30], v[0:1]
	s_clause 0x1
	buffer_load_dword v0, off, s[0:3], 0 offset:120
	buffer_load_dword v1, off, s[0:3], 0 offset:124
	s_waitcnt vmcnt(0)
	flat_store_dwordx2 v[31:32], v[0:1]
	s_clause 0x1
	buffer_load_dword v0, off, s[0:3], 0 offset:128
	buffer_load_dword v1, off, s[0:3], 0 offset:132
	s_waitcnt vmcnt(0)
	flat_store_dwordx2 v[33:34], v[0:1]
	s_clause 0x1
	buffer_load_dword v0, off, s[0:3], 0 offset:136
	buffer_load_dword v1, off, s[0:3], 0 offset:140
	s_waitcnt vmcnt(0)
	flat_store_dwordx2 v[35:36], v[0:1]
	s_clause 0x1
	buffer_load_dword v0, off, s[0:3], 0 offset:144
	buffer_load_dword v1, off, s[0:3], 0 offset:148
	s_waitcnt vmcnt(0)
	flat_store_dwordx2 v[37:38], v[0:1]
	s_clause 0x1
	buffer_load_dword v0, off, s[0:3], 0 offset:152
	buffer_load_dword v1, off, s[0:3], 0 offset:156
	s_waitcnt vmcnt(0)
	flat_store_dwordx2 v[39:40], v[0:1]
	s_clause 0x1
	buffer_load_dword v0, off, s[0:3], 0 offset:160
	buffer_load_dword v1, off, s[0:3], 0 offset:164
	s_waitcnt vmcnt(0)
	flat_store_dwordx2 v[41:42], v[0:1]
	s_clause 0x1
	buffer_load_dword v0, off, s[0:3], 0 offset:168
	buffer_load_dword v1, off, s[0:3], 0 offset:172
	s_waitcnt vmcnt(0)
	flat_store_dwordx2 v[43:44], v[0:1]
	s_clause 0x1
	buffer_load_dword v0, off, s[0:3], 0 offset:176
	buffer_load_dword v1, off, s[0:3], 0 offset:180
	s_waitcnt vmcnt(0)
	flat_store_dwordx2 v[45:46], v[0:1]
	s_clause 0x1
	buffer_load_dword v0, off, s[0:3], 0 offset:184
	buffer_load_dword v1, off, s[0:3], 0 offset:188
	s_waitcnt vmcnt(0)
	flat_store_dwordx2 v[47:48], v[0:1]
	s_clause 0x1
	buffer_load_dword v0, off, s[0:3], 0 offset:192
	buffer_load_dword v1, off, s[0:3], 0 offset:196
	s_waitcnt vmcnt(0)
	flat_store_dwordx2 v[49:50], v[0:1]
	s_clause 0x1
	buffer_load_dword v0, off, s[0:3], 0 offset:200
	buffer_load_dword v1, off, s[0:3], 0 offset:204
	s_waitcnt vmcnt(0)
	flat_store_dwordx2 v[51:52], v[0:1]
	s_clause 0x1
	buffer_load_dword v0, off, s[0:3], 0 offset:208
	buffer_load_dword v1, off, s[0:3], 0 offset:212
	s_waitcnt vmcnt(0)
	flat_store_dwordx2 v[53:54], v[0:1]
	s_clause 0x1
	buffer_load_dword v0, off, s[0:3], 0 offset:216
	buffer_load_dword v1, off, s[0:3], 0 offset:220
	s_waitcnt vmcnt(0)
	flat_store_dwordx2 v[55:56], v[0:1]
	s_clause 0x1
	buffer_load_dword v0, off, s[0:3], 0 offset:224
	buffer_load_dword v1, off, s[0:3], 0 offset:228
	s_waitcnt vmcnt(0)
	flat_store_dwordx2 v[57:58], v[0:1]
	s_clause 0x1
	buffer_load_dword v0, off, s[0:3], 0 offset:232
	buffer_load_dword v1, off, s[0:3], 0 offset:236
	s_waitcnt vmcnt(0)
	flat_store_dwordx2 v[59:60], v[0:1]
	s_clause 0x1
	buffer_load_dword v0, off, s[0:3], 0 offset:240
	buffer_load_dword v1, off, s[0:3], 0 offset:244
	s_waitcnt vmcnt(0)
	flat_store_dwordx2 v[61:62], v[0:1]
	s_clause 0x1
	buffer_load_dword v0, off, s[0:3], 0 offset:248
	buffer_load_dword v1, off, s[0:3], 0 offset:252
	s_waitcnt vmcnt(0)
	flat_store_dwordx2 v[63:64], v[0:1]
	s_clause 0x1
	buffer_load_dword v0, off, s[0:3], 0 offset:256
	buffer_load_dword v1, off, s[0:3], 0 offset:260
	s_waitcnt vmcnt(0)
	flat_store_dwordx2 v[65:66], v[0:1]
	s_clause 0x1
	buffer_load_dword v0, off, s[0:3], 0 offset:264
	buffer_load_dword v1, off, s[0:3], 0 offset:268
	s_waitcnt vmcnt(0)
	flat_store_dwordx2 v[67:68], v[0:1]
	s_clause 0x1
	buffer_load_dword v0, off, s[0:3], 0 offset:272
	buffer_load_dword v1, off, s[0:3], 0 offset:276
	s_waitcnt vmcnt(0)
	flat_store_dwordx2 v[69:70], v[0:1]
	s_clause 0x1
	buffer_load_dword v0, off, s[0:3], 0 offset:280
	buffer_load_dword v1, off, s[0:3], 0 offset:284
	s_waitcnt vmcnt(0)
	flat_store_dwordx2 v[71:72], v[0:1]
	s_clause 0x1
	buffer_load_dword v0, off, s[0:3], 0 offset:288
	buffer_load_dword v1, off, s[0:3], 0 offset:292
	s_waitcnt vmcnt(0)
	flat_store_dwordx2 v[73:74], v[0:1]
	s_clause 0x1
	buffer_load_dword v0, off, s[0:3], 0 offset:296
	buffer_load_dword v1, off, s[0:3], 0 offset:300
	s_waitcnt vmcnt(0)
	flat_store_dwordx2 v[75:76], v[0:1]
	s_endpgm
	.section	.rodata,"a",@progbits
	.p2align	6, 0x0
	.amdhsa_kernel _ZN9rocsolver6v33100L18getri_kernel_smallILi38EdPKPdEEvT1_iilPiilS6_bb
		.amdhsa_group_segment_fixed_size 616
		.amdhsa_private_segment_fixed_size 320
		.amdhsa_kernarg_size 60
		.amdhsa_user_sgpr_count 6
		.amdhsa_user_sgpr_private_segment_buffer 1
		.amdhsa_user_sgpr_dispatch_ptr 0
		.amdhsa_user_sgpr_queue_ptr 0
		.amdhsa_user_sgpr_kernarg_segment_ptr 1
		.amdhsa_user_sgpr_dispatch_id 0
		.amdhsa_user_sgpr_flat_scratch_init 0
		.amdhsa_user_sgpr_private_segment_size 0
		.amdhsa_wavefront_size32 1
		.amdhsa_uses_dynamic_stack 0
		.amdhsa_system_sgpr_private_segment_wavefront_offset 1
		.amdhsa_system_sgpr_workgroup_id_x 1
		.amdhsa_system_sgpr_workgroup_id_y 0
		.amdhsa_system_sgpr_workgroup_id_z 0
		.amdhsa_system_sgpr_workgroup_info 0
		.amdhsa_system_vgpr_workitem_id 0
		.amdhsa_next_free_vgpr 123
		.amdhsa_next_free_sgpr 20
		.amdhsa_reserve_vcc 1
		.amdhsa_reserve_flat_scratch 0
		.amdhsa_float_round_mode_32 0
		.amdhsa_float_round_mode_16_64 0
		.amdhsa_float_denorm_mode_32 3
		.amdhsa_float_denorm_mode_16_64 3
		.amdhsa_dx10_clamp 1
		.amdhsa_ieee_mode 1
		.amdhsa_fp16_overflow 0
		.amdhsa_workgroup_processor_mode 1
		.amdhsa_memory_ordered 1
		.amdhsa_forward_progress 1
		.amdhsa_shared_vgpr_count 0
		.amdhsa_exception_fp_ieee_invalid_op 0
		.amdhsa_exception_fp_denorm_src 0
		.amdhsa_exception_fp_ieee_div_zero 0
		.amdhsa_exception_fp_ieee_overflow 0
		.amdhsa_exception_fp_ieee_underflow 0
		.amdhsa_exception_fp_ieee_inexact 0
		.amdhsa_exception_int_div_zero 0
	.end_amdhsa_kernel
	.section	.text._ZN9rocsolver6v33100L18getri_kernel_smallILi38EdPKPdEEvT1_iilPiilS6_bb,"axG",@progbits,_ZN9rocsolver6v33100L18getri_kernel_smallILi38EdPKPdEEvT1_iilPiilS6_bb,comdat
.Lfunc_end101:
	.size	_ZN9rocsolver6v33100L18getri_kernel_smallILi38EdPKPdEEvT1_iilPiilS6_bb, .Lfunc_end101-_ZN9rocsolver6v33100L18getri_kernel_smallILi38EdPKPdEEvT1_iilPiilS6_bb
                                        ; -- End function
	.set _ZN9rocsolver6v33100L18getri_kernel_smallILi38EdPKPdEEvT1_iilPiilS6_bb.num_vgpr, 123
	.set _ZN9rocsolver6v33100L18getri_kernel_smallILi38EdPKPdEEvT1_iilPiilS6_bb.num_agpr, 0
	.set _ZN9rocsolver6v33100L18getri_kernel_smallILi38EdPKPdEEvT1_iilPiilS6_bb.numbered_sgpr, 20
	.set _ZN9rocsolver6v33100L18getri_kernel_smallILi38EdPKPdEEvT1_iilPiilS6_bb.num_named_barrier, 0
	.set _ZN9rocsolver6v33100L18getri_kernel_smallILi38EdPKPdEEvT1_iilPiilS6_bb.private_seg_size, 320
	.set _ZN9rocsolver6v33100L18getri_kernel_smallILi38EdPKPdEEvT1_iilPiilS6_bb.uses_vcc, 1
	.set _ZN9rocsolver6v33100L18getri_kernel_smallILi38EdPKPdEEvT1_iilPiilS6_bb.uses_flat_scratch, 0
	.set _ZN9rocsolver6v33100L18getri_kernel_smallILi38EdPKPdEEvT1_iilPiilS6_bb.has_dyn_sized_stack, 0
	.set _ZN9rocsolver6v33100L18getri_kernel_smallILi38EdPKPdEEvT1_iilPiilS6_bb.has_recursion, 0
	.set _ZN9rocsolver6v33100L18getri_kernel_smallILi38EdPKPdEEvT1_iilPiilS6_bb.has_indirect_call, 0
	.section	.AMDGPU.csdata,"",@progbits
; Kernel info:
; codeLenInByte = 44416
; TotalNumSgprs: 22
; NumVgprs: 123
; ScratchSize: 320
; MemoryBound: 1
; FloatMode: 240
; IeeeMode: 1
; LDSByteSize: 616 bytes/workgroup (compile time only)
; SGPRBlocks: 0
; VGPRBlocks: 15
; NumSGPRsForWavesPerEU: 22
; NumVGPRsForWavesPerEU: 123
; Occupancy: 8
; WaveLimiterHint : 1
; COMPUTE_PGM_RSRC2:SCRATCH_EN: 1
; COMPUTE_PGM_RSRC2:USER_SGPR: 6
; COMPUTE_PGM_RSRC2:TRAP_HANDLER: 0
; COMPUTE_PGM_RSRC2:TGID_X_EN: 1
; COMPUTE_PGM_RSRC2:TGID_Y_EN: 0
; COMPUTE_PGM_RSRC2:TGID_Z_EN: 0
; COMPUTE_PGM_RSRC2:TIDIG_COMP_CNT: 0
	.section	.text._ZN9rocsolver6v33100L18getri_kernel_smallILi39EdPKPdEEvT1_iilPiilS6_bb,"axG",@progbits,_ZN9rocsolver6v33100L18getri_kernel_smallILi39EdPKPdEEvT1_iilPiilS6_bb,comdat
	.globl	_ZN9rocsolver6v33100L18getri_kernel_smallILi39EdPKPdEEvT1_iilPiilS6_bb ; -- Begin function _ZN9rocsolver6v33100L18getri_kernel_smallILi39EdPKPdEEvT1_iilPiilS6_bb
	.p2align	8
	.type	_ZN9rocsolver6v33100L18getri_kernel_smallILi39EdPKPdEEvT1_iilPiilS6_bb,@function
_ZN9rocsolver6v33100L18getri_kernel_smallILi39EdPKPdEEvT1_iilPiilS6_bb: ; @_ZN9rocsolver6v33100L18getri_kernel_smallILi39EdPKPdEEvT1_iilPiilS6_bb
; %bb.0:
	s_add_u32 s0, s0, s7
	s_addc_u32 s1, s1, 0
	s_mov_b32 s7, exec_lo
	v_cmpx_gt_u32_e32 39, v0
	s_cbranch_execz .LBB102_166
; %bb.1:
	s_clause 0x2
	s_load_dword s17, s[4:5], 0x38
	s_load_dwordx2 s[12:13], s[4:5], 0x0
	s_load_dwordx4 s[8:11], s[4:5], 0x28
	s_waitcnt lgkmcnt(0)
	s_bitcmp1_b32 s17, 8
	s_cselect_b32 s16, -1, 0
	s_ashr_i32 s7, s6, 31
	s_lshl_b64 s[14:15], s[6:7], 3
	s_add_u32 s12, s12, s14
	s_addc_u32 s13, s13, s15
	s_load_dwordx2 s[14:15], s[12:13], 0x0
	s_bfe_u32 s12, s17, 0x10008
	s_cmp_eq_u32 s12, 0
                                        ; implicit-def: $sgpr12_sgpr13
	s_cbranch_scc1 .LBB102_3
; %bb.2:
	s_clause 0x1
	s_load_dword s12, s[4:5], 0x20
	s_load_dwordx2 s[18:19], s[4:5], 0x18
	s_mul_i32 s13, s8, s7
	s_mul_hi_u32 s17, s8, s6
	s_mul_i32 s9, s9, s6
	s_add_i32 s13, s17, s13
	s_mul_i32 s8, s8, s6
	s_add_i32 s9, s13, s9
	s_lshl_b64 s[8:9], s[8:9], 2
	s_waitcnt lgkmcnt(0)
	s_ashr_i32 s13, s12, 31
	s_add_u32 s17, s18, s8
	s_addc_u32 s18, s19, s9
	s_lshl_b64 s[8:9], s[12:13], 2
	s_add_u32 s12, s17, s8
	s_addc_u32 s13, s18, s9
.LBB102_3:
	s_clause 0x1
	s_load_dwordx2 s[8:9], s[4:5], 0x8
	s_load_dword s17, s[4:5], 0x38
	v_lshlrev_b32_e32 v81, 3, v0
	s_waitcnt lgkmcnt(0)
	s_ashr_i32 s5, s8, 31
	s_mov_b32 s4, s8
	v_add3_u32 v9, s9, s9, v0
	s_lshl_b64 s[4:5], s[4:5], 3
	s_add_u32 s4, s14, s4
	s_addc_u32 s5, s15, s5
	v_add_co_u32 v1, s8, s4, v81
	v_add_co_ci_u32_e64 v2, null, s5, 0, s8
	s_mov_b32 s14, s9
	s_ashr_i32 s15, s9, 31
	v_ashrrev_i32_e32 v10, 31, v9
	flat_load_dwordx2 v[5:6], v[1:2]
	s_lshl_b64 s[14:15], s[14:15], 3
	v_add_nc_u32_e32 v12, s9, v9
	v_add_co_u32 v3, vcc_lo, v1, s14
	v_add_co_ci_u32_e64 v4, null, s15, v2, vcc_lo
	v_ashrrev_i32_e32 v13, 31, v12
	s_bitcmp0_b32 s17, 0
	s_waitcnt vmcnt(0) lgkmcnt(0)
	buffer_store_dword v6, off, s[0:3], 0 offset:4
	buffer_store_dword v5, off, s[0:3], 0
	flat_load_dwordx2 v[7:8], v[3:4]
	v_lshlrev_b64 v[5:6], 3, v[9:10]
	s_waitcnt vmcnt(0) lgkmcnt(0)
	buffer_store_dword v8, off, s[0:3], 0 offset:12
	buffer_store_dword v7, off, s[0:3], 0 offset:8
	v_add_co_u32 v5, vcc_lo, s4, v5
	v_add_co_ci_u32_e64 v6, null, s5, v6, vcc_lo
	v_lshlrev_b64 v[7:8], 3, v[12:13]
	flat_load_dwordx2 v[10:11], v[5:6]
	s_waitcnt vmcnt(0) lgkmcnt(0)
	buffer_store_dword v11, off, s[0:3], 0 offset:20
	buffer_store_dword v10, off, s[0:3], 0 offset:16
	v_add_co_u32 v7, vcc_lo, s4, v7
	v_add_co_ci_u32_e64 v8, null, s5, v8, vcc_lo
	v_add_nc_u32_e32 v11, s9, v12
	flat_load_dwordx2 v[13:14], v[7:8]
	s_waitcnt vmcnt(0) lgkmcnt(0)
	buffer_store_dword v14, off, s[0:3], 0 offset:28
	buffer_store_dword v13, off, s[0:3], 0 offset:24
	v_ashrrev_i32_e32 v12, 31, v11
	v_add_nc_u32_e32 v15, s9, v11
	v_lshlrev_b64 v[9:10], 3, v[11:12]
	v_ashrrev_i32_e32 v16, 31, v15
	v_add_nc_u32_e32 v18, s9, v15
	v_add_co_u32 v9, vcc_lo, s4, v9
	v_add_co_ci_u32_e64 v10, null, s5, v10, vcc_lo
	v_lshlrev_b64 v[11:12], 3, v[15:16]
	v_ashrrev_i32_e32 v19, 31, v18
	flat_load_dwordx2 v[13:14], v[9:10]
	s_waitcnt vmcnt(0) lgkmcnt(0)
	buffer_store_dword v14, off, s[0:3], 0 offset:36
	buffer_store_dword v13, off, s[0:3], 0 offset:32
	v_add_co_u32 v11, vcc_lo, s4, v11
	v_add_co_ci_u32_e64 v12, null, s5, v12, vcc_lo
	v_lshlrev_b64 v[13:14], 3, v[18:19]
	flat_load_dwordx2 v[16:17], v[11:12]
	s_waitcnt vmcnt(0) lgkmcnt(0)
	buffer_store_dword v17, off, s[0:3], 0 offset:44
	buffer_store_dword v16, off, s[0:3], 0 offset:40
	v_add_co_u32 v13, vcc_lo, s4, v13
	v_add_co_ci_u32_e64 v14, null, s5, v14, vcc_lo
	v_add_nc_u32_e32 v17, s9, v18
	flat_load_dwordx2 v[19:20], v[13:14]
	s_waitcnt vmcnt(0) lgkmcnt(0)
	buffer_store_dword v20, off, s[0:3], 0 offset:52
	buffer_store_dword v19, off, s[0:3], 0 offset:48
	v_ashrrev_i32_e32 v18, 31, v17
	v_add_nc_u32_e32 v21, s9, v17
	v_lshlrev_b64 v[15:16], 3, v[17:18]
	v_ashrrev_i32_e32 v22, 31, v21
	v_add_nc_u32_e32 v24, s9, v21
	v_add_co_u32 v15, vcc_lo, s4, v15
	v_add_co_ci_u32_e64 v16, null, s5, v16, vcc_lo
	v_lshlrev_b64 v[17:18], 3, v[21:22]
	v_ashrrev_i32_e32 v25, 31, v24
	flat_load_dwordx2 v[19:20], v[15:16]
	;; [unrolled: 27-line block ×11, first 2 shown]
	s_waitcnt vmcnt(0) lgkmcnt(0)
	buffer_store_dword v74, off, s[0:3], 0 offset:276
	buffer_store_dword v73, off, s[0:3], 0 offset:272
	v_add_co_u32 v71, vcc_lo, s4, v71
	v_add_co_ci_u32_e64 v72, null, s5, v72, vcc_lo
	v_lshlrev_b64 v[73:74], 3, v[78:79]
	flat_load_dwordx2 v[76:77], v[71:72]
	s_waitcnt vmcnt(0) lgkmcnt(0)
	buffer_store_dword v77, off, s[0:3], 0 offset:284
	buffer_store_dword v76, off, s[0:3], 0 offset:280
	v_add_co_u32 v73, vcc_lo, s4, v73
	v_add_co_ci_u32_e64 v74, null, s5, v74, vcc_lo
	v_add_nc_u32_e32 v77, s9, v78
	flat_load_dwordx2 v[79:80], v[73:74]
	s_waitcnt vmcnt(0) lgkmcnt(0)
	buffer_store_dword v80, off, s[0:3], 0 offset:292
	buffer_store_dword v79, off, s[0:3], 0 offset:288
	v_ashrrev_i32_e32 v78, 31, v77
	v_lshlrev_b64 v[75:76], 3, v[77:78]
	v_add_nc_u32_e32 v77, s9, v77
	v_add_co_u32 v75, vcc_lo, s4, v75
	v_add_co_ci_u32_e64 v76, null, s5, v76, vcc_lo
	v_ashrrev_i32_e32 v78, 31, v77
	flat_load_dwordx2 v[79:80], v[75:76]
	s_waitcnt vmcnt(0) lgkmcnt(0)
	buffer_store_dword v80, off, s[0:3], 0 offset:300
	buffer_store_dword v79, off, s[0:3], 0 offset:296
	v_lshlrev_b64 v[77:78], 3, v[77:78]
	v_add_co_u32 v77, vcc_lo, s4, v77
	v_add_co_ci_u32_e64 v78, null, s5, v78, vcc_lo
	s_mov_b32 s5, -1
	flat_load_dwordx2 v[79:80], v[77:78]
	s_waitcnt vmcnt(0) lgkmcnt(0)
	buffer_store_dword v80, off, s[0:3], 0 offset:308
	buffer_store_dword v79, off, s[0:3], 0 offset:304
	s_cbranch_scc1 .LBB102_164
; %bb.4:
	v_cmp_eq_u32_e64 s4, 0, v0
	s_and_saveexec_b32 s5, s4
; %bb.5:
	v_mov_b32_e32 v79, 0
	ds_write_b32 v79, v79 offset:312
; %bb.6:
	s_or_b32 exec_lo, exec_lo, s5
	v_lshl_add_u32 v79, v0, 3, 0
	s_waitcnt lgkmcnt(0)
	s_waitcnt_vscnt null, 0x0
	s_barrier
	buffer_gl0_inv
	s_mov_b32 s8, exec_lo
	s_clause 0x1
	buffer_load_dword v82, v79, s[0:3], 0 offen
	buffer_load_dword v83, v79, s[0:3], 0 offen offset:4
	s_waitcnt vmcnt(0)
	v_cmpx_eq_f64_e32 0, v[82:83]
	s_cbranch_execz .LBB102_10
; %bb.7:
	v_mov_b32_e32 v80, 0
	s_mov_b32 s9, 0
	ds_read_b32 v82, v80 offset:312
	s_waitcnt lgkmcnt(0)
	v_readfirstlane_b32 s5, v82
	v_add_nc_u32_e32 v82, 1, v0
	s_cmp_eq_u32 s5, 0
	v_cmp_gt_i32_e32 vcc_lo, s5, v82
	s_cselect_b32 s14, -1, 0
	s_or_b32 s14, s14, vcc_lo
	s_and_b32 exec_lo, exec_lo, s14
	s_cbranch_execz .LBB102_10
; %bb.8:
	v_mov_b32_e32 v83, s5
.LBB102_9:                              ; =>This Inner Loop Header: Depth=1
	ds_cmpst_rtn_b32 v83, v80, v83, v82 offset:312
	s_waitcnt lgkmcnt(0)
	v_cmp_ne_u32_e32 vcc_lo, 0, v83
	v_cmp_le_i32_e64 s5, v83, v82
	s_and_b32 s5, vcc_lo, s5
	s_and_b32 s5, exec_lo, s5
	s_or_b32 s9, s5, s9
	s_andn2_b32 exec_lo, exec_lo, s9
	s_cbranch_execnz .LBB102_9
.LBB102_10:
	s_or_b32 exec_lo, exec_lo, s8
	v_mov_b32_e32 v80, 0
	s_barrier
	buffer_gl0_inv
	ds_read_b32 v82, v80 offset:312
	s_and_saveexec_b32 s5, s4
	s_cbranch_execz .LBB102_12
; %bb.11:
	s_lshl_b64 s[8:9], s[6:7], 2
	s_add_u32 s8, s10, s8
	s_addc_u32 s9, s11, s9
	s_waitcnt lgkmcnt(0)
	global_store_dword v80, v82, s[8:9]
.LBB102_12:
	s_or_b32 exec_lo, exec_lo, s5
	s_waitcnt lgkmcnt(0)
	v_cmp_ne_u32_e32 vcc_lo, 0, v82
	s_mov_b32 s5, 0
	s_cbranch_vccnz .LBB102_164
; %bb.13:
	s_clause 0x1
	buffer_load_dword v82, v79, s[0:3], 0 offen
	buffer_load_dword v83, v79, s[0:3], 0 offen offset:4
	s_waitcnt vmcnt(0)
	v_div_scale_f64 v[84:85], null, v[82:83], v[82:83], 1.0
	v_div_scale_f64 v[90:91], vcc_lo, 1.0, v[82:83], 1.0
	v_rcp_f64_e32 v[86:87], v[84:85]
	v_fma_f64 v[88:89], -v[84:85], v[86:87], 1.0
	v_fma_f64 v[86:87], v[86:87], v[88:89], v[86:87]
	v_fma_f64 v[88:89], -v[84:85], v[86:87], 1.0
	v_fma_f64 v[86:87], v[86:87], v[88:89], v[86:87]
	v_mul_f64 v[88:89], v[90:91], v[86:87]
	v_fma_f64 v[84:85], -v[84:85], v[88:89], v[90:91]
	v_div_fmas_f64 v[84:85], v[84:85], v[86:87], v[88:89]
	v_div_fixup_f64 v[83:84], v[84:85], v[82:83], 1.0
	v_add_nc_u32_e32 v82, 0x140, v81
	buffer_store_dword v84, v79, s[0:3], 0 offen offset:4
	buffer_store_dword v83, v79, s[0:3], 0 offen
	s_clause 0x1
	buffer_load_dword v86, off, s[0:3], 0 offset:12
	buffer_load_dword v85, off, s[0:3], 0 offset:8
	v_xor_b32_e32 v84, 0x80000000, v84
	s_waitcnt vmcnt(0)
	ds_write2_b64 v81, v[83:84], v[85:86] offset1:40
	s_waitcnt lgkmcnt(0)
	s_waitcnt_vscnt null, 0x0
	s_barrier
	buffer_gl0_inv
	s_and_saveexec_b32 s5, s4
	s_cbranch_execz .LBB102_15
; %bb.14:
	s_clause 0x1
	buffer_load_dword v83, v79, s[0:3], 0 offen
	buffer_load_dword v84, v79, s[0:3], 0 offen offset:4
	ds_read_b64 v[85:86], v82
	v_mov_b32_e32 v80, 0
	ds_read_b64 v[87:88], v80 offset:8
	s_waitcnt vmcnt(0) lgkmcnt(1)
	v_fma_f64 v[83:84], v[83:84], v[85:86], 0
	s_waitcnt lgkmcnt(0)
	v_mul_f64 v[83:84], v[83:84], v[87:88]
	buffer_store_dword v83, off, s[0:3], 0 offset:8
	buffer_store_dword v84, off, s[0:3], 0 offset:12
.LBB102_15:
	s_or_b32 exec_lo, exec_lo, s5
	s_waitcnt_vscnt null, 0x0
	s_barrier
	buffer_gl0_inv
	s_clause 0x1
	buffer_load_dword v83, off, s[0:3], 0 offset:16
	buffer_load_dword v84, off, s[0:3], 0 offset:20
	s_mov_b32 s5, exec_lo
	s_waitcnt vmcnt(0)
	ds_write_b64 v82, v[83:84]
	s_waitcnt lgkmcnt(0)
	s_barrier
	buffer_gl0_inv
	v_cmpx_gt_u32_e32 2, v0
	s_cbranch_execz .LBB102_19
; %bb.16:
	s_clause 0x1
	buffer_load_dword v83, v79, s[0:3], 0 offen
	buffer_load_dword v84, v79, s[0:3], 0 offen offset:4
	ds_read_b64 v[79:80], v82
	s_waitcnt vmcnt(0) lgkmcnt(0)
	v_fma_f64 v[79:80], v[83:84], v[79:80], 0
	s_and_saveexec_b32 s8, s4
	s_cbranch_execz .LBB102_18
; %bb.17:
	s_clause 0x1
	buffer_load_dword v83, off, s[0:3], 0 offset:8
	buffer_load_dword v84, off, s[0:3], 0 offset:12
	v_mov_b32_e32 v85, 0
	ds_read_b64 v[85:86], v85 offset:328
	s_waitcnt vmcnt(0) lgkmcnt(0)
	v_fma_f64 v[79:80], v[83:84], v[85:86], v[79:80]
.LBB102_18:
	s_or_b32 exec_lo, exec_lo, s8
	v_mov_b32_e32 v83, 0
	ds_read_b64 v[83:84], v83 offset:16
	s_waitcnt lgkmcnt(0)
	v_mul_f64 v[79:80], v[79:80], v[83:84]
	buffer_store_dword v80, off, s[0:3], 0 offset:20
	buffer_store_dword v79, off, s[0:3], 0 offset:16
.LBB102_19:
	s_or_b32 exec_lo, exec_lo, s5
	s_waitcnt_vscnt null, 0x0
	s_barrier
	buffer_gl0_inv
	s_clause 0x1
	buffer_load_dword v79, off, s[0:3], 0 offset:24
	buffer_load_dword v80, off, s[0:3], 0 offset:28
	v_add_nc_u32_e32 v83, -1, v0
	s_mov_b32 s4, exec_lo
	s_waitcnt vmcnt(0)
	ds_write_b64 v82, v[79:80]
	s_waitcnt lgkmcnt(0)
	s_barrier
	buffer_gl0_inv
	v_cmpx_gt_u32_e32 3, v0
	s_cbranch_execz .LBB102_23
; %bb.20:
	v_mov_b32_e32 v79, 0
	v_add_nc_u32_e32 v84, -1, v0
	v_add_nc_u32_e32 v85, 0x140, v81
	v_mov_b32_e32 v80, 0
	v_mov_b32_e32 v86, v81
	s_mov_b32 s5, 0
.LBB102_21:                             ; =>This Inner Loop Header: Depth=1
	s_clause 0x1
	buffer_load_dword v87, v86, s[0:3], 0 offen
	buffer_load_dword v88, v86, s[0:3], 0 offen offset:4
	ds_read_b64 v[89:90], v85
	v_add_nc_u32_e32 v84, 1, v84
	v_add_nc_u32_e32 v85, 8, v85
	v_add_nc_u32_e32 v86, 8, v86
	v_cmp_lt_u32_e32 vcc_lo, 1, v84
	s_or_b32 s5, vcc_lo, s5
	s_waitcnt vmcnt(0) lgkmcnt(0)
	v_fma_f64 v[79:80], v[87:88], v[89:90], v[79:80]
	s_andn2_b32 exec_lo, exec_lo, s5
	s_cbranch_execnz .LBB102_21
; %bb.22:
	s_or_b32 exec_lo, exec_lo, s5
	v_mov_b32_e32 v84, 0
	ds_read_b64 v[84:85], v84 offset:24
	s_waitcnt lgkmcnt(0)
	v_mul_f64 v[79:80], v[79:80], v[84:85]
	buffer_store_dword v80, off, s[0:3], 0 offset:28
	buffer_store_dword v79, off, s[0:3], 0 offset:24
.LBB102_23:
	s_or_b32 exec_lo, exec_lo, s4
	s_waitcnt_vscnt null, 0x0
	s_barrier
	buffer_gl0_inv
	s_clause 0x1
	buffer_load_dword v79, off, s[0:3], 0 offset:32
	buffer_load_dword v80, off, s[0:3], 0 offset:36
	s_mov_b32 s4, exec_lo
	s_waitcnt vmcnt(0)
	ds_write_b64 v82, v[79:80]
	s_waitcnt lgkmcnt(0)
	s_barrier
	buffer_gl0_inv
	v_cmpx_gt_u32_e32 4, v0
	s_cbranch_execz .LBB102_27
; %bb.24:
	v_mov_b32_e32 v79, 0
	v_add_nc_u32_e32 v84, -1, v0
	v_add_nc_u32_e32 v85, 0x140, v81
	v_mov_b32_e32 v80, 0
	v_mov_b32_e32 v86, v81
	s_mov_b32 s5, 0
.LBB102_25:                             ; =>This Inner Loop Header: Depth=1
	s_clause 0x1
	buffer_load_dword v87, v86, s[0:3], 0 offen
	buffer_load_dword v88, v86, s[0:3], 0 offen offset:4
	ds_read_b64 v[89:90], v85
	v_add_nc_u32_e32 v84, 1, v84
	v_add_nc_u32_e32 v85, 8, v85
	v_add_nc_u32_e32 v86, 8, v86
	v_cmp_lt_u32_e32 vcc_lo, 2, v84
	s_or_b32 s5, vcc_lo, s5
	s_waitcnt vmcnt(0) lgkmcnt(0)
	v_fma_f64 v[79:80], v[87:88], v[89:90], v[79:80]
	s_andn2_b32 exec_lo, exec_lo, s5
	s_cbranch_execnz .LBB102_25
; %bb.26:
	s_or_b32 exec_lo, exec_lo, s5
	v_mov_b32_e32 v84, 0
	ds_read_b64 v[84:85], v84 offset:32
	s_waitcnt lgkmcnt(0)
	v_mul_f64 v[79:80], v[79:80], v[84:85]
	buffer_store_dword v80, off, s[0:3], 0 offset:36
	buffer_store_dword v79, off, s[0:3], 0 offset:32
.LBB102_27:
	s_or_b32 exec_lo, exec_lo, s4
	s_waitcnt_vscnt null, 0x0
	s_barrier
	buffer_gl0_inv
	s_clause 0x1
	buffer_load_dword v79, off, s[0:3], 0 offset:40
	buffer_load_dword v80, off, s[0:3], 0 offset:44
	;; [unrolled: 45-line block ×20, first 2 shown]
	s_mov_b32 s4, exec_lo
	s_waitcnt vmcnt(0)
	ds_write_b64 v82, v[79:80]
	s_waitcnt lgkmcnt(0)
	s_barrier
	buffer_gl0_inv
	v_cmpx_gt_u32_e32 23, v0
	s_cbranch_execz .LBB102_103
; %bb.100:
	v_mov_b32_e32 v79, 0
	v_add_nc_u32_e32 v84, -1, v0
	v_add_nc_u32_e32 v85, 0x140, v81
	v_mov_b32_e32 v80, 0
	v_mov_b32_e32 v86, v81
	s_mov_b32 s5, 0
.LBB102_101:                            ; =>This Inner Loop Header: Depth=1
	s_clause 0x1
	buffer_load_dword v87, v86, s[0:3], 0 offen
	buffer_load_dword v88, v86, s[0:3], 0 offen offset:4
	ds_read_b64 v[89:90], v85
	v_add_nc_u32_e32 v84, 1, v84
	v_add_nc_u32_e32 v85, 8, v85
	v_add_nc_u32_e32 v86, 8, v86
	v_cmp_lt_u32_e32 vcc_lo, 21, v84
	s_or_b32 s5, vcc_lo, s5
	s_waitcnt vmcnt(0) lgkmcnt(0)
	v_fma_f64 v[79:80], v[87:88], v[89:90], v[79:80]
	s_andn2_b32 exec_lo, exec_lo, s5
	s_cbranch_execnz .LBB102_101
; %bb.102:
	s_or_b32 exec_lo, exec_lo, s5
	v_mov_b32_e32 v84, 0
	ds_read_b64 v[84:85], v84 offset:184
	s_waitcnt lgkmcnt(0)
	v_mul_f64 v[79:80], v[79:80], v[84:85]
	buffer_store_dword v80, off, s[0:3], 0 offset:188
	buffer_store_dword v79, off, s[0:3], 0 offset:184
.LBB102_103:
	s_or_b32 exec_lo, exec_lo, s4
	s_waitcnt_vscnt null, 0x0
	s_barrier
	buffer_gl0_inv
	s_clause 0x1
	buffer_load_dword v79, off, s[0:3], 0 offset:192
	buffer_load_dword v80, off, s[0:3], 0 offset:196
	s_mov_b32 s4, exec_lo
	s_waitcnt vmcnt(0)
	ds_write_b64 v82, v[79:80]
	s_waitcnt lgkmcnt(0)
	s_barrier
	buffer_gl0_inv
	v_cmpx_gt_u32_e32 24, v0
	s_cbranch_execz .LBB102_107
; %bb.104:
	v_mov_b32_e32 v79, 0
	v_add_nc_u32_e32 v84, -1, v0
	v_add_nc_u32_e32 v85, 0x140, v81
	v_mov_b32_e32 v80, 0
	v_mov_b32_e32 v86, v81
	s_mov_b32 s5, 0
.LBB102_105:                            ; =>This Inner Loop Header: Depth=1
	s_clause 0x1
	buffer_load_dword v87, v86, s[0:3], 0 offen
	buffer_load_dword v88, v86, s[0:3], 0 offen offset:4
	ds_read_b64 v[89:90], v85
	v_add_nc_u32_e32 v84, 1, v84
	v_add_nc_u32_e32 v85, 8, v85
	v_add_nc_u32_e32 v86, 8, v86
	v_cmp_lt_u32_e32 vcc_lo, 22, v84
	s_or_b32 s5, vcc_lo, s5
	s_waitcnt vmcnt(0) lgkmcnt(0)
	v_fma_f64 v[79:80], v[87:88], v[89:90], v[79:80]
	s_andn2_b32 exec_lo, exec_lo, s5
	s_cbranch_execnz .LBB102_105
; %bb.106:
	s_or_b32 exec_lo, exec_lo, s5
	v_mov_b32_e32 v84, 0
	ds_read_b64 v[84:85], v84 offset:192
	s_waitcnt lgkmcnt(0)
	v_mul_f64 v[79:80], v[79:80], v[84:85]
	buffer_store_dword v80, off, s[0:3], 0 offset:196
	buffer_store_dword v79, off, s[0:3], 0 offset:192
.LBB102_107:
	s_or_b32 exec_lo, exec_lo, s4
	s_waitcnt_vscnt null, 0x0
	s_barrier
	buffer_gl0_inv
	s_clause 0x1
	buffer_load_dword v79, off, s[0:3], 0 offset:200
	buffer_load_dword v80, off, s[0:3], 0 offset:204
	;; [unrolled: 45-line block ×15, first 2 shown]
	s_mov_b32 s4, exec_lo
	s_waitcnt vmcnt(0)
	ds_write_b64 v82, v[79:80]
	s_waitcnt lgkmcnt(0)
	s_barrier
	buffer_gl0_inv
	v_cmpx_ne_u32_e32 38, v0
	s_cbranch_execz .LBB102_163
; %bb.160:
	v_mov_b32_e32 v79, 0
	v_mov_b32_e32 v80, 0
	s_mov_b32 s5, 0
.LBB102_161:                            ; =>This Inner Loop Header: Depth=1
	s_clause 0x1
	buffer_load_dword v84, v81, s[0:3], 0 offen
	buffer_load_dword v85, v81, s[0:3], 0 offen offset:4
	ds_read_b64 v[86:87], v82
	v_add_nc_u32_e32 v83, 1, v83
	v_add_nc_u32_e32 v82, 8, v82
	;; [unrolled: 1-line block ×3, first 2 shown]
	v_cmp_lt_u32_e32 vcc_lo, 36, v83
	s_or_b32 s5, vcc_lo, s5
	s_waitcnt vmcnt(0) lgkmcnt(0)
	v_fma_f64 v[79:80], v[84:85], v[86:87], v[79:80]
	s_andn2_b32 exec_lo, exec_lo, s5
	s_cbranch_execnz .LBB102_161
; %bb.162:
	s_or_b32 exec_lo, exec_lo, s5
	v_mov_b32_e32 v81, 0
	ds_read_b64 v[81:82], v81 offset:304
	s_waitcnt lgkmcnt(0)
	v_mul_f64 v[79:80], v[79:80], v[81:82]
	buffer_store_dword v80, off, s[0:3], 0 offset:308
	buffer_store_dword v79, off, s[0:3], 0 offset:304
.LBB102_163:
	s_or_b32 exec_lo, exec_lo, s4
	s_mov_b32 s5, -1
	s_waitcnt_vscnt null, 0x0
	s_barrier
	buffer_gl0_inv
.LBB102_164:
	s_and_b32 vcc_lo, exec_lo, s5
	s_cbranch_vccz .LBB102_166
; %bb.165:
	s_lshl_b64 s[4:5], s[6:7], 2
	v_mov_b32_e32 v79, 0
	s_add_u32 s4, s10, s4
	s_addc_u32 s5, s11, s5
	global_load_dword v79, v79, s[4:5]
	s_waitcnt vmcnt(0)
	v_cmp_ne_u32_e32 vcc_lo, 0, v79
	s_cbranch_vccz .LBB102_167
.LBB102_166:
	s_endpgm
.LBB102_167:
	v_lshl_add_u32 v79, v0, 3, 0x140
	s_mov_b32 s4, exec_lo
	v_cmpx_eq_u32_e32 38, v0
	s_cbranch_execz .LBB102_169
; %bb.168:
	s_clause 0x1
	buffer_load_dword v80, off, s[0:3], 0 offset:296
	buffer_load_dword v81, off, s[0:3], 0 offset:300
	v_mov_b32_e32 v82, 0
	buffer_store_dword v82, off, s[0:3], 0 offset:296
	buffer_store_dword v82, off, s[0:3], 0 offset:300
	s_waitcnt vmcnt(0)
	ds_write_b64 v79, v[80:81]
.LBB102_169:
	s_or_b32 exec_lo, exec_lo, s4
	s_waitcnt lgkmcnt(0)
	s_waitcnt_vscnt null, 0x0
	s_barrier
	buffer_gl0_inv
	s_clause 0x3
	buffer_load_dword v81, off, s[0:3], 0 offset:304
	buffer_load_dword v82, off, s[0:3], 0 offset:308
	;; [unrolled: 1-line block ×4, first 2 shown]
	v_mov_b32_e32 v80, 0
	s_mov_b32 s4, exec_lo
	ds_read_b64 v[85:86], v80 offset:624
	s_waitcnt vmcnt(2) lgkmcnt(0)
	v_fma_f64 v[81:82], v[81:82], v[85:86], 0
	s_waitcnt vmcnt(0)
	v_add_f64 v[81:82], v[83:84], -v[81:82]
	buffer_store_dword v81, off, s[0:3], 0 offset:296
	buffer_store_dword v82, off, s[0:3], 0 offset:300
	v_cmpx_lt_u32_e32 36, v0
	s_cbranch_execz .LBB102_171
; %bb.170:
	s_clause 0x1
	buffer_load_dword v81, off, s[0:3], 0 offset:288
	buffer_load_dword v82, off, s[0:3], 0 offset:292
	buffer_store_dword v80, off, s[0:3], 0 offset:288
	buffer_store_dword v80, off, s[0:3], 0 offset:292
	s_waitcnt vmcnt(0)
	ds_write_b64 v79, v[81:82]
.LBB102_171:
	s_or_b32 exec_lo, exec_lo, s4
	s_waitcnt lgkmcnt(0)
	s_waitcnt_vscnt null, 0x0
	s_barrier
	buffer_gl0_inv
	s_clause 0x5
	buffer_load_dword v84, off, s[0:3], 0 offset:296
	buffer_load_dword v85, off, s[0:3], 0 offset:300
	;; [unrolled: 1-line block ×6, first 2 shown]
	ds_read2_b64 v[80:83], v80 offset0:77 offset1:78
	s_mov_b32 s4, exec_lo
	s_waitcnt vmcnt(4) lgkmcnt(0)
	v_fma_f64 v[80:81], v[84:85], v[80:81], 0
	s_waitcnt vmcnt(2)
	v_fma_f64 v[80:81], v[86:87], v[82:83], v[80:81]
	s_waitcnt vmcnt(0)
	v_add_f64 v[80:81], v[88:89], -v[80:81]
	buffer_store_dword v80, off, s[0:3], 0 offset:288
	buffer_store_dword v81, off, s[0:3], 0 offset:292
	v_cmpx_lt_u32_e32 35, v0
	s_cbranch_execz .LBB102_173
; %bb.172:
	s_clause 0x1
	buffer_load_dword v80, off, s[0:3], 0 offset:280
	buffer_load_dword v81, off, s[0:3], 0 offset:284
	v_mov_b32_e32 v82, 0
	buffer_store_dword v82, off, s[0:3], 0 offset:280
	buffer_store_dword v82, off, s[0:3], 0 offset:284
	s_waitcnt vmcnt(0)
	ds_write_b64 v79, v[80:81]
.LBB102_173:
	s_or_b32 exec_lo, exec_lo, s4
	s_waitcnt lgkmcnt(0)
	s_waitcnt_vscnt null, 0x0
	s_barrier
	buffer_gl0_inv
	s_clause 0x7
	buffer_load_dword v85, off, s[0:3], 0 offset:288
	buffer_load_dword v86, off, s[0:3], 0 offset:292
	;; [unrolled: 1-line block ×8, first 2 shown]
	v_mov_b32_e32 v80, 0
	ds_read_b128 v[81:84], v80 offset:608
	ds_read_b64 v[93:94], v80 offset:624
	s_mov_b32 s4, exec_lo
	s_waitcnt vmcnt(6) lgkmcnt(1)
	v_fma_f64 v[81:82], v[85:86], v[81:82], 0
	s_waitcnt vmcnt(4)
	v_fma_f64 v[81:82], v[87:88], v[83:84], v[81:82]
	s_waitcnt vmcnt(2) lgkmcnt(0)
	v_fma_f64 v[81:82], v[89:90], v[93:94], v[81:82]
	s_waitcnt vmcnt(0)
	v_add_f64 v[81:82], v[91:92], -v[81:82]
	buffer_store_dword v81, off, s[0:3], 0 offset:280
	buffer_store_dword v82, off, s[0:3], 0 offset:284
	v_cmpx_lt_u32_e32 34, v0
	s_cbranch_execz .LBB102_175
; %bb.174:
	s_clause 0x1
	buffer_load_dword v81, off, s[0:3], 0 offset:272
	buffer_load_dword v82, off, s[0:3], 0 offset:276
	buffer_store_dword v80, off, s[0:3], 0 offset:272
	buffer_store_dword v80, off, s[0:3], 0 offset:276
	s_waitcnt vmcnt(0)
	ds_write_b64 v79, v[81:82]
.LBB102_175:
	s_or_b32 exec_lo, exec_lo, s4
	s_waitcnt lgkmcnt(0)
	s_waitcnt_vscnt null, 0x0
	s_barrier
	buffer_gl0_inv
	s_clause 0x9
	buffer_load_dword v89, off, s[0:3], 0 offset:280
	buffer_load_dword v90, off, s[0:3], 0 offset:284
	;; [unrolled: 1-line block ×10, first 2 shown]
	ds_read2_b64 v[81:84], v80 offset0:75 offset1:76
	ds_read2_b64 v[85:88], v80 offset0:77 offset1:78
	s_mov_b32 s4, exec_lo
	s_waitcnt vmcnt(8) lgkmcnt(1)
	v_fma_f64 v[80:81], v[89:90], v[81:82], 0
	s_waitcnt vmcnt(6)
	v_fma_f64 v[80:81], v[91:92], v[83:84], v[80:81]
	s_waitcnt vmcnt(4) lgkmcnt(0)
	v_fma_f64 v[80:81], v[93:94], v[85:86], v[80:81]
	s_waitcnt vmcnt(2)
	v_fma_f64 v[80:81], v[95:96], v[87:88], v[80:81]
	s_waitcnt vmcnt(0)
	v_add_f64 v[80:81], v[97:98], -v[80:81]
	buffer_store_dword v80, off, s[0:3], 0 offset:272
	buffer_store_dword v81, off, s[0:3], 0 offset:276
	v_cmpx_lt_u32_e32 33, v0
	s_cbranch_execz .LBB102_177
; %bb.176:
	s_clause 0x1
	buffer_load_dword v80, off, s[0:3], 0 offset:264
	buffer_load_dword v81, off, s[0:3], 0 offset:268
	v_mov_b32_e32 v82, 0
	buffer_store_dword v82, off, s[0:3], 0 offset:264
	buffer_store_dword v82, off, s[0:3], 0 offset:268
	s_waitcnt vmcnt(0)
	ds_write_b64 v79, v[80:81]
.LBB102_177:
	s_or_b32 exec_lo, exec_lo, s4
	s_waitcnt lgkmcnt(0)
	s_waitcnt_vscnt null, 0x0
	s_barrier
	buffer_gl0_inv
	s_clause 0xb
	buffer_load_dword v89, off, s[0:3], 0 offset:272
	buffer_load_dword v90, off, s[0:3], 0 offset:276
	;; [unrolled: 1-line block ×12, first 2 shown]
	v_mov_b32_e32 v80, 0
	ds_read_b128 v[81:84], v80 offset:592
	ds_read_b128 v[85:88], v80 offset:608
	s_mov_b32 s4, exec_lo
	s_waitcnt vmcnt(10) lgkmcnt(1)
	v_fma_f64 v[81:82], v[89:90], v[81:82], 0
	s_waitcnt vmcnt(8)
	v_fma_f64 v[81:82], v[91:92], v[83:84], v[81:82]
	ds_read_b64 v[83:84], v80 offset:624
	s_waitcnt vmcnt(6) lgkmcnt(1)
	v_fma_f64 v[81:82], v[93:94], v[85:86], v[81:82]
	s_waitcnt vmcnt(4)
	v_fma_f64 v[81:82], v[95:96], v[87:88], v[81:82]
	s_waitcnt vmcnt(2) lgkmcnt(0)
	v_fma_f64 v[81:82], v[97:98], v[83:84], v[81:82]
	s_waitcnt vmcnt(0)
	v_add_f64 v[81:82], v[99:100], -v[81:82]
	buffer_store_dword v81, off, s[0:3], 0 offset:264
	buffer_store_dword v82, off, s[0:3], 0 offset:268
	v_cmpx_lt_u32_e32 32, v0
	s_cbranch_execz .LBB102_179
; %bb.178:
	s_clause 0x1
	buffer_load_dword v81, off, s[0:3], 0 offset:256
	buffer_load_dword v82, off, s[0:3], 0 offset:260
	buffer_store_dword v80, off, s[0:3], 0 offset:256
	buffer_store_dword v80, off, s[0:3], 0 offset:260
	s_waitcnt vmcnt(0)
	ds_write_b64 v79, v[81:82]
.LBB102_179:
	s_or_b32 exec_lo, exec_lo, s4
	s_waitcnt lgkmcnt(0)
	s_waitcnt_vscnt null, 0x0
	s_barrier
	buffer_gl0_inv
	s_clause 0xd
	buffer_load_dword v89, off, s[0:3], 0 offset:264
	buffer_load_dword v90, off, s[0:3], 0 offset:268
	;; [unrolled: 1-line block ×14, first 2 shown]
	ds_read2_b64 v[81:84], v80 offset0:73 offset1:74
	ds_read2_b64 v[85:88], v80 offset0:75 offset1:76
	s_mov_b32 s4, exec_lo
	s_waitcnt vmcnt(12) lgkmcnt(1)
	v_fma_f64 v[81:82], v[89:90], v[81:82], 0
	s_waitcnt vmcnt(10)
	v_fma_f64 v[81:82], v[91:92], v[83:84], v[81:82]
	s_waitcnt vmcnt(8) lgkmcnt(0)
	v_fma_f64 v[81:82], v[93:94], v[85:86], v[81:82]
	s_waitcnt vmcnt(6)
	v_fma_f64 v[84:85], v[95:96], v[87:88], v[81:82]
	ds_read2_b64 v[80:83], v80 offset0:77 offset1:78
	s_waitcnt vmcnt(4) lgkmcnt(0)
	v_fma_f64 v[80:81], v[97:98], v[80:81], v[84:85]
	s_waitcnt vmcnt(2)
	v_fma_f64 v[80:81], v[99:100], v[82:83], v[80:81]
	s_waitcnt vmcnt(0)
	v_add_f64 v[80:81], v[101:102], -v[80:81]
	buffer_store_dword v80, off, s[0:3], 0 offset:256
	buffer_store_dword v81, off, s[0:3], 0 offset:260
	v_cmpx_lt_u32_e32 31, v0
	s_cbranch_execz .LBB102_181
; %bb.180:
	s_clause 0x1
	buffer_load_dword v80, off, s[0:3], 0 offset:248
	buffer_load_dword v81, off, s[0:3], 0 offset:252
	v_mov_b32_e32 v82, 0
	buffer_store_dword v82, off, s[0:3], 0 offset:248
	buffer_store_dword v82, off, s[0:3], 0 offset:252
	s_waitcnt vmcnt(0)
	ds_write_b64 v79, v[80:81]
.LBB102_181:
	s_or_b32 exec_lo, exec_lo, s4
	s_waitcnt lgkmcnt(0)
	s_waitcnt_vscnt null, 0x0
	s_barrier
	buffer_gl0_inv
	s_clause 0xf
	buffer_load_dword v89, off, s[0:3], 0 offset:256
	buffer_load_dword v90, off, s[0:3], 0 offset:260
	;; [unrolled: 1-line block ×16, first 2 shown]
	v_mov_b32_e32 v80, 0
	ds_read_b128 v[81:84], v80 offset:576
	ds_read_b128 v[85:88], v80 offset:592
	s_mov_b32 s4, exec_lo
	s_waitcnt vmcnt(14) lgkmcnt(1)
	v_fma_f64 v[81:82], v[89:90], v[81:82], 0
	s_waitcnt vmcnt(12)
	v_fma_f64 v[81:82], v[91:92], v[83:84], v[81:82]
	s_waitcnt vmcnt(10) lgkmcnt(0)
	v_fma_f64 v[81:82], v[93:94], v[85:86], v[81:82]
	s_waitcnt vmcnt(8)
	v_fma_f64 v[85:86], v[95:96], v[87:88], v[81:82]
	ds_read_b128 v[81:84], v80 offset:608
	ds_read_b64 v[87:88], v80 offset:624
	s_waitcnt vmcnt(6) lgkmcnt(1)
	v_fma_f64 v[81:82], v[97:98], v[81:82], v[85:86]
	s_waitcnt vmcnt(4)
	v_fma_f64 v[81:82], v[99:100], v[83:84], v[81:82]
	s_waitcnt vmcnt(2) lgkmcnt(0)
	v_fma_f64 v[81:82], v[101:102], v[87:88], v[81:82]
	s_waitcnt vmcnt(0)
	v_add_f64 v[81:82], v[103:104], -v[81:82]
	buffer_store_dword v81, off, s[0:3], 0 offset:248
	buffer_store_dword v82, off, s[0:3], 0 offset:252
	v_cmpx_lt_u32_e32 30, v0
	s_cbranch_execz .LBB102_183
; %bb.182:
	s_clause 0x1
	buffer_load_dword v81, off, s[0:3], 0 offset:240
	buffer_load_dword v82, off, s[0:3], 0 offset:244
	buffer_store_dword v80, off, s[0:3], 0 offset:240
	buffer_store_dword v80, off, s[0:3], 0 offset:244
	s_waitcnt vmcnt(0)
	ds_write_b64 v79, v[81:82]
.LBB102_183:
	s_or_b32 exec_lo, exec_lo, s4
	s_waitcnt lgkmcnt(0)
	s_waitcnt_vscnt null, 0x0
	s_barrier
	buffer_gl0_inv
	s_clause 0x11
	buffer_load_dword v89, off, s[0:3], 0 offset:248
	buffer_load_dword v90, off, s[0:3], 0 offset:252
	;; [unrolled: 1-line block ×18, first 2 shown]
	ds_read2_b64 v[81:84], v80 offset0:71 offset1:72
	ds_read2_b64 v[85:88], v80 offset0:73 offset1:74
	s_mov_b32 s4, exec_lo
	s_waitcnt vmcnt(16) lgkmcnt(1)
	v_fma_f64 v[81:82], v[89:90], v[81:82], 0
	s_waitcnt vmcnt(14)
	v_fma_f64 v[81:82], v[91:92], v[83:84], v[81:82]
	s_waitcnt vmcnt(12) lgkmcnt(0)
	v_fma_f64 v[81:82], v[93:94], v[85:86], v[81:82]
	s_waitcnt vmcnt(10)
	v_fma_f64 v[89:90], v[95:96], v[87:88], v[81:82]
	ds_read2_b64 v[81:84], v80 offset0:75 offset1:76
	ds_read2_b64 v[85:88], v80 offset0:77 offset1:78
	s_waitcnt vmcnt(8) lgkmcnt(1)
	v_fma_f64 v[80:81], v[97:98], v[81:82], v[89:90]
	s_waitcnt vmcnt(6)
	v_fma_f64 v[80:81], v[99:100], v[83:84], v[80:81]
	s_waitcnt vmcnt(4) lgkmcnt(0)
	v_fma_f64 v[80:81], v[101:102], v[85:86], v[80:81]
	s_waitcnt vmcnt(2)
	v_fma_f64 v[80:81], v[103:104], v[87:88], v[80:81]
	s_waitcnt vmcnt(0)
	v_add_f64 v[80:81], v[105:106], -v[80:81]
	buffer_store_dword v80, off, s[0:3], 0 offset:240
	buffer_store_dword v81, off, s[0:3], 0 offset:244
	v_cmpx_lt_u32_e32 29, v0
	s_cbranch_execz .LBB102_185
; %bb.184:
	s_clause 0x1
	buffer_load_dword v80, off, s[0:3], 0 offset:232
	buffer_load_dword v81, off, s[0:3], 0 offset:236
	v_mov_b32_e32 v82, 0
	buffer_store_dword v82, off, s[0:3], 0 offset:232
	buffer_store_dword v82, off, s[0:3], 0 offset:236
	s_waitcnt vmcnt(0)
	ds_write_b64 v79, v[80:81]
.LBB102_185:
	s_or_b32 exec_lo, exec_lo, s4
	s_waitcnt lgkmcnt(0)
	s_waitcnt_vscnt null, 0x0
	s_barrier
	buffer_gl0_inv
	s_clause 0x13
	buffer_load_dword v89, off, s[0:3], 0 offset:240
	buffer_load_dword v90, off, s[0:3], 0 offset:244
	;; [unrolled: 1-line block ×20, first 2 shown]
	v_mov_b32_e32 v80, 0
	ds_read_b128 v[81:84], v80 offset:560
	ds_read_b128 v[85:88], v80 offset:576
	s_mov_b32 s4, exec_lo
	s_waitcnt vmcnt(18) lgkmcnt(1)
	v_fma_f64 v[81:82], v[89:90], v[81:82], 0
	s_waitcnt vmcnt(16)
	v_fma_f64 v[81:82], v[91:92], v[83:84], v[81:82]
	s_waitcnt vmcnt(14) lgkmcnt(0)
	v_fma_f64 v[81:82], v[93:94], v[85:86], v[81:82]
	s_waitcnt vmcnt(12)
	v_fma_f64 v[89:90], v[95:96], v[87:88], v[81:82]
	ds_read_b128 v[81:84], v80 offset:592
	ds_read_b128 v[85:88], v80 offset:608
	s_waitcnt vmcnt(10) lgkmcnt(1)
	v_fma_f64 v[81:82], v[97:98], v[81:82], v[89:90]
	s_waitcnt vmcnt(8)
	v_fma_f64 v[81:82], v[99:100], v[83:84], v[81:82]
	ds_read_b64 v[83:84], v80 offset:624
	s_waitcnt vmcnt(6) lgkmcnt(1)
	v_fma_f64 v[81:82], v[101:102], v[85:86], v[81:82]
	s_waitcnt vmcnt(3)
	v_fma_f64 v[81:82], v[103:104], v[87:88], v[81:82]
	s_waitcnt vmcnt(2) lgkmcnt(0)
	v_fma_f64 v[81:82], v[105:106], v[83:84], v[81:82]
	s_waitcnt vmcnt(0)
	v_add_f64 v[81:82], v[107:108], -v[81:82]
	buffer_store_dword v81, off, s[0:3], 0 offset:232
	buffer_store_dword v82, off, s[0:3], 0 offset:236
	v_cmpx_lt_u32_e32 28, v0
	s_cbranch_execz .LBB102_187
; %bb.186:
	s_clause 0x1
	buffer_load_dword v81, off, s[0:3], 0 offset:224
	buffer_load_dword v82, off, s[0:3], 0 offset:228
	buffer_store_dword v80, off, s[0:3], 0 offset:224
	buffer_store_dword v80, off, s[0:3], 0 offset:228
	s_waitcnt vmcnt(0)
	ds_write_b64 v79, v[81:82]
.LBB102_187:
	s_or_b32 exec_lo, exec_lo, s4
	s_waitcnt lgkmcnt(0)
	s_waitcnt_vscnt null, 0x0
	s_barrier
	buffer_gl0_inv
	s_clause 0x15
	buffer_load_dword v85, off, s[0:3], 0 offset:232
	buffer_load_dword v86, off, s[0:3], 0 offset:236
	;; [unrolled: 1-line block ×22, first 2 shown]
	ds_read2_b64 v[81:84], v80 offset0:69 offset1:70
	s_mov_b32 s4, exec_lo
	s_waitcnt vmcnt(20) lgkmcnt(0)
	v_fma_f64 v[81:82], v[85:86], v[81:82], 0
	s_waitcnt vmcnt(18)
	v_fma_f64 v[85:86], v[87:88], v[83:84], v[81:82]
	ds_read2_b64 v[81:84], v80 offset0:71 offset1:72
	s_waitcnt vmcnt(16) lgkmcnt(0)
	v_fma_f64 v[81:82], v[89:90], v[81:82], v[85:86]
	s_waitcnt vmcnt(14)
	v_fma_f64 v[85:86], v[91:92], v[83:84], v[81:82]
	ds_read2_b64 v[81:84], v80 offset0:73 offset1:74
	;; [unrolled: 5-line block ×4, first 2 shown]
	s_waitcnt vmcnt(4) lgkmcnt(0)
	v_fma_f64 v[80:81], v[101:102], v[80:81], v[84:85]
	s_waitcnt vmcnt(2)
	v_fma_f64 v[80:81], v[103:104], v[82:83], v[80:81]
	s_waitcnt vmcnt(0)
	v_add_f64 v[80:81], v[105:106], -v[80:81]
	buffer_store_dword v80, off, s[0:3], 0 offset:224
	buffer_store_dword v81, off, s[0:3], 0 offset:228
	v_cmpx_lt_u32_e32 27, v0
	s_cbranch_execz .LBB102_189
; %bb.188:
	s_clause 0x1
	buffer_load_dword v80, off, s[0:3], 0 offset:216
	buffer_load_dword v81, off, s[0:3], 0 offset:220
	v_mov_b32_e32 v82, 0
	buffer_store_dword v82, off, s[0:3], 0 offset:216
	buffer_store_dword v82, off, s[0:3], 0 offset:220
	s_waitcnt vmcnt(0)
	ds_write_b64 v79, v[80:81]
.LBB102_189:
	s_or_b32 exec_lo, exec_lo, s4
	s_waitcnt lgkmcnt(0)
	s_waitcnt_vscnt null, 0x0
	s_barrier
	buffer_gl0_inv
	s_clause 0x17
	buffer_load_dword v85, off, s[0:3], 0 offset:224
	buffer_load_dword v86, off, s[0:3], 0 offset:228
	;; [unrolled: 1-line block ×24, first 2 shown]
	v_mov_b32_e32 v80, 0
	s_mov_b32 s4, exec_lo
	ds_read_b128 v[81:84], v80 offset:544
	s_waitcnt vmcnt(22) lgkmcnt(0)
	v_fma_f64 v[81:82], v[85:86], v[81:82], 0
	s_waitcnt vmcnt(20)
	v_fma_f64 v[85:86], v[87:88], v[83:84], v[81:82]
	ds_read_b128 v[81:84], v80 offset:560
	s_waitcnt vmcnt(18) lgkmcnt(0)
	v_fma_f64 v[81:82], v[89:90], v[81:82], v[85:86]
	s_waitcnt vmcnt(16)
	v_fma_f64 v[85:86], v[91:92], v[83:84], v[81:82]
	;; [unrolled: 5-line block ×5, first 2 shown]
	ds_read_b64 v[83:84], v80 offset:624
	s_waitcnt vmcnt(2) lgkmcnt(0)
	v_fma_f64 v[81:82], v[105:106], v[83:84], v[81:82]
	s_waitcnt vmcnt(0)
	v_add_f64 v[81:82], v[107:108], -v[81:82]
	buffer_store_dword v82, off, s[0:3], 0 offset:220
	buffer_store_dword v81, off, s[0:3], 0 offset:216
	v_cmpx_lt_u32_e32 26, v0
	s_cbranch_execz .LBB102_191
; %bb.190:
	s_clause 0x1
	buffer_load_dword v81, off, s[0:3], 0 offset:208
	buffer_load_dword v82, off, s[0:3], 0 offset:212
	buffer_store_dword v80, off, s[0:3], 0 offset:208
	buffer_store_dword v80, off, s[0:3], 0 offset:212
	s_waitcnt vmcnt(0)
	ds_write_b64 v79, v[81:82]
.LBB102_191:
	s_or_b32 exec_lo, exec_lo, s4
	s_waitcnt lgkmcnt(0)
	s_waitcnt_vscnt null, 0x0
	s_barrier
	buffer_gl0_inv
	s_clause 0x19
	buffer_load_dword v85, off, s[0:3], 0 offset:216
	buffer_load_dword v86, off, s[0:3], 0 offset:220
	;; [unrolled: 1-line block ×26, first 2 shown]
	ds_read2_b64 v[81:84], v80 offset0:67 offset1:68
	s_mov_b32 s4, exec_lo
	s_waitcnt vmcnt(24) lgkmcnt(0)
	v_fma_f64 v[81:82], v[85:86], v[81:82], 0
	s_waitcnt vmcnt(22)
	v_fma_f64 v[85:86], v[87:88], v[83:84], v[81:82]
	ds_read2_b64 v[81:84], v80 offset0:69 offset1:70
	s_waitcnt vmcnt(20) lgkmcnt(0)
	v_fma_f64 v[81:82], v[89:90], v[81:82], v[85:86]
	s_waitcnt vmcnt(18)
	v_fma_f64 v[85:86], v[91:92], v[83:84], v[81:82]
	ds_read2_b64 v[81:84], v80 offset0:71 offset1:72
	;; [unrolled: 5-line block ×5, first 2 shown]
	s_waitcnt vmcnt(4) lgkmcnt(0)
	v_fma_f64 v[80:81], v[105:106], v[80:81], v[84:85]
	s_waitcnt vmcnt(2)
	v_fma_f64 v[80:81], v[107:108], v[82:83], v[80:81]
	s_waitcnt vmcnt(0)
	v_add_f64 v[80:81], v[109:110], -v[80:81]
	buffer_store_dword v81, off, s[0:3], 0 offset:212
	buffer_store_dword v80, off, s[0:3], 0 offset:208
	v_cmpx_lt_u32_e32 25, v0
	s_cbranch_execz .LBB102_193
; %bb.192:
	s_clause 0x1
	buffer_load_dword v80, off, s[0:3], 0 offset:200
	buffer_load_dword v81, off, s[0:3], 0 offset:204
	v_mov_b32_e32 v82, 0
	buffer_store_dword v82, off, s[0:3], 0 offset:200
	buffer_store_dword v82, off, s[0:3], 0 offset:204
	s_waitcnt vmcnt(0)
	ds_write_b64 v79, v[80:81]
.LBB102_193:
	s_or_b32 exec_lo, exec_lo, s4
	s_waitcnt lgkmcnt(0)
	s_waitcnt_vscnt null, 0x0
	s_barrier
	buffer_gl0_inv
	s_clause 0x1b
	buffer_load_dword v89, off, s[0:3], 0 offset:208
	buffer_load_dword v90, off, s[0:3], 0 offset:212
	;; [unrolled: 1-line block ×28, first 2 shown]
	v_mov_b32_e32 v80, 0
	ds_read_b128 v[81:84], v80 offset:528
	ds_read_b128 v[85:88], v80 offset:544
	s_mov_b32 s4, exec_lo
	s_waitcnt vmcnt(26) lgkmcnt(1)
	v_fma_f64 v[81:82], v[89:90], v[81:82], 0
	s_waitcnt vmcnt(24)
	v_fma_f64 v[81:82], v[91:92], v[83:84], v[81:82]
	s_waitcnt vmcnt(22) lgkmcnt(0)
	v_fma_f64 v[81:82], v[93:94], v[85:86], v[81:82]
	s_waitcnt vmcnt(20)
	v_fma_f64 v[89:90], v[95:96], v[87:88], v[81:82]
	ds_read_b128 v[81:84], v80 offset:560
	ds_read_b128 v[85:88], v80 offset:576
	s_waitcnt vmcnt(18) lgkmcnt(1)
	v_fma_f64 v[81:82], v[97:98], v[81:82], v[89:90]
	s_waitcnt vmcnt(16)
	v_fma_f64 v[81:82], v[99:100], v[83:84], v[81:82]
	s_waitcnt vmcnt(14) lgkmcnt(0)
	v_fma_f64 v[81:82], v[101:102], v[85:86], v[81:82]
	s_waitcnt vmcnt(9)
	v_fma_f64 v[89:90], v[103:104], v[87:88], v[81:82]
	ds_read_b128 v[81:84], v80 offset:592
	ds_read_b128 v[85:88], v80 offset:608
	s_waitcnt vmcnt(8) lgkmcnt(1)
	v_fma_f64 v[81:82], v[109:110], v[81:82], v[89:90]
	s_waitcnt vmcnt(7)
	v_fma_f64 v[81:82], v[107:108], v[83:84], v[81:82]
	ds_read_b64 v[83:84], v80 offset:624
	s_waitcnt vmcnt(6) lgkmcnt(1)
	v_fma_f64 v[81:82], v[105:106], v[85:86], v[81:82]
	s_waitcnt vmcnt(3)
	v_fma_f64 v[81:82], v[111:112], v[87:88], v[81:82]
	s_waitcnt vmcnt(2) lgkmcnt(0)
	v_fma_f64 v[81:82], v[113:114], v[83:84], v[81:82]
	s_waitcnt vmcnt(0)
	v_add_f64 v[81:82], v[115:116], -v[81:82]
	buffer_store_dword v82, off, s[0:3], 0 offset:204
	buffer_store_dword v81, off, s[0:3], 0 offset:200
	v_cmpx_lt_u32_e32 24, v0
	s_cbranch_execz .LBB102_195
; %bb.194:
	s_clause 0x1
	buffer_load_dword v81, off, s[0:3], 0 offset:192
	buffer_load_dword v82, off, s[0:3], 0 offset:196
	buffer_store_dword v80, off, s[0:3], 0 offset:192
	buffer_store_dword v80, off, s[0:3], 0 offset:196
	s_waitcnt vmcnt(0)
	ds_write_b64 v79, v[81:82]
.LBB102_195:
	s_or_b32 exec_lo, exec_lo, s4
	s_waitcnt lgkmcnt(0)
	s_waitcnt_vscnt null, 0x0
	s_barrier
	buffer_gl0_inv
	s_clause 0x1b
	buffer_load_dword v89, off, s[0:3], 0 offset:200
	buffer_load_dword v90, off, s[0:3], 0 offset:204
	;; [unrolled: 1-line block ×28, first 2 shown]
	ds_read2_b64 v[81:84], v80 offset0:65 offset1:66
	s_clause 0x1
	buffer_load_dword v117, off, s[0:3], 0 offset:192
	buffer_load_dword v118, off, s[0:3], 0 offset:196
	ds_read2_b64 v[85:88], v80 offset0:67 offset1:68
	s_mov_b32 s4, exec_lo
	s_waitcnt vmcnt(28) lgkmcnt(1)
	v_fma_f64 v[81:82], v[89:90], v[81:82], 0
	s_waitcnt vmcnt(26)
	v_fma_f64 v[81:82], v[91:92], v[83:84], v[81:82]
	s_waitcnt vmcnt(24) lgkmcnt(0)
	v_fma_f64 v[81:82], v[93:94], v[85:86], v[81:82]
	s_waitcnt vmcnt(22)
	v_fma_f64 v[89:90], v[95:96], v[87:88], v[81:82]
	ds_read2_b64 v[81:84], v80 offset0:69 offset1:70
	ds_read2_b64 v[85:88], v80 offset0:71 offset1:72
	s_waitcnt vmcnt(20) lgkmcnt(1)
	v_fma_f64 v[81:82], v[97:98], v[81:82], v[89:90]
	s_waitcnt vmcnt(18)
	v_fma_f64 v[81:82], v[99:100], v[83:84], v[81:82]
	s_waitcnt vmcnt(16) lgkmcnt(0)
	v_fma_f64 v[81:82], v[101:102], v[85:86], v[81:82]
	s_waitcnt vmcnt(11)
	v_fma_f64 v[89:90], v[103:104], v[87:88], v[81:82]
	ds_read2_b64 v[81:84], v80 offset0:73 offset1:74
	ds_read2_b64 v[85:88], v80 offset0:75 offset1:76
	s_waitcnt vmcnt(10) lgkmcnt(1)
	v_fma_f64 v[81:82], v[109:110], v[81:82], v[89:90]
	s_waitcnt vmcnt(9)
	v_fma_f64 v[81:82], v[107:108], v[83:84], v[81:82]
	s_waitcnt vmcnt(8) lgkmcnt(0)
	v_fma_f64 v[81:82], v[105:106], v[85:86], v[81:82]
	s_waitcnt vmcnt(4)
	v_fma_f64 v[84:85], v[111:112], v[87:88], v[81:82]
	ds_read2_b64 v[80:83], v80 offset0:77 offset1:78
	s_waitcnt vmcnt(3) lgkmcnt(0)
	v_fma_f64 v[80:81], v[115:116], v[80:81], v[84:85]
	s_waitcnt vmcnt(2)
	v_fma_f64 v[80:81], v[113:114], v[82:83], v[80:81]
	s_waitcnt vmcnt(0)
	v_add_f64 v[80:81], v[117:118], -v[80:81]
	buffer_store_dword v81, off, s[0:3], 0 offset:196
	buffer_store_dword v80, off, s[0:3], 0 offset:192
	v_cmpx_lt_u32_e32 23, v0
	s_cbranch_execz .LBB102_197
; %bb.196:
	s_clause 0x1
	buffer_load_dword v80, off, s[0:3], 0 offset:184
	buffer_load_dword v81, off, s[0:3], 0 offset:188
	v_mov_b32_e32 v82, 0
	buffer_store_dword v82, off, s[0:3], 0 offset:184
	buffer_store_dword v82, off, s[0:3], 0 offset:188
	s_waitcnt vmcnt(0)
	ds_write_b64 v79, v[80:81]
.LBB102_197:
	s_or_b32 exec_lo, exec_lo, s4
	s_waitcnt lgkmcnt(0)
	s_waitcnt_vscnt null, 0x0
	s_barrier
	buffer_gl0_inv
	s_clause 0x1c
	buffer_load_dword v89, off, s[0:3], 0 offset:192
	buffer_load_dword v90, off, s[0:3], 0 offset:196
	;; [unrolled: 1-line block ×29, first 2 shown]
	v_mov_b32_e32 v80, 0
	buffer_load_dword v114, off, s[0:3], 0 offset:308
	s_mov_b32 s4, exec_lo
	ds_read_b128 v[81:84], v80 offset:512
	ds_read_b128 v[85:88], v80 offset:528
	s_waitcnt vmcnt(28) lgkmcnt(1)
	v_fma_f64 v[81:82], v[89:90], v[81:82], 0
	s_clause 0x1
	buffer_load_dword v89, off, s[0:3], 0 offset:184
	buffer_load_dword v90, off, s[0:3], 0 offset:188
	s_waitcnt vmcnt(28)
	v_fma_f64 v[81:82], v[91:92], v[83:84], v[81:82]
	s_waitcnt vmcnt(26) lgkmcnt(0)
	v_fma_f64 v[81:82], v[93:94], v[85:86], v[81:82]
	s_waitcnt vmcnt(24)
	v_fma_f64 v[91:92], v[95:96], v[87:88], v[81:82]
	ds_read_b128 v[81:84], v80 offset:544
	ds_read_b128 v[85:88], v80 offset:560
	s_waitcnt vmcnt(22) lgkmcnt(1)
	v_fma_f64 v[81:82], v[97:98], v[81:82], v[91:92]
	s_waitcnt vmcnt(20)
	v_fma_f64 v[81:82], v[99:100], v[83:84], v[81:82]
	s_waitcnt vmcnt(18) lgkmcnt(0)
	v_fma_f64 v[81:82], v[101:102], v[85:86], v[81:82]
	s_waitcnt vmcnt(13)
	v_fma_f64 v[91:92], v[103:104], v[87:88], v[81:82]
	ds_read_b128 v[81:84], v80 offset:576
	ds_read_b128 v[85:88], v80 offset:592
	s_waitcnt vmcnt(12) lgkmcnt(1)
	v_fma_f64 v[81:82], v[109:110], v[81:82], v[91:92]
	s_waitcnt vmcnt(11)
	v_fma_f64 v[81:82], v[107:108], v[83:84], v[81:82]
	s_waitcnt vmcnt(10) lgkmcnt(0)
	v_fma_f64 v[81:82], v[105:106], v[85:86], v[81:82]
	s_waitcnt vmcnt(5)
	v_fma_f64 v[85:86], v[111:112], v[87:88], v[81:82]
	ds_read_b128 v[81:84], v80 offset:608
	ds_read_b64 v[87:88], v80 offset:624
	s_waitcnt vmcnt(4) lgkmcnt(1)
	v_fma_f64 v[81:82], v[117:118], v[81:82], v[85:86]
	s_waitcnt vmcnt(3)
	v_fma_f64 v[81:82], v[115:116], v[83:84], v[81:82]
	s_waitcnt vmcnt(2) lgkmcnt(0)
	v_fma_f64 v[81:82], v[113:114], v[87:88], v[81:82]
	s_waitcnt vmcnt(0)
	v_add_f64 v[81:82], v[89:90], -v[81:82]
	buffer_store_dword v82, off, s[0:3], 0 offset:188
	buffer_store_dword v81, off, s[0:3], 0 offset:184
	v_cmpx_lt_u32_e32 22, v0
	s_cbranch_execz .LBB102_199
; %bb.198:
	s_clause 0x1
	buffer_load_dword v81, off, s[0:3], 0 offset:176
	buffer_load_dword v82, off, s[0:3], 0 offset:180
	buffer_store_dword v80, off, s[0:3], 0 offset:176
	buffer_store_dword v80, off, s[0:3], 0 offset:180
	s_waitcnt vmcnt(0)
	ds_write_b64 v79, v[81:82]
.LBB102_199:
	s_or_b32 exec_lo, exec_lo, s4
	s_waitcnt lgkmcnt(0)
	s_waitcnt_vscnt null, 0x0
	s_barrier
	buffer_gl0_inv
	s_clause 0x1c
	buffer_load_dword v89, off, s[0:3], 0 offset:184
	buffer_load_dword v90, off, s[0:3], 0 offset:188
	buffer_load_dword v91, off, s[0:3], 0 offset:192
	buffer_load_dword v92, off, s[0:3], 0 offset:196
	buffer_load_dword v93, off, s[0:3], 0 offset:200
	buffer_load_dword v94, off, s[0:3], 0 offset:204
	buffer_load_dword v95, off, s[0:3], 0 offset:208
	buffer_load_dword v96, off, s[0:3], 0 offset:212
	buffer_load_dword v97, off, s[0:3], 0 offset:216
	buffer_load_dword v98, off, s[0:3], 0 offset:220
	buffer_load_dword v99, off, s[0:3], 0 offset:224
	buffer_load_dword v100, off, s[0:3], 0 offset:228
	buffer_load_dword v101, off, s[0:3], 0 offset:232
	buffer_load_dword v102, off, s[0:3], 0 offset:236
	buffer_load_dword v104, off, s[0:3], 0 offset:244
	buffer_load_dword v105, off, s[0:3], 0 offset:264
	buffer_load_dword v107, off, s[0:3], 0 offset:256
	buffer_load_dword v109, off, s[0:3], 0 offset:248
	buffer_load_dword v103, off, s[0:3], 0 offset:240
	buffer_load_dword v110, off, s[0:3], 0 offset:252
	buffer_load_dword v108, off, s[0:3], 0 offset:260
	buffer_load_dword v106, off, s[0:3], 0 offset:268
	buffer_load_dword v112, off, s[0:3], 0 offset:276
	buffer_load_dword v113, off, s[0:3], 0 offset:296
	buffer_load_dword v115, off, s[0:3], 0 offset:288
	buffer_load_dword v117, off, s[0:3], 0 offset:280
	buffer_load_dword v111, off, s[0:3], 0 offset:272
	buffer_load_dword v118, off, s[0:3], 0 offset:284
	buffer_load_dword v116, off, s[0:3], 0 offset:292
	ds_read2_b64 v[81:84], v80 offset0:63 offset1:64
	ds_read2_b64 v[85:88], v80 offset0:65 offset1:66
	buffer_load_dword v114, off, s[0:3], 0 offset:300
	s_mov_b32 s4, exec_lo
	s_waitcnt vmcnt(28) lgkmcnt(1)
	v_fma_f64 v[81:82], v[89:90], v[81:82], 0
	s_clause 0x1
	buffer_load_dword v90, off, s[0:3], 0 offset:308
	buffer_load_dword v89, off, s[0:3], 0 offset:304
	s_waitcnt vmcnt(28)
	v_fma_f64 v[81:82], v[91:92], v[83:84], v[81:82]
	s_clause 0x1
	buffer_load_dword v91, off, s[0:3], 0 offset:176
	buffer_load_dword v92, off, s[0:3], 0 offset:180
	s_waitcnt vmcnt(28) lgkmcnt(0)
	v_fma_f64 v[81:82], v[93:94], v[85:86], v[81:82]
	s_waitcnt vmcnt(26)
	v_fma_f64 v[93:94], v[95:96], v[87:88], v[81:82]
	ds_read2_b64 v[81:84], v80 offset0:67 offset1:68
	ds_read2_b64 v[85:88], v80 offset0:69 offset1:70
	s_waitcnt vmcnt(24) lgkmcnt(1)
	v_fma_f64 v[81:82], v[97:98], v[81:82], v[93:94]
	s_waitcnt vmcnt(22)
	v_fma_f64 v[81:82], v[99:100], v[83:84], v[81:82]
	s_waitcnt vmcnt(20) lgkmcnt(0)
	v_fma_f64 v[81:82], v[101:102], v[85:86], v[81:82]
	s_waitcnt vmcnt(15)
	v_fma_f64 v[93:94], v[103:104], v[87:88], v[81:82]
	ds_read2_b64 v[81:84], v80 offset0:71 offset1:72
	ds_read2_b64 v[85:88], v80 offset0:73 offset1:74
	s_waitcnt vmcnt(14) lgkmcnt(1)
	v_fma_f64 v[81:82], v[109:110], v[81:82], v[93:94]
	s_waitcnt vmcnt(13)
	v_fma_f64 v[81:82], v[107:108], v[83:84], v[81:82]
	;; [unrolled: 10-line block ×3, first 2 shown]
	s_waitcnt vmcnt(4) lgkmcnt(0)
	v_fma_f64 v[80:81], v[113:114], v[85:86], v[80:81]
	s_waitcnt vmcnt(2)
	v_fma_f64 v[80:81], v[89:90], v[87:88], v[80:81]
	s_waitcnt vmcnt(0)
	v_add_f64 v[80:81], v[91:92], -v[80:81]
	buffer_store_dword v81, off, s[0:3], 0 offset:180
	buffer_store_dword v80, off, s[0:3], 0 offset:176
	v_cmpx_lt_u32_e32 21, v0
	s_cbranch_execz .LBB102_201
; %bb.200:
	s_clause 0x1
	buffer_load_dword v80, off, s[0:3], 0 offset:168
	buffer_load_dword v81, off, s[0:3], 0 offset:172
	v_mov_b32_e32 v82, 0
	buffer_store_dword v82, off, s[0:3], 0 offset:168
	buffer_store_dword v82, off, s[0:3], 0 offset:172
	s_waitcnt vmcnt(0)
	ds_write_b64 v79, v[80:81]
.LBB102_201:
	s_or_b32 exec_lo, exec_lo, s4
	s_waitcnt lgkmcnt(0)
	s_waitcnt_vscnt null, 0x0
	s_barrier
	buffer_gl0_inv
	s_clause 0x1c
	buffer_load_dword v89, off, s[0:3], 0 offset:176
	buffer_load_dword v90, off, s[0:3], 0 offset:180
	;; [unrolled: 1-line block ×29, first 2 shown]
	v_mov_b32_e32 v80, 0
	buffer_load_dword v114, off, s[0:3], 0 offset:292
	s_mov_b32 s4, exec_lo
	ds_read_b128 v[81:84], v80 offset:496
	ds_read_b128 v[85:88], v80 offset:512
	s_waitcnt vmcnt(28) lgkmcnt(1)
	v_fma_f64 v[81:82], v[89:90], v[81:82], 0
	s_clause 0x3
	buffer_load_dword v90, off, s[0:3], 0 offset:300
	buffer_load_dword v119, off, s[0:3], 0 offset:304
	buffer_load_dword v89, off, s[0:3], 0 offset:296
	buffer_load_dword v120, off, s[0:3], 0 offset:308
	s_waitcnt vmcnt(30)
	v_fma_f64 v[81:82], v[91:92], v[83:84], v[81:82]
	s_clause 0x1
	buffer_load_dword v91, off, s[0:3], 0 offset:168
	buffer_load_dword v92, off, s[0:3], 0 offset:172
	s_waitcnt vmcnt(30) lgkmcnt(0)
	v_fma_f64 v[81:82], v[93:94], v[85:86], v[81:82]
	s_waitcnt vmcnt(28)
	v_fma_f64 v[93:94], v[95:96], v[87:88], v[81:82]
	ds_read_b128 v[81:84], v80 offset:528
	ds_read_b128 v[85:88], v80 offset:544
	s_waitcnt vmcnt(26) lgkmcnt(1)
	v_fma_f64 v[81:82], v[97:98], v[81:82], v[93:94]
	s_waitcnt vmcnt(24)
	v_fma_f64 v[81:82], v[99:100], v[83:84], v[81:82]
	s_waitcnt vmcnt(22) lgkmcnt(0)
	v_fma_f64 v[81:82], v[101:102], v[85:86], v[81:82]
	s_waitcnt vmcnt(17)
	v_fma_f64 v[93:94], v[103:104], v[87:88], v[81:82]
	ds_read_b128 v[81:84], v80 offset:560
	ds_read_b128 v[85:88], v80 offset:576
	s_waitcnt vmcnt(16) lgkmcnt(1)
	v_fma_f64 v[81:82], v[109:110], v[81:82], v[93:94]
	s_waitcnt vmcnt(15)
	v_fma_f64 v[81:82], v[107:108], v[83:84], v[81:82]
	;; [unrolled: 10-line block ×3, first 2 shown]
	ds_read_b64 v[83:84], v80 offset:624
	s_waitcnt vmcnt(6) lgkmcnt(1)
	v_fma_f64 v[81:82], v[113:114], v[85:86], v[81:82]
	s_waitcnt vmcnt(3)
	v_fma_f64 v[81:82], v[89:90], v[87:88], v[81:82]
	s_waitcnt vmcnt(2) lgkmcnt(0)
	v_fma_f64 v[81:82], v[119:120], v[83:84], v[81:82]
	s_waitcnt vmcnt(0)
	v_add_f64 v[81:82], v[91:92], -v[81:82]
	buffer_store_dword v82, off, s[0:3], 0 offset:172
	buffer_store_dword v81, off, s[0:3], 0 offset:168
	v_cmpx_lt_u32_e32 20, v0
	s_cbranch_execz .LBB102_203
; %bb.202:
	s_clause 0x1
	buffer_load_dword v81, off, s[0:3], 0 offset:160
	buffer_load_dword v82, off, s[0:3], 0 offset:164
	buffer_store_dword v80, off, s[0:3], 0 offset:160
	buffer_store_dword v80, off, s[0:3], 0 offset:164
	s_waitcnt vmcnt(0)
	ds_write_b64 v79, v[81:82]
.LBB102_203:
	s_or_b32 exec_lo, exec_lo, s4
	s_waitcnt lgkmcnt(0)
	s_waitcnt_vscnt null, 0x0
	s_barrier
	buffer_gl0_inv
	s_clause 0x1c
	buffer_load_dword v89, off, s[0:3], 0 offset:168
	buffer_load_dword v90, off, s[0:3], 0 offset:172
	buffer_load_dword v91, off, s[0:3], 0 offset:176
	buffer_load_dword v92, off, s[0:3], 0 offset:180
	buffer_load_dword v93, off, s[0:3], 0 offset:184
	buffer_load_dword v94, off, s[0:3], 0 offset:188
	buffer_load_dword v95, off, s[0:3], 0 offset:192
	buffer_load_dword v96, off, s[0:3], 0 offset:196
	buffer_load_dword v97, off, s[0:3], 0 offset:200
	buffer_load_dword v98, off, s[0:3], 0 offset:204
	buffer_load_dword v99, off, s[0:3], 0 offset:208
	buffer_load_dword v100, off, s[0:3], 0 offset:212
	buffer_load_dword v101, off, s[0:3], 0 offset:216
	buffer_load_dword v102, off, s[0:3], 0 offset:220
	buffer_load_dword v104, off, s[0:3], 0 offset:228
	buffer_load_dword v105, off, s[0:3], 0 offset:248
	buffer_load_dword v107, off, s[0:3], 0 offset:240
	buffer_load_dword v109, off, s[0:3], 0 offset:232
	buffer_load_dword v103, off, s[0:3], 0 offset:224
	buffer_load_dword v110, off, s[0:3], 0 offset:236
	buffer_load_dword v108, off, s[0:3], 0 offset:244
	buffer_load_dword v106, off, s[0:3], 0 offset:252
	buffer_load_dword v112, off, s[0:3], 0 offset:260
	buffer_load_dword v113, off, s[0:3], 0 offset:280
	buffer_load_dword v115, off, s[0:3], 0 offset:272
	buffer_load_dword v117, off, s[0:3], 0 offset:264
	buffer_load_dword v111, off, s[0:3], 0 offset:256
	buffer_load_dword v118, off, s[0:3], 0 offset:268
	buffer_load_dword v116, off, s[0:3], 0 offset:276
	ds_read2_b64 v[81:84], v80 offset0:61 offset1:62
	ds_read2_b64 v[85:88], v80 offset0:63 offset1:64
	buffer_load_dword v114, off, s[0:3], 0 offset:284
	s_mov_b32 s4, exec_lo
	s_waitcnt vmcnt(28) lgkmcnt(1)
	v_fma_f64 v[81:82], v[89:90], v[81:82], 0
	s_clause 0x5
	buffer_load_dword v90, off, s[0:3], 0 offset:292
	buffer_load_dword v119, off, s[0:3], 0 offset:304
	;; [unrolled: 1-line block ×6, first 2 shown]
	s_waitcnt vmcnt(32)
	v_fma_f64 v[81:82], v[91:92], v[83:84], v[81:82]
	s_waitcnt vmcnt(30) lgkmcnt(0)
	v_fma_f64 v[81:82], v[93:94], v[85:86], v[81:82]
	s_waitcnt vmcnt(28)
	v_fma_f64 v[91:92], v[95:96], v[87:88], v[81:82]
	ds_read2_b64 v[81:84], v80 offset0:65 offset1:66
	s_clause 0x1
	buffer_load_dword v93, off, s[0:3], 0 offset:160
	buffer_load_dword v94, off, s[0:3], 0 offset:164
	ds_read2_b64 v[85:88], v80 offset0:67 offset1:68
	s_waitcnt vmcnt(28) lgkmcnt(1)
	v_fma_f64 v[81:82], v[97:98], v[81:82], v[91:92]
	s_waitcnt vmcnt(26)
	v_fma_f64 v[81:82], v[99:100], v[83:84], v[81:82]
	s_waitcnt vmcnt(24) lgkmcnt(0)
	v_fma_f64 v[81:82], v[101:102], v[85:86], v[81:82]
	s_waitcnt vmcnt(19)
	v_fma_f64 v[91:92], v[103:104], v[87:88], v[81:82]
	ds_read2_b64 v[81:84], v80 offset0:69 offset1:70
	ds_read2_b64 v[85:88], v80 offset0:71 offset1:72
	s_waitcnt vmcnt(18) lgkmcnt(1)
	v_fma_f64 v[81:82], v[109:110], v[81:82], v[91:92]
	s_waitcnt vmcnt(17)
	v_fma_f64 v[81:82], v[107:108], v[83:84], v[81:82]
	s_waitcnt vmcnt(16) lgkmcnt(0)
	v_fma_f64 v[81:82], v[105:106], v[85:86], v[81:82]
	s_waitcnt vmcnt(11)
	v_fma_f64 v[91:92], v[111:112], v[87:88], v[81:82]
	ds_read2_b64 v[81:84], v80 offset0:73 offset1:74
	;; [unrolled: 10-line block ×3, first 2 shown]
	s_waitcnt vmcnt(3) lgkmcnt(0)
	v_fma_f64 v[80:81], v[121:122], v[80:81], v[84:85]
	s_waitcnt vmcnt(2)
	v_fma_f64 v[80:81], v[119:120], v[82:83], v[80:81]
	s_waitcnt vmcnt(0)
	v_add_f64 v[80:81], v[93:94], -v[80:81]
	buffer_store_dword v81, off, s[0:3], 0 offset:164
	buffer_store_dword v80, off, s[0:3], 0 offset:160
	v_cmpx_lt_u32_e32 19, v0
	s_cbranch_execz .LBB102_205
; %bb.204:
	s_clause 0x1
	buffer_load_dword v80, off, s[0:3], 0 offset:152
	buffer_load_dword v81, off, s[0:3], 0 offset:156
	v_mov_b32_e32 v82, 0
	buffer_store_dword v82, off, s[0:3], 0 offset:152
	buffer_store_dword v82, off, s[0:3], 0 offset:156
	s_waitcnt vmcnt(0)
	ds_write_b64 v79, v[80:81]
.LBB102_205:
	s_or_b32 exec_lo, exec_lo, s4
	s_waitcnt lgkmcnt(0)
	s_waitcnt_vscnt null, 0x0
	s_barrier
	buffer_gl0_inv
	s_clause 0x1c
	buffer_load_dword v89, off, s[0:3], 0 offset:160
	buffer_load_dword v90, off, s[0:3], 0 offset:164
	;; [unrolled: 1-line block ×29, first 2 shown]
	v_mov_b32_e32 v80, 0
	buffer_load_dword v114, off, s[0:3], 0 offset:276
	s_mov_b32 s4, exec_lo
	ds_read_b128 v[81:84], v80 offset:480
	ds_read_b128 v[85:88], v80 offset:496
	s_waitcnt vmcnt(28) lgkmcnt(1)
	v_fma_f64 v[81:82], v[89:90], v[81:82], 0
	s_clause 0x7
	buffer_load_dword v90, off, s[0:3], 0 offset:284
	buffer_load_dword v119, off, s[0:3], 0 offset:304
	;; [unrolled: 1-line block ×8, first 2 shown]
	s_waitcnt vmcnt(34)
	v_fma_f64 v[81:82], v[91:92], v[83:84], v[81:82]
	s_waitcnt vmcnt(32) lgkmcnt(0)
	v_fma_f64 v[81:82], v[93:94], v[85:86], v[81:82]
	s_waitcnt vmcnt(30)
	v_fma_f64 v[91:92], v[95:96], v[87:88], v[81:82]
	ds_read_b128 v[81:84], v80 offset:512
	ds_read_b128 v[85:88], v80 offset:528
	s_waitcnt vmcnt(28) lgkmcnt(1)
	v_fma_f64 v[81:82], v[97:98], v[81:82], v[91:92]
	s_clause 0x1
	buffer_load_dword v91, off, s[0:3], 0 offset:152
	buffer_load_dword v92, off, s[0:3], 0 offset:156
	s_waitcnt vmcnt(28)
	v_fma_f64 v[81:82], v[99:100], v[83:84], v[81:82]
	s_waitcnt vmcnt(26) lgkmcnt(0)
	v_fma_f64 v[81:82], v[101:102], v[85:86], v[81:82]
	s_waitcnt vmcnt(21)
	v_fma_f64 v[93:94], v[103:104], v[87:88], v[81:82]
	ds_read_b128 v[81:84], v80 offset:544
	ds_read_b128 v[85:88], v80 offset:560
	s_waitcnt vmcnt(20) lgkmcnt(1)
	v_fma_f64 v[81:82], v[109:110], v[81:82], v[93:94]
	s_waitcnt vmcnt(19)
	v_fma_f64 v[81:82], v[107:108], v[83:84], v[81:82]
	s_waitcnt vmcnt(18) lgkmcnt(0)
	v_fma_f64 v[81:82], v[105:106], v[85:86], v[81:82]
	s_waitcnt vmcnt(13)
	v_fma_f64 v[93:94], v[111:112], v[87:88], v[81:82]
	ds_read_b128 v[81:84], v80 offset:576
	ds_read_b128 v[85:88], v80 offset:592
	s_waitcnt vmcnt(12) lgkmcnt(1)
	v_fma_f64 v[81:82], v[117:118], v[81:82], v[93:94]
	s_waitcnt vmcnt(11)
	v_fma_f64 v[81:82], v[115:116], v[83:84], v[81:82]
	s_waitcnt vmcnt(10) lgkmcnt(0)
	v_fma_f64 v[81:82], v[113:114], v[85:86], v[81:82]
	s_waitcnt vmcnt(5)
	v_fma_f64 v[85:86], v[89:90], v[87:88], v[81:82]
	ds_read_b128 v[81:84], v80 offset:608
	ds_read_b64 v[87:88], v80 offset:624
	s_waitcnt vmcnt(4) lgkmcnt(1)
	v_fma_f64 v[81:82], v[123:124], v[81:82], v[85:86]
	s_waitcnt vmcnt(3)
	v_fma_f64 v[81:82], v[121:122], v[83:84], v[81:82]
	s_waitcnt vmcnt(2) lgkmcnt(0)
	v_fma_f64 v[81:82], v[119:120], v[87:88], v[81:82]
	s_waitcnt vmcnt(0)
	v_add_f64 v[81:82], v[91:92], -v[81:82]
	buffer_store_dword v82, off, s[0:3], 0 offset:156
	buffer_store_dword v81, off, s[0:3], 0 offset:152
	v_cmpx_lt_u32_e32 18, v0
	s_cbranch_execz .LBB102_207
; %bb.206:
	s_clause 0x1
	buffer_load_dword v81, off, s[0:3], 0 offset:144
	buffer_load_dword v82, off, s[0:3], 0 offset:148
	buffer_store_dword v80, off, s[0:3], 0 offset:144
	buffer_store_dword v80, off, s[0:3], 0 offset:148
	s_waitcnt vmcnt(0)
	ds_write_b64 v79, v[81:82]
.LBB102_207:
	s_or_b32 exec_lo, exec_lo, s4
	s_waitcnt lgkmcnt(0)
	s_waitcnt_vscnt null, 0x0
	s_barrier
	buffer_gl0_inv
	s_clause 0x1c
	buffer_load_dword v89, off, s[0:3], 0 offset:152
	buffer_load_dword v90, off, s[0:3], 0 offset:156
	buffer_load_dword v91, off, s[0:3], 0 offset:160
	buffer_load_dword v92, off, s[0:3], 0 offset:164
	buffer_load_dword v93, off, s[0:3], 0 offset:168
	buffer_load_dword v94, off, s[0:3], 0 offset:172
	buffer_load_dword v95, off, s[0:3], 0 offset:176
	buffer_load_dword v96, off, s[0:3], 0 offset:180
	buffer_load_dword v97, off, s[0:3], 0 offset:184
	buffer_load_dword v98, off, s[0:3], 0 offset:188
	buffer_load_dword v99, off, s[0:3], 0 offset:192
	buffer_load_dword v100, off, s[0:3], 0 offset:196
	buffer_load_dword v101, off, s[0:3], 0 offset:200
	buffer_load_dword v102, off, s[0:3], 0 offset:204
	buffer_load_dword v104, off, s[0:3], 0 offset:212
	buffer_load_dword v105, off, s[0:3], 0 offset:232
	buffer_load_dword v107, off, s[0:3], 0 offset:224
	buffer_load_dword v109, off, s[0:3], 0 offset:216
	buffer_load_dword v103, off, s[0:3], 0 offset:208
	buffer_load_dword v110, off, s[0:3], 0 offset:220
	buffer_load_dword v108, off, s[0:3], 0 offset:228
	buffer_load_dword v106, off, s[0:3], 0 offset:236
	buffer_load_dword v112, off, s[0:3], 0 offset:244
	buffer_load_dword v113, off, s[0:3], 0 offset:264
	buffer_load_dword v115, off, s[0:3], 0 offset:256
	buffer_load_dword v117, off, s[0:3], 0 offset:248
	buffer_load_dword v111, off, s[0:3], 0 offset:240
	buffer_load_dword v118, off, s[0:3], 0 offset:252
	buffer_load_dword v116, off, s[0:3], 0 offset:260
	ds_read2_b64 v[81:84], v80 offset0:59 offset1:60
	ds_read2_b64 v[85:88], v80 offset0:61 offset1:62
	buffer_load_dword v114, off, s[0:3], 0 offset:268
	s_mov_b32 s4, exec_lo
	s_waitcnt vmcnt(28) lgkmcnt(1)
	v_fma_f64 v[81:82], v[89:90], v[81:82], 0
	s_clause 0x7
	buffer_load_dword v90, off, s[0:3], 0 offset:276
	buffer_load_dword v119, off, s[0:3], 0 offset:296
	;; [unrolled: 1-line block ×8, first 2 shown]
	s_waitcnt vmcnt(34)
	v_fma_f64 v[81:82], v[91:92], v[83:84], v[81:82]
	s_waitcnt vmcnt(32) lgkmcnt(0)
	v_fma_f64 v[81:82], v[93:94], v[85:86], v[81:82]
	s_waitcnt vmcnt(30)
	v_fma_f64 v[91:92], v[95:96], v[87:88], v[81:82]
	ds_read2_b64 v[81:84], v80 offset0:63 offset1:64
	ds_read2_b64 v[85:88], v80 offset0:65 offset1:66
	s_waitcnt vmcnt(28) lgkmcnt(1)
	v_fma_f64 v[81:82], v[97:98], v[81:82], v[91:92]
	s_clause 0x3
	buffer_load_dword v92, off, s[0:3], 0 offset:308
	buffer_load_dword v91, off, s[0:3], 0 offset:304
	;; [unrolled: 1-line block ×4, first 2 shown]
	s_waitcnt vmcnt(30)
	v_fma_f64 v[81:82], v[99:100], v[83:84], v[81:82]
	s_waitcnt vmcnt(28) lgkmcnt(0)
	v_fma_f64 v[81:82], v[101:102], v[85:86], v[81:82]
	s_waitcnt vmcnt(23)
	v_fma_f64 v[95:96], v[103:104], v[87:88], v[81:82]
	ds_read2_b64 v[81:84], v80 offset0:67 offset1:68
	ds_read2_b64 v[85:88], v80 offset0:69 offset1:70
	s_waitcnt vmcnt(22) lgkmcnt(1)
	v_fma_f64 v[81:82], v[109:110], v[81:82], v[95:96]
	s_waitcnt vmcnt(21)
	v_fma_f64 v[81:82], v[107:108], v[83:84], v[81:82]
	s_waitcnt vmcnt(20) lgkmcnt(0)
	v_fma_f64 v[81:82], v[105:106], v[85:86], v[81:82]
	s_waitcnt vmcnt(15)
	v_fma_f64 v[95:96], v[111:112], v[87:88], v[81:82]
	ds_read2_b64 v[81:84], v80 offset0:71 offset1:72
	ds_read2_b64 v[85:88], v80 offset0:73 offset1:74
	s_waitcnt vmcnt(14) lgkmcnt(1)
	v_fma_f64 v[81:82], v[117:118], v[81:82], v[95:96]
	;; [unrolled: 10-line block ×3, first 2 shown]
	s_waitcnt vmcnt(5)
	v_fma_f64 v[80:81], v[121:122], v[83:84], v[80:81]
	s_waitcnt vmcnt(4) lgkmcnt(0)
	v_fma_f64 v[80:81], v[119:120], v[85:86], v[80:81]
	s_waitcnt vmcnt(2)
	v_fma_f64 v[80:81], v[91:92], v[87:88], v[80:81]
	s_waitcnt vmcnt(0)
	v_add_f64 v[80:81], v[93:94], -v[80:81]
	buffer_store_dword v81, off, s[0:3], 0 offset:148
	buffer_store_dword v80, off, s[0:3], 0 offset:144
	v_cmpx_lt_u32_e32 17, v0
	s_cbranch_execz .LBB102_209
; %bb.208:
	s_clause 0x1
	buffer_load_dword v80, off, s[0:3], 0 offset:136
	buffer_load_dword v81, off, s[0:3], 0 offset:140
	v_mov_b32_e32 v82, 0
	buffer_store_dword v82, off, s[0:3], 0 offset:136
	buffer_store_dword v82, off, s[0:3], 0 offset:140
	s_waitcnt vmcnt(0)
	ds_write_b64 v79, v[80:81]
.LBB102_209:
	s_or_b32 exec_lo, exec_lo, s4
	s_waitcnt lgkmcnt(0)
	s_waitcnt_vscnt null, 0x0
	s_barrier
	buffer_gl0_inv
	s_clause 0x1c
	buffer_load_dword v89, off, s[0:3], 0 offset:144
	buffer_load_dword v90, off, s[0:3], 0 offset:148
	;; [unrolled: 1-line block ×29, first 2 shown]
	v_mov_b32_e32 v80, 0
	buffer_load_dword v114, off, s[0:3], 0 offset:260
	s_mov_b32 s4, exec_lo
	ds_read_b128 v[81:84], v80 offset:464
	ds_read_b128 v[85:88], v80 offset:480
	s_waitcnt vmcnt(28) lgkmcnt(1)
	v_fma_f64 v[81:82], v[89:90], v[81:82], 0
	s_clause 0x7
	buffer_load_dword v90, off, s[0:3], 0 offset:268
	buffer_load_dword v119, off, s[0:3], 0 offset:288
	;; [unrolled: 1-line block ×8, first 2 shown]
	s_waitcnt vmcnt(34)
	v_fma_f64 v[81:82], v[91:92], v[83:84], v[81:82]
	s_waitcnt vmcnt(32) lgkmcnt(0)
	v_fma_f64 v[81:82], v[93:94], v[85:86], v[81:82]
	s_waitcnt vmcnt(30)
	v_fma_f64 v[91:92], v[95:96], v[87:88], v[81:82]
	ds_read_b128 v[81:84], v80 offset:496
	ds_read_b128 v[85:88], v80 offset:512
	s_waitcnt vmcnt(28) lgkmcnt(1)
	v_fma_f64 v[81:82], v[97:98], v[81:82], v[91:92]
	s_clause 0x5
	buffer_load_dword v92, off, s[0:3], 0 offset:300
	buffer_load_dword v93, off, s[0:3], 0 offset:304
	;; [unrolled: 1-line block ×6, first 2 shown]
	s_waitcnt vmcnt(32)
	v_fma_f64 v[81:82], v[99:100], v[83:84], v[81:82]
	s_waitcnt vmcnt(30) lgkmcnt(0)
	v_fma_f64 v[81:82], v[101:102], v[85:86], v[81:82]
	s_waitcnt vmcnt(25)
	v_fma_f64 v[97:98], v[103:104], v[87:88], v[81:82]
	ds_read_b128 v[81:84], v80 offset:528
	ds_read_b128 v[85:88], v80 offset:544
	s_waitcnt vmcnt(24) lgkmcnt(1)
	v_fma_f64 v[81:82], v[109:110], v[81:82], v[97:98]
	s_waitcnt vmcnt(23)
	v_fma_f64 v[81:82], v[107:108], v[83:84], v[81:82]
	s_waitcnt vmcnt(22) lgkmcnt(0)
	v_fma_f64 v[81:82], v[105:106], v[85:86], v[81:82]
	s_waitcnt vmcnt(17)
	v_fma_f64 v[97:98], v[111:112], v[87:88], v[81:82]
	ds_read_b128 v[81:84], v80 offset:560
	ds_read_b128 v[85:88], v80 offset:576
	s_waitcnt vmcnt(16) lgkmcnt(1)
	v_fma_f64 v[81:82], v[117:118], v[81:82], v[97:98]
	;; [unrolled: 10-line block ×3, first 2 shown]
	s_waitcnt vmcnt(7)
	v_fma_f64 v[81:82], v[121:122], v[83:84], v[81:82]
	ds_read_b64 v[83:84], v80 offset:624
	s_waitcnt vmcnt(6) lgkmcnt(1)
	v_fma_f64 v[81:82], v[119:120], v[85:86], v[81:82]
	s_waitcnt vmcnt(3)
	v_fma_f64 v[81:82], v[91:92], v[87:88], v[81:82]
	s_waitcnt vmcnt(2) lgkmcnt(0)
	v_fma_f64 v[81:82], v[93:94], v[83:84], v[81:82]
	s_waitcnt vmcnt(0)
	v_add_f64 v[81:82], v[95:96], -v[81:82]
	buffer_store_dword v82, off, s[0:3], 0 offset:140
	buffer_store_dword v81, off, s[0:3], 0 offset:136
	v_cmpx_lt_u32_e32 16, v0
	s_cbranch_execz .LBB102_211
; %bb.210:
	s_clause 0x1
	buffer_load_dword v81, off, s[0:3], 0 offset:128
	buffer_load_dword v82, off, s[0:3], 0 offset:132
	buffer_store_dword v80, off, s[0:3], 0 offset:128
	buffer_store_dword v80, off, s[0:3], 0 offset:132
	s_waitcnt vmcnt(0)
	ds_write_b64 v79, v[81:82]
.LBB102_211:
	s_or_b32 exec_lo, exec_lo, s4
	s_waitcnt lgkmcnt(0)
	s_waitcnt_vscnt null, 0x0
	s_barrier
	buffer_gl0_inv
	s_clause 0x1c
	buffer_load_dword v89, off, s[0:3], 0 offset:136
	buffer_load_dword v90, off, s[0:3], 0 offset:140
	;; [unrolled: 1-line block ×29, first 2 shown]
	ds_read2_b64 v[81:84], v80 offset0:57 offset1:58
	ds_read2_b64 v[85:88], v80 offset0:59 offset1:60
	buffer_load_dword v114, off, s[0:3], 0 offset:252
	s_mov_b32 s4, exec_lo
	s_waitcnt vmcnt(28) lgkmcnt(1)
	v_fma_f64 v[81:82], v[89:90], v[81:82], 0
	s_clause 0x7
	buffer_load_dword v90, off, s[0:3], 0 offset:260
	buffer_load_dword v119, off, s[0:3], 0 offset:280
	;; [unrolled: 1-line block ×8, first 2 shown]
	s_waitcnt vmcnt(34)
	v_fma_f64 v[81:82], v[91:92], v[83:84], v[81:82]
	s_waitcnt vmcnt(32) lgkmcnt(0)
	v_fma_f64 v[81:82], v[93:94], v[85:86], v[81:82]
	s_waitcnt vmcnt(30)
	v_fma_f64 v[91:92], v[95:96], v[87:88], v[81:82]
	ds_read2_b64 v[81:84], v80 offset0:61 offset1:62
	ds_read2_b64 v[85:88], v80 offset0:63 offset1:64
	s_waitcnt vmcnt(28) lgkmcnt(1)
	v_fma_f64 v[81:82], v[97:98], v[81:82], v[91:92]
	s_clause 0x5
	buffer_load_dword v92, off, s[0:3], 0 offset:292
	buffer_load_dword v93, off, s[0:3], 0 offset:304
	;; [unrolled: 1-line block ×6, first 2 shown]
	s_waitcnt vmcnt(32)
	v_fma_f64 v[81:82], v[99:100], v[83:84], v[81:82]
	s_waitcnt vmcnt(30) lgkmcnt(0)
	v_fma_f64 v[81:82], v[101:102], v[85:86], v[81:82]
	s_waitcnt vmcnt(25)
	v_fma_f64 v[97:98], v[103:104], v[87:88], v[81:82]
	ds_read2_b64 v[81:84], v80 offset0:65 offset1:66
	s_clause 0x1
	buffer_load_dword v99, off, s[0:3], 0 offset:128
	buffer_load_dword v100, off, s[0:3], 0 offset:132
	ds_read2_b64 v[85:88], v80 offset0:67 offset1:68
	s_waitcnt vmcnt(26) lgkmcnt(1)
	v_fma_f64 v[81:82], v[109:110], v[81:82], v[97:98]
	s_waitcnt vmcnt(25)
	v_fma_f64 v[81:82], v[107:108], v[83:84], v[81:82]
	s_waitcnt vmcnt(24) lgkmcnt(0)
	v_fma_f64 v[81:82], v[105:106], v[85:86], v[81:82]
	s_waitcnt vmcnt(19)
	v_fma_f64 v[97:98], v[111:112], v[87:88], v[81:82]
	ds_read2_b64 v[81:84], v80 offset0:69 offset1:70
	ds_read2_b64 v[85:88], v80 offset0:71 offset1:72
	s_waitcnt vmcnt(18) lgkmcnt(1)
	v_fma_f64 v[81:82], v[117:118], v[81:82], v[97:98]
	s_waitcnt vmcnt(17)
	v_fma_f64 v[81:82], v[115:116], v[83:84], v[81:82]
	s_waitcnt vmcnt(16) lgkmcnt(0)
	v_fma_f64 v[81:82], v[113:114], v[85:86], v[81:82]
	s_waitcnt vmcnt(11)
	v_fma_f64 v[89:90], v[89:90], v[87:88], v[81:82]
	ds_read2_b64 v[81:84], v80 offset0:73 offset1:74
	;; [unrolled: 10-line block ×3, first 2 shown]
	s_waitcnt vmcnt(3) lgkmcnt(0)
	v_fma_f64 v[80:81], v[95:96], v[80:81], v[84:85]
	s_waitcnt vmcnt(2)
	v_fma_f64 v[80:81], v[93:94], v[82:83], v[80:81]
	s_waitcnt vmcnt(0)
	v_add_f64 v[80:81], v[99:100], -v[80:81]
	buffer_store_dword v81, off, s[0:3], 0 offset:132
	buffer_store_dword v80, off, s[0:3], 0 offset:128
	v_cmpx_lt_u32_e32 15, v0
	s_cbranch_execz .LBB102_213
; %bb.212:
	s_clause 0x1
	buffer_load_dword v80, off, s[0:3], 0 offset:120
	buffer_load_dword v81, off, s[0:3], 0 offset:124
	v_mov_b32_e32 v82, 0
	buffer_store_dword v82, off, s[0:3], 0 offset:120
	buffer_store_dword v82, off, s[0:3], 0 offset:124
	s_waitcnt vmcnt(0)
	ds_write_b64 v79, v[80:81]
.LBB102_213:
	s_or_b32 exec_lo, exec_lo, s4
	s_waitcnt lgkmcnt(0)
	s_waitcnt_vscnt null, 0x0
	s_barrier
	buffer_gl0_inv
	s_clause 0x1c
	buffer_load_dword v89, off, s[0:3], 0 offset:128
	buffer_load_dword v90, off, s[0:3], 0 offset:132
	;; [unrolled: 1-line block ×29, first 2 shown]
	v_mov_b32_e32 v80, 0
	buffer_load_dword v114, off, s[0:3], 0 offset:244
	s_mov_b32 s4, exec_lo
	ds_read_b128 v[81:84], v80 offset:448
	ds_read_b128 v[85:88], v80 offset:464
	s_waitcnt vmcnt(28) lgkmcnt(1)
	v_fma_f64 v[81:82], v[89:90], v[81:82], 0
	s_clause 0x7
	buffer_load_dword v90, off, s[0:3], 0 offset:252
	buffer_load_dword v119, off, s[0:3], 0 offset:272
	;; [unrolled: 1-line block ×8, first 2 shown]
	s_waitcnt vmcnt(34)
	v_fma_f64 v[81:82], v[91:92], v[83:84], v[81:82]
	s_waitcnt vmcnt(32) lgkmcnt(0)
	v_fma_f64 v[81:82], v[93:94], v[85:86], v[81:82]
	s_waitcnt vmcnt(30)
	v_fma_f64 v[91:92], v[95:96], v[87:88], v[81:82]
	ds_read_b128 v[81:84], v80 offset:480
	ds_read_b128 v[85:88], v80 offset:496
	s_waitcnt vmcnt(28) lgkmcnt(1)
	v_fma_f64 v[81:82], v[97:98], v[81:82], v[91:92]
	s_clause 0x7
	buffer_load_dword v92, off, s[0:3], 0 offset:284
	buffer_load_dword v93, off, s[0:3], 0 offset:304
	;; [unrolled: 1-line block ×8, first 2 shown]
	s_waitcnt vmcnt(34)
	v_fma_f64 v[81:82], v[99:100], v[83:84], v[81:82]
	s_waitcnt vmcnt(32) lgkmcnt(0)
	v_fma_f64 v[81:82], v[101:102], v[85:86], v[81:82]
	s_waitcnt vmcnt(27)
	v_fma_f64 v[99:100], v[103:104], v[87:88], v[81:82]
	ds_read_b128 v[81:84], v80 offset:512
	ds_read_b128 v[85:88], v80 offset:528
	s_waitcnt vmcnt(26) lgkmcnt(1)
	v_fma_f64 v[81:82], v[109:110], v[81:82], v[99:100]
	s_clause 0x1
	buffer_load_dword v99, off, s[0:3], 0 offset:120
	buffer_load_dword v100, off, s[0:3], 0 offset:124
	s_waitcnt vmcnt(27)
	v_fma_f64 v[81:82], v[107:108], v[83:84], v[81:82]
	s_waitcnt vmcnt(26) lgkmcnt(0)
	v_fma_f64 v[81:82], v[105:106], v[85:86], v[81:82]
	s_waitcnt vmcnt(21)
	v_fma_f64 v[101:102], v[111:112], v[87:88], v[81:82]
	ds_read_b128 v[81:84], v80 offset:544
	ds_read_b128 v[85:88], v80 offset:560
	s_waitcnt vmcnt(20) lgkmcnt(1)
	v_fma_f64 v[81:82], v[117:118], v[81:82], v[101:102]
	s_waitcnt vmcnt(19)
	v_fma_f64 v[81:82], v[115:116], v[83:84], v[81:82]
	s_waitcnt vmcnt(18) lgkmcnt(0)
	v_fma_f64 v[81:82], v[113:114], v[85:86], v[81:82]
	s_waitcnt vmcnt(13)
	v_fma_f64 v[89:90], v[89:90], v[87:88], v[81:82]
	ds_read_b128 v[81:84], v80 offset:576
	ds_read_b128 v[85:88], v80 offset:592
	s_waitcnt vmcnt(12) lgkmcnt(1)
	v_fma_f64 v[81:82], v[123:124], v[81:82], v[89:90]
	s_waitcnt vmcnt(11)
	v_fma_f64 v[81:82], v[121:122], v[83:84], v[81:82]
	s_waitcnt vmcnt(10) lgkmcnt(0)
	v_fma_f64 v[81:82], v[119:120], v[85:86], v[81:82]
	s_waitcnt vmcnt(5)
	v_fma_f64 v[85:86], v[91:92], v[87:88], v[81:82]
	ds_read_b128 v[81:84], v80 offset:608
	ds_read_b64 v[87:88], v80 offset:624
	s_waitcnt vmcnt(4) lgkmcnt(1)
	v_fma_f64 v[81:82], v[97:98], v[81:82], v[85:86]
	s_waitcnt vmcnt(3)
	v_fma_f64 v[81:82], v[95:96], v[83:84], v[81:82]
	s_waitcnt vmcnt(2) lgkmcnt(0)
	v_fma_f64 v[81:82], v[93:94], v[87:88], v[81:82]
	s_waitcnt vmcnt(0)
	v_add_f64 v[81:82], v[99:100], -v[81:82]
	buffer_store_dword v82, off, s[0:3], 0 offset:124
	buffer_store_dword v81, off, s[0:3], 0 offset:120
	v_cmpx_lt_u32_e32 14, v0
	s_cbranch_execz .LBB102_215
; %bb.214:
	s_clause 0x1
	buffer_load_dword v81, off, s[0:3], 0 offset:112
	buffer_load_dword v82, off, s[0:3], 0 offset:116
	buffer_store_dword v80, off, s[0:3], 0 offset:112
	buffer_store_dword v80, off, s[0:3], 0 offset:116
	s_waitcnt vmcnt(0)
	ds_write_b64 v79, v[81:82]
.LBB102_215:
	s_or_b32 exec_lo, exec_lo, s4
	s_waitcnt lgkmcnt(0)
	s_waitcnt_vscnt null, 0x0
	s_barrier
	buffer_gl0_inv
	s_clause 0x1c
	buffer_load_dword v89, off, s[0:3], 0 offset:120
	buffer_load_dword v90, off, s[0:3], 0 offset:124
	;; [unrolled: 1-line block ×29, first 2 shown]
	ds_read2_b64 v[81:84], v80 offset0:55 offset1:56
	ds_read2_b64 v[85:88], v80 offset0:57 offset1:58
	buffer_load_dword v114, off, s[0:3], 0 offset:236
	s_mov_b32 s4, exec_lo
	s_waitcnt vmcnt(28) lgkmcnt(1)
	v_fma_f64 v[81:82], v[89:90], v[81:82], 0
	s_clause 0x7
	buffer_load_dword v90, off, s[0:3], 0 offset:244
	buffer_load_dword v119, off, s[0:3], 0 offset:264
	buffer_load_dword v121, off, s[0:3], 0 offset:256
	buffer_load_dword v123, off, s[0:3], 0 offset:248
	buffer_load_dword v89, off, s[0:3], 0 offset:240
	buffer_load_dword v124, off, s[0:3], 0 offset:252
	buffer_load_dword v122, off, s[0:3], 0 offset:260
	buffer_load_dword v120, off, s[0:3], 0 offset:268
	s_waitcnt vmcnt(34)
	v_fma_f64 v[81:82], v[91:92], v[83:84], v[81:82]
	s_waitcnt vmcnt(32) lgkmcnt(0)
	v_fma_f64 v[81:82], v[93:94], v[85:86], v[81:82]
	s_waitcnt vmcnt(30)
	v_fma_f64 v[91:92], v[95:96], v[87:88], v[81:82]
	ds_read2_b64 v[81:84], v80 offset0:59 offset1:60
	ds_read2_b64 v[85:88], v80 offset0:61 offset1:62
	s_waitcnt vmcnt(28) lgkmcnt(1)
	v_fma_f64 v[81:82], v[97:98], v[81:82], v[91:92]
	s_clause 0x7
	buffer_load_dword v92, off, s[0:3], 0 offset:276
	buffer_load_dword v93, off, s[0:3], 0 offset:296
	;; [unrolled: 1-line block ×8, first 2 shown]
	s_waitcnt vmcnt(34)
	v_fma_f64 v[81:82], v[99:100], v[83:84], v[81:82]
	s_waitcnt vmcnt(32) lgkmcnt(0)
	v_fma_f64 v[81:82], v[101:102], v[85:86], v[81:82]
	s_waitcnt vmcnt(27)
	v_fma_f64 v[99:100], v[103:104], v[87:88], v[81:82]
	ds_read2_b64 v[81:84], v80 offset0:63 offset1:64
	ds_read2_b64 v[85:88], v80 offset0:65 offset1:66
	s_waitcnt vmcnt(26) lgkmcnt(1)
	v_fma_f64 v[81:82], v[109:110], v[81:82], v[99:100]
	s_clause 0x3
	buffer_load_dword v100, off, s[0:3], 0 offset:308
	buffer_load_dword v99, off, s[0:3], 0 offset:304
	;; [unrolled: 1-line block ×4, first 2 shown]
	s_waitcnt vmcnt(29)
	v_fma_f64 v[81:82], v[107:108], v[83:84], v[81:82]
	s_waitcnt vmcnt(28) lgkmcnt(0)
	v_fma_f64 v[81:82], v[105:106], v[85:86], v[81:82]
	s_waitcnt vmcnt(23)
	v_fma_f64 v[103:104], v[111:112], v[87:88], v[81:82]
	ds_read2_b64 v[81:84], v80 offset0:67 offset1:68
	ds_read2_b64 v[85:88], v80 offset0:69 offset1:70
	s_waitcnt vmcnt(22) lgkmcnt(1)
	v_fma_f64 v[81:82], v[117:118], v[81:82], v[103:104]
	s_waitcnt vmcnt(21)
	v_fma_f64 v[81:82], v[115:116], v[83:84], v[81:82]
	s_waitcnt vmcnt(20) lgkmcnt(0)
	v_fma_f64 v[81:82], v[113:114], v[85:86], v[81:82]
	s_waitcnt vmcnt(15)
	v_fma_f64 v[89:90], v[89:90], v[87:88], v[81:82]
	ds_read2_b64 v[81:84], v80 offset0:71 offset1:72
	ds_read2_b64 v[85:88], v80 offset0:73 offset1:74
	s_waitcnt vmcnt(14) lgkmcnt(1)
	v_fma_f64 v[81:82], v[123:124], v[81:82], v[89:90]
	;; [unrolled: 10-line block ×3, first 2 shown]
	s_waitcnt vmcnt(5)
	v_fma_f64 v[80:81], v[95:96], v[83:84], v[80:81]
	s_waitcnt vmcnt(4) lgkmcnt(0)
	v_fma_f64 v[80:81], v[93:94], v[85:86], v[80:81]
	s_waitcnt vmcnt(2)
	v_fma_f64 v[80:81], v[99:100], v[87:88], v[80:81]
	s_waitcnt vmcnt(0)
	v_add_f64 v[80:81], v[101:102], -v[80:81]
	buffer_store_dword v81, off, s[0:3], 0 offset:116
	buffer_store_dword v80, off, s[0:3], 0 offset:112
	v_cmpx_lt_u32_e32 13, v0
	s_cbranch_execz .LBB102_217
; %bb.216:
	s_clause 0x1
	buffer_load_dword v80, off, s[0:3], 0 offset:104
	buffer_load_dword v81, off, s[0:3], 0 offset:108
	v_mov_b32_e32 v82, 0
	buffer_store_dword v82, off, s[0:3], 0 offset:104
	buffer_store_dword v82, off, s[0:3], 0 offset:108
	s_waitcnt vmcnt(0)
	ds_write_b64 v79, v[80:81]
.LBB102_217:
	s_or_b32 exec_lo, exec_lo, s4
	s_waitcnt lgkmcnt(0)
	s_waitcnt_vscnt null, 0x0
	s_barrier
	buffer_gl0_inv
	s_clause 0x1c
	buffer_load_dword v89, off, s[0:3], 0 offset:112
	buffer_load_dword v90, off, s[0:3], 0 offset:116
	;; [unrolled: 1-line block ×29, first 2 shown]
	v_mov_b32_e32 v80, 0
	buffer_load_dword v114, off, s[0:3], 0 offset:228
	s_mov_b32 s4, exec_lo
	ds_read_b128 v[81:84], v80 offset:432
	ds_read_b128 v[85:88], v80 offset:448
	s_waitcnt vmcnt(28) lgkmcnt(1)
	v_fma_f64 v[81:82], v[89:90], v[81:82], 0
	s_clause 0x7
	buffer_load_dword v90, off, s[0:3], 0 offset:236
	buffer_load_dword v119, off, s[0:3], 0 offset:256
	;; [unrolled: 1-line block ×8, first 2 shown]
	s_waitcnt vmcnt(34)
	v_fma_f64 v[81:82], v[91:92], v[83:84], v[81:82]
	s_waitcnt vmcnt(32) lgkmcnt(0)
	v_fma_f64 v[81:82], v[93:94], v[85:86], v[81:82]
	s_waitcnt vmcnt(30)
	v_fma_f64 v[91:92], v[95:96], v[87:88], v[81:82]
	ds_read_b128 v[81:84], v80 offset:464
	ds_read_b128 v[85:88], v80 offset:480
	s_waitcnt vmcnt(28) lgkmcnt(1)
	v_fma_f64 v[81:82], v[97:98], v[81:82], v[91:92]
	s_clause 0x7
	buffer_load_dword v92, off, s[0:3], 0 offset:268
	buffer_load_dword v93, off, s[0:3], 0 offset:288
	;; [unrolled: 1-line block ×8, first 2 shown]
	s_waitcnt vmcnt(34)
	v_fma_f64 v[81:82], v[99:100], v[83:84], v[81:82]
	s_waitcnt vmcnt(32) lgkmcnt(0)
	v_fma_f64 v[81:82], v[101:102], v[85:86], v[81:82]
	s_waitcnt vmcnt(27)
	v_fma_f64 v[99:100], v[103:104], v[87:88], v[81:82]
	ds_read_b128 v[81:84], v80 offset:496
	ds_read_b128 v[85:88], v80 offset:512
	s_waitcnt vmcnt(26) lgkmcnt(1)
	v_fma_f64 v[81:82], v[109:110], v[81:82], v[99:100]
	s_clause 0x5
	buffer_load_dword v100, off, s[0:3], 0 offset:300
	buffer_load_dword v101, off, s[0:3], 0 offset:304
	;; [unrolled: 1-line block ×6, first 2 shown]
	s_waitcnt vmcnt(31)
	v_fma_f64 v[81:82], v[107:108], v[83:84], v[81:82]
	s_waitcnt vmcnt(30) lgkmcnt(0)
	v_fma_f64 v[81:82], v[105:106], v[85:86], v[81:82]
	s_waitcnt vmcnt(25)
	v_fma_f64 v[105:106], v[111:112], v[87:88], v[81:82]
	ds_read_b128 v[81:84], v80 offset:528
	ds_read_b128 v[85:88], v80 offset:544
	s_waitcnt vmcnt(24) lgkmcnt(1)
	v_fma_f64 v[81:82], v[117:118], v[81:82], v[105:106]
	s_waitcnt vmcnt(23)
	v_fma_f64 v[81:82], v[115:116], v[83:84], v[81:82]
	s_waitcnt vmcnt(22) lgkmcnt(0)
	v_fma_f64 v[81:82], v[113:114], v[85:86], v[81:82]
	s_waitcnt vmcnt(17)
	v_fma_f64 v[89:90], v[89:90], v[87:88], v[81:82]
	ds_read_b128 v[81:84], v80 offset:560
	ds_read_b128 v[85:88], v80 offset:576
	s_waitcnt vmcnt(16) lgkmcnt(1)
	v_fma_f64 v[81:82], v[123:124], v[81:82], v[89:90]
	s_waitcnt vmcnt(15)
	v_fma_f64 v[81:82], v[121:122], v[83:84], v[81:82]
	s_waitcnt vmcnt(14) lgkmcnt(0)
	v_fma_f64 v[81:82], v[119:120], v[85:86], v[81:82]
	s_waitcnt vmcnt(9)
	v_fma_f64 v[89:90], v[91:92], v[87:88], v[81:82]
	ds_read_b128 v[81:84], v80 offset:592
	ds_read_b128 v[85:88], v80 offset:608
	s_waitcnt vmcnt(8) lgkmcnt(1)
	v_fma_f64 v[81:82], v[97:98], v[81:82], v[89:90]
	s_waitcnt vmcnt(7)
	v_fma_f64 v[81:82], v[95:96], v[83:84], v[81:82]
	ds_read_b64 v[83:84], v80 offset:624
	s_waitcnt vmcnt(6) lgkmcnt(1)
	v_fma_f64 v[81:82], v[93:94], v[85:86], v[81:82]
	s_waitcnt vmcnt(3)
	v_fma_f64 v[81:82], v[99:100], v[87:88], v[81:82]
	s_waitcnt vmcnt(2) lgkmcnt(0)
	v_fma_f64 v[81:82], v[101:102], v[83:84], v[81:82]
	s_waitcnt vmcnt(0)
	v_add_f64 v[81:82], v[103:104], -v[81:82]
	buffer_store_dword v82, off, s[0:3], 0 offset:108
	buffer_store_dword v81, off, s[0:3], 0 offset:104
	v_cmpx_lt_u32_e32 12, v0
	s_cbranch_execz .LBB102_219
; %bb.218:
	s_clause 0x1
	buffer_load_dword v81, off, s[0:3], 0 offset:96
	buffer_load_dword v82, off, s[0:3], 0 offset:100
	buffer_store_dword v80, off, s[0:3], 0 offset:96
	buffer_store_dword v80, off, s[0:3], 0 offset:100
	s_waitcnt vmcnt(0)
	ds_write_b64 v79, v[81:82]
.LBB102_219:
	s_or_b32 exec_lo, exec_lo, s4
	s_waitcnt lgkmcnt(0)
	s_waitcnt_vscnt null, 0x0
	s_barrier
	buffer_gl0_inv
	s_clause 0x1c
	buffer_load_dword v89, off, s[0:3], 0 offset:104
	buffer_load_dword v90, off, s[0:3], 0 offset:108
	;; [unrolled: 1-line block ×29, first 2 shown]
	ds_read2_b64 v[81:84], v80 offset0:53 offset1:54
	ds_read2_b64 v[85:88], v80 offset0:55 offset1:56
	buffer_load_dword v114, off, s[0:3], 0 offset:220
	s_mov_b32 s4, exec_lo
	s_waitcnt vmcnt(28) lgkmcnt(1)
	v_fma_f64 v[81:82], v[89:90], v[81:82], 0
	s_clause 0x7
	buffer_load_dword v90, off, s[0:3], 0 offset:228
	buffer_load_dword v119, off, s[0:3], 0 offset:248
	buffer_load_dword v121, off, s[0:3], 0 offset:240
	buffer_load_dword v123, off, s[0:3], 0 offset:232
	buffer_load_dword v89, off, s[0:3], 0 offset:224
	buffer_load_dword v124, off, s[0:3], 0 offset:236
	buffer_load_dword v122, off, s[0:3], 0 offset:244
	buffer_load_dword v120, off, s[0:3], 0 offset:252
	s_waitcnt vmcnt(34)
	v_fma_f64 v[81:82], v[91:92], v[83:84], v[81:82]
	s_waitcnt vmcnt(32) lgkmcnt(0)
	v_fma_f64 v[81:82], v[93:94], v[85:86], v[81:82]
	s_waitcnt vmcnt(30)
	v_fma_f64 v[91:92], v[95:96], v[87:88], v[81:82]
	ds_read2_b64 v[81:84], v80 offset0:57 offset1:58
	ds_read2_b64 v[85:88], v80 offset0:59 offset1:60
	s_waitcnt vmcnt(28) lgkmcnt(1)
	v_fma_f64 v[81:82], v[97:98], v[81:82], v[91:92]
	s_clause 0x7
	buffer_load_dword v92, off, s[0:3], 0 offset:260
	buffer_load_dword v93, off, s[0:3], 0 offset:280
	buffer_load_dword v95, off, s[0:3], 0 offset:272
	buffer_load_dword v97, off, s[0:3], 0 offset:264
	buffer_load_dword v91, off, s[0:3], 0 offset:256
	buffer_load_dword v98, off, s[0:3], 0 offset:268
	buffer_load_dword v96, off, s[0:3], 0 offset:276
	buffer_load_dword v94, off, s[0:3], 0 offset:284
	s_waitcnt vmcnt(34)
	v_fma_f64 v[81:82], v[99:100], v[83:84], v[81:82]
	s_waitcnt vmcnt(32) lgkmcnt(0)
	v_fma_f64 v[81:82], v[101:102], v[85:86], v[81:82]
	s_waitcnt vmcnt(27)
	v_fma_f64 v[99:100], v[103:104], v[87:88], v[81:82]
	ds_read2_b64 v[81:84], v80 offset0:61 offset1:62
	ds_read2_b64 v[85:88], v80 offset0:63 offset1:64
	s_waitcnt vmcnt(26) lgkmcnt(1)
	v_fma_f64 v[81:82], v[109:110], v[81:82], v[99:100]
	s_clause 0x5
	buffer_load_dword v100, off, s[0:3], 0 offset:292
	buffer_load_dword v101, off, s[0:3], 0 offset:304
	;; [unrolled: 1-line block ×6, first 2 shown]
	s_waitcnt vmcnt(31)
	v_fma_f64 v[81:82], v[107:108], v[83:84], v[81:82]
	s_waitcnt vmcnt(30) lgkmcnt(0)
	v_fma_f64 v[81:82], v[105:106], v[85:86], v[81:82]
	s_waitcnt vmcnt(25)
	v_fma_f64 v[105:106], v[111:112], v[87:88], v[81:82]
	ds_read2_b64 v[81:84], v80 offset0:65 offset1:66
	s_clause 0x1
	buffer_load_dword v107, off, s[0:3], 0 offset:96
	buffer_load_dword v108, off, s[0:3], 0 offset:100
	ds_read2_b64 v[85:88], v80 offset0:67 offset1:68
	s_waitcnt vmcnt(26) lgkmcnt(1)
	v_fma_f64 v[81:82], v[117:118], v[81:82], v[105:106]
	s_waitcnt vmcnt(25)
	v_fma_f64 v[81:82], v[115:116], v[83:84], v[81:82]
	s_waitcnt vmcnt(24) lgkmcnt(0)
	v_fma_f64 v[81:82], v[113:114], v[85:86], v[81:82]
	s_waitcnt vmcnt(19)
	v_fma_f64 v[89:90], v[89:90], v[87:88], v[81:82]
	ds_read2_b64 v[81:84], v80 offset0:69 offset1:70
	ds_read2_b64 v[85:88], v80 offset0:71 offset1:72
	s_waitcnt vmcnt(18) lgkmcnt(1)
	v_fma_f64 v[81:82], v[123:124], v[81:82], v[89:90]
	s_waitcnt vmcnt(17)
	v_fma_f64 v[81:82], v[121:122], v[83:84], v[81:82]
	s_waitcnt vmcnt(16) lgkmcnt(0)
	v_fma_f64 v[81:82], v[119:120], v[85:86], v[81:82]
	s_waitcnt vmcnt(11)
	v_fma_f64 v[89:90], v[91:92], v[87:88], v[81:82]
	ds_read2_b64 v[81:84], v80 offset0:73 offset1:74
	;; [unrolled: 10-line block ×3, first 2 shown]
	s_waitcnt vmcnt(3) lgkmcnt(0)
	v_fma_f64 v[80:81], v[103:104], v[80:81], v[84:85]
	s_waitcnt vmcnt(2)
	v_fma_f64 v[80:81], v[101:102], v[82:83], v[80:81]
	s_waitcnt vmcnt(0)
	v_add_f64 v[80:81], v[107:108], -v[80:81]
	buffer_store_dword v81, off, s[0:3], 0 offset:100
	buffer_store_dword v80, off, s[0:3], 0 offset:96
	v_cmpx_lt_u32_e32 11, v0
	s_cbranch_execz .LBB102_221
; %bb.220:
	s_clause 0x1
	buffer_load_dword v80, off, s[0:3], 0 offset:88
	buffer_load_dword v81, off, s[0:3], 0 offset:92
	v_mov_b32_e32 v82, 0
	buffer_store_dword v82, off, s[0:3], 0 offset:88
	buffer_store_dword v82, off, s[0:3], 0 offset:92
	s_waitcnt vmcnt(0)
	ds_write_b64 v79, v[80:81]
.LBB102_221:
	s_or_b32 exec_lo, exec_lo, s4
	s_waitcnt lgkmcnt(0)
	s_waitcnt_vscnt null, 0x0
	s_barrier
	buffer_gl0_inv
	s_clause 0x1c
	buffer_load_dword v89, off, s[0:3], 0 offset:96
	buffer_load_dword v90, off, s[0:3], 0 offset:100
	;; [unrolled: 1-line block ×29, first 2 shown]
	v_mov_b32_e32 v80, 0
	buffer_load_dword v114, off, s[0:3], 0 offset:212
	s_mov_b32 s4, exec_lo
	ds_read_b128 v[81:84], v80 offset:416
	ds_read_b128 v[85:88], v80 offset:432
	s_waitcnt vmcnt(28) lgkmcnt(1)
	v_fma_f64 v[81:82], v[89:90], v[81:82], 0
	s_clause 0x7
	buffer_load_dword v90, off, s[0:3], 0 offset:220
	buffer_load_dword v119, off, s[0:3], 0 offset:240
	buffer_load_dword v121, off, s[0:3], 0 offset:232
	buffer_load_dword v123, off, s[0:3], 0 offset:224
	buffer_load_dword v89, off, s[0:3], 0 offset:216
	buffer_load_dword v124, off, s[0:3], 0 offset:228
	buffer_load_dword v122, off, s[0:3], 0 offset:236
	buffer_load_dword v120, off, s[0:3], 0 offset:244
	s_waitcnt vmcnt(34)
	v_fma_f64 v[81:82], v[91:92], v[83:84], v[81:82]
	s_waitcnt vmcnt(32) lgkmcnt(0)
	v_fma_f64 v[81:82], v[93:94], v[85:86], v[81:82]
	s_waitcnt vmcnt(30)
	v_fma_f64 v[91:92], v[95:96], v[87:88], v[81:82]
	ds_read_b128 v[81:84], v80 offset:448
	ds_read_b128 v[85:88], v80 offset:464
	s_waitcnt vmcnt(28) lgkmcnt(1)
	v_fma_f64 v[81:82], v[97:98], v[81:82], v[91:92]
	s_clause 0x7
	buffer_load_dword v92, off, s[0:3], 0 offset:252
	buffer_load_dword v93, off, s[0:3], 0 offset:272
	buffer_load_dword v95, off, s[0:3], 0 offset:264
	buffer_load_dword v97, off, s[0:3], 0 offset:256
	buffer_load_dword v91, off, s[0:3], 0 offset:248
	buffer_load_dword v98, off, s[0:3], 0 offset:260
	buffer_load_dword v96, off, s[0:3], 0 offset:268
	buffer_load_dword v94, off, s[0:3], 0 offset:276
	s_waitcnt vmcnt(34)
	v_fma_f64 v[81:82], v[99:100], v[83:84], v[81:82]
	s_waitcnt vmcnt(32) lgkmcnt(0)
	v_fma_f64 v[81:82], v[101:102], v[85:86], v[81:82]
	s_waitcnt vmcnt(27)
	v_fma_f64 v[99:100], v[103:104], v[87:88], v[81:82]
	;; [unrolled: 19-line block ×3, first 2 shown]
	ds_read_b128 v[81:84], v80 offset:512
	ds_read_b128 v[85:88], v80 offset:528
	s_waitcnt vmcnt(26) lgkmcnt(1)
	v_fma_f64 v[81:82], v[117:118], v[81:82], v[105:106]
	s_clause 0x1
	buffer_load_dword v105, off, s[0:3], 0 offset:88
	buffer_load_dword v106, off, s[0:3], 0 offset:92
	s_waitcnt vmcnt(27)
	v_fma_f64 v[81:82], v[115:116], v[83:84], v[81:82]
	s_waitcnt vmcnt(26) lgkmcnt(0)
	v_fma_f64 v[81:82], v[113:114], v[85:86], v[81:82]
	s_waitcnt vmcnt(21)
	v_fma_f64 v[89:90], v[89:90], v[87:88], v[81:82]
	ds_read_b128 v[81:84], v80 offset:544
	ds_read_b128 v[85:88], v80 offset:560
	s_waitcnt vmcnt(20) lgkmcnt(1)
	v_fma_f64 v[81:82], v[123:124], v[81:82], v[89:90]
	s_waitcnt vmcnt(19)
	v_fma_f64 v[81:82], v[121:122], v[83:84], v[81:82]
	s_waitcnt vmcnt(18) lgkmcnt(0)
	v_fma_f64 v[81:82], v[119:120], v[85:86], v[81:82]
	s_waitcnt vmcnt(13)
	v_fma_f64 v[89:90], v[91:92], v[87:88], v[81:82]
	ds_read_b128 v[81:84], v80 offset:576
	ds_read_b128 v[85:88], v80 offset:592
	s_waitcnt vmcnt(12) lgkmcnt(1)
	v_fma_f64 v[81:82], v[97:98], v[81:82], v[89:90]
	s_waitcnt vmcnt(11)
	v_fma_f64 v[81:82], v[95:96], v[83:84], v[81:82]
	s_waitcnt vmcnt(10) lgkmcnt(0)
	v_fma_f64 v[81:82], v[93:94], v[85:86], v[81:82]
	s_waitcnt vmcnt(5)
	v_fma_f64 v[85:86], v[99:100], v[87:88], v[81:82]
	ds_read_b128 v[81:84], v80 offset:608
	ds_read_b64 v[87:88], v80 offset:624
	s_waitcnt vmcnt(4) lgkmcnt(1)
	v_fma_f64 v[81:82], v[109:110], v[81:82], v[85:86]
	s_waitcnt vmcnt(3)
	v_fma_f64 v[81:82], v[103:104], v[83:84], v[81:82]
	s_waitcnt vmcnt(2) lgkmcnt(0)
	v_fma_f64 v[81:82], v[101:102], v[87:88], v[81:82]
	s_waitcnt vmcnt(0)
	v_add_f64 v[81:82], v[105:106], -v[81:82]
	buffer_store_dword v82, off, s[0:3], 0 offset:92
	buffer_store_dword v81, off, s[0:3], 0 offset:88
	v_cmpx_lt_u32_e32 10, v0
	s_cbranch_execz .LBB102_223
; %bb.222:
	s_clause 0x1
	buffer_load_dword v81, off, s[0:3], 0 offset:80
	buffer_load_dword v82, off, s[0:3], 0 offset:84
	buffer_store_dword v80, off, s[0:3], 0 offset:80
	buffer_store_dword v80, off, s[0:3], 0 offset:84
	s_waitcnt vmcnt(0)
	ds_write_b64 v79, v[81:82]
.LBB102_223:
	s_or_b32 exec_lo, exec_lo, s4
	s_waitcnt lgkmcnt(0)
	s_waitcnt_vscnt null, 0x0
	s_barrier
	buffer_gl0_inv
	s_clause 0x1c
	buffer_load_dword v89, off, s[0:3], 0 offset:88
	buffer_load_dword v90, off, s[0:3], 0 offset:92
	;; [unrolled: 1-line block ×29, first 2 shown]
	ds_read2_b64 v[81:84], v80 offset0:51 offset1:52
	ds_read2_b64 v[85:88], v80 offset0:53 offset1:54
	buffer_load_dword v114, off, s[0:3], 0 offset:204
	s_mov_b32 s4, exec_lo
	s_waitcnt vmcnt(28) lgkmcnt(1)
	v_fma_f64 v[81:82], v[89:90], v[81:82], 0
	s_clause 0x7
	buffer_load_dword v90, off, s[0:3], 0 offset:212
	buffer_load_dword v119, off, s[0:3], 0 offset:232
	buffer_load_dword v121, off, s[0:3], 0 offset:224
	buffer_load_dword v123, off, s[0:3], 0 offset:216
	buffer_load_dword v89, off, s[0:3], 0 offset:208
	buffer_load_dword v124, off, s[0:3], 0 offset:220
	buffer_load_dword v122, off, s[0:3], 0 offset:228
	buffer_load_dword v120, off, s[0:3], 0 offset:236
	s_waitcnt vmcnt(34)
	v_fma_f64 v[81:82], v[91:92], v[83:84], v[81:82]
	s_waitcnt vmcnt(32) lgkmcnt(0)
	v_fma_f64 v[81:82], v[93:94], v[85:86], v[81:82]
	s_waitcnt vmcnt(30)
	v_fma_f64 v[91:92], v[95:96], v[87:88], v[81:82]
	ds_read2_b64 v[81:84], v80 offset0:55 offset1:56
	ds_read2_b64 v[85:88], v80 offset0:57 offset1:58
	s_waitcnt vmcnt(28) lgkmcnt(1)
	v_fma_f64 v[81:82], v[97:98], v[81:82], v[91:92]
	s_clause 0x7
	buffer_load_dword v92, off, s[0:3], 0 offset:244
	buffer_load_dword v93, off, s[0:3], 0 offset:264
	buffer_load_dword v95, off, s[0:3], 0 offset:256
	buffer_load_dword v97, off, s[0:3], 0 offset:248
	buffer_load_dword v91, off, s[0:3], 0 offset:240
	buffer_load_dword v98, off, s[0:3], 0 offset:252
	buffer_load_dword v96, off, s[0:3], 0 offset:260
	buffer_load_dword v94, off, s[0:3], 0 offset:268
	s_waitcnt vmcnt(34)
	v_fma_f64 v[81:82], v[99:100], v[83:84], v[81:82]
	s_waitcnt vmcnt(32) lgkmcnt(0)
	v_fma_f64 v[81:82], v[101:102], v[85:86], v[81:82]
	s_waitcnt vmcnt(27)
	v_fma_f64 v[99:100], v[103:104], v[87:88], v[81:82]
	ds_read2_b64 v[81:84], v80 offset0:59 offset1:60
	ds_read2_b64 v[85:88], v80 offset0:61 offset1:62
	;; [unrolled: 19-line block ×3, first 2 shown]
	s_waitcnt vmcnt(26) lgkmcnt(1)
	v_fma_f64 v[81:82], v[117:118], v[81:82], v[105:106]
	s_clause 0x3
	buffer_load_dword v106, off, s[0:3], 0 offset:308
	buffer_load_dword v105, off, s[0:3], 0 offset:304
	buffer_load_dword v107, off, s[0:3], 0 offset:80
	buffer_load_dword v108, off, s[0:3], 0 offset:84
	s_waitcnt vmcnt(29)
	v_fma_f64 v[81:82], v[115:116], v[83:84], v[81:82]
	s_waitcnt vmcnt(28) lgkmcnt(0)
	v_fma_f64 v[81:82], v[113:114], v[85:86], v[81:82]
	s_waitcnt vmcnt(23)
	v_fma_f64 v[89:90], v[89:90], v[87:88], v[81:82]
	ds_read2_b64 v[81:84], v80 offset0:67 offset1:68
	ds_read2_b64 v[85:88], v80 offset0:69 offset1:70
	s_waitcnt vmcnt(22) lgkmcnt(1)
	v_fma_f64 v[81:82], v[123:124], v[81:82], v[89:90]
	s_waitcnt vmcnt(21)
	v_fma_f64 v[81:82], v[121:122], v[83:84], v[81:82]
	s_waitcnt vmcnt(20) lgkmcnt(0)
	v_fma_f64 v[81:82], v[119:120], v[85:86], v[81:82]
	s_waitcnt vmcnt(15)
	v_fma_f64 v[89:90], v[91:92], v[87:88], v[81:82]
	ds_read2_b64 v[81:84], v80 offset0:71 offset1:72
	ds_read2_b64 v[85:88], v80 offset0:73 offset1:74
	s_waitcnt vmcnt(14) lgkmcnt(1)
	v_fma_f64 v[81:82], v[97:98], v[81:82], v[89:90]
	;; [unrolled: 10-line block ×3, first 2 shown]
	s_waitcnt vmcnt(5)
	v_fma_f64 v[80:81], v[103:104], v[83:84], v[80:81]
	s_waitcnt vmcnt(4) lgkmcnt(0)
	v_fma_f64 v[80:81], v[101:102], v[85:86], v[80:81]
	s_waitcnt vmcnt(2)
	v_fma_f64 v[80:81], v[105:106], v[87:88], v[80:81]
	s_waitcnt vmcnt(0)
	v_add_f64 v[80:81], v[107:108], -v[80:81]
	buffer_store_dword v81, off, s[0:3], 0 offset:84
	buffer_store_dword v80, off, s[0:3], 0 offset:80
	v_cmpx_lt_u32_e32 9, v0
	s_cbranch_execz .LBB102_225
; %bb.224:
	s_clause 0x1
	buffer_load_dword v80, off, s[0:3], 0 offset:72
	buffer_load_dword v81, off, s[0:3], 0 offset:76
	v_mov_b32_e32 v82, 0
	buffer_store_dword v82, off, s[0:3], 0 offset:72
	buffer_store_dword v82, off, s[0:3], 0 offset:76
	s_waitcnt vmcnt(0)
	ds_write_b64 v79, v[80:81]
.LBB102_225:
	s_or_b32 exec_lo, exec_lo, s4
	s_waitcnt lgkmcnt(0)
	s_waitcnt_vscnt null, 0x0
	s_barrier
	buffer_gl0_inv
	s_clause 0x1c
	buffer_load_dword v89, off, s[0:3], 0 offset:80
	buffer_load_dword v90, off, s[0:3], 0 offset:84
	;; [unrolled: 1-line block ×29, first 2 shown]
	v_mov_b32_e32 v80, 0
	buffer_load_dword v114, off, s[0:3], 0 offset:196
	s_mov_b32 s4, exec_lo
	ds_read_b128 v[81:84], v80 offset:400
	ds_read_b128 v[85:88], v80 offset:416
	s_waitcnt vmcnt(28) lgkmcnt(1)
	v_fma_f64 v[81:82], v[89:90], v[81:82], 0
	s_clause 0x7
	buffer_load_dword v90, off, s[0:3], 0 offset:204
	buffer_load_dword v119, off, s[0:3], 0 offset:224
	buffer_load_dword v121, off, s[0:3], 0 offset:216
	buffer_load_dword v123, off, s[0:3], 0 offset:208
	buffer_load_dword v89, off, s[0:3], 0 offset:200
	buffer_load_dword v124, off, s[0:3], 0 offset:212
	buffer_load_dword v122, off, s[0:3], 0 offset:220
	buffer_load_dword v120, off, s[0:3], 0 offset:228
	s_waitcnt vmcnt(34)
	v_fma_f64 v[81:82], v[91:92], v[83:84], v[81:82]
	s_waitcnt vmcnt(32) lgkmcnt(0)
	v_fma_f64 v[81:82], v[93:94], v[85:86], v[81:82]
	s_waitcnt vmcnt(30)
	v_fma_f64 v[91:92], v[95:96], v[87:88], v[81:82]
	ds_read_b128 v[81:84], v80 offset:432
	ds_read_b128 v[85:88], v80 offset:448
	s_waitcnt vmcnt(28) lgkmcnt(1)
	v_fma_f64 v[81:82], v[97:98], v[81:82], v[91:92]
	s_clause 0x7
	buffer_load_dword v92, off, s[0:3], 0 offset:236
	buffer_load_dword v93, off, s[0:3], 0 offset:256
	buffer_load_dword v95, off, s[0:3], 0 offset:248
	buffer_load_dword v97, off, s[0:3], 0 offset:240
	buffer_load_dword v91, off, s[0:3], 0 offset:232
	buffer_load_dword v98, off, s[0:3], 0 offset:244
	buffer_load_dword v96, off, s[0:3], 0 offset:252
	buffer_load_dword v94, off, s[0:3], 0 offset:260
	s_waitcnt vmcnt(34)
	v_fma_f64 v[81:82], v[99:100], v[83:84], v[81:82]
	s_waitcnt vmcnt(32) lgkmcnt(0)
	v_fma_f64 v[81:82], v[101:102], v[85:86], v[81:82]
	s_waitcnt vmcnt(27)
	v_fma_f64 v[99:100], v[103:104], v[87:88], v[81:82]
	;; [unrolled: 19-line block ×3, first 2 shown]
	ds_read_b128 v[81:84], v80 offset:496
	ds_read_b128 v[85:88], v80 offset:512
	s_waitcnt vmcnt(26) lgkmcnt(1)
	v_fma_f64 v[81:82], v[117:118], v[81:82], v[105:106]
	s_clause 0x5
	buffer_load_dword v106, off, s[0:3], 0 offset:300
	buffer_load_dword v107, off, s[0:3], 0 offset:304
	;; [unrolled: 1-line block ×6, first 2 shown]
	s_waitcnt vmcnt(31)
	v_fma_f64 v[81:82], v[115:116], v[83:84], v[81:82]
	s_waitcnt vmcnt(30) lgkmcnt(0)
	v_fma_f64 v[81:82], v[113:114], v[85:86], v[81:82]
	s_waitcnt vmcnt(25)
	v_fma_f64 v[89:90], v[89:90], v[87:88], v[81:82]
	ds_read_b128 v[81:84], v80 offset:528
	ds_read_b128 v[85:88], v80 offset:544
	s_waitcnt vmcnt(24) lgkmcnt(1)
	v_fma_f64 v[81:82], v[123:124], v[81:82], v[89:90]
	s_waitcnt vmcnt(23)
	v_fma_f64 v[81:82], v[121:122], v[83:84], v[81:82]
	s_waitcnt vmcnt(22) lgkmcnt(0)
	v_fma_f64 v[81:82], v[119:120], v[85:86], v[81:82]
	s_waitcnt vmcnt(17)
	v_fma_f64 v[89:90], v[91:92], v[87:88], v[81:82]
	ds_read_b128 v[81:84], v80 offset:560
	ds_read_b128 v[85:88], v80 offset:576
	s_waitcnt vmcnt(16) lgkmcnt(1)
	v_fma_f64 v[81:82], v[97:98], v[81:82], v[89:90]
	;; [unrolled: 10-line block ×3, first 2 shown]
	s_waitcnt vmcnt(7)
	v_fma_f64 v[81:82], v[103:104], v[83:84], v[81:82]
	ds_read_b64 v[83:84], v80 offset:624
	s_waitcnt vmcnt(6) lgkmcnt(1)
	v_fma_f64 v[81:82], v[101:102], v[85:86], v[81:82]
	s_waitcnt vmcnt(3)
	v_fma_f64 v[81:82], v[105:106], v[87:88], v[81:82]
	s_waitcnt vmcnt(2) lgkmcnt(0)
	v_fma_f64 v[81:82], v[107:108], v[83:84], v[81:82]
	s_waitcnt vmcnt(0)
	v_add_f64 v[81:82], v[111:112], -v[81:82]
	buffer_store_dword v82, off, s[0:3], 0 offset:76
	buffer_store_dword v81, off, s[0:3], 0 offset:72
	v_cmpx_lt_u32_e32 8, v0
	s_cbranch_execz .LBB102_227
; %bb.226:
	s_clause 0x1
	buffer_load_dword v81, off, s[0:3], 0 offset:64
	buffer_load_dword v82, off, s[0:3], 0 offset:68
	buffer_store_dword v80, off, s[0:3], 0 offset:64
	buffer_store_dword v80, off, s[0:3], 0 offset:68
	s_waitcnt vmcnt(0)
	ds_write_b64 v79, v[81:82]
.LBB102_227:
	s_or_b32 exec_lo, exec_lo, s4
	s_waitcnt lgkmcnt(0)
	s_waitcnt_vscnt null, 0x0
	s_barrier
	buffer_gl0_inv
	s_clause 0x1c
	buffer_load_dword v89, off, s[0:3], 0 offset:72
	buffer_load_dword v90, off, s[0:3], 0 offset:76
	buffer_load_dword v91, off, s[0:3], 0 offset:80
	buffer_load_dword v92, off, s[0:3], 0 offset:84
	buffer_load_dword v93, off, s[0:3], 0 offset:88
	buffer_load_dword v94, off, s[0:3], 0 offset:92
	buffer_load_dword v95, off, s[0:3], 0 offset:96
	buffer_load_dword v96, off, s[0:3], 0 offset:100
	buffer_load_dword v97, off, s[0:3], 0 offset:104
	buffer_load_dword v98, off, s[0:3], 0 offset:108
	buffer_load_dword v99, off, s[0:3], 0 offset:112
	buffer_load_dword v100, off, s[0:3], 0 offset:116
	buffer_load_dword v101, off, s[0:3], 0 offset:120
	buffer_load_dword v102, off, s[0:3], 0 offset:124
	buffer_load_dword v104, off, s[0:3], 0 offset:132
	buffer_load_dword v105, off, s[0:3], 0 offset:152
	buffer_load_dword v107, off, s[0:3], 0 offset:144
	buffer_load_dword v109, off, s[0:3], 0 offset:136
	buffer_load_dword v103, off, s[0:3], 0 offset:128
	buffer_load_dword v110, off, s[0:3], 0 offset:140
	buffer_load_dword v108, off, s[0:3], 0 offset:148
	buffer_load_dword v106, off, s[0:3], 0 offset:156
	buffer_load_dword v112, off, s[0:3], 0 offset:164
	buffer_load_dword v113, off, s[0:3], 0 offset:184
	buffer_load_dword v115, off, s[0:3], 0 offset:176
	buffer_load_dword v117, off, s[0:3], 0 offset:168
	buffer_load_dword v111, off, s[0:3], 0 offset:160
	buffer_load_dword v118, off, s[0:3], 0 offset:172
	buffer_load_dword v116, off, s[0:3], 0 offset:180
	ds_read2_b64 v[81:84], v80 offset0:49 offset1:50
	ds_read2_b64 v[85:88], v80 offset0:51 offset1:52
	buffer_load_dword v114, off, s[0:3], 0 offset:188
	s_mov_b32 s4, exec_lo
	s_waitcnt vmcnt(28) lgkmcnt(1)
	v_fma_f64 v[81:82], v[89:90], v[81:82], 0
	s_clause 0x7
	buffer_load_dword v90, off, s[0:3], 0 offset:196
	buffer_load_dword v119, off, s[0:3], 0 offset:216
	buffer_load_dword v121, off, s[0:3], 0 offset:208
	buffer_load_dword v123, off, s[0:3], 0 offset:200
	buffer_load_dword v89, off, s[0:3], 0 offset:192
	buffer_load_dword v124, off, s[0:3], 0 offset:204
	buffer_load_dword v122, off, s[0:3], 0 offset:212
	buffer_load_dword v120, off, s[0:3], 0 offset:220
	s_waitcnt vmcnt(34)
	v_fma_f64 v[81:82], v[91:92], v[83:84], v[81:82]
	s_waitcnt vmcnt(32) lgkmcnt(0)
	v_fma_f64 v[81:82], v[93:94], v[85:86], v[81:82]
	s_waitcnt vmcnt(30)
	v_fma_f64 v[91:92], v[95:96], v[87:88], v[81:82]
	ds_read2_b64 v[81:84], v80 offset0:53 offset1:54
	ds_read2_b64 v[85:88], v80 offset0:55 offset1:56
	s_waitcnt vmcnt(28) lgkmcnt(1)
	v_fma_f64 v[81:82], v[97:98], v[81:82], v[91:92]
	s_clause 0x7
	buffer_load_dword v92, off, s[0:3], 0 offset:228
	buffer_load_dword v93, off, s[0:3], 0 offset:248
	buffer_load_dword v95, off, s[0:3], 0 offset:240
	buffer_load_dword v97, off, s[0:3], 0 offset:232
	buffer_load_dword v91, off, s[0:3], 0 offset:224
	buffer_load_dword v98, off, s[0:3], 0 offset:236
	buffer_load_dword v96, off, s[0:3], 0 offset:244
	buffer_load_dword v94, off, s[0:3], 0 offset:252
	s_waitcnt vmcnt(34)
	v_fma_f64 v[81:82], v[99:100], v[83:84], v[81:82]
	s_waitcnt vmcnt(32) lgkmcnt(0)
	v_fma_f64 v[81:82], v[101:102], v[85:86], v[81:82]
	s_waitcnt vmcnt(27)
	v_fma_f64 v[99:100], v[103:104], v[87:88], v[81:82]
	ds_read2_b64 v[81:84], v80 offset0:57 offset1:58
	ds_read2_b64 v[85:88], v80 offset0:59 offset1:60
	;; [unrolled: 19-line block ×3, first 2 shown]
	s_waitcnt vmcnt(26) lgkmcnt(1)
	v_fma_f64 v[81:82], v[117:118], v[81:82], v[105:106]
	s_clause 0x5
	buffer_load_dword v106, off, s[0:3], 0 offset:292
	buffer_load_dword v107, off, s[0:3], 0 offset:304
	;; [unrolled: 1-line block ×6, first 2 shown]
	s_waitcnt vmcnt(31)
	v_fma_f64 v[81:82], v[115:116], v[83:84], v[81:82]
	s_waitcnt vmcnt(30) lgkmcnt(0)
	v_fma_f64 v[81:82], v[113:114], v[85:86], v[81:82]
	s_waitcnt vmcnt(25)
	v_fma_f64 v[89:90], v[89:90], v[87:88], v[81:82]
	ds_read2_b64 v[81:84], v80 offset0:65 offset1:66
	s_clause 0x1
	buffer_load_dword v113, off, s[0:3], 0 offset:64
	buffer_load_dword v114, off, s[0:3], 0 offset:68
	ds_read2_b64 v[85:88], v80 offset0:67 offset1:68
	s_waitcnt vmcnt(26) lgkmcnt(1)
	v_fma_f64 v[81:82], v[123:124], v[81:82], v[89:90]
	s_waitcnt vmcnt(25)
	v_fma_f64 v[81:82], v[121:122], v[83:84], v[81:82]
	s_waitcnt vmcnt(24) lgkmcnt(0)
	v_fma_f64 v[81:82], v[119:120], v[85:86], v[81:82]
	s_waitcnt vmcnt(19)
	v_fma_f64 v[89:90], v[91:92], v[87:88], v[81:82]
	ds_read2_b64 v[81:84], v80 offset0:69 offset1:70
	ds_read2_b64 v[85:88], v80 offset0:71 offset1:72
	s_waitcnt vmcnt(18) lgkmcnt(1)
	v_fma_f64 v[81:82], v[97:98], v[81:82], v[89:90]
	s_waitcnt vmcnt(17)
	v_fma_f64 v[81:82], v[95:96], v[83:84], v[81:82]
	s_waitcnt vmcnt(16) lgkmcnt(0)
	v_fma_f64 v[81:82], v[93:94], v[85:86], v[81:82]
	s_waitcnt vmcnt(11)
	v_fma_f64 v[89:90], v[99:100], v[87:88], v[81:82]
	ds_read2_b64 v[81:84], v80 offset0:73 offset1:74
	;; [unrolled: 10-line block ×3, first 2 shown]
	s_waitcnt vmcnt(3) lgkmcnt(0)
	v_fma_f64 v[80:81], v[111:112], v[80:81], v[84:85]
	s_waitcnt vmcnt(2)
	v_fma_f64 v[80:81], v[107:108], v[82:83], v[80:81]
	s_waitcnt vmcnt(0)
	v_add_f64 v[80:81], v[113:114], -v[80:81]
	buffer_store_dword v81, off, s[0:3], 0 offset:68
	buffer_store_dword v80, off, s[0:3], 0 offset:64
	v_cmpx_lt_u32_e32 7, v0
	s_cbranch_execz .LBB102_229
; %bb.228:
	s_clause 0x1
	buffer_load_dword v80, off, s[0:3], 0 offset:56
	buffer_load_dword v81, off, s[0:3], 0 offset:60
	v_mov_b32_e32 v82, 0
	buffer_store_dword v82, off, s[0:3], 0 offset:56
	buffer_store_dword v82, off, s[0:3], 0 offset:60
	s_waitcnt vmcnt(0)
	ds_write_b64 v79, v[80:81]
.LBB102_229:
	s_or_b32 exec_lo, exec_lo, s4
	s_waitcnt lgkmcnt(0)
	s_waitcnt_vscnt null, 0x0
	s_barrier
	buffer_gl0_inv
	s_clause 0x1c
	buffer_load_dword v89, off, s[0:3], 0 offset:64
	buffer_load_dword v90, off, s[0:3], 0 offset:68
	;; [unrolled: 1-line block ×29, first 2 shown]
	v_mov_b32_e32 v80, 0
	buffer_load_dword v114, off, s[0:3], 0 offset:180
	s_mov_b32 s4, exec_lo
	ds_read_b128 v[81:84], v80 offset:384
	ds_read_b128 v[85:88], v80 offset:400
	s_waitcnt vmcnt(28) lgkmcnt(1)
	v_fma_f64 v[81:82], v[89:90], v[81:82], 0
	s_clause 0x7
	buffer_load_dword v90, off, s[0:3], 0 offset:188
	buffer_load_dword v119, off, s[0:3], 0 offset:208
	buffer_load_dword v121, off, s[0:3], 0 offset:200
	buffer_load_dword v123, off, s[0:3], 0 offset:192
	buffer_load_dword v89, off, s[0:3], 0 offset:184
	buffer_load_dword v124, off, s[0:3], 0 offset:196
	buffer_load_dword v122, off, s[0:3], 0 offset:204
	buffer_load_dword v120, off, s[0:3], 0 offset:212
	s_waitcnt vmcnt(34)
	v_fma_f64 v[81:82], v[91:92], v[83:84], v[81:82]
	s_waitcnt vmcnt(32) lgkmcnt(0)
	v_fma_f64 v[81:82], v[93:94], v[85:86], v[81:82]
	s_waitcnt vmcnt(30)
	v_fma_f64 v[91:92], v[95:96], v[87:88], v[81:82]
	ds_read_b128 v[81:84], v80 offset:416
	ds_read_b128 v[85:88], v80 offset:432
	s_waitcnt vmcnt(28) lgkmcnt(1)
	v_fma_f64 v[81:82], v[97:98], v[81:82], v[91:92]
	s_clause 0x7
	buffer_load_dword v92, off, s[0:3], 0 offset:220
	buffer_load_dword v93, off, s[0:3], 0 offset:240
	buffer_load_dword v95, off, s[0:3], 0 offset:232
	buffer_load_dword v97, off, s[0:3], 0 offset:224
	buffer_load_dword v91, off, s[0:3], 0 offset:216
	buffer_load_dword v98, off, s[0:3], 0 offset:228
	buffer_load_dword v96, off, s[0:3], 0 offset:236
	buffer_load_dword v94, off, s[0:3], 0 offset:244
	s_waitcnt vmcnt(34)
	v_fma_f64 v[81:82], v[99:100], v[83:84], v[81:82]
	s_waitcnt vmcnt(32) lgkmcnt(0)
	v_fma_f64 v[81:82], v[101:102], v[85:86], v[81:82]
	s_waitcnt vmcnt(27)
	v_fma_f64 v[99:100], v[103:104], v[87:88], v[81:82]
	;; [unrolled: 19-line block ×4, first 2 shown]
	ds_read_b128 v[81:84], v80 offset:512
	ds_read_b128 v[85:88], v80 offset:528
	s_waitcnt vmcnt(26) lgkmcnt(1)
	v_fma_f64 v[81:82], v[123:124], v[81:82], v[89:90]
	s_clause 0x1
	buffer_load_dword v89, off, s[0:3], 0 offset:56
	buffer_load_dword v90, off, s[0:3], 0 offset:60
	s_waitcnt vmcnt(27)
	v_fma_f64 v[81:82], v[121:122], v[83:84], v[81:82]
	s_waitcnt vmcnt(26) lgkmcnt(0)
	v_fma_f64 v[81:82], v[119:120], v[85:86], v[81:82]
	s_waitcnt vmcnt(21)
	v_fma_f64 v[91:92], v[91:92], v[87:88], v[81:82]
	ds_read_b128 v[81:84], v80 offset:544
	ds_read_b128 v[85:88], v80 offset:560
	s_waitcnt vmcnt(20) lgkmcnt(1)
	v_fma_f64 v[81:82], v[97:98], v[81:82], v[91:92]
	s_waitcnt vmcnt(19)
	v_fma_f64 v[81:82], v[95:96], v[83:84], v[81:82]
	s_waitcnt vmcnt(18) lgkmcnt(0)
	v_fma_f64 v[81:82], v[93:94], v[85:86], v[81:82]
	s_waitcnt vmcnt(13)
	v_fma_f64 v[91:92], v[99:100], v[87:88], v[81:82]
	ds_read_b128 v[81:84], v80 offset:576
	ds_read_b128 v[85:88], v80 offset:592
	s_waitcnt vmcnt(12) lgkmcnt(1)
	v_fma_f64 v[81:82], v[109:110], v[81:82], v[91:92]
	s_waitcnt vmcnt(11)
	v_fma_f64 v[81:82], v[103:104], v[83:84], v[81:82]
	s_waitcnt vmcnt(10) lgkmcnt(0)
	v_fma_f64 v[81:82], v[101:102], v[85:86], v[81:82]
	s_waitcnt vmcnt(5)
	v_fma_f64 v[85:86], v[105:106], v[87:88], v[81:82]
	ds_read_b128 v[81:84], v80 offset:608
	ds_read_b64 v[87:88], v80 offset:624
	s_waitcnt vmcnt(4) lgkmcnt(1)
	v_fma_f64 v[81:82], v[117:118], v[81:82], v[85:86]
	s_waitcnt vmcnt(3)
	v_fma_f64 v[81:82], v[111:112], v[83:84], v[81:82]
	s_waitcnt vmcnt(2) lgkmcnt(0)
	v_fma_f64 v[81:82], v[107:108], v[87:88], v[81:82]
	s_waitcnt vmcnt(0)
	v_add_f64 v[81:82], v[89:90], -v[81:82]
	buffer_store_dword v82, off, s[0:3], 0 offset:60
	buffer_store_dword v81, off, s[0:3], 0 offset:56
	v_cmpx_lt_u32_e32 6, v0
	s_cbranch_execz .LBB102_231
; %bb.230:
	s_clause 0x1
	buffer_load_dword v81, off, s[0:3], 0 offset:48
	buffer_load_dword v82, off, s[0:3], 0 offset:52
	buffer_store_dword v80, off, s[0:3], 0 offset:48
	buffer_store_dword v80, off, s[0:3], 0 offset:52
	s_waitcnt vmcnt(0)
	ds_write_b64 v79, v[81:82]
.LBB102_231:
	s_or_b32 exec_lo, exec_lo, s4
	s_waitcnt lgkmcnt(0)
	s_waitcnt_vscnt null, 0x0
	s_barrier
	buffer_gl0_inv
	s_clause 0x1c
	buffer_load_dword v89, off, s[0:3], 0 offset:56
	buffer_load_dword v90, off, s[0:3], 0 offset:60
	;; [unrolled: 1-line block ×29, first 2 shown]
	ds_read2_b64 v[81:84], v80 offset0:47 offset1:48
	ds_read2_b64 v[85:88], v80 offset0:49 offset1:50
	buffer_load_dword v114, off, s[0:3], 0 offset:172
	s_mov_b32 s4, exec_lo
	s_waitcnt vmcnt(28) lgkmcnt(1)
	v_fma_f64 v[81:82], v[89:90], v[81:82], 0
	s_clause 0x7
	buffer_load_dword v90, off, s[0:3], 0 offset:180
	buffer_load_dword v119, off, s[0:3], 0 offset:200
	buffer_load_dword v121, off, s[0:3], 0 offset:192
	buffer_load_dword v123, off, s[0:3], 0 offset:184
	buffer_load_dword v89, off, s[0:3], 0 offset:176
	buffer_load_dword v124, off, s[0:3], 0 offset:188
	buffer_load_dword v122, off, s[0:3], 0 offset:196
	buffer_load_dword v120, off, s[0:3], 0 offset:204
	s_waitcnt vmcnt(34)
	v_fma_f64 v[81:82], v[91:92], v[83:84], v[81:82]
	s_waitcnt vmcnt(32) lgkmcnt(0)
	v_fma_f64 v[81:82], v[93:94], v[85:86], v[81:82]
	s_waitcnt vmcnt(30)
	v_fma_f64 v[91:92], v[95:96], v[87:88], v[81:82]
	ds_read2_b64 v[81:84], v80 offset0:51 offset1:52
	ds_read2_b64 v[85:88], v80 offset0:53 offset1:54
	s_waitcnt vmcnt(28) lgkmcnt(1)
	v_fma_f64 v[81:82], v[97:98], v[81:82], v[91:92]
	s_clause 0x7
	buffer_load_dword v92, off, s[0:3], 0 offset:212
	buffer_load_dword v93, off, s[0:3], 0 offset:232
	buffer_load_dword v95, off, s[0:3], 0 offset:224
	buffer_load_dword v97, off, s[0:3], 0 offset:216
	buffer_load_dword v91, off, s[0:3], 0 offset:208
	buffer_load_dword v98, off, s[0:3], 0 offset:220
	buffer_load_dword v96, off, s[0:3], 0 offset:228
	buffer_load_dword v94, off, s[0:3], 0 offset:236
	s_waitcnt vmcnt(34)
	v_fma_f64 v[81:82], v[99:100], v[83:84], v[81:82]
	s_waitcnt vmcnt(32) lgkmcnt(0)
	v_fma_f64 v[81:82], v[101:102], v[85:86], v[81:82]
	s_waitcnt vmcnt(27)
	v_fma_f64 v[99:100], v[103:104], v[87:88], v[81:82]
	ds_read2_b64 v[81:84], v80 offset0:55 offset1:56
	ds_read2_b64 v[85:88], v80 offset0:57 offset1:58
	;; [unrolled: 19-line block ×4, first 2 shown]
	s_waitcnt vmcnt(26) lgkmcnt(1)
	v_fma_f64 v[81:82], v[123:124], v[81:82], v[89:90]
	s_clause 0x3
	buffer_load_dword v90, off, s[0:3], 0 offset:308
	buffer_load_dword v89, off, s[0:3], 0 offset:304
	;; [unrolled: 1-line block ×4, first 2 shown]
	s_waitcnt vmcnt(29)
	v_fma_f64 v[81:82], v[121:122], v[83:84], v[81:82]
	s_waitcnt vmcnt(28) lgkmcnt(0)
	v_fma_f64 v[81:82], v[119:120], v[85:86], v[81:82]
	s_waitcnt vmcnt(23)
	v_fma_f64 v[91:92], v[91:92], v[87:88], v[81:82]
	ds_read2_b64 v[81:84], v80 offset0:67 offset1:68
	ds_read2_b64 v[85:88], v80 offset0:69 offset1:70
	s_waitcnt vmcnt(22) lgkmcnt(1)
	v_fma_f64 v[81:82], v[97:98], v[81:82], v[91:92]
	s_waitcnt vmcnt(21)
	v_fma_f64 v[81:82], v[95:96], v[83:84], v[81:82]
	s_waitcnt vmcnt(20) lgkmcnt(0)
	v_fma_f64 v[81:82], v[93:94], v[85:86], v[81:82]
	s_waitcnt vmcnt(15)
	v_fma_f64 v[91:92], v[99:100], v[87:88], v[81:82]
	ds_read2_b64 v[81:84], v80 offset0:71 offset1:72
	ds_read2_b64 v[85:88], v80 offset0:73 offset1:74
	s_waitcnt vmcnt(14) lgkmcnt(1)
	v_fma_f64 v[81:82], v[109:110], v[81:82], v[91:92]
	s_waitcnt vmcnt(13)
	v_fma_f64 v[81:82], v[103:104], v[83:84], v[81:82]
	s_waitcnt vmcnt(12) lgkmcnt(0)
	v_fma_f64 v[81:82], v[101:102], v[85:86], v[81:82]
	s_waitcnt vmcnt(7)
	v_fma_f64 v[91:92], v[105:106], v[87:88], v[81:82]
	ds_read2_b64 v[81:84], v80 offset0:75 offset1:76
	ds_read2_b64 v[85:88], v80 offset0:77 offset1:78
	s_waitcnt vmcnt(6) lgkmcnt(1)
	v_fma_f64 v[80:81], v[117:118], v[81:82], v[91:92]
	s_waitcnt vmcnt(5)
	v_fma_f64 v[80:81], v[111:112], v[83:84], v[80:81]
	s_waitcnt vmcnt(4) lgkmcnt(0)
	v_fma_f64 v[80:81], v[107:108], v[85:86], v[80:81]
	s_waitcnt vmcnt(2)
	v_fma_f64 v[80:81], v[89:90], v[87:88], v[80:81]
	s_waitcnt vmcnt(0)
	v_add_f64 v[80:81], v[113:114], -v[80:81]
	buffer_store_dword v81, off, s[0:3], 0 offset:52
	buffer_store_dword v80, off, s[0:3], 0 offset:48
	v_cmpx_lt_u32_e32 5, v0
	s_cbranch_execz .LBB102_233
; %bb.232:
	s_clause 0x1
	buffer_load_dword v80, off, s[0:3], 0 offset:40
	buffer_load_dword v81, off, s[0:3], 0 offset:44
	v_mov_b32_e32 v82, 0
	buffer_store_dword v82, off, s[0:3], 0 offset:40
	buffer_store_dword v82, off, s[0:3], 0 offset:44
	s_waitcnt vmcnt(0)
	ds_write_b64 v79, v[80:81]
.LBB102_233:
	s_or_b32 exec_lo, exec_lo, s4
	s_waitcnt lgkmcnt(0)
	s_waitcnt_vscnt null, 0x0
	s_barrier
	buffer_gl0_inv
	s_clause 0x1c
	buffer_load_dword v89, off, s[0:3], 0 offset:48
	buffer_load_dword v90, off, s[0:3], 0 offset:52
	;; [unrolled: 1-line block ×29, first 2 shown]
	v_mov_b32_e32 v80, 0
	buffer_load_dword v114, off, s[0:3], 0 offset:164
	s_mov_b32 s4, exec_lo
	ds_read_b128 v[81:84], v80 offset:368
	ds_read_b128 v[85:88], v80 offset:384
	s_waitcnt vmcnt(28) lgkmcnt(1)
	v_fma_f64 v[81:82], v[89:90], v[81:82], 0
	s_clause 0x7
	buffer_load_dword v90, off, s[0:3], 0 offset:172
	buffer_load_dword v119, off, s[0:3], 0 offset:192
	buffer_load_dword v121, off, s[0:3], 0 offset:184
	buffer_load_dword v123, off, s[0:3], 0 offset:176
	buffer_load_dword v89, off, s[0:3], 0 offset:168
	buffer_load_dword v124, off, s[0:3], 0 offset:180
	buffer_load_dword v122, off, s[0:3], 0 offset:188
	buffer_load_dword v120, off, s[0:3], 0 offset:196
	s_waitcnt vmcnt(34)
	v_fma_f64 v[81:82], v[91:92], v[83:84], v[81:82]
	s_waitcnt vmcnt(32) lgkmcnt(0)
	v_fma_f64 v[81:82], v[93:94], v[85:86], v[81:82]
	s_waitcnt vmcnt(30)
	v_fma_f64 v[91:92], v[95:96], v[87:88], v[81:82]
	ds_read_b128 v[81:84], v80 offset:400
	ds_read_b128 v[85:88], v80 offset:416
	s_waitcnt vmcnt(28) lgkmcnt(1)
	v_fma_f64 v[81:82], v[97:98], v[81:82], v[91:92]
	s_clause 0x7
	buffer_load_dword v92, off, s[0:3], 0 offset:204
	buffer_load_dword v93, off, s[0:3], 0 offset:224
	buffer_load_dword v95, off, s[0:3], 0 offset:216
	buffer_load_dword v97, off, s[0:3], 0 offset:208
	buffer_load_dword v91, off, s[0:3], 0 offset:200
	buffer_load_dword v98, off, s[0:3], 0 offset:212
	buffer_load_dword v96, off, s[0:3], 0 offset:220
	buffer_load_dword v94, off, s[0:3], 0 offset:228
	s_waitcnt vmcnt(34)
	v_fma_f64 v[81:82], v[99:100], v[83:84], v[81:82]
	s_waitcnt vmcnt(32) lgkmcnt(0)
	v_fma_f64 v[81:82], v[101:102], v[85:86], v[81:82]
	s_waitcnt vmcnt(27)
	v_fma_f64 v[99:100], v[103:104], v[87:88], v[81:82]
	;; [unrolled: 19-line block ×4, first 2 shown]
	ds_read_b128 v[81:84], v80 offset:496
	ds_read_b128 v[85:88], v80 offset:512
	s_waitcnt vmcnt(26) lgkmcnt(1)
	v_fma_f64 v[81:82], v[123:124], v[81:82], v[89:90]
	s_clause 0x5
	buffer_load_dword v90, off, s[0:3], 0 offset:300
	buffer_load_dword v113, off, s[0:3], 0 offset:304
	;; [unrolled: 1-line block ×6, first 2 shown]
	s_waitcnt vmcnt(31)
	v_fma_f64 v[81:82], v[121:122], v[83:84], v[81:82]
	s_waitcnt vmcnt(30) lgkmcnt(0)
	v_fma_f64 v[81:82], v[119:120], v[85:86], v[81:82]
	s_waitcnt vmcnt(25)
	v_fma_f64 v[91:92], v[91:92], v[87:88], v[81:82]
	ds_read_b128 v[81:84], v80 offset:528
	ds_read_b128 v[85:88], v80 offset:544
	s_waitcnt vmcnt(24) lgkmcnt(1)
	v_fma_f64 v[81:82], v[97:98], v[81:82], v[91:92]
	s_waitcnt vmcnt(23)
	v_fma_f64 v[81:82], v[95:96], v[83:84], v[81:82]
	s_waitcnt vmcnt(22) lgkmcnt(0)
	v_fma_f64 v[81:82], v[93:94], v[85:86], v[81:82]
	s_waitcnt vmcnt(17)
	v_fma_f64 v[91:92], v[99:100], v[87:88], v[81:82]
	ds_read_b128 v[81:84], v80 offset:560
	ds_read_b128 v[85:88], v80 offset:576
	s_waitcnt vmcnt(16) lgkmcnt(1)
	v_fma_f64 v[81:82], v[109:110], v[81:82], v[91:92]
	;; [unrolled: 10-line block ×3, first 2 shown]
	s_waitcnt vmcnt(7)
	v_fma_f64 v[81:82], v[111:112], v[83:84], v[81:82]
	ds_read_b64 v[83:84], v80 offset:624
	s_waitcnt vmcnt(6) lgkmcnt(1)
	v_fma_f64 v[81:82], v[107:108], v[85:86], v[81:82]
	s_waitcnt vmcnt(3)
	v_fma_f64 v[81:82], v[89:90], v[87:88], v[81:82]
	s_waitcnt vmcnt(2) lgkmcnt(0)
	v_fma_f64 v[81:82], v[113:114], v[83:84], v[81:82]
	s_waitcnt vmcnt(0)
	v_add_f64 v[81:82], v[115:116], -v[81:82]
	buffer_store_dword v82, off, s[0:3], 0 offset:44
	buffer_store_dword v81, off, s[0:3], 0 offset:40
	v_cmpx_lt_u32_e32 4, v0
	s_cbranch_execz .LBB102_235
; %bb.234:
	s_clause 0x1
	buffer_load_dword v81, off, s[0:3], 0 offset:32
	buffer_load_dword v82, off, s[0:3], 0 offset:36
	buffer_store_dword v80, off, s[0:3], 0 offset:32
	buffer_store_dword v80, off, s[0:3], 0 offset:36
	s_waitcnt vmcnt(0)
	ds_write_b64 v79, v[81:82]
.LBB102_235:
	s_or_b32 exec_lo, exec_lo, s4
	s_waitcnt lgkmcnt(0)
	s_waitcnt_vscnt null, 0x0
	s_barrier
	buffer_gl0_inv
	s_clause 0x1c
	buffer_load_dword v89, off, s[0:3], 0 offset:40
	buffer_load_dword v90, off, s[0:3], 0 offset:44
	;; [unrolled: 1-line block ×29, first 2 shown]
	ds_read2_b64 v[81:84], v80 offset0:45 offset1:46
	ds_read2_b64 v[85:88], v80 offset0:47 offset1:48
	buffer_load_dword v114, off, s[0:3], 0 offset:156
	s_mov_b32 s4, exec_lo
	s_waitcnt vmcnt(28) lgkmcnt(1)
	v_fma_f64 v[81:82], v[89:90], v[81:82], 0
	s_clause 0x7
	buffer_load_dword v90, off, s[0:3], 0 offset:164
	buffer_load_dword v119, off, s[0:3], 0 offset:184
	buffer_load_dword v121, off, s[0:3], 0 offset:176
	buffer_load_dword v123, off, s[0:3], 0 offset:168
	buffer_load_dword v89, off, s[0:3], 0 offset:160
	buffer_load_dword v124, off, s[0:3], 0 offset:172
	buffer_load_dword v122, off, s[0:3], 0 offset:180
	buffer_load_dword v120, off, s[0:3], 0 offset:188
	s_waitcnt vmcnt(34)
	v_fma_f64 v[81:82], v[91:92], v[83:84], v[81:82]
	s_waitcnt vmcnt(32) lgkmcnt(0)
	v_fma_f64 v[81:82], v[93:94], v[85:86], v[81:82]
	s_waitcnt vmcnt(30)
	v_fma_f64 v[91:92], v[95:96], v[87:88], v[81:82]
	ds_read2_b64 v[81:84], v80 offset0:49 offset1:50
	ds_read2_b64 v[85:88], v80 offset0:51 offset1:52
	s_waitcnt vmcnt(28) lgkmcnt(1)
	v_fma_f64 v[81:82], v[97:98], v[81:82], v[91:92]
	s_clause 0x7
	buffer_load_dword v92, off, s[0:3], 0 offset:196
	buffer_load_dword v93, off, s[0:3], 0 offset:216
	buffer_load_dword v95, off, s[0:3], 0 offset:208
	buffer_load_dword v97, off, s[0:3], 0 offset:200
	buffer_load_dword v91, off, s[0:3], 0 offset:192
	buffer_load_dword v98, off, s[0:3], 0 offset:204
	buffer_load_dword v96, off, s[0:3], 0 offset:212
	buffer_load_dword v94, off, s[0:3], 0 offset:220
	s_waitcnt vmcnt(34)
	v_fma_f64 v[81:82], v[99:100], v[83:84], v[81:82]
	s_waitcnt vmcnt(32) lgkmcnt(0)
	v_fma_f64 v[81:82], v[101:102], v[85:86], v[81:82]
	s_waitcnt vmcnt(27)
	v_fma_f64 v[99:100], v[103:104], v[87:88], v[81:82]
	ds_read2_b64 v[81:84], v80 offset0:53 offset1:54
	ds_read2_b64 v[85:88], v80 offset0:55 offset1:56
	;; [unrolled: 19-line block ×4, first 2 shown]
	s_waitcnt vmcnt(26) lgkmcnt(1)
	v_fma_f64 v[81:82], v[123:124], v[81:82], v[89:90]
	s_clause 0x5
	buffer_load_dword v90, off, s[0:3], 0 offset:292
	buffer_load_dword v113, off, s[0:3], 0 offset:304
	;; [unrolled: 1-line block ×6, first 2 shown]
	s_waitcnt vmcnt(31)
	v_fma_f64 v[81:82], v[121:122], v[83:84], v[81:82]
	s_waitcnt vmcnt(30) lgkmcnt(0)
	v_fma_f64 v[81:82], v[119:120], v[85:86], v[81:82]
	s_waitcnt vmcnt(25)
	v_fma_f64 v[91:92], v[91:92], v[87:88], v[81:82]
	ds_read2_b64 v[81:84], v80 offset0:65 offset1:66
	s_clause 0x1
	buffer_load_dword v119, off, s[0:3], 0 offset:32
	buffer_load_dword v120, off, s[0:3], 0 offset:36
	ds_read2_b64 v[85:88], v80 offset0:67 offset1:68
	s_waitcnt vmcnt(26) lgkmcnt(1)
	v_fma_f64 v[81:82], v[97:98], v[81:82], v[91:92]
	s_waitcnt vmcnt(25)
	v_fma_f64 v[81:82], v[95:96], v[83:84], v[81:82]
	s_waitcnt vmcnt(24) lgkmcnt(0)
	v_fma_f64 v[81:82], v[93:94], v[85:86], v[81:82]
	s_waitcnt vmcnt(19)
	v_fma_f64 v[91:92], v[99:100], v[87:88], v[81:82]
	ds_read2_b64 v[81:84], v80 offset0:69 offset1:70
	ds_read2_b64 v[85:88], v80 offset0:71 offset1:72
	s_waitcnt vmcnt(18) lgkmcnt(1)
	v_fma_f64 v[81:82], v[109:110], v[81:82], v[91:92]
	s_waitcnt vmcnt(17)
	v_fma_f64 v[81:82], v[103:104], v[83:84], v[81:82]
	s_waitcnt vmcnt(16) lgkmcnt(0)
	v_fma_f64 v[81:82], v[101:102], v[85:86], v[81:82]
	s_waitcnt vmcnt(11)
	v_fma_f64 v[91:92], v[105:106], v[87:88], v[81:82]
	ds_read2_b64 v[81:84], v80 offset0:73 offset1:74
	;; [unrolled: 10-line block ×3, first 2 shown]
	s_waitcnt vmcnt(3) lgkmcnt(0)
	v_fma_f64 v[80:81], v[115:116], v[80:81], v[84:85]
	s_waitcnt vmcnt(2)
	v_fma_f64 v[80:81], v[113:114], v[82:83], v[80:81]
	s_waitcnt vmcnt(0)
	v_add_f64 v[80:81], v[119:120], -v[80:81]
	buffer_store_dword v81, off, s[0:3], 0 offset:36
	buffer_store_dword v80, off, s[0:3], 0 offset:32
	v_cmpx_lt_u32_e32 3, v0
	s_cbranch_execz .LBB102_237
; %bb.236:
	s_clause 0x1
	buffer_load_dword v80, off, s[0:3], 0 offset:24
	buffer_load_dword v81, off, s[0:3], 0 offset:28
	v_mov_b32_e32 v82, 0
	buffer_store_dword v82, off, s[0:3], 0 offset:24
	buffer_store_dword v82, off, s[0:3], 0 offset:28
	s_waitcnt vmcnt(0)
	ds_write_b64 v79, v[80:81]
.LBB102_237:
	s_or_b32 exec_lo, exec_lo, s4
	s_waitcnt lgkmcnt(0)
	s_waitcnt_vscnt null, 0x0
	s_barrier
	buffer_gl0_inv
	s_clause 0x1c
	buffer_load_dword v89, off, s[0:3], 0 offset:32
	buffer_load_dword v90, off, s[0:3], 0 offset:36
	;; [unrolled: 1-line block ×29, first 2 shown]
	v_mov_b32_e32 v80, 0
	buffer_load_dword v114, off, s[0:3], 0 offset:148
	s_mov_b32 s4, exec_lo
	ds_read_b128 v[81:84], v80 offset:352
	ds_read_b128 v[85:88], v80 offset:368
	s_waitcnt vmcnt(28) lgkmcnt(1)
	v_fma_f64 v[81:82], v[89:90], v[81:82], 0
	s_clause 0x7
	buffer_load_dword v90, off, s[0:3], 0 offset:156
	buffer_load_dword v119, off, s[0:3], 0 offset:176
	buffer_load_dword v121, off, s[0:3], 0 offset:168
	buffer_load_dword v123, off, s[0:3], 0 offset:160
	buffer_load_dword v89, off, s[0:3], 0 offset:152
	buffer_load_dword v124, off, s[0:3], 0 offset:164
	buffer_load_dword v122, off, s[0:3], 0 offset:172
	buffer_load_dword v120, off, s[0:3], 0 offset:180
	s_waitcnt vmcnt(34)
	v_fma_f64 v[81:82], v[91:92], v[83:84], v[81:82]
	s_waitcnt vmcnt(32) lgkmcnt(0)
	v_fma_f64 v[81:82], v[93:94], v[85:86], v[81:82]
	s_waitcnt vmcnt(30)
	v_fma_f64 v[91:92], v[95:96], v[87:88], v[81:82]
	ds_read_b128 v[81:84], v80 offset:384
	ds_read_b128 v[85:88], v80 offset:400
	s_waitcnt vmcnt(28) lgkmcnt(1)
	v_fma_f64 v[81:82], v[97:98], v[81:82], v[91:92]
	s_clause 0x7
	buffer_load_dword v92, off, s[0:3], 0 offset:188
	buffer_load_dword v93, off, s[0:3], 0 offset:208
	buffer_load_dword v95, off, s[0:3], 0 offset:200
	buffer_load_dword v97, off, s[0:3], 0 offset:192
	buffer_load_dword v91, off, s[0:3], 0 offset:184
	buffer_load_dword v98, off, s[0:3], 0 offset:196
	buffer_load_dword v96, off, s[0:3], 0 offset:204
	buffer_load_dword v94, off, s[0:3], 0 offset:212
	s_waitcnt vmcnt(34)
	v_fma_f64 v[81:82], v[99:100], v[83:84], v[81:82]
	s_waitcnt vmcnt(32) lgkmcnt(0)
	v_fma_f64 v[81:82], v[101:102], v[85:86], v[81:82]
	s_waitcnt vmcnt(27)
	v_fma_f64 v[99:100], v[103:104], v[87:88], v[81:82]
	;; [unrolled: 19-line block ×5, first 2 shown]
	ds_read_b128 v[81:84], v80 offset:512
	ds_read_b128 v[85:88], v80 offset:528
	s_waitcnt vmcnt(26) lgkmcnt(1)
	v_fma_f64 v[81:82], v[97:98], v[81:82], v[91:92]
	s_clause 0x1
	buffer_load_dword v91, off, s[0:3], 0 offset:24
	buffer_load_dword v92, off, s[0:3], 0 offset:28
	s_waitcnt vmcnt(27)
	v_fma_f64 v[81:82], v[95:96], v[83:84], v[81:82]
	s_waitcnt vmcnt(26) lgkmcnt(0)
	v_fma_f64 v[81:82], v[93:94], v[85:86], v[81:82]
	s_waitcnt vmcnt(21)
	v_fma_f64 v[93:94], v[99:100], v[87:88], v[81:82]
	ds_read_b128 v[81:84], v80 offset:544
	ds_read_b128 v[85:88], v80 offset:560
	s_waitcnt vmcnt(20) lgkmcnt(1)
	v_fma_f64 v[81:82], v[109:110], v[81:82], v[93:94]
	s_waitcnt vmcnt(19)
	v_fma_f64 v[81:82], v[103:104], v[83:84], v[81:82]
	s_waitcnt vmcnt(18) lgkmcnt(0)
	v_fma_f64 v[81:82], v[101:102], v[85:86], v[81:82]
	s_waitcnt vmcnt(13)
	v_fma_f64 v[93:94], v[105:106], v[87:88], v[81:82]
	ds_read_b128 v[81:84], v80 offset:576
	ds_read_b128 v[85:88], v80 offset:592
	s_waitcnt vmcnt(12) lgkmcnt(1)
	v_fma_f64 v[81:82], v[117:118], v[81:82], v[93:94]
	s_waitcnt vmcnt(11)
	v_fma_f64 v[81:82], v[111:112], v[83:84], v[81:82]
	s_waitcnt vmcnt(10) lgkmcnt(0)
	v_fma_f64 v[81:82], v[107:108], v[85:86], v[81:82]
	s_waitcnt vmcnt(5)
	v_fma_f64 v[85:86], v[89:90], v[87:88], v[81:82]
	ds_read_b128 v[81:84], v80 offset:608
	ds_read_b64 v[87:88], v80 offset:624
	s_waitcnt vmcnt(4) lgkmcnt(1)
	v_fma_f64 v[81:82], v[123:124], v[81:82], v[85:86]
	s_waitcnt vmcnt(3)
	v_fma_f64 v[81:82], v[115:116], v[83:84], v[81:82]
	s_waitcnt vmcnt(2) lgkmcnt(0)
	v_fma_f64 v[81:82], v[113:114], v[87:88], v[81:82]
	s_waitcnt vmcnt(0)
	v_add_f64 v[81:82], v[91:92], -v[81:82]
	buffer_store_dword v82, off, s[0:3], 0 offset:28
	buffer_store_dword v81, off, s[0:3], 0 offset:24
	v_cmpx_lt_u32_e32 2, v0
	s_cbranch_execz .LBB102_239
; %bb.238:
	s_clause 0x1
	buffer_load_dword v81, off, s[0:3], 0 offset:16
	buffer_load_dword v82, off, s[0:3], 0 offset:20
	buffer_store_dword v80, off, s[0:3], 0 offset:16
	buffer_store_dword v80, off, s[0:3], 0 offset:20
	s_waitcnt vmcnt(0)
	ds_write_b64 v79, v[81:82]
.LBB102_239:
	s_or_b32 exec_lo, exec_lo, s4
	s_waitcnt lgkmcnt(0)
	s_waitcnt_vscnt null, 0x0
	s_barrier
	buffer_gl0_inv
	s_clause 0x1c
	buffer_load_dword v89, off, s[0:3], 0 offset:24
	buffer_load_dword v90, off, s[0:3], 0 offset:28
	;; [unrolled: 1-line block ×29, first 2 shown]
	ds_read2_b64 v[81:84], v80 offset0:43 offset1:44
	ds_read2_b64 v[85:88], v80 offset0:45 offset1:46
	buffer_load_dword v114, off, s[0:3], 0 offset:140
	s_mov_b32 s4, exec_lo
	s_waitcnt vmcnt(28) lgkmcnt(1)
	v_fma_f64 v[81:82], v[89:90], v[81:82], 0
	s_clause 0x7
	buffer_load_dword v90, off, s[0:3], 0 offset:148
	buffer_load_dword v119, off, s[0:3], 0 offset:168
	buffer_load_dword v121, off, s[0:3], 0 offset:160
	buffer_load_dword v123, off, s[0:3], 0 offset:152
	buffer_load_dword v89, off, s[0:3], 0 offset:144
	buffer_load_dword v124, off, s[0:3], 0 offset:156
	buffer_load_dword v122, off, s[0:3], 0 offset:164
	buffer_load_dword v120, off, s[0:3], 0 offset:172
	s_waitcnt vmcnt(34)
	v_fma_f64 v[81:82], v[91:92], v[83:84], v[81:82]
	s_waitcnt vmcnt(32) lgkmcnt(0)
	v_fma_f64 v[81:82], v[93:94], v[85:86], v[81:82]
	s_waitcnt vmcnt(30)
	v_fma_f64 v[91:92], v[95:96], v[87:88], v[81:82]
	ds_read2_b64 v[81:84], v80 offset0:47 offset1:48
	ds_read2_b64 v[85:88], v80 offset0:49 offset1:50
	s_waitcnt vmcnt(28) lgkmcnt(1)
	v_fma_f64 v[81:82], v[97:98], v[81:82], v[91:92]
	s_clause 0x7
	buffer_load_dword v92, off, s[0:3], 0 offset:180
	buffer_load_dword v93, off, s[0:3], 0 offset:200
	buffer_load_dword v95, off, s[0:3], 0 offset:192
	buffer_load_dword v97, off, s[0:3], 0 offset:184
	buffer_load_dword v91, off, s[0:3], 0 offset:176
	buffer_load_dword v98, off, s[0:3], 0 offset:188
	buffer_load_dword v96, off, s[0:3], 0 offset:196
	buffer_load_dword v94, off, s[0:3], 0 offset:204
	s_waitcnt vmcnt(34)
	v_fma_f64 v[81:82], v[99:100], v[83:84], v[81:82]
	s_waitcnt vmcnt(32) lgkmcnt(0)
	v_fma_f64 v[81:82], v[101:102], v[85:86], v[81:82]
	s_waitcnt vmcnt(27)
	v_fma_f64 v[99:100], v[103:104], v[87:88], v[81:82]
	ds_read2_b64 v[81:84], v80 offset0:51 offset1:52
	ds_read2_b64 v[85:88], v80 offset0:53 offset1:54
	;; [unrolled: 19-line block ×5, first 2 shown]
	s_waitcnt vmcnt(26) lgkmcnt(1)
	v_fma_f64 v[81:82], v[97:98], v[81:82], v[91:92]
	s_clause 0x1
	buffer_load_dword v92, off, s[0:3], 0 offset:308
	buffer_load_dword v91, off, s[0:3], 0 offset:304
	s_waitcnt vmcnt(27)
	v_fma_f64 v[81:82], v[95:96], v[83:84], v[81:82]
	s_clause 0x1
	buffer_load_dword v95, off, s[0:3], 0 offset:16
	buffer_load_dword v96, off, s[0:3], 0 offset:20
	s_waitcnt vmcnt(28) lgkmcnt(0)
	v_fma_f64 v[81:82], v[93:94], v[85:86], v[81:82]
	s_waitcnt vmcnt(23)
	v_fma_f64 v[93:94], v[99:100], v[87:88], v[81:82]
	ds_read2_b64 v[81:84], v80 offset0:67 offset1:68
	ds_read2_b64 v[85:88], v80 offset0:69 offset1:70
	s_waitcnt vmcnt(22) lgkmcnt(1)
	v_fma_f64 v[81:82], v[109:110], v[81:82], v[93:94]
	s_waitcnt vmcnt(21)
	v_fma_f64 v[81:82], v[103:104], v[83:84], v[81:82]
	s_waitcnt vmcnt(20) lgkmcnt(0)
	v_fma_f64 v[81:82], v[101:102], v[85:86], v[81:82]
	s_waitcnt vmcnt(15)
	v_fma_f64 v[93:94], v[105:106], v[87:88], v[81:82]
	ds_read2_b64 v[81:84], v80 offset0:71 offset1:72
	ds_read2_b64 v[85:88], v80 offset0:73 offset1:74
	s_waitcnt vmcnt(14) lgkmcnt(1)
	v_fma_f64 v[81:82], v[117:118], v[81:82], v[93:94]
	s_waitcnt vmcnt(13)
	v_fma_f64 v[81:82], v[111:112], v[83:84], v[81:82]
	;; [unrolled: 10-line block ×3, first 2 shown]
	s_waitcnt vmcnt(4) lgkmcnt(0)
	v_fma_f64 v[80:81], v[113:114], v[85:86], v[80:81]
	s_waitcnt vmcnt(2)
	v_fma_f64 v[80:81], v[91:92], v[87:88], v[80:81]
	s_waitcnt vmcnt(0)
	v_add_f64 v[80:81], v[95:96], -v[80:81]
	buffer_store_dword v81, off, s[0:3], 0 offset:20
	buffer_store_dword v80, off, s[0:3], 0 offset:16
	v_cmpx_lt_u32_e32 1, v0
	s_cbranch_execz .LBB102_241
; %bb.240:
	s_clause 0x1
	buffer_load_dword v80, off, s[0:3], 0 offset:8
	buffer_load_dword v81, off, s[0:3], 0 offset:12
	v_mov_b32_e32 v82, 0
	buffer_store_dword v82, off, s[0:3], 0 offset:8
	buffer_store_dword v82, off, s[0:3], 0 offset:12
	s_waitcnt vmcnt(0)
	ds_write_b64 v79, v[80:81]
.LBB102_241:
	s_or_b32 exec_lo, exec_lo, s4
	s_waitcnt lgkmcnt(0)
	s_waitcnt_vscnt null, 0x0
	s_barrier
	buffer_gl0_inv
	s_clause 0x1c
	buffer_load_dword v90, off, s[0:3], 0 offset:16
	buffer_load_dword v91, off, s[0:3], 0 offset:20
	buffer_load_dword v92, off, s[0:3], 0 offset:24
	buffer_load_dword v93, off, s[0:3], 0 offset:28
	buffer_load_dword v94, off, s[0:3], 0 offset:32
	buffer_load_dword v95, off, s[0:3], 0 offset:36
	buffer_load_dword v96, off, s[0:3], 0 offset:40
	buffer_load_dword v97, off, s[0:3], 0 offset:44
	buffer_load_dword v98, off, s[0:3], 0 offset:48
	buffer_load_dword v99, off, s[0:3], 0 offset:52
	buffer_load_dword v100, off, s[0:3], 0 offset:56
	buffer_load_dword v101, off, s[0:3], 0 offset:60
	buffer_load_dword v102, off, s[0:3], 0 offset:64
	buffer_load_dword v103, off, s[0:3], 0 offset:68
	buffer_load_dword v105, off, s[0:3], 0 offset:76
	buffer_load_dword v106, off, s[0:3], 0 offset:96
	buffer_load_dword v108, off, s[0:3], 0 offset:88
	buffer_load_dword v110, off, s[0:3], 0 offset:80
	buffer_load_dword v104, off, s[0:3], 0 offset:72
	buffer_load_dword v111, off, s[0:3], 0 offset:84
	buffer_load_dword v109, off, s[0:3], 0 offset:92
	buffer_load_dword v107, off, s[0:3], 0 offset:100
	buffer_load_dword v113, off, s[0:3], 0 offset:108
	buffer_load_dword v114, off, s[0:3], 0 offset:128
	buffer_load_dword v116, off, s[0:3], 0 offset:120
	buffer_load_dword v118, off, s[0:3], 0 offset:112
	buffer_load_dword v112, off, s[0:3], 0 offset:104
	buffer_load_dword v119, off, s[0:3], 0 offset:116
	buffer_load_dword v117, off, s[0:3], 0 offset:124
	v_mov_b32_e32 v81, 0
	buffer_load_dword v115, off, s[0:3], 0 offset:132
	s_mov_b32 s4, exec_lo
	ds_read_b128 v[82:85], v81 offset:336
	ds_read_b128 v[86:89], v81 offset:352
	s_waitcnt vmcnt(28) lgkmcnt(1)
	v_fma_f64 v[82:83], v[90:91], v[82:83], 0
	s_clause 0x7
	buffer_load_dword v91, off, s[0:3], 0 offset:140
	buffer_load_dword v120, off, s[0:3], 0 offset:160
	buffer_load_dword v122, off, s[0:3], 0 offset:152
	buffer_load_dword v124, off, s[0:3], 0 offset:144
	buffer_load_dword v90, off, s[0:3], 0 offset:136
	buffer_load_dword v125, off, s[0:3], 0 offset:148
	buffer_load_dword v123, off, s[0:3], 0 offset:156
	buffer_load_dword v121, off, s[0:3], 0 offset:164
	s_waitcnt vmcnt(34)
	v_fma_f64 v[82:83], v[92:93], v[84:85], v[82:83]
	s_waitcnt vmcnt(32) lgkmcnt(0)
	v_fma_f64 v[82:83], v[94:95], v[86:87], v[82:83]
	s_waitcnt vmcnt(30)
	v_fma_f64 v[92:93], v[96:97], v[88:89], v[82:83]
	ds_read_b128 v[82:85], v81 offset:368
	ds_read_b128 v[86:89], v81 offset:384
	s_waitcnt vmcnt(28) lgkmcnt(1)
	v_fma_f64 v[82:83], v[98:99], v[82:83], v[92:93]
	s_clause 0x7
	buffer_load_dword v93, off, s[0:3], 0 offset:172
	buffer_load_dword v94, off, s[0:3], 0 offset:192
	buffer_load_dword v96, off, s[0:3], 0 offset:184
	buffer_load_dword v98, off, s[0:3], 0 offset:176
	buffer_load_dword v92, off, s[0:3], 0 offset:168
	buffer_load_dword v99, off, s[0:3], 0 offset:180
	buffer_load_dword v97, off, s[0:3], 0 offset:188
	buffer_load_dword v95, off, s[0:3], 0 offset:196
	s_waitcnt vmcnt(34)
	v_fma_f64 v[82:83], v[100:101], v[84:85], v[82:83]
	s_waitcnt vmcnt(32) lgkmcnt(0)
	v_fma_f64 v[82:83], v[102:103], v[86:87], v[82:83]
	s_waitcnt vmcnt(27)
	v_fma_f64 v[100:101], v[104:105], v[88:89], v[82:83]
	;; [unrolled: 19-line block ×5, first 2 shown]
	ds_read_b128 v[82:85], v81 offset:496
	ds_read_b128 v[86:89], v81 offset:512
	s_waitcnt vmcnt(26) lgkmcnt(1)
	v_fma_f64 v[82:83], v[98:99], v[82:83], v[92:93]
	s_clause 0x3
	buffer_load_dword v93, off, s[0:3], 0 offset:300
	buffer_load_dword v98, off, s[0:3], 0 offset:304
	;; [unrolled: 1-line block ×4, first 2 shown]
	s_waitcnt vmcnt(29)
	v_fma_f64 v[82:83], v[96:97], v[84:85], v[82:83]
	s_waitcnt vmcnt(28) lgkmcnt(0)
	v_fma_f64 v[82:83], v[94:95], v[86:87], v[82:83]
	s_clause 0x1
	buffer_load_dword v94, off, s[0:3], 0 offset:8
	buffer_load_dword v95, off, s[0:3], 0 offset:12
	s_waitcnt vmcnt(25)
	v_fma_f64 v[96:97], v[100:101], v[88:89], v[82:83]
	ds_read_b128 v[82:85], v81 offset:528
	ds_read_b128 v[86:89], v81 offset:544
	s_waitcnt vmcnt(24) lgkmcnt(1)
	v_fma_f64 v[82:83], v[110:111], v[82:83], v[96:97]
	s_waitcnt vmcnt(23)
	v_fma_f64 v[82:83], v[104:105], v[84:85], v[82:83]
	s_waitcnt vmcnt(22) lgkmcnt(0)
	v_fma_f64 v[82:83], v[102:103], v[86:87], v[82:83]
	s_waitcnt vmcnt(17)
	v_fma_f64 v[96:97], v[106:107], v[88:89], v[82:83]
	ds_read_b128 v[82:85], v81 offset:560
	ds_read_b128 v[86:89], v81 offset:576
	s_waitcnt vmcnt(16) lgkmcnt(1)
	v_fma_f64 v[82:83], v[118:119], v[82:83], v[96:97]
	s_waitcnt vmcnt(15)
	v_fma_f64 v[82:83], v[112:113], v[84:85], v[82:83]
	s_waitcnt vmcnt(14) lgkmcnt(0)
	v_fma_f64 v[82:83], v[108:109], v[86:87], v[82:83]
	s_waitcnt vmcnt(9)
	v_fma_f64 v[90:91], v[90:91], v[88:89], v[82:83]
	ds_read_b128 v[82:85], v81 offset:592
	ds_read_b128 v[86:89], v81 offset:608
	s_waitcnt vmcnt(8) lgkmcnt(1)
	v_fma_f64 v[82:83], v[124:125], v[82:83], v[90:91]
	s_waitcnt vmcnt(7)
	v_fma_f64 v[82:83], v[116:117], v[84:85], v[82:83]
	ds_read_b64 v[84:85], v81 offset:624
	s_waitcnt vmcnt(6) lgkmcnt(1)
	v_fma_f64 v[82:83], v[114:115], v[86:87], v[82:83]
	s_waitcnt vmcnt(3)
	v_fma_f64 v[82:83], v[92:93], v[88:89], v[82:83]
	s_waitcnt vmcnt(2) lgkmcnt(0)
	v_fma_f64 v[82:83], v[98:99], v[84:85], v[82:83]
	s_waitcnt vmcnt(0)
	v_add_f64 v[82:83], v[94:95], -v[82:83]
	buffer_store_dword v83, off, s[0:3], 0 offset:12
	buffer_store_dword v82, off, s[0:3], 0 offset:8
	v_cmpx_ne_u32_e32 0, v0
	s_cbranch_execz .LBB102_243
; %bb.242:
	s_clause 0x1
	buffer_load_dword v82, off, s[0:3], 0
	buffer_load_dword v83, off, s[0:3], 0 offset:4
	buffer_store_dword v81, off, s[0:3], 0
	buffer_store_dword v81, off, s[0:3], 0 offset:4
	s_waitcnt vmcnt(0)
	ds_write_b64 v79, v[82:83]
.LBB102_243:
	s_or_b32 exec_lo, exec_lo, s4
	s_waitcnt lgkmcnt(0)
	s_waitcnt_vscnt null, 0x0
	s_barrier
	buffer_gl0_inv
	s_clause 0x1c
	buffer_load_dword v79, off, s[0:3], 0 offset:8
	buffer_load_dword v80, off, s[0:3], 0 offset:12
	;; [unrolled: 1-line block ×29, first 2 shown]
	ds_read2_b64 v[82:85], v81 offset0:41 offset1:42
	ds_read2_b64 v[86:89], v81 offset0:43 offset1:44
	s_clause 0x8
	buffer_load_dword v113, off, s[0:3], 0 offset:124
	buffer_load_dword v119, off, s[0:3], 0 offset:132
	;; [unrolled: 1-line block ×9, first 2 shown]
	s_and_b32 vcc_lo, exec_lo, s16
	s_waitcnt vmcnt(36) lgkmcnt(1)
	v_fma_f64 v[79:80], v[79:80], v[82:83], 0
	s_waitcnt vmcnt(34)
	v_fma_f64 v[79:80], v[90:91], v[84:85], v[79:80]
	ds_read2_b64 v[82:85], v81 offset0:45 offset1:46
	s_waitcnt vmcnt(32) lgkmcnt(1)
	v_fma_f64 v[79:80], v[92:93], v[86:87], v[79:80]
	s_waitcnt vmcnt(30)
	v_fma_f64 v[79:80], v[94:95], v[88:89], v[79:80]
	ds_read2_b64 v[86:89], v81 offset0:47 offset1:48
	s_waitcnt vmcnt(28) lgkmcnt(1)
	v_fma_f64 v[79:80], v[96:97], v[82:83], v[79:80]
	s_clause 0x7
	buffer_load_dword v91, off, s[0:3], 0 offset:164
	buffer_load_dword v92, off, s[0:3], 0 offset:184
	buffer_load_dword v94, off, s[0:3], 0 offset:176
	buffer_load_dword v96, off, s[0:3], 0 offset:168
	buffer_load_dword v90, off, s[0:3], 0 offset:160
	buffer_load_dword v97, off, s[0:3], 0 offset:172
	buffer_load_dword v95, off, s[0:3], 0 offset:180
	buffer_load_dword v93, off, s[0:3], 0 offset:188
	s_waitcnt vmcnt(34)
	v_fma_f64 v[79:80], v[98:99], v[84:85], v[79:80]
	ds_read2_b64 v[82:85], v81 offset0:49 offset1:50
	s_waitcnt vmcnt(32) lgkmcnt(1)
	v_fma_f64 v[79:80], v[100:101], v[86:87], v[79:80]
	s_waitcnt vmcnt(27)
	v_fma_f64 v[79:80], v[102:103], v[88:89], v[79:80]
	ds_read2_b64 v[86:89], v81 offset0:51 offset1:52
	s_waitcnt vmcnt(26) lgkmcnt(1)
	v_fma_f64 v[79:80], v[108:109], v[82:83], v[79:80]
	s_clause 0x7
	buffer_load_dword v99, off, s[0:3], 0 offset:196
	buffer_load_dword v100, off, s[0:3], 0 offset:216
	buffer_load_dword v102, off, s[0:3], 0 offset:208
	buffer_load_dword v108, off, s[0:3], 0 offset:200
	buffer_load_dword v98, off, s[0:3], 0 offset:192
	buffer_load_dword v109, off, s[0:3], 0 offset:204
	buffer_load_dword v103, off, s[0:3], 0 offset:212
	buffer_load_dword v101, off, s[0:3], 0 offset:220
	s_waitcnt vmcnt(33)
	v_fma_f64 v[79:80], v[106:107], v[84:85], v[79:80]
	ds_read2_b64 v[82:85], v81 offset0:53 offset1:54
	s_waitcnt vmcnt(32) lgkmcnt(1)
	v_fma_f64 v[79:80], v[104:105], v[86:87], v[79:80]
	s_waitcnt vmcnt(27)
	v_fma_f64 v[79:80], v[110:111], v[88:89], v[79:80]
	ds_read2_b64 v[86:89], v81 offset0:55 offset1:56
	s_waitcnt vmcnt(26) lgkmcnt(1)
	v_fma_f64 v[79:80], v[116:117], v[82:83], v[79:80]
	s_clause 0x7
	buffer_load_dword v105, off, s[0:3], 0 offset:228
	buffer_load_dword v106, off, s[0:3], 0 offset:248
	buffer_load_dword v110, off, s[0:3], 0 offset:240
	buffer_load_dword v116, off, s[0:3], 0 offset:232
	buffer_load_dword v104, off, s[0:3], 0 offset:224
	buffer_load_dword v117, off, s[0:3], 0 offset:236
	buffer_load_dword v111, off, s[0:3], 0 offset:244
	buffer_load_dword v107, off, s[0:3], 0 offset:252
	s_waitcnt vmcnt(33)
	v_fma_f64 v[79:80], v[114:115], v[84:85], v[79:80]
	ds_read2_b64 v[82:85], v81 offset0:57 offset1:58
	s_waitcnt vmcnt(32) lgkmcnt(1)
	v_fma_f64 v[79:80], v[112:113], v[86:87], v[79:80]
	s_waitcnt vmcnt(27)
	v_fma_f64 v[79:80], v[118:119], v[88:89], v[79:80]
	ds_read2_b64 v[86:89], v81 offset0:59 offset1:60
	s_waitcnt vmcnt(26) lgkmcnt(1)
	v_fma_f64 v[79:80], v[124:125], v[82:83], v[79:80]
	s_clause 0x7
	buffer_load_dword v113, off, s[0:3], 0 offset:260
	buffer_load_dword v114, off, s[0:3], 0 offset:280
	buffer_load_dword v118, off, s[0:3], 0 offset:272
	buffer_load_dword v124, off, s[0:3], 0 offset:264
	buffer_load_dword v112, off, s[0:3], 0 offset:256
	buffer_load_dword v125, off, s[0:3], 0 offset:268
	buffer_load_dword v119, off, s[0:3], 0 offset:276
	buffer_load_dword v115, off, s[0:3], 0 offset:284
	s_waitcnt vmcnt(33)
	v_fma_f64 v[79:80], v[122:123], v[84:85], v[79:80]
	ds_read2_b64 v[82:85], v81 offset0:61 offset1:62
	s_waitcnt vmcnt(32) lgkmcnt(1)
	v_fma_f64 v[79:80], v[120:121], v[86:87], v[79:80]
	s_waitcnt vmcnt(27)
	v_fma_f64 v[79:80], v[90:91], v[88:89], v[79:80]
	ds_read2_b64 v[86:89], v81 offset0:63 offset1:64
	s_waitcnt vmcnt(26) lgkmcnt(1)
	v_fma_f64 v[82:83], v[96:97], v[82:83], v[79:80]
	s_clause 0x5
	buffer_load_dword v91, off, s[0:3], 0 offset:292
	buffer_load_dword v96, off, s[0:3], 0 offset:304
	buffer_load_dword v79, off, s[0:3], 0 offset:296
	buffer_load_dword v90, off, s[0:3], 0 offset:288
	buffer_load_dword v80, off, s[0:3], 0 offset:300
	buffer_load_dword v97, off, s[0:3], 0 offset:308
	s_waitcnt vmcnt(31)
	v_fma_f64 v[82:83], v[94:95], v[84:85], v[82:83]
	s_waitcnt vmcnt(30) lgkmcnt(0)
	v_fma_f64 v[82:83], v[92:93], v[86:87], v[82:83]
	s_waitcnt vmcnt(25)
	v_fma_f64 v[92:93], v[98:99], v[88:89], v[82:83]
	ds_read2_b64 v[82:85], v81 offset0:65 offset1:66
	s_clause 0x1
	buffer_load_dword v94, off, s[0:3], 0
	buffer_load_dword v95, off, s[0:3], 0 offset:4
	ds_read2_b64 v[86:89], v81 offset0:67 offset1:68
	s_waitcnt vmcnt(26) lgkmcnt(1)
	v_fma_f64 v[82:83], v[108:109], v[82:83], v[92:93]
	s_waitcnt vmcnt(25)
	v_fma_f64 v[82:83], v[102:103], v[84:85], v[82:83]
	s_waitcnt vmcnt(24) lgkmcnt(0)
	v_fma_f64 v[82:83], v[100:101], v[86:87], v[82:83]
	s_waitcnt vmcnt(19)
	v_fma_f64 v[92:93], v[104:105], v[88:89], v[82:83]
	ds_read2_b64 v[82:85], v81 offset0:69 offset1:70
	ds_read2_b64 v[86:89], v81 offset0:71 offset1:72
	s_waitcnt vmcnt(18) lgkmcnt(1)
	v_fma_f64 v[82:83], v[116:117], v[82:83], v[92:93]
	s_waitcnt vmcnt(17)
	v_fma_f64 v[82:83], v[110:111], v[84:85], v[82:83]
	s_waitcnt vmcnt(16) lgkmcnt(0)
	v_fma_f64 v[82:83], v[106:107], v[86:87], v[82:83]
	s_waitcnt vmcnt(11)
	v_fma_f64 v[92:93], v[112:113], v[88:89], v[82:83]
	ds_read2_b64 v[82:85], v81 offset0:73 offset1:74
	;; [unrolled: 10-line block ×3, first 2 shown]
	s_waitcnt vmcnt(3) lgkmcnt(0)
	v_fma_f64 v[81:82], v[79:80], v[81:82], v[85:86]
	s_waitcnt vmcnt(2)
	v_fma_f64 v[81:82], v[96:97], v[83:84], v[81:82]
	s_waitcnt vmcnt(0)
	v_add_f64 v[81:82], v[94:95], -v[81:82]
	buffer_store_dword v82, off, s[0:3], 0 offset:4
	buffer_store_dword v81, off, s[0:3], 0
	s_cbranch_vccz .LBB102_320
; %bb.244:
	v_mov_b32_e32 v0, 0
	global_load_dword v81, v0, s[12:13] offset:148
	s_waitcnt vmcnt(0)
	v_add_nc_u32_e32 v81, -1, v81
	v_cmp_ne_u32_e32 vcc_lo, 37, v81
	s_cbranch_vccz .LBB102_246
; %bb.245:
	v_lshlrev_b32_e32 v81, 3, v81
	s_clause 0x1
	buffer_load_dword v82, v81, s[0:3], 0 offen
	buffer_load_dword v83, v81, s[0:3], 0 offen offset:4
	s_waitcnt vmcnt(1)
	buffer_store_dword v82, off, s[0:3], 0 offset:296
	s_waitcnt vmcnt(0)
	buffer_store_dword v83, off, s[0:3], 0 offset:300
	buffer_store_dword v79, v81, s[0:3], 0 offen
	buffer_store_dword v80, v81, s[0:3], 0 offen offset:4
.LBB102_246:
	global_load_dword v0, v0, s[12:13] offset:144
	s_waitcnt vmcnt(0)
	v_add_nc_u32_e32 v0, -1, v0
	v_cmp_eq_u32_e32 vcc_lo, 36, v0
	s_cbranch_vccnz .LBB102_248
; %bb.247:
	v_lshlrev_b32_e32 v0, 3, v0
	s_clause 0x3
	buffer_load_dword v79, v0, s[0:3], 0 offen
	buffer_load_dword v80, v0, s[0:3], 0 offen offset:4
	buffer_load_dword v81, off, s[0:3], 0 offset:292
	buffer_load_dword v82, off, s[0:3], 0 offset:288
	s_waitcnt vmcnt(3)
	buffer_store_dword v79, off, s[0:3], 0 offset:288
	s_waitcnt vmcnt(2)
	buffer_store_dword v80, off, s[0:3], 0 offset:292
	s_waitcnt vmcnt(1)
	buffer_store_dword v81, v0, s[0:3], 0 offen offset:4
	s_waitcnt vmcnt(0)
	buffer_store_dword v82, v0, s[0:3], 0 offen
.LBB102_248:
	v_mov_b32_e32 v0, 0
	global_load_dword v79, v0, s[12:13] offset:140
	s_waitcnt vmcnt(0)
	v_add_nc_u32_e32 v79, -1, v79
	v_cmp_eq_u32_e32 vcc_lo, 35, v79
	s_cbranch_vccnz .LBB102_250
; %bb.249:
	v_lshlrev_b32_e32 v79, 3, v79
	s_clause 0x3
	buffer_load_dword v80, v79, s[0:3], 0 offen
	buffer_load_dword v81, v79, s[0:3], 0 offen offset:4
	buffer_load_dword v82, off, s[0:3], 0 offset:280
	buffer_load_dword v83, off, s[0:3], 0 offset:284
	s_waitcnt vmcnt(3)
	buffer_store_dword v80, off, s[0:3], 0 offset:280
	s_waitcnt vmcnt(2)
	buffer_store_dword v81, off, s[0:3], 0 offset:284
	s_waitcnt vmcnt(1)
	buffer_store_dword v82, v79, s[0:3], 0 offen
	s_waitcnt vmcnt(0)
	buffer_store_dword v83, v79, s[0:3], 0 offen offset:4
.LBB102_250:
	global_load_dword v0, v0, s[12:13] offset:136
	s_waitcnt vmcnt(0)
	v_add_nc_u32_e32 v0, -1, v0
	v_cmp_eq_u32_e32 vcc_lo, 34, v0
	s_cbranch_vccnz .LBB102_252
; %bb.251:
	v_lshlrev_b32_e32 v0, 3, v0
	s_clause 0x3
	buffer_load_dword v79, v0, s[0:3], 0 offen
	buffer_load_dword v80, v0, s[0:3], 0 offen offset:4
	buffer_load_dword v81, off, s[0:3], 0 offset:276
	buffer_load_dword v82, off, s[0:3], 0 offset:272
	s_waitcnt vmcnt(3)
	buffer_store_dword v79, off, s[0:3], 0 offset:272
	s_waitcnt vmcnt(2)
	buffer_store_dword v80, off, s[0:3], 0 offset:276
	s_waitcnt vmcnt(1)
	buffer_store_dword v81, v0, s[0:3], 0 offen offset:4
	s_waitcnt vmcnt(0)
	buffer_store_dword v82, v0, s[0:3], 0 offen
.LBB102_252:
	v_mov_b32_e32 v0, 0
	global_load_dword v79, v0, s[12:13] offset:132
	s_waitcnt vmcnt(0)
	v_add_nc_u32_e32 v79, -1, v79
	v_cmp_eq_u32_e32 vcc_lo, 33, v79
	s_cbranch_vccnz .LBB102_254
; %bb.253:
	v_lshlrev_b32_e32 v79, 3, v79
	s_clause 0x3
	buffer_load_dword v80, v79, s[0:3], 0 offen
	buffer_load_dword v81, v79, s[0:3], 0 offen offset:4
	buffer_load_dword v82, off, s[0:3], 0 offset:264
	buffer_load_dword v83, off, s[0:3], 0 offset:268
	s_waitcnt vmcnt(3)
	buffer_store_dword v80, off, s[0:3], 0 offset:264
	s_waitcnt vmcnt(2)
	buffer_store_dword v81, off, s[0:3], 0 offset:268
	s_waitcnt vmcnt(1)
	buffer_store_dword v82, v79, s[0:3], 0 offen
	s_waitcnt vmcnt(0)
	buffer_store_dword v83, v79, s[0:3], 0 offen offset:4
.LBB102_254:
	;; [unrolled: 43-line block ×18, first 2 shown]
	global_load_dword v0, v0, s[12:13]
	s_clause 0x1
	buffer_load_dword v81, off, s[0:3], 0
	buffer_load_dword v82, off, s[0:3], 0 offset:4
	s_waitcnt vmcnt(2)
	v_add_nc_u32_e32 v0, -1, v0
	v_cmp_eq_u32_e32 vcc_lo, 0, v0
	s_cbranch_vccnz .LBB102_320
; %bb.319:
	v_lshlrev_b32_e32 v0, 3, v0
	s_clause 0x1
	buffer_load_dword v79, v0, s[0:3], 0 offen offset:4
	buffer_load_dword v80, v0, s[0:3], 0 offen
	s_waitcnt vmcnt(1)
	buffer_store_dword v79, off, s[0:3], 0 offset:4
	s_waitcnt vmcnt(0)
	buffer_store_dword v80, off, s[0:3], 0
	buffer_store_dword v82, v0, s[0:3], 0 offen offset:4
	buffer_store_dword v81, v0, s[0:3], 0 offen
	s_clause 0x1
	buffer_load_dword v81, off, s[0:3], 0
	buffer_load_dword v82, off, s[0:3], 0 offset:4
.LBB102_320:
	s_waitcnt vmcnt(0)
	flat_store_dwordx2 v[1:2], v[81:82]
	s_clause 0x1
	buffer_load_dword v0, off, s[0:3], 0 offset:8
	buffer_load_dword v1, off, s[0:3], 0 offset:12
	s_waitcnt vmcnt(0)
	flat_store_dwordx2 v[3:4], v[0:1]
	s_clause 0x1
	buffer_load_dword v0, off, s[0:3], 0 offset:16
	buffer_load_dword v1, off, s[0:3], 0 offset:20
	;; [unrolled: 5-line block ×38, first 2 shown]
	s_waitcnt vmcnt(0)
	flat_store_dwordx2 v[77:78], v[0:1]
	s_endpgm
	.section	.rodata,"a",@progbits
	.p2align	6, 0x0
	.amdhsa_kernel _ZN9rocsolver6v33100L18getri_kernel_smallILi39EdPKPdEEvT1_iilPiilS6_bb
		.amdhsa_group_segment_fixed_size 632
		.amdhsa_private_segment_fixed_size 320
		.amdhsa_kernarg_size 60
		.amdhsa_user_sgpr_count 6
		.amdhsa_user_sgpr_private_segment_buffer 1
		.amdhsa_user_sgpr_dispatch_ptr 0
		.amdhsa_user_sgpr_queue_ptr 0
		.amdhsa_user_sgpr_kernarg_segment_ptr 1
		.amdhsa_user_sgpr_dispatch_id 0
		.amdhsa_user_sgpr_flat_scratch_init 0
		.amdhsa_user_sgpr_private_segment_size 0
		.amdhsa_wavefront_size32 1
		.amdhsa_uses_dynamic_stack 0
		.amdhsa_system_sgpr_private_segment_wavefront_offset 1
		.amdhsa_system_sgpr_workgroup_id_x 1
		.amdhsa_system_sgpr_workgroup_id_y 0
		.amdhsa_system_sgpr_workgroup_id_z 0
		.amdhsa_system_sgpr_workgroup_info 0
		.amdhsa_system_vgpr_workitem_id 0
		.amdhsa_next_free_vgpr 126
		.amdhsa_next_free_sgpr 20
		.amdhsa_reserve_vcc 1
		.amdhsa_reserve_flat_scratch 0
		.amdhsa_float_round_mode_32 0
		.amdhsa_float_round_mode_16_64 0
		.amdhsa_float_denorm_mode_32 3
		.amdhsa_float_denorm_mode_16_64 3
		.amdhsa_dx10_clamp 1
		.amdhsa_ieee_mode 1
		.amdhsa_fp16_overflow 0
		.amdhsa_workgroup_processor_mode 1
		.amdhsa_memory_ordered 1
		.amdhsa_forward_progress 1
		.amdhsa_shared_vgpr_count 0
		.amdhsa_exception_fp_ieee_invalid_op 0
		.amdhsa_exception_fp_denorm_src 0
		.amdhsa_exception_fp_ieee_div_zero 0
		.amdhsa_exception_fp_ieee_overflow 0
		.amdhsa_exception_fp_ieee_underflow 0
		.amdhsa_exception_fp_ieee_inexact 0
		.amdhsa_exception_int_div_zero 0
	.end_amdhsa_kernel
	.section	.text._ZN9rocsolver6v33100L18getri_kernel_smallILi39EdPKPdEEvT1_iilPiilS6_bb,"axG",@progbits,_ZN9rocsolver6v33100L18getri_kernel_smallILi39EdPKPdEEvT1_iilPiilS6_bb,comdat
.Lfunc_end102:
	.size	_ZN9rocsolver6v33100L18getri_kernel_smallILi39EdPKPdEEvT1_iilPiilS6_bb, .Lfunc_end102-_ZN9rocsolver6v33100L18getri_kernel_smallILi39EdPKPdEEvT1_iilPiilS6_bb
                                        ; -- End function
	.set _ZN9rocsolver6v33100L18getri_kernel_smallILi39EdPKPdEEvT1_iilPiilS6_bb.num_vgpr, 126
	.set _ZN9rocsolver6v33100L18getri_kernel_smallILi39EdPKPdEEvT1_iilPiilS6_bb.num_agpr, 0
	.set _ZN9rocsolver6v33100L18getri_kernel_smallILi39EdPKPdEEvT1_iilPiilS6_bb.numbered_sgpr, 20
	.set _ZN9rocsolver6v33100L18getri_kernel_smallILi39EdPKPdEEvT1_iilPiilS6_bb.num_named_barrier, 0
	.set _ZN9rocsolver6v33100L18getri_kernel_smallILi39EdPKPdEEvT1_iilPiilS6_bb.private_seg_size, 320
	.set _ZN9rocsolver6v33100L18getri_kernel_smallILi39EdPKPdEEvT1_iilPiilS6_bb.uses_vcc, 1
	.set _ZN9rocsolver6v33100L18getri_kernel_smallILi39EdPKPdEEvT1_iilPiilS6_bb.uses_flat_scratch, 0
	.set _ZN9rocsolver6v33100L18getri_kernel_smallILi39EdPKPdEEvT1_iilPiilS6_bb.has_dyn_sized_stack, 0
	.set _ZN9rocsolver6v33100L18getri_kernel_smallILi39EdPKPdEEvT1_iilPiilS6_bb.has_recursion, 0
	.set _ZN9rocsolver6v33100L18getri_kernel_smallILi39EdPKPdEEvT1_iilPiilS6_bb.has_indirect_call, 0
	.section	.AMDGPU.csdata,"",@progbits
; Kernel info:
; codeLenInByte = 46220
; TotalNumSgprs: 22
; NumVgprs: 126
; ScratchSize: 320
; MemoryBound: 1
; FloatMode: 240
; IeeeMode: 1
; LDSByteSize: 632 bytes/workgroup (compile time only)
; SGPRBlocks: 0
; VGPRBlocks: 15
; NumSGPRsForWavesPerEU: 22
; NumVGPRsForWavesPerEU: 126
; Occupancy: 8
; WaveLimiterHint : 1
; COMPUTE_PGM_RSRC2:SCRATCH_EN: 1
; COMPUTE_PGM_RSRC2:USER_SGPR: 6
; COMPUTE_PGM_RSRC2:TRAP_HANDLER: 0
; COMPUTE_PGM_RSRC2:TGID_X_EN: 1
; COMPUTE_PGM_RSRC2:TGID_Y_EN: 0
; COMPUTE_PGM_RSRC2:TGID_Z_EN: 0
; COMPUTE_PGM_RSRC2:TIDIG_COMP_CNT: 0
	.section	.text._ZN9rocsolver6v33100L18getri_kernel_smallILi40EdPKPdEEvT1_iilPiilS6_bb,"axG",@progbits,_ZN9rocsolver6v33100L18getri_kernel_smallILi40EdPKPdEEvT1_iilPiilS6_bb,comdat
	.globl	_ZN9rocsolver6v33100L18getri_kernel_smallILi40EdPKPdEEvT1_iilPiilS6_bb ; -- Begin function _ZN9rocsolver6v33100L18getri_kernel_smallILi40EdPKPdEEvT1_iilPiilS6_bb
	.p2align	8
	.type	_ZN9rocsolver6v33100L18getri_kernel_smallILi40EdPKPdEEvT1_iilPiilS6_bb,@function
_ZN9rocsolver6v33100L18getri_kernel_smallILi40EdPKPdEEvT1_iilPiilS6_bb: ; @_ZN9rocsolver6v33100L18getri_kernel_smallILi40EdPKPdEEvT1_iilPiilS6_bb
; %bb.0:
	s_add_u32 s0, s0, s7
	s_addc_u32 s1, s1, 0
	s_mov_b32 s7, exec_lo
	v_cmpx_gt_u32_e32 40, v0
	s_cbranch_execz .LBB103_170
; %bb.1:
	s_clause 0x2
	s_load_dword s17, s[4:5], 0x38
	s_load_dwordx2 s[12:13], s[4:5], 0x0
	s_load_dwordx4 s[8:11], s[4:5], 0x28
	s_waitcnt lgkmcnt(0)
	s_bitcmp1_b32 s17, 8
	s_cselect_b32 s16, -1, 0
	s_ashr_i32 s7, s6, 31
	s_lshl_b64 s[14:15], s[6:7], 3
	s_add_u32 s12, s12, s14
	s_addc_u32 s13, s13, s15
	s_load_dwordx2 s[14:15], s[12:13], 0x0
	s_bfe_u32 s12, s17, 0x10008
	s_cmp_eq_u32 s12, 0
                                        ; implicit-def: $sgpr12_sgpr13
	s_cbranch_scc1 .LBB103_3
; %bb.2:
	s_clause 0x1
	s_load_dword s12, s[4:5], 0x20
	s_load_dwordx2 s[18:19], s[4:5], 0x18
	s_mul_i32 s13, s8, s7
	s_mul_hi_u32 s17, s8, s6
	s_mul_i32 s9, s9, s6
	s_add_i32 s13, s17, s13
	s_mul_i32 s8, s8, s6
	s_add_i32 s9, s13, s9
	s_lshl_b64 s[8:9], s[8:9], 2
	s_waitcnt lgkmcnt(0)
	s_ashr_i32 s13, s12, 31
	s_add_u32 s17, s18, s8
	s_addc_u32 s18, s19, s9
	s_lshl_b64 s[8:9], s[12:13], 2
	s_add_u32 s12, s17, s8
	s_addc_u32 s13, s18, s9
.LBB103_3:
	s_clause 0x1
	s_load_dwordx2 s[8:9], s[4:5], 0x8
	s_load_dword s17, s[4:5], 0x38
	v_lshlrev_b32_e32 v83, 3, v0
	s_waitcnt lgkmcnt(0)
	s_ashr_i32 s5, s8, 31
	s_mov_b32 s4, s8
	v_add3_u32 v9, s9, s9, v0
	s_lshl_b64 s[4:5], s[4:5], 3
	s_add_u32 s4, s14, s4
	s_addc_u32 s5, s15, s5
	v_add_co_u32 v1, s8, s4, v83
	v_add_co_ci_u32_e64 v2, null, s5, 0, s8
	s_mov_b32 s14, s9
	s_ashr_i32 s15, s9, 31
	v_ashrrev_i32_e32 v10, 31, v9
	flat_load_dwordx2 v[5:6], v[1:2]
	s_lshl_b64 s[14:15], s[14:15], 3
	v_add_nc_u32_e32 v12, s9, v9
	v_add_co_u32 v3, vcc_lo, v1, s14
	v_add_co_ci_u32_e64 v4, null, s15, v2, vcc_lo
	v_ashrrev_i32_e32 v13, 31, v12
	s_bitcmp0_b32 s17, 0
	s_waitcnt vmcnt(0) lgkmcnt(0)
	buffer_store_dword v6, off, s[0:3], 0 offset:4
	buffer_store_dword v5, off, s[0:3], 0
	flat_load_dwordx2 v[7:8], v[3:4]
	v_lshlrev_b64 v[5:6], 3, v[9:10]
	s_waitcnt vmcnt(0) lgkmcnt(0)
	buffer_store_dword v8, off, s[0:3], 0 offset:12
	buffer_store_dword v7, off, s[0:3], 0 offset:8
	v_add_co_u32 v5, vcc_lo, s4, v5
	v_add_co_ci_u32_e64 v6, null, s5, v6, vcc_lo
	v_lshlrev_b64 v[7:8], 3, v[12:13]
	flat_load_dwordx2 v[10:11], v[5:6]
	s_waitcnt vmcnt(0) lgkmcnt(0)
	buffer_store_dword v11, off, s[0:3], 0 offset:20
	buffer_store_dword v10, off, s[0:3], 0 offset:16
	v_add_co_u32 v7, vcc_lo, s4, v7
	v_add_co_ci_u32_e64 v8, null, s5, v8, vcc_lo
	v_add_nc_u32_e32 v11, s9, v12
	flat_load_dwordx2 v[13:14], v[7:8]
	s_waitcnt vmcnt(0) lgkmcnt(0)
	buffer_store_dword v14, off, s[0:3], 0 offset:28
	buffer_store_dword v13, off, s[0:3], 0 offset:24
	v_ashrrev_i32_e32 v12, 31, v11
	v_add_nc_u32_e32 v15, s9, v11
	v_lshlrev_b64 v[9:10], 3, v[11:12]
	v_ashrrev_i32_e32 v16, 31, v15
	v_add_nc_u32_e32 v18, s9, v15
	v_add_co_u32 v9, vcc_lo, s4, v9
	v_add_co_ci_u32_e64 v10, null, s5, v10, vcc_lo
	v_lshlrev_b64 v[11:12], 3, v[15:16]
	v_ashrrev_i32_e32 v19, 31, v18
	flat_load_dwordx2 v[13:14], v[9:10]
	s_waitcnt vmcnt(0) lgkmcnt(0)
	buffer_store_dword v14, off, s[0:3], 0 offset:36
	buffer_store_dword v13, off, s[0:3], 0 offset:32
	v_add_co_u32 v11, vcc_lo, s4, v11
	v_add_co_ci_u32_e64 v12, null, s5, v12, vcc_lo
	v_lshlrev_b64 v[13:14], 3, v[18:19]
	flat_load_dwordx2 v[16:17], v[11:12]
	s_waitcnt vmcnt(0) lgkmcnt(0)
	buffer_store_dword v17, off, s[0:3], 0 offset:44
	buffer_store_dword v16, off, s[0:3], 0 offset:40
	v_add_co_u32 v13, vcc_lo, s4, v13
	v_add_co_ci_u32_e64 v14, null, s5, v14, vcc_lo
	v_add_nc_u32_e32 v17, s9, v18
	flat_load_dwordx2 v[19:20], v[13:14]
	s_waitcnt vmcnt(0) lgkmcnt(0)
	buffer_store_dword v20, off, s[0:3], 0 offset:52
	buffer_store_dword v19, off, s[0:3], 0 offset:48
	v_ashrrev_i32_e32 v18, 31, v17
	v_add_nc_u32_e32 v21, s9, v17
	v_lshlrev_b64 v[15:16], 3, v[17:18]
	v_ashrrev_i32_e32 v22, 31, v21
	v_add_nc_u32_e32 v24, s9, v21
	v_add_co_u32 v15, vcc_lo, s4, v15
	v_add_co_ci_u32_e64 v16, null, s5, v16, vcc_lo
	v_lshlrev_b64 v[17:18], 3, v[21:22]
	v_ashrrev_i32_e32 v25, 31, v24
	flat_load_dwordx2 v[19:20], v[15:16]
	s_waitcnt vmcnt(0) lgkmcnt(0)
	buffer_store_dword v20, off, s[0:3], 0 offset:60
	buffer_store_dword v19, off, s[0:3], 0 offset:56
	v_add_co_u32 v17, vcc_lo, s4, v17
	v_add_co_ci_u32_e64 v18, null, s5, v18, vcc_lo
	v_lshlrev_b64 v[19:20], 3, v[24:25]
	flat_load_dwordx2 v[22:23], v[17:18]
	s_waitcnt vmcnt(0) lgkmcnt(0)
	buffer_store_dword v23, off, s[0:3], 0 offset:68
	buffer_store_dword v22, off, s[0:3], 0 offset:64
	v_add_co_u32 v19, vcc_lo, s4, v19
	v_add_co_ci_u32_e64 v20, null, s5, v20, vcc_lo
	v_add_nc_u32_e32 v23, s9, v24
	flat_load_dwordx2 v[25:26], v[19:20]
	s_waitcnt vmcnt(0) lgkmcnt(0)
	buffer_store_dword v26, off, s[0:3], 0 offset:76
	buffer_store_dword v25, off, s[0:3], 0 offset:72
	v_ashrrev_i32_e32 v24, 31, v23
	v_add_nc_u32_e32 v27, s9, v23
	v_lshlrev_b64 v[21:22], 3, v[23:24]
	v_ashrrev_i32_e32 v28, 31, v27
	v_add_nc_u32_e32 v30, s9, v27
	v_add_co_u32 v21, vcc_lo, s4, v21
	v_add_co_ci_u32_e64 v22, null, s5, v22, vcc_lo
	v_lshlrev_b64 v[23:24], 3, v[27:28]
	v_ashrrev_i32_e32 v31, 31, v30
	flat_load_dwordx2 v[25:26], v[21:22]
	s_waitcnt vmcnt(0) lgkmcnt(0)
	buffer_store_dword v26, off, s[0:3], 0 offset:84
	buffer_store_dword v25, off, s[0:3], 0 offset:80
	v_add_co_u32 v23, vcc_lo, s4, v23
	v_add_co_ci_u32_e64 v24, null, s5, v24, vcc_lo
	v_lshlrev_b64 v[25:26], 3, v[30:31]
	flat_load_dwordx2 v[28:29], v[23:24]
	s_waitcnt vmcnt(0) lgkmcnt(0)
	buffer_store_dword v29, off, s[0:3], 0 offset:92
	buffer_store_dword v28, off, s[0:3], 0 offset:88
	v_add_co_u32 v25, vcc_lo, s4, v25
	v_add_co_ci_u32_e64 v26, null, s5, v26, vcc_lo
	v_add_nc_u32_e32 v29, s9, v30
	flat_load_dwordx2 v[31:32], v[25:26]
	s_waitcnt vmcnt(0) lgkmcnt(0)
	buffer_store_dword v32, off, s[0:3], 0 offset:100
	buffer_store_dword v31, off, s[0:3], 0 offset:96
	v_ashrrev_i32_e32 v30, 31, v29
	v_add_nc_u32_e32 v33, s9, v29
	v_lshlrev_b64 v[27:28], 3, v[29:30]
	v_ashrrev_i32_e32 v34, 31, v33
	v_add_nc_u32_e32 v36, s9, v33
	v_add_co_u32 v27, vcc_lo, s4, v27
	v_add_co_ci_u32_e64 v28, null, s5, v28, vcc_lo
	v_lshlrev_b64 v[29:30], 3, v[33:34]
	v_ashrrev_i32_e32 v37, 31, v36
	flat_load_dwordx2 v[31:32], v[27:28]
	s_waitcnt vmcnt(0) lgkmcnt(0)
	buffer_store_dword v32, off, s[0:3], 0 offset:108
	buffer_store_dword v31, off, s[0:3], 0 offset:104
	v_add_co_u32 v29, vcc_lo, s4, v29
	v_add_co_ci_u32_e64 v30, null, s5, v30, vcc_lo
	v_lshlrev_b64 v[31:32], 3, v[36:37]
	flat_load_dwordx2 v[34:35], v[29:30]
	s_waitcnt vmcnt(0) lgkmcnt(0)
	buffer_store_dword v35, off, s[0:3], 0 offset:116
	buffer_store_dword v34, off, s[0:3], 0 offset:112
	v_add_co_u32 v31, vcc_lo, s4, v31
	v_add_co_ci_u32_e64 v32, null, s5, v32, vcc_lo
	v_add_nc_u32_e32 v35, s9, v36
	flat_load_dwordx2 v[37:38], v[31:32]
	s_waitcnt vmcnt(0) lgkmcnt(0)
	buffer_store_dword v38, off, s[0:3], 0 offset:124
	buffer_store_dword v37, off, s[0:3], 0 offset:120
	v_ashrrev_i32_e32 v36, 31, v35
	v_add_nc_u32_e32 v39, s9, v35
	v_lshlrev_b64 v[33:34], 3, v[35:36]
	v_ashrrev_i32_e32 v40, 31, v39
	v_add_nc_u32_e32 v42, s9, v39
	v_add_co_u32 v33, vcc_lo, s4, v33
	v_add_co_ci_u32_e64 v34, null, s5, v34, vcc_lo
	v_lshlrev_b64 v[35:36], 3, v[39:40]
	v_ashrrev_i32_e32 v43, 31, v42
	flat_load_dwordx2 v[37:38], v[33:34]
	s_waitcnt vmcnt(0) lgkmcnt(0)
	buffer_store_dword v38, off, s[0:3], 0 offset:132
	buffer_store_dword v37, off, s[0:3], 0 offset:128
	v_add_co_u32 v35, vcc_lo, s4, v35
	v_add_co_ci_u32_e64 v36, null, s5, v36, vcc_lo
	v_lshlrev_b64 v[37:38], 3, v[42:43]
	flat_load_dwordx2 v[40:41], v[35:36]
	s_waitcnt vmcnt(0) lgkmcnt(0)
	buffer_store_dword v41, off, s[0:3], 0 offset:140
	buffer_store_dword v40, off, s[0:3], 0 offset:136
	v_add_co_u32 v37, vcc_lo, s4, v37
	v_add_co_ci_u32_e64 v38, null, s5, v38, vcc_lo
	v_add_nc_u32_e32 v41, s9, v42
	flat_load_dwordx2 v[43:44], v[37:38]
	s_waitcnt vmcnt(0) lgkmcnt(0)
	buffer_store_dword v44, off, s[0:3], 0 offset:148
	buffer_store_dword v43, off, s[0:3], 0 offset:144
	v_ashrrev_i32_e32 v42, 31, v41
	v_add_nc_u32_e32 v45, s9, v41
	v_lshlrev_b64 v[39:40], 3, v[41:42]
	v_ashrrev_i32_e32 v46, 31, v45
	v_add_nc_u32_e32 v48, s9, v45
	v_add_co_u32 v39, vcc_lo, s4, v39
	v_add_co_ci_u32_e64 v40, null, s5, v40, vcc_lo
	v_lshlrev_b64 v[41:42], 3, v[45:46]
	v_ashrrev_i32_e32 v49, 31, v48
	flat_load_dwordx2 v[43:44], v[39:40]
	s_waitcnt vmcnt(0) lgkmcnt(0)
	buffer_store_dword v44, off, s[0:3], 0 offset:156
	buffer_store_dword v43, off, s[0:3], 0 offset:152
	v_add_co_u32 v41, vcc_lo, s4, v41
	v_add_co_ci_u32_e64 v42, null, s5, v42, vcc_lo
	v_lshlrev_b64 v[43:44], 3, v[48:49]
	flat_load_dwordx2 v[46:47], v[41:42]
	s_waitcnt vmcnt(0) lgkmcnt(0)
	buffer_store_dword v47, off, s[0:3], 0 offset:164
	buffer_store_dword v46, off, s[0:3], 0 offset:160
	v_add_co_u32 v43, vcc_lo, s4, v43
	v_add_co_ci_u32_e64 v44, null, s5, v44, vcc_lo
	v_add_nc_u32_e32 v47, s9, v48
	flat_load_dwordx2 v[49:50], v[43:44]
	s_waitcnt vmcnt(0) lgkmcnt(0)
	buffer_store_dword v50, off, s[0:3], 0 offset:172
	buffer_store_dword v49, off, s[0:3], 0 offset:168
	v_ashrrev_i32_e32 v48, 31, v47
	v_add_nc_u32_e32 v51, s9, v47
	v_lshlrev_b64 v[45:46], 3, v[47:48]
	v_ashrrev_i32_e32 v52, 31, v51
	v_add_nc_u32_e32 v54, s9, v51
	v_add_co_u32 v45, vcc_lo, s4, v45
	v_add_co_ci_u32_e64 v46, null, s5, v46, vcc_lo
	v_lshlrev_b64 v[47:48], 3, v[51:52]
	v_ashrrev_i32_e32 v55, 31, v54
	flat_load_dwordx2 v[49:50], v[45:46]
	s_waitcnt vmcnt(0) lgkmcnt(0)
	buffer_store_dword v50, off, s[0:3], 0 offset:180
	buffer_store_dword v49, off, s[0:3], 0 offset:176
	v_add_co_u32 v47, vcc_lo, s4, v47
	v_add_co_ci_u32_e64 v48, null, s5, v48, vcc_lo
	v_lshlrev_b64 v[49:50], 3, v[54:55]
	flat_load_dwordx2 v[52:53], v[47:48]
	s_waitcnt vmcnt(0) lgkmcnt(0)
	buffer_store_dword v53, off, s[0:3], 0 offset:188
	buffer_store_dword v52, off, s[0:3], 0 offset:184
	v_add_co_u32 v49, vcc_lo, s4, v49
	v_add_co_ci_u32_e64 v50, null, s5, v50, vcc_lo
	v_add_nc_u32_e32 v53, s9, v54
	flat_load_dwordx2 v[55:56], v[49:50]
	s_waitcnt vmcnt(0) lgkmcnt(0)
	buffer_store_dword v56, off, s[0:3], 0 offset:196
	buffer_store_dword v55, off, s[0:3], 0 offset:192
	v_ashrrev_i32_e32 v54, 31, v53
	v_add_nc_u32_e32 v57, s9, v53
	v_lshlrev_b64 v[51:52], 3, v[53:54]
	v_ashrrev_i32_e32 v58, 31, v57
	v_add_nc_u32_e32 v60, s9, v57
	v_add_co_u32 v51, vcc_lo, s4, v51
	v_add_co_ci_u32_e64 v52, null, s5, v52, vcc_lo
	v_lshlrev_b64 v[53:54], 3, v[57:58]
	v_ashrrev_i32_e32 v61, 31, v60
	flat_load_dwordx2 v[55:56], v[51:52]
	s_waitcnt vmcnt(0) lgkmcnt(0)
	buffer_store_dword v56, off, s[0:3], 0 offset:204
	buffer_store_dword v55, off, s[0:3], 0 offset:200
	v_add_co_u32 v53, vcc_lo, s4, v53
	v_add_co_ci_u32_e64 v54, null, s5, v54, vcc_lo
	v_lshlrev_b64 v[55:56], 3, v[60:61]
	flat_load_dwordx2 v[58:59], v[53:54]
	s_waitcnt vmcnt(0) lgkmcnt(0)
	buffer_store_dword v59, off, s[0:3], 0 offset:212
	buffer_store_dword v58, off, s[0:3], 0 offset:208
	v_add_co_u32 v55, vcc_lo, s4, v55
	v_add_co_ci_u32_e64 v56, null, s5, v56, vcc_lo
	v_add_nc_u32_e32 v59, s9, v60
	flat_load_dwordx2 v[61:62], v[55:56]
	s_waitcnt vmcnt(0) lgkmcnt(0)
	buffer_store_dword v62, off, s[0:3], 0 offset:220
	buffer_store_dword v61, off, s[0:3], 0 offset:216
	v_ashrrev_i32_e32 v60, 31, v59
	v_add_nc_u32_e32 v63, s9, v59
	v_lshlrev_b64 v[57:58], 3, v[59:60]
	v_ashrrev_i32_e32 v64, 31, v63
	v_add_nc_u32_e32 v66, s9, v63
	v_add_co_u32 v57, vcc_lo, s4, v57
	v_add_co_ci_u32_e64 v58, null, s5, v58, vcc_lo
	v_lshlrev_b64 v[59:60], 3, v[63:64]
	v_ashrrev_i32_e32 v67, 31, v66
	flat_load_dwordx2 v[61:62], v[57:58]
	s_waitcnt vmcnt(0) lgkmcnt(0)
	buffer_store_dword v62, off, s[0:3], 0 offset:228
	buffer_store_dword v61, off, s[0:3], 0 offset:224
	v_add_co_u32 v59, vcc_lo, s4, v59
	v_add_co_ci_u32_e64 v60, null, s5, v60, vcc_lo
	v_lshlrev_b64 v[61:62], 3, v[66:67]
	flat_load_dwordx2 v[64:65], v[59:60]
	s_waitcnt vmcnt(0) lgkmcnt(0)
	buffer_store_dword v65, off, s[0:3], 0 offset:236
	buffer_store_dword v64, off, s[0:3], 0 offset:232
	v_add_co_u32 v61, vcc_lo, s4, v61
	v_add_co_ci_u32_e64 v62, null, s5, v62, vcc_lo
	v_add_nc_u32_e32 v65, s9, v66
	flat_load_dwordx2 v[67:68], v[61:62]
	s_waitcnt vmcnt(0) lgkmcnt(0)
	buffer_store_dword v68, off, s[0:3], 0 offset:244
	buffer_store_dword v67, off, s[0:3], 0 offset:240
	v_ashrrev_i32_e32 v66, 31, v65
	v_add_nc_u32_e32 v69, s9, v65
	v_lshlrev_b64 v[63:64], 3, v[65:66]
	v_ashrrev_i32_e32 v70, 31, v69
	v_add_nc_u32_e32 v72, s9, v69
	v_add_co_u32 v63, vcc_lo, s4, v63
	v_add_co_ci_u32_e64 v64, null, s5, v64, vcc_lo
	v_lshlrev_b64 v[65:66], 3, v[69:70]
	v_ashrrev_i32_e32 v73, 31, v72
	flat_load_dwordx2 v[67:68], v[63:64]
	s_waitcnt vmcnt(0) lgkmcnt(0)
	buffer_store_dword v68, off, s[0:3], 0 offset:252
	buffer_store_dword v67, off, s[0:3], 0 offset:248
	v_add_co_u32 v65, vcc_lo, s4, v65
	v_add_co_ci_u32_e64 v66, null, s5, v66, vcc_lo
	v_lshlrev_b64 v[67:68], 3, v[72:73]
	flat_load_dwordx2 v[70:71], v[65:66]
	s_waitcnt vmcnt(0) lgkmcnt(0)
	buffer_store_dword v71, off, s[0:3], 0 offset:260
	buffer_store_dword v70, off, s[0:3], 0 offset:256
	v_add_co_u32 v67, vcc_lo, s4, v67
	v_add_co_ci_u32_e64 v68, null, s5, v68, vcc_lo
	v_add_nc_u32_e32 v71, s9, v72
	flat_load_dwordx2 v[73:74], v[67:68]
	s_waitcnt vmcnt(0) lgkmcnt(0)
	buffer_store_dword v74, off, s[0:3], 0 offset:268
	buffer_store_dword v73, off, s[0:3], 0 offset:264
	v_ashrrev_i32_e32 v72, 31, v71
	v_add_nc_u32_e32 v75, s9, v71
	v_lshlrev_b64 v[69:70], 3, v[71:72]
	v_ashrrev_i32_e32 v76, 31, v75
	v_add_nc_u32_e32 v78, s9, v75
	v_add_co_u32 v69, vcc_lo, s4, v69
	v_add_co_ci_u32_e64 v70, null, s5, v70, vcc_lo
	v_lshlrev_b64 v[71:72], 3, v[75:76]
	v_ashrrev_i32_e32 v79, 31, v78
	flat_load_dwordx2 v[73:74], v[69:70]
	s_waitcnt vmcnt(0) lgkmcnt(0)
	buffer_store_dword v74, off, s[0:3], 0 offset:276
	buffer_store_dword v73, off, s[0:3], 0 offset:272
	v_add_co_u32 v71, vcc_lo, s4, v71
	v_add_co_ci_u32_e64 v72, null, s5, v72, vcc_lo
	v_lshlrev_b64 v[73:74], 3, v[78:79]
	flat_load_dwordx2 v[76:77], v[71:72]
	s_waitcnt vmcnt(0) lgkmcnt(0)
	buffer_store_dword v77, off, s[0:3], 0 offset:284
	buffer_store_dword v76, off, s[0:3], 0 offset:280
	v_add_co_u32 v73, vcc_lo, s4, v73
	v_add_co_ci_u32_e64 v74, null, s5, v74, vcc_lo
	v_add_nc_u32_e32 v77, s9, v78
	flat_load_dwordx2 v[79:80], v[73:74]
	s_waitcnt vmcnt(0) lgkmcnt(0)
	buffer_store_dword v80, off, s[0:3], 0 offset:292
	buffer_store_dword v79, off, s[0:3], 0 offset:288
	v_ashrrev_i32_e32 v78, 31, v77
	v_add_nc_u32_e32 v81, s9, v77
	v_lshlrev_b64 v[75:76], 3, v[77:78]
	v_ashrrev_i32_e32 v82, 31, v81
	v_add_co_u32 v75, vcc_lo, s4, v75
	v_add_co_ci_u32_e64 v76, null, s5, v76, vcc_lo
	v_lshlrev_b64 v[77:78], 3, v[81:82]
	flat_load_dwordx2 v[79:80], v[75:76]
	s_waitcnt vmcnt(0) lgkmcnt(0)
	buffer_store_dword v80, off, s[0:3], 0 offset:300
	buffer_store_dword v79, off, s[0:3], 0 offset:296
	v_add_co_u32 v77, vcc_lo, s4, v77
	v_add_co_ci_u32_e64 v78, null, s5, v78, vcc_lo
	v_add_nc_u32_e32 v79, s9, v81
	flat_load_dwordx2 v[84:85], v[77:78]
	s_waitcnt vmcnt(0) lgkmcnt(0)
	buffer_store_dword v85, off, s[0:3], 0 offset:308
	buffer_store_dword v84, off, s[0:3], 0 offset:304
	v_ashrrev_i32_e32 v80, 31, v79
	v_lshlrev_b64 v[79:80], 3, v[79:80]
	v_add_co_u32 v79, vcc_lo, s4, v79
	v_add_co_ci_u32_e64 v80, null, s5, v80, vcc_lo
	s_mov_b32 s5, -1
	flat_load_dwordx2 v[81:82], v[79:80]
	s_waitcnt vmcnt(0) lgkmcnt(0)
	buffer_store_dword v82, off, s[0:3], 0 offset:316
	buffer_store_dword v81, off, s[0:3], 0 offset:312
	s_cbranch_scc1 .LBB103_168
; %bb.4:
	v_cmp_eq_u32_e64 s4, 0, v0
	s_and_saveexec_b32 s5, s4
; %bb.5:
	v_mov_b32_e32 v81, 0
	ds_write_b32 v81, v81 offset:640
; %bb.6:
	s_or_b32 exec_lo, exec_lo, s5
	v_lshl_add_u32 v81, v0, 3, 0
	s_waitcnt lgkmcnt(0)
	s_waitcnt_vscnt null, 0x0
	s_barrier
	buffer_gl0_inv
	s_mov_b32 s8, exec_lo
	s_clause 0x1
	buffer_load_dword v84, v81, s[0:3], 0 offen
	buffer_load_dword v85, v81, s[0:3], 0 offen offset:4
	s_waitcnt vmcnt(0)
	v_cmpx_eq_f64_e32 0, v[84:85]
	s_cbranch_execz .LBB103_10
; %bb.7:
	v_mov_b32_e32 v82, 0
	s_mov_b32 s9, 0
	ds_read_b32 v84, v82 offset:640
	s_waitcnt lgkmcnt(0)
	v_readfirstlane_b32 s5, v84
	v_add_nc_u32_e32 v84, 1, v0
	s_cmp_eq_u32 s5, 0
	v_cmp_gt_i32_e32 vcc_lo, s5, v84
	s_cselect_b32 s14, -1, 0
	s_or_b32 s14, s14, vcc_lo
	s_and_b32 exec_lo, exec_lo, s14
	s_cbranch_execz .LBB103_10
; %bb.8:
	v_mov_b32_e32 v85, s5
.LBB103_9:                              ; =>This Inner Loop Header: Depth=1
	ds_cmpst_rtn_b32 v85, v82, v85, v84 offset:640
	s_waitcnt lgkmcnt(0)
	v_cmp_ne_u32_e32 vcc_lo, 0, v85
	v_cmp_le_i32_e64 s5, v85, v84
	s_and_b32 s5, vcc_lo, s5
	s_and_b32 s5, exec_lo, s5
	s_or_b32 s9, s5, s9
	s_andn2_b32 exec_lo, exec_lo, s9
	s_cbranch_execnz .LBB103_9
.LBB103_10:
	s_or_b32 exec_lo, exec_lo, s8
	v_mov_b32_e32 v82, 0
	s_barrier
	buffer_gl0_inv
	ds_read_b32 v84, v82 offset:640
	s_and_saveexec_b32 s5, s4
	s_cbranch_execz .LBB103_12
; %bb.11:
	s_lshl_b64 s[8:9], s[6:7], 2
	s_add_u32 s8, s10, s8
	s_addc_u32 s9, s11, s9
	s_waitcnt lgkmcnt(0)
	global_store_dword v82, v84, s[8:9]
.LBB103_12:
	s_or_b32 exec_lo, exec_lo, s5
	s_waitcnt lgkmcnt(0)
	v_cmp_ne_u32_e32 vcc_lo, 0, v84
	s_mov_b32 s5, 0
	s_cbranch_vccnz .LBB103_168
; %bb.13:
	s_clause 0x1
	buffer_load_dword v84, v81, s[0:3], 0 offen
	buffer_load_dword v85, v81, s[0:3], 0 offen offset:4
	s_waitcnt vmcnt(0)
	v_div_scale_f64 v[86:87], null, v[84:85], v[84:85], 1.0
	v_div_scale_f64 v[92:93], vcc_lo, 1.0, v[84:85], 1.0
	v_rcp_f64_e32 v[88:89], v[86:87]
	v_fma_f64 v[90:91], -v[86:87], v[88:89], 1.0
	v_fma_f64 v[88:89], v[88:89], v[90:91], v[88:89]
	v_fma_f64 v[90:91], -v[86:87], v[88:89], 1.0
	v_fma_f64 v[88:89], v[88:89], v[90:91], v[88:89]
	v_mul_f64 v[90:91], v[92:93], v[88:89]
	v_fma_f64 v[86:87], -v[86:87], v[90:91], v[92:93]
	v_div_fmas_f64 v[86:87], v[86:87], v[88:89], v[90:91]
	v_div_fixup_f64 v[85:86], v[86:87], v[84:85], 1.0
	v_add_nc_u32_e32 v84, 0x140, v83
	buffer_store_dword v86, v81, s[0:3], 0 offen offset:4
	buffer_store_dword v85, v81, s[0:3], 0 offen
	s_clause 0x1
	buffer_load_dword v88, off, s[0:3], 0 offset:12
	buffer_load_dword v87, off, s[0:3], 0 offset:8
	v_xor_b32_e32 v86, 0x80000000, v86
	s_waitcnt vmcnt(0)
	ds_write2_b64 v83, v[85:86], v[87:88] offset1:40
	s_waitcnt lgkmcnt(0)
	s_waitcnt_vscnt null, 0x0
	s_barrier
	buffer_gl0_inv
	s_and_saveexec_b32 s5, s4
	s_cbranch_execz .LBB103_15
; %bb.14:
	s_clause 0x1
	buffer_load_dword v85, v81, s[0:3], 0 offen
	buffer_load_dword v86, v81, s[0:3], 0 offen offset:4
	ds_read_b64 v[87:88], v84
	v_mov_b32_e32 v82, 0
	ds_read_b64 v[89:90], v82 offset:8
	s_waitcnt vmcnt(0) lgkmcnt(1)
	v_fma_f64 v[85:86], v[85:86], v[87:88], 0
	s_waitcnt lgkmcnt(0)
	v_mul_f64 v[85:86], v[85:86], v[89:90]
	buffer_store_dword v85, off, s[0:3], 0 offset:8
	buffer_store_dword v86, off, s[0:3], 0 offset:12
.LBB103_15:
	s_or_b32 exec_lo, exec_lo, s5
	s_waitcnt_vscnt null, 0x0
	s_barrier
	buffer_gl0_inv
	s_clause 0x1
	buffer_load_dword v85, off, s[0:3], 0 offset:16
	buffer_load_dword v86, off, s[0:3], 0 offset:20
	s_mov_b32 s5, exec_lo
	s_waitcnt vmcnt(0)
	ds_write_b64 v84, v[85:86]
	s_waitcnt lgkmcnt(0)
	s_barrier
	buffer_gl0_inv
	v_cmpx_gt_u32_e32 2, v0
	s_cbranch_execz .LBB103_19
; %bb.16:
	s_clause 0x1
	buffer_load_dword v85, v81, s[0:3], 0 offen
	buffer_load_dword v86, v81, s[0:3], 0 offen offset:4
	ds_read_b64 v[81:82], v84
	s_waitcnt vmcnt(0) lgkmcnt(0)
	v_fma_f64 v[81:82], v[85:86], v[81:82], 0
	s_and_saveexec_b32 s8, s4
	s_cbranch_execz .LBB103_18
; %bb.17:
	s_clause 0x1
	buffer_load_dword v85, off, s[0:3], 0 offset:8
	buffer_load_dword v86, off, s[0:3], 0 offset:12
	v_mov_b32_e32 v87, 0
	ds_read_b64 v[87:88], v87 offset:328
	s_waitcnt vmcnt(0) lgkmcnt(0)
	v_fma_f64 v[81:82], v[85:86], v[87:88], v[81:82]
.LBB103_18:
	s_or_b32 exec_lo, exec_lo, s8
	v_mov_b32_e32 v85, 0
	ds_read_b64 v[85:86], v85 offset:16
	s_waitcnt lgkmcnt(0)
	v_mul_f64 v[81:82], v[81:82], v[85:86]
	buffer_store_dword v82, off, s[0:3], 0 offset:20
	buffer_store_dword v81, off, s[0:3], 0 offset:16
.LBB103_19:
	s_or_b32 exec_lo, exec_lo, s5
	s_waitcnt_vscnt null, 0x0
	s_barrier
	buffer_gl0_inv
	s_clause 0x1
	buffer_load_dword v81, off, s[0:3], 0 offset:24
	buffer_load_dword v82, off, s[0:3], 0 offset:28
	v_add_nc_u32_e32 v85, -1, v0
	s_mov_b32 s4, exec_lo
	s_waitcnt vmcnt(0)
	ds_write_b64 v84, v[81:82]
	s_waitcnt lgkmcnt(0)
	s_barrier
	buffer_gl0_inv
	v_cmpx_gt_u32_e32 3, v0
	s_cbranch_execz .LBB103_23
; %bb.20:
	v_mov_b32_e32 v81, 0
	v_add_nc_u32_e32 v86, -1, v0
	v_add_nc_u32_e32 v87, 0x140, v83
	v_mov_b32_e32 v82, 0
	v_mov_b32_e32 v88, v83
	s_mov_b32 s5, 0
.LBB103_21:                             ; =>This Inner Loop Header: Depth=1
	s_clause 0x1
	buffer_load_dword v89, v88, s[0:3], 0 offen
	buffer_load_dword v90, v88, s[0:3], 0 offen offset:4
	ds_read_b64 v[91:92], v87
	v_add_nc_u32_e32 v86, 1, v86
	v_add_nc_u32_e32 v87, 8, v87
	v_add_nc_u32_e32 v88, 8, v88
	v_cmp_lt_u32_e32 vcc_lo, 1, v86
	s_or_b32 s5, vcc_lo, s5
	s_waitcnt vmcnt(0) lgkmcnt(0)
	v_fma_f64 v[81:82], v[89:90], v[91:92], v[81:82]
	s_andn2_b32 exec_lo, exec_lo, s5
	s_cbranch_execnz .LBB103_21
; %bb.22:
	s_or_b32 exec_lo, exec_lo, s5
	v_mov_b32_e32 v86, 0
	ds_read_b64 v[86:87], v86 offset:24
	s_waitcnt lgkmcnt(0)
	v_mul_f64 v[81:82], v[81:82], v[86:87]
	buffer_store_dword v82, off, s[0:3], 0 offset:28
	buffer_store_dword v81, off, s[0:3], 0 offset:24
.LBB103_23:
	s_or_b32 exec_lo, exec_lo, s4
	s_waitcnt_vscnt null, 0x0
	s_barrier
	buffer_gl0_inv
	s_clause 0x1
	buffer_load_dword v81, off, s[0:3], 0 offset:32
	buffer_load_dword v82, off, s[0:3], 0 offset:36
	s_mov_b32 s4, exec_lo
	s_waitcnt vmcnt(0)
	ds_write_b64 v84, v[81:82]
	s_waitcnt lgkmcnt(0)
	s_barrier
	buffer_gl0_inv
	v_cmpx_gt_u32_e32 4, v0
	s_cbranch_execz .LBB103_27
; %bb.24:
	v_mov_b32_e32 v81, 0
	v_add_nc_u32_e32 v86, -1, v0
	v_add_nc_u32_e32 v87, 0x140, v83
	v_mov_b32_e32 v82, 0
	v_mov_b32_e32 v88, v83
	s_mov_b32 s5, 0
.LBB103_25:                             ; =>This Inner Loop Header: Depth=1
	s_clause 0x1
	buffer_load_dword v89, v88, s[0:3], 0 offen
	buffer_load_dword v90, v88, s[0:3], 0 offen offset:4
	ds_read_b64 v[91:92], v87
	v_add_nc_u32_e32 v86, 1, v86
	v_add_nc_u32_e32 v87, 8, v87
	v_add_nc_u32_e32 v88, 8, v88
	v_cmp_lt_u32_e32 vcc_lo, 2, v86
	s_or_b32 s5, vcc_lo, s5
	s_waitcnt vmcnt(0) lgkmcnt(0)
	v_fma_f64 v[81:82], v[89:90], v[91:92], v[81:82]
	s_andn2_b32 exec_lo, exec_lo, s5
	s_cbranch_execnz .LBB103_25
; %bb.26:
	s_or_b32 exec_lo, exec_lo, s5
	v_mov_b32_e32 v86, 0
	ds_read_b64 v[86:87], v86 offset:32
	s_waitcnt lgkmcnt(0)
	v_mul_f64 v[81:82], v[81:82], v[86:87]
	buffer_store_dword v82, off, s[0:3], 0 offset:36
	buffer_store_dword v81, off, s[0:3], 0 offset:32
.LBB103_27:
	s_or_b32 exec_lo, exec_lo, s4
	s_waitcnt_vscnt null, 0x0
	s_barrier
	buffer_gl0_inv
	s_clause 0x1
	buffer_load_dword v81, off, s[0:3], 0 offset:40
	buffer_load_dword v82, off, s[0:3], 0 offset:44
	;; [unrolled: 45-line block ×20, first 2 shown]
	s_mov_b32 s4, exec_lo
	s_waitcnt vmcnt(0)
	ds_write_b64 v84, v[81:82]
	s_waitcnt lgkmcnt(0)
	s_barrier
	buffer_gl0_inv
	v_cmpx_gt_u32_e32 23, v0
	s_cbranch_execz .LBB103_103
; %bb.100:
	v_mov_b32_e32 v81, 0
	v_add_nc_u32_e32 v86, -1, v0
	v_add_nc_u32_e32 v87, 0x140, v83
	v_mov_b32_e32 v82, 0
	v_mov_b32_e32 v88, v83
	s_mov_b32 s5, 0
.LBB103_101:                            ; =>This Inner Loop Header: Depth=1
	s_clause 0x1
	buffer_load_dword v89, v88, s[0:3], 0 offen
	buffer_load_dword v90, v88, s[0:3], 0 offen offset:4
	ds_read_b64 v[91:92], v87
	v_add_nc_u32_e32 v86, 1, v86
	v_add_nc_u32_e32 v87, 8, v87
	v_add_nc_u32_e32 v88, 8, v88
	v_cmp_lt_u32_e32 vcc_lo, 21, v86
	s_or_b32 s5, vcc_lo, s5
	s_waitcnt vmcnt(0) lgkmcnt(0)
	v_fma_f64 v[81:82], v[89:90], v[91:92], v[81:82]
	s_andn2_b32 exec_lo, exec_lo, s5
	s_cbranch_execnz .LBB103_101
; %bb.102:
	s_or_b32 exec_lo, exec_lo, s5
	v_mov_b32_e32 v86, 0
	ds_read_b64 v[86:87], v86 offset:184
	s_waitcnt lgkmcnt(0)
	v_mul_f64 v[81:82], v[81:82], v[86:87]
	buffer_store_dword v82, off, s[0:3], 0 offset:188
	buffer_store_dword v81, off, s[0:3], 0 offset:184
.LBB103_103:
	s_or_b32 exec_lo, exec_lo, s4
	s_waitcnt_vscnt null, 0x0
	s_barrier
	buffer_gl0_inv
	s_clause 0x1
	buffer_load_dword v81, off, s[0:3], 0 offset:192
	buffer_load_dword v82, off, s[0:3], 0 offset:196
	s_mov_b32 s4, exec_lo
	s_waitcnt vmcnt(0)
	ds_write_b64 v84, v[81:82]
	s_waitcnt lgkmcnt(0)
	s_barrier
	buffer_gl0_inv
	v_cmpx_gt_u32_e32 24, v0
	s_cbranch_execz .LBB103_107
; %bb.104:
	v_mov_b32_e32 v81, 0
	v_add_nc_u32_e32 v86, -1, v0
	v_add_nc_u32_e32 v87, 0x140, v83
	v_mov_b32_e32 v82, 0
	v_mov_b32_e32 v88, v83
	s_mov_b32 s5, 0
.LBB103_105:                            ; =>This Inner Loop Header: Depth=1
	s_clause 0x1
	buffer_load_dword v89, v88, s[0:3], 0 offen
	buffer_load_dword v90, v88, s[0:3], 0 offen offset:4
	ds_read_b64 v[91:92], v87
	v_add_nc_u32_e32 v86, 1, v86
	v_add_nc_u32_e32 v87, 8, v87
	v_add_nc_u32_e32 v88, 8, v88
	v_cmp_lt_u32_e32 vcc_lo, 22, v86
	s_or_b32 s5, vcc_lo, s5
	s_waitcnt vmcnt(0) lgkmcnt(0)
	v_fma_f64 v[81:82], v[89:90], v[91:92], v[81:82]
	s_andn2_b32 exec_lo, exec_lo, s5
	s_cbranch_execnz .LBB103_105
; %bb.106:
	s_or_b32 exec_lo, exec_lo, s5
	v_mov_b32_e32 v86, 0
	ds_read_b64 v[86:87], v86 offset:192
	s_waitcnt lgkmcnt(0)
	v_mul_f64 v[81:82], v[81:82], v[86:87]
	buffer_store_dword v82, off, s[0:3], 0 offset:196
	buffer_store_dword v81, off, s[0:3], 0 offset:192
.LBB103_107:
	s_or_b32 exec_lo, exec_lo, s4
	s_waitcnt_vscnt null, 0x0
	s_barrier
	buffer_gl0_inv
	s_clause 0x1
	buffer_load_dword v81, off, s[0:3], 0 offset:200
	buffer_load_dword v82, off, s[0:3], 0 offset:204
	;; [unrolled: 45-line block ×16, first 2 shown]
	s_mov_b32 s4, exec_lo
	s_waitcnt vmcnt(0)
	ds_write_b64 v84, v[81:82]
	s_waitcnt lgkmcnt(0)
	s_barrier
	buffer_gl0_inv
	v_cmpx_ne_u32_e32 39, v0
	s_cbranch_execz .LBB103_167
; %bb.164:
	v_mov_b32_e32 v81, 0
	v_mov_b32_e32 v82, 0
	s_mov_b32 s5, 0
.LBB103_165:                            ; =>This Inner Loop Header: Depth=1
	s_clause 0x1
	buffer_load_dword v86, v83, s[0:3], 0 offen
	buffer_load_dword v87, v83, s[0:3], 0 offen offset:4
	ds_read_b64 v[88:89], v84
	v_add_nc_u32_e32 v85, 1, v85
	v_add_nc_u32_e32 v84, 8, v84
	;; [unrolled: 1-line block ×3, first 2 shown]
	v_cmp_lt_u32_e32 vcc_lo, 37, v85
	s_or_b32 s5, vcc_lo, s5
	s_waitcnt vmcnt(0) lgkmcnt(0)
	v_fma_f64 v[81:82], v[86:87], v[88:89], v[81:82]
	s_andn2_b32 exec_lo, exec_lo, s5
	s_cbranch_execnz .LBB103_165
; %bb.166:
	s_or_b32 exec_lo, exec_lo, s5
	v_mov_b32_e32 v83, 0
	ds_read_b64 v[83:84], v83 offset:312
	s_waitcnt lgkmcnt(0)
	v_mul_f64 v[81:82], v[81:82], v[83:84]
	buffer_store_dword v82, off, s[0:3], 0 offset:316
	buffer_store_dword v81, off, s[0:3], 0 offset:312
.LBB103_167:
	s_or_b32 exec_lo, exec_lo, s4
	s_mov_b32 s5, -1
	s_waitcnt_vscnt null, 0x0
	s_barrier
	buffer_gl0_inv
.LBB103_168:
	s_and_b32 vcc_lo, exec_lo, s5
	s_cbranch_vccz .LBB103_170
; %bb.169:
	s_lshl_b64 s[4:5], s[6:7], 2
	v_mov_b32_e32 v81, 0
	s_add_u32 s4, s10, s4
	s_addc_u32 s5, s11, s5
	global_load_dword v81, v81, s[4:5]
	s_waitcnt vmcnt(0)
	v_cmp_ne_u32_e32 vcc_lo, 0, v81
	s_cbranch_vccz .LBB103_171
.LBB103_170:
	s_endpgm
.LBB103_171:
	v_lshl_add_u32 v81, v0, 3, 0x140
	s_mov_b32 s4, exec_lo
	v_cmpx_eq_u32_e32 39, v0
	s_cbranch_execz .LBB103_173
; %bb.172:
	s_clause 0x1
	buffer_load_dword v82, off, s[0:3], 0 offset:304
	buffer_load_dword v83, off, s[0:3], 0 offset:308
	v_mov_b32_e32 v84, 0
	buffer_store_dword v84, off, s[0:3], 0 offset:304
	buffer_store_dword v84, off, s[0:3], 0 offset:308
	s_waitcnt vmcnt(0)
	ds_write_b64 v81, v[82:83]
.LBB103_173:
	s_or_b32 exec_lo, exec_lo, s4
	s_waitcnt lgkmcnt(0)
	s_waitcnt_vscnt null, 0x0
	s_barrier
	buffer_gl0_inv
	s_clause 0x3
	buffer_load_dword v83, off, s[0:3], 0 offset:312
	buffer_load_dword v84, off, s[0:3], 0 offset:316
	;; [unrolled: 1-line block ×4, first 2 shown]
	v_mov_b32_e32 v82, 0
	s_mov_b32 s4, exec_lo
	ds_read_b64 v[87:88], v82 offset:632
	s_waitcnt vmcnt(2) lgkmcnt(0)
	v_fma_f64 v[83:84], v[83:84], v[87:88], 0
	s_waitcnt vmcnt(0)
	v_add_f64 v[83:84], v[85:86], -v[83:84]
	buffer_store_dword v83, off, s[0:3], 0 offset:304
	buffer_store_dword v84, off, s[0:3], 0 offset:308
	v_cmpx_lt_u32_e32 37, v0
	s_cbranch_execz .LBB103_175
; %bb.174:
	s_clause 0x1
	buffer_load_dword v83, off, s[0:3], 0 offset:296
	buffer_load_dword v84, off, s[0:3], 0 offset:300
	buffer_store_dword v82, off, s[0:3], 0 offset:296
	buffer_store_dword v82, off, s[0:3], 0 offset:300
	s_waitcnt vmcnt(0)
	ds_write_b64 v81, v[83:84]
.LBB103_175:
	s_or_b32 exec_lo, exec_lo, s4
	s_waitcnt lgkmcnt(0)
	s_waitcnt_vscnt null, 0x0
	s_barrier
	buffer_gl0_inv
	s_clause 0x5
	buffer_load_dword v86, off, s[0:3], 0 offset:304
	buffer_load_dword v87, off, s[0:3], 0 offset:308
	;; [unrolled: 1-line block ×6, first 2 shown]
	ds_read_b128 v[82:85], v82 offset:624
	s_mov_b32 s4, exec_lo
	s_waitcnt vmcnt(4) lgkmcnt(0)
	v_fma_f64 v[82:83], v[86:87], v[82:83], 0
	s_waitcnt vmcnt(2)
	v_fma_f64 v[82:83], v[88:89], v[84:85], v[82:83]
	s_waitcnt vmcnt(0)
	v_add_f64 v[82:83], v[90:91], -v[82:83]
	buffer_store_dword v82, off, s[0:3], 0 offset:296
	buffer_store_dword v83, off, s[0:3], 0 offset:300
	v_cmpx_lt_u32_e32 36, v0
	s_cbranch_execz .LBB103_177
; %bb.176:
	s_clause 0x1
	buffer_load_dword v82, off, s[0:3], 0 offset:288
	buffer_load_dword v83, off, s[0:3], 0 offset:292
	v_mov_b32_e32 v84, 0
	buffer_store_dword v84, off, s[0:3], 0 offset:288
	buffer_store_dword v84, off, s[0:3], 0 offset:292
	s_waitcnt vmcnt(0)
	ds_write_b64 v81, v[82:83]
.LBB103_177:
	s_or_b32 exec_lo, exec_lo, s4
	s_waitcnt lgkmcnt(0)
	s_waitcnt_vscnt null, 0x0
	s_barrier
	buffer_gl0_inv
	s_clause 0x7
	buffer_load_dword v87, off, s[0:3], 0 offset:296
	buffer_load_dword v88, off, s[0:3], 0 offset:300
	;; [unrolled: 1-line block ×8, first 2 shown]
	v_mov_b32_e32 v82, 0
	ds_read2_b64 v[83:86], v82 offset0:77 offset1:78
	ds_read_b64 v[95:96], v82 offset:632
	s_mov_b32 s4, exec_lo
	s_waitcnt vmcnt(6) lgkmcnt(1)
	v_fma_f64 v[83:84], v[87:88], v[83:84], 0
	s_waitcnt vmcnt(4)
	v_fma_f64 v[83:84], v[89:90], v[85:86], v[83:84]
	s_waitcnt vmcnt(2) lgkmcnt(0)
	v_fma_f64 v[83:84], v[91:92], v[95:96], v[83:84]
	s_waitcnt vmcnt(0)
	v_add_f64 v[83:84], v[93:94], -v[83:84]
	buffer_store_dword v83, off, s[0:3], 0 offset:288
	buffer_store_dword v84, off, s[0:3], 0 offset:292
	v_cmpx_lt_u32_e32 35, v0
	s_cbranch_execz .LBB103_179
; %bb.178:
	s_clause 0x1
	buffer_load_dword v83, off, s[0:3], 0 offset:280
	buffer_load_dword v84, off, s[0:3], 0 offset:284
	buffer_store_dword v82, off, s[0:3], 0 offset:280
	buffer_store_dword v82, off, s[0:3], 0 offset:284
	s_waitcnt vmcnt(0)
	ds_write_b64 v81, v[83:84]
.LBB103_179:
	s_or_b32 exec_lo, exec_lo, s4
	s_waitcnt lgkmcnt(0)
	s_waitcnt_vscnt null, 0x0
	s_barrier
	buffer_gl0_inv
	s_clause 0x9
	buffer_load_dword v91, off, s[0:3], 0 offset:288
	buffer_load_dword v92, off, s[0:3], 0 offset:292
	;; [unrolled: 1-line block ×10, first 2 shown]
	ds_read_b128 v[83:86], v82 offset:608
	ds_read_b128 v[87:90], v82 offset:624
	s_mov_b32 s4, exec_lo
	s_waitcnt vmcnt(8) lgkmcnt(1)
	v_fma_f64 v[82:83], v[91:92], v[83:84], 0
	s_waitcnt vmcnt(6)
	v_fma_f64 v[82:83], v[93:94], v[85:86], v[82:83]
	s_waitcnt vmcnt(4) lgkmcnt(0)
	v_fma_f64 v[82:83], v[95:96], v[87:88], v[82:83]
	s_waitcnt vmcnt(2)
	v_fma_f64 v[82:83], v[97:98], v[89:90], v[82:83]
	s_waitcnt vmcnt(0)
	v_add_f64 v[82:83], v[99:100], -v[82:83]
	buffer_store_dword v82, off, s[0:3], 0 offset:280
	buffer_store_dword v83, off, s[0:3], 0 offset:284
	v_cmpx_lt_u32_e32 34, v0
	s_cbranch_execz .LBB103_181
; %bb.180:
	s_clause 0x1
	buffer_load_dword v82, off, s[0:3], 0 offset:272
	buffer_load_dword v83, off, s[0:3], 0 offset:276
	v_mov_b32_e32 v84, 0
	buffer_store_dword v84, off, s[0:3], 0 offset:272
	buffer_store_dword v84, off, s[0:3], 0 offset:276
	s_waitcnt vmcnt(0)
	ds_write_b64 v81, v[82:83]
.LBB103_181:
	s_or_b32 exec_lo, exec_lo, s4
	s_waitcnt lgkmcnt(0)
	s_waitcnt_vscnt null, 0x0
	s_barrier
	buffer_gl0_inv
	s_clause 0xb
	buffer_load_dword v91, off, s[0:3], 0 offset:280
	buffer_load_dword v92, off, s[0:3], 0 offset:284
	;; [unrolled: 1-line block ×12, first 2 shown]
	v_mov_b32_e32 v82, 0
	ds_read2_b64 v[83:86], v82 offset0:75 offset1:76
	ds_read2_b64 v[87:90], v82 offset0:77 offset1:78
	s_mov_b32 s4, exec_lo
	s_waitcnt vmcnt(10) lgkmcnt(1)
	v_fma_f64 v[83:84], v[91:92], v[83:84], 0
	s_waitcnt vmcnt(8)
	v_fma_f64 v[83:84], v[93:94], v[85:86], v[83:84]
	ds_read_b64 v[85:86], v82 offset:632
	s_waitcnt vmcnt(6) lgkmcnt(1)
	v_fma_f64 v[83:84], v[95:96], v[87:88], v[83:84]
	s_waitcnt vmcnt(4)
	v_fma_f64 v[83:84], v[97:98], v[89:90], v[83:84]
	s_waitcnt vmcnt(2) lgkmcnt(0)
	v_fma_f64 v[83:84], v[99:100], v[85:86], v[83:84]
	s_waitcnt vmcnt(0)
	v_add_f64 v[83:84], v[101:102], -v[83:84]
	buffer_store_dword v83, off, s[0:3], 0 offset:272
	buffer_store_dword v84, off, s[0:3], 0 offset:276
	v_cmpx_lt_u32_e32 33, v0
	s_cbranch_execz .LBB103_183
; %bb.182:
	s_clause 0x1
	buffer_load_dword v83, off, s[0:3], 0 offset:264
	buffer_load_dword v84, off, s[0:3], 0 offset:268
	buffer_store_dword v82, off, s[0:3], 0 offset:264
	buffer_store_dword v82, off, s[0:3], 0 offset:268
	s_waitcnt vmcnt(0)
	ds_write_b64 v81, v[83:84]
.LBB103_183:
	s_or_b32 exec_lo, exec_lo, s4
	s_waitcnt lgkmcnt(0)
	s_waitcnt_vscnt null, 0x0
	s_barrier
	buffer_gl0_inv
	s_clause 0xd
	buffer_load_dword v91, off, s[0:3], 0 offset:272
	buffer_load_dword v92, off, s[0:3], 0 offset:276
	;; [unrolled: 1-line block ×14, first 2 shown]
	ds_read_b128 v[83:86], v82 offset:592
	ds_read_b128 v[87:90], v82 offset:608
	s_mov_b32 s4, exec_lo
	s_waitcnt vmcnt(12) lgkmcnt(1)
	v_fma_f64 v[83:84], v[91:92], v[83:84], 0
	s_waitcnt vmcnt(10)
	v_fma_f64 v[83:84], v[93:94], v[85:86], v[83:84]
	s_waitcnt vmcnt(8) lgkmcnt(0)
	v_fma_f64 v[83:84], v[95:96], v[87:88], v[83:84]
	s_waitcnt vmcnt(6)
	v_fma_f64 v[86:87], v[97:98], v[89:90], v[83:84]
	ds_read_b128 v[82:85], v82 offset:624
	s_waitcnt vmcnt(4) lgkmcnt(0)
	v_fma_f64 v[82:83], v[99:100], v[82:83], v[86:87]
	s_waitcnt vmcnt(2)
	v_fma_f64 v[82:83], v[101:102], v[84:85], v[82:83]
	s_waitcnt vmcnt(0)
	v_add_f64 v[82:83], v[103:104], -v[82:83]
	buffer_store_dword v82, off, s[0:3], 0 offset:264
	buffer_store_dword v83, off, s[0:3], 0 offset:268
	v_cmpx_lt_u32_e32 32, v0
	s_cbranch_execz .LBB103_185
; %bb.184:
	s_clause 0x1
	buffer_load_dword v82, off, s[0:3], 0 offset:256
	buffer_load_dword v83, off, s[0:3], 0 offset:260
	v_mov_b32_e32 v84, 0
	buffer_store_dword v84, off, s[0:3], 0 offset:256
	buffer_store_dword v84, off, s[0:3], 0 offset:260
	s_waitcnt vmcnt(0)
	ds_write_b64 v81, v[82:83]
.LBB103_185:
	s_or_b32 exec_lo, exec_lo, s4
	s_waitcnt lgkmcnt(0)
	s_waitcnt_vscnt null, 0x0
	s_barrier
	buffer_gl0_inv
	s_clause 0xf
	buffer_load_dword v91, off, s[0:3], 0 offset:264
	buffer_load_dword v92, off, s[0:3], 0 offset:268
	;; [unrolled: 1-line block ×16, first 2 shown]
	v_mov_b32_e32 v82, 0
	ds_read2_b64 v[83:86], v82 offset0:73 offset1:74
	ds_read2_b64 v[87:90], v82 offset0:75 offset1:76
	s_mov_b32 s4, exec_lo
	s_waitcnt vmcnt(14) lgkmcnt(1)
	v_fma_f64 v[83:84], v[91:92], v[83:84], 0
	s_waitcnt vmcnt(12)
	v_fma_f64 v[83:84], v[93:94], v[85:86], v[83:84]
	s_waitcnt vmcnt(10) lgkmcnt(0)
	v_fma_f64 v[83:84], v[95:96], v[87:88], v[83:84]
	s_waitcnt vmcnt(8)
	v_fma_f64 v[87:88], v[97:98], v[89:90], v[83:84]
	ds_read2_b64 v[83:86], v82 offset0:77 offset1:78
	ds_read_b64 v[89:90], v82 offset:632
	s_waitcnt vmcnt(6) lgkmcnt(1)
	v_fma_f64 v[83:84], v[99:100], v[83:84], v[87:88]
	s_waitcnt vmcnt(4)
	v_fma_f64 v[83:84], v[101:102], v[85:86], v[83:84]
	s_waitcnt vmcnt(2) lgkmcnt(0)
	v_fma_f64 v[83:84], v[103:104], v[89:90], v[83:84]
	s_waitcnt vmcnt(0)
	v_add_f64 v[83:84], v[105:106], -v[83:84]
	buffer_store_dword v83, off, s[0:3], 0 offset:256
	buffer_store_dword v84, off, s[0:3], 0 offset:260
	v_cmpx_lt_u32_e32 31, v0
	s_cbranch_execz .LBB103_187
; %bb.186:
	s_clause 0x1
	buffer_load_dword v83, off, s[0:3], 0 offset:248
	buffer_load_dword v84, off, s[0:3], 0 offset:252
	buffer_store_dword v82, off, s[0:3], 0 offset:248
	buffer_store_dword v82, off, s[0:3], 0 offset:252
	s_waitcnt vmcnt(0)
	ds_write_b64 v81, v[83:84]
.LBB103_187:
	s_or_b32 exec_lo, exec_lo, s4
	s_waitcnt lgkmcnt(0)
	s_waitcnt_vscnt null, 0x0
	s_barrier
	buffer_gl0_inv
	s_clause 0x11
	buffer_load_dword v91, off, s[0:3], 0 offset:256
	buffer_load_dword v92, off, s[0:3], 0 offset:260
	;; [unrolled: 1-line block ×18, first 2 shown]
	ds_read_b128 v[83:86], v82 offset:576
	ds_read_b128 v[87:90], v82 offset:592
	s_mov_b32 s4, exec_lo
	s_waitcnt vmcnt(16) lgkmcnt(1)
	v_fma_f64 v[83:84], v[91:92], v[83:84], 0
	s_waitcnt vmcnt(14)
	v_fma_f64 v[83:84], v[93:94], v[85:86], v[83:84]
	s_waitcnt vmcnt(12) lgkmcnt(0)
	v_fma_f64 v[83:84], v[95:96], v[87:88], v[83:84]
	s_waitcnt vmcnt(10)
	v_fma_f64 v[91:92], v[97:98], v[89:90], v[83:84]
	ds_read_b128 v[83:86], v82 offset:608
	ds_read_b128 v[87:90], v82 offset:624
	s_waitcnt vmcnt(8) lgkmcnt(1)
	v_fma_f64 v[82:83], v[99:100], v[83:84], v[91:92]
	s_waitcnt vmcnt(6)
	v_fma_f64 v[82:83], v[101:102], v[85:86], v[82:83]
	s_waitcnt vmcnt(4) lgkmcnt(0)
	v_fma_f64 v[82:83], v[103:104], v[87:88], v[82:83]
	s_waitcnt vmcnt(2)
	v_fma_f64 v[82:83], v[105:106], v[89:90], v[82:83]
	s_waitcnt vmcnt(0)
	v_add_f64 v[82:83], v[107:108], -v[82:83]
	buffer_store_dword v82, off, s[0:3], 0 offset:248
	buffer_store_dword v83, off, s[0:3], 0 offset:252
	v_cmpx_lt_u32_e32 30, v0
	s_cbranch_execz .LBB103_189
; %bb.188:
	s_clause 0x1
	buffer_load_dword v82, off, s[0:3], 0 offset:240
	buffer_load_dword v83, off, s[0:3], 0 offset:244
	v_mov_b32_e32 v84, 0
	buffer_store_dword v84, off, s[0:3], 0 offset:240
	buffer_store_dword v84, off, s[0:3], 0 offset:244
	s_waitcnt vmcnt(0)
	ds_write_b64 v81, v[82:83]
.LBB103_189:
	s_or_b32 exec_lo, exec_lo, s4
	s_waitcnt lgkmcnt(0)
	s_waitcnt_vscnt null, 0x0
	s_barrier
	buffer_gl0_inv
	s_clause 0x13
	buffer_load_dword v87, off, s[0:3], 0 offset:248
	buffer_load_dword v88, off, s[0:3], 0 offset:252
	;; [unrolled: 1-line block ×20, first 2 shown]
	v_mov_b32_e32 v82, 0
	s_mov_b32 s4, exec_lo
	ds_read2_b64 v[83:86], v82 offset0:71 offset1:72
	s_waitcnt vmcnt(18) lgkmcnt(0)
	v_fma_f64 v[83:84], v[87:88], v[83:84], 0
	s_waitcnt vmcnt(16)
	v_fma_f64 v[87:88], v[89:90], v[85:86], v[83:84]
	ds_read2_b64 v[83:86], v82 offset0:73 offset1:74
	s_waitcnt vmcnt(14) lgkmcnt(0)
	v_fma_f64 v[83:84], v[91:92], v[83:84], v[87:88]
	s_waitcnt vmcnt(12)
	v_fma_f64 v[87:88], v[93:94], v[85:86], v[83:84]
	;; [unrolled: 5-line block ×4, first 2 shown]
	ds_read_b64 v[85:86], v82 offset:632
	s_waitcnt vmcnt(2) lgkmcnt(0)
	v_fma_f64 v[83:84], v[103:104], v[85:86], v[83:84]
	s_waitcnt vmcnt(0)
	v_add_f64 v[83:84], v[105:106], -v[83:84]
	buffer_store_dword v83, off, s[0:3], 0 offset:240
	buffer_store_dword v84, off, s[0:3], 0 offset:244
	v_cmpx_lt_u32_e32 29, v0
	s_cbranch_execz .LBB103_191
; %bb.190:
	s_clause 0x1
	buffer_load_dword v83, off, s[0:3], 0 offset:232
	buffer_load_dword v84, off, s[0:3], 0 offset:236
	buffer_store_dword v82, off, s[0:3], 0 offset:232
	buffer_store_dword v82, off, s[0:3], 0 offset:236
	s_waitcnt vmcnt(0)
	ds_write_b64 v81, v[83:84]
.LBB103_191:
	s_or_b32 exec_lo, exec_lo, s4
	s_waitcnt lgkmcnt(0)
	s_waitcnt_vscnt null, 0x0
	s_barrier
	buffer_gl0_inv
	s_clause 0x15
	buffer_load_dword v87, off, s[0:3], 0 offset:240
	buffer_load_dword v88, off, s[0:3], 0 offset:244
	;; [unrolled: 1-line block ×22, first 2 shown]
	ds_read_b128 v[83:86], v82 offset:560
	s_mov_b32 s4, exec_lo
	s_waitcnt vmcnt(20) lgkmcnt(0)
	v_fma_f64 v[83:84], v[87:88], v[83:84], 0
	s_waitcnt vmcnt(18)
	v_fma_f64 v[87:88], v[89:90], v[85:86], v[83:84]
	ds_read_b128 v[83:86], v82 offset:576
	s_waitcnt vmcnt(16) lgkmcnt(0)
	v_fma_f64 v[83:84], v[91:92], v[83:84], v[87:88]
	s_waitcnt vmcnt(14)
	v_fma_f64 v[87:88], v[93:94], v[85:86], v[83:84]
	ds_read_b128 v[83:86], v82 offset:592
	;; [unrolled: 5-line block ×4, first 2 shown]
	s_waitcnt vmcnt(4) lgkmcnt(0)
	v_fma_f64 v[82:83], v[103:104], v[82:83], v[86:87]
	s_waitcnt vmcnt(2)
	v_fma_f64 v[82:83], v[105:106], v[84:85], v[82:83]
	s_waitcnt vmcnt(0)
	v_add_f64 v[82:83], v[107:108], -v[82:83]
	buffer_store_dword v82, off, s[0:3], 0 offset:232
	buffer_store_dword v83, off, s[0:3], 0 offset:236
	v_cmpx_lt_u32_e32 28, v0
	s_cbranch_execz .LBB103_193
; %bb.192:
	s_clause 0x1
	buffer_load_dword v82, off, s[0:3], 0 offset:224
	buffer_load_dword v83, off, s[0:3], 0 offset:228
	v_mov_b32_e32 v84, 0
	buffer_store_dword v84, off, s[0:3], 0 offset:224
	buffer_store_dword v84, off, s[0:3], 0 offset:228
	s_waitcnt vmcnt(0)
	ds_write_b64 v81, v[82:83]
.LBB103_193:
	s_or_b32 exec_lo, exec_lo, s4
	s_waitcnt lgkmcnt(0)
	s_waitcnt_vscnt null, 0x0
	s_barrier
	buffer_gl0_inv
	s_clause 0x17
	buffer_load_dword v87, off, s[0:3], 0 offset:232
	buffer_load_dword v88, off, s[0:3], 0 offset:236
	;; [unrolled: 1-line block ×24, first 2 shown]
	v_mov_b32_e32 v82, 0
	s_mov_b32 s4, exec_lo
	ds_read2_b64 v[83:86], v82 offset0:69 offset1:70
	s_waitcnt vmcnt(22) lgkmcnt(0)
	v_fma_f64 v[83:84], v[87:88], v[83:84], 0
	s_waitcnt vmcnt(20)
	v_fma_f64 v[87:88], v[89:90], v[85:86], v[83:84]
	ds_read2_b64 v[83:86], v82 offset0:71 offset1:72
	s_waitcnt vmcnt(18) lgkmcnt(0)
	v_fma_f64 v[83:84], v[91:92], v[83:84], v[87:88]
	s_waitcnt vmcnt(16)
	v_fma_f64 v[87:88], v[93:94], v[85:86], v[83:84]
	;; [unrolled: 5-line block ×5, first 2 shown]
	ds_read_b64 v[85:86], v82 offset:632
	s_waitcnt vmcnt(2) lgkmcnt(0)
	v_fma_f64 v[83:84], v[107:108], v[85:86], v[83:84]
	s_waitcnt vmcnt(0)
	v_add_f64 v[83:84], v[109:110], -v[83:84]
	buffer_store_dword v84, off, s[0:3], 0 offset:228
	buffer_store_dword v83, off, s[0:3], 0 offset:224
	v_cmpx_lt_u32_e32 27, v0
	s_cbranch_execz .LBB103_195
; %bb.194:
	s_clause 0x1
	buffer_load_dword v83, off, s[0:3], 0 offset:216
	buffer_load_dword v84, off, s[0:3], 0 offset:220
	buffer_store_dword v82, off, s[0:3], 0 offset:216
	buffer_store_dword v82, off, s[0:3], 0 offset:220
	s_waitcnt vmcnt(0)
	ds_write_b64 v81, v[83:84]
.LBB103_195:
	s_or_b32 exec_lo, exec_lo, s4
	s_waitcnt lgkmcnt(0)
	s_waitcnt_vscnt null, 0x0
	s_barrier
	buffer_gl0_inv
	s_clause 0x19
	buffer_load_dword v91, off, s[0:3], 0 offset:224
	buffer_load_dword v92, off, s[0:3], 0 offset:228
	;; [unrolled: 1-line block ×26, first 2 shown]
	ds_read_b128 v[83:86], v82 offset:544
	ds_read_b128 v[87:90], v82 offset:560
	s_mov_b32 s4, exec_lo
	s_waitcnt vmcnt(24) lgkmcnt(1)
	v_fma_f64 v[83:84], v[91:92], v[83:84], 0
	s_waitcnt vmcnt(22)
	v_fma_f64 v[83:84], v[93:94], v[85:86], v[83:84]
	s_waitcnt vmcnt(20) lgkmcnt(0)
	v_fma_f64 v[83:84], v[95:96], v[87:88], v[83:84]
	s_waitcnt vmcnt(18)
	v_fma_f64 v[91:92], v[97:98], v[89:90], v[83:84]
	ds_read_b128 v[83:86], v82 offset:576
	ds_read_b128 v[87:90], v82 offset:592
	s_waitcnt vmcnt(16) lgkmcnt(1)
	v_fma_f64 v[83:84], v[99:100], v[83:84], v[91:92]
	s_waitcnt vmcnt(14)
	v_fma_f64 v[83:84], v[101:102], v[85:86], v[83:84]
	s_waitcnt vmcnt(12) lgkmcnt(0)
	v_fma_f64 v[83:84], v[103:104], v[87:88], v[83:84]
	s_waitcnt vmcnt(7)
	v_fma_f64 v[91:92], v[105:106], v[89:90], v[83:84]
	ds_read_b128 v[83:86], v82 offset:608
	ds_read_b128 v[87:90], v82 offset:624
	s_waitcnt vmcnt(6) lgkmcnt(1)
	v_fma_f64 v[82:83], v[111:112], v[83:84], v[91:92]
	s_waitcnt vmcnt(5)
	v_fma_f64 v[82:83], v[109:110], v[85:86], v[82:83]
	s_waitcnt vmcnt(4) lgkmcnt(0)
	v_fma_f64 v[82:83], v[107:108], v[87:88], v[82:83]
	s_waitcnt vmcnt(2)
	v_fma_f64 v[82:83], v[113:114], v[89:90], v[82:83]
	s_waitcnt vmcnt(0)
	v_add_f64 v[82:83], v[115:116], -v[82:83]
	buffer_store_dword v83, off, s[0:3], 0 offset:220
	buffer_store_dword v82, off, s[0:3], 0 offset:216
	v_cmpx_lt_u32_e32 26, v0
	s_cbranch_execz .LBB103_197
; %bb.196:
	s_clause 0x1
	buffer_load_dword v82, off, s[0:3], 0 offset:208
	buffer_load_dword v83, off, s[0:3], 0 offset:212
	v_mov_b32_e32 v84, 0
	buffer_store_dword v84, off, s[0:3], 0 offset:208
	buffer_store_dword v84, off, s[0:3], 0 offset:212
	s_waitcnt vmcnt(0)
	ds_write_b64 v81, v[82:83]
.LBB103_197:
	s_or_b32 exec_lo, exec_lo, s4
	s_waitcnt lgkmcnt(0)
	s_waitcnt_vscnt null, 0x0
	s_barrier
	buffer_gl0_inv
	s_clause 0x1b
	buffer_load_dword v91, off, s[0:3], 0 offset:216
	buffer_load_dword v92, off, s[0:3], 0 offset:220
	;; [unrolled: 1-line block ×28, first 2 shown]
	v_mov_b32_e32 v82, 0
	ds_read2_b64 v[83:86], v82 offset0:67 offset1:68
	ds_read2_b64 v[87:90], v82 offset0:69 offset1:70
	s_mov_b32 s4, exec_lo
	s_waitcnt vmcnt(26) lgkmcnt(1)
	v_fma_f64 v[83:84], v[91:92], v[83:84], 0
	s_waitcnt vmcnt(24)
	v_fma_f64 v[83:84], v[93:94], v[85:86], v[83:84]
	s_waitcnt vmcnt(22) lgkmcnt(0)
	v_fma_f64 v[83:84], v[95:96], v[87:88], v[83:84]
	s_waitcnt vmcnt(20)
	v_fma_f64 v[91:92], v[97:98], v[89:90], v[83:84]
	ds_read2_b64 v[83:86], v82 offset0:71 offset1:72
	ds_read2_b64 v[87:90], v82 offset0:73 offset1:74
	s_waitcnt vmcnt(18) lgkmcnt(1)
	v_fma_f64 v[83:84], v[99:100], v[83:84], v[91:92]
	s_waitcnt vmcnt(16)
	v_fma_f64 v[83:84], v[101:102], v[85:86], v[83:84]
	s_waitcnt vmcnt(14) lgkmcnt(0)
	v_fma_f64 v[83:84], v[103:104], v[87:88], v[83:84]
	s_waitcnt vmcnt(9)
	v_fma_f64 v[91:92], v[105:106], v[89:90], v[83:84]
	ds_read2_b64 v[83:86], v82 offset0:75 offset1:76
	ds_read2_b64 v[87:90], v82 offset0:77 offset1:78
	s_waitcnt vmcnt(8) lgkmcnt(1)
	v_fma_f64 v[83:84], v[111:112], v[83:84], v[91:92]
	s_waitcnt vmcnt(7)
	v_fma_f64 v[83:84], v[109:110], v[85:86], v[83:84]
	ds_read_b64 v[85:86], v82 offset:632
	s_waitcnt vmcnt(6) lgkmcnt(1)
	v_fma_f64 v[83:84], v[107:108], v[87:88], v[83:84]
	s_waitcnt vmcnt(3)
	v_fma_f64 v[83:84], v[113:114], v[89:90], v[83:84]
	s_waitcnt vmcnt(2) lgkmcnt(0)
	v_fma_f64 v[83:84], v[115:116], v[85:86], v[83:84]
	s_waitcnt vmcnt(0)
	v_add_f64 v[83:84], v[117:118], -v[83:84]
	buffer_store_dword v84, off, s[0:3], 0 offset:212
	buffer_store_dword v83, off, s[0:3], 0 offset:208
	v_cmpx_lt_u32_e32 25, v0
	s_cbranch_execz .LBB103_199
; %bb.198:
	s_clause 0x1
	buffer_load_dword v83, off, s[0:3], 0 offset:200
	buffer_load_dword v84, off, s[0:3], 0 offset:204
	buffer_store_dword v82, off, s[0:3], 0 offset:200
	buffer_store_dword v82, off, s[0:3], 0 offset:204
	s_waitcnt vmcnt(0)
	ds_write_b64 v81, v[83:84]
.LBB103_199:
	s_or_b32 exec_lo, exec_lo, s4
	s_waitcnt lgkmcnt(0)
	s_waitcnt_vscnt null, 0x0
	s_barrier
	buffer_gl0_inv
	s_clause 0x1b
	buffer_load_dword v91, off, s[0:3], 0 offset:208
	buffer_load_dword v92, off, s[0:3], 0 offset:212
	;; [unrolled: 1-line block ×28, first 2 shown]
	ds_read_b128 v[83:86], v82 offset:528
	s_clause 0x1
	buffer_load_dword v119, off, s[0:3], 0 offset:200
	buffer_load_dword v120, off, s[0:3], 0 offset:204
	ds_read_b128 v[87:90], v82 offset:544
	s_mov_b32 s4, exec_lo
	s_waitcnt vmcnt(28) lgkmcnt(1)
	v_fma_f64 v[83:84], v[91:92], v[83:84], 0
	s_waitcnt vmcnt(26)
	v_fma_f64 v[83:84], v[93:94], v[85:86], v[83:84]
	s_waitcnt vmcnt(24) lgkmcnt(0)
	v_fma_f64 v[83:84], v[95:96], v[87:88], v[83:84]
	s_waitcnt vmcnt(22)
	v_fma_f64 v[91:92], v[97:98], v[89:90], v[83:84]
	ds_read_b128 v[83:86], v82 offset:560
	ds_read_b128 v[87:90], v82 offset:576
	s_waitcnt vmcnt(20) lgkmcnt(1)
	v_fma_f64 v[83:84], v[99:100], v[83:84], v[91:92]
	s_waitcnt vmcnt(18)
	v_fma_f64 v[83:84], v[101:102], v[85:86], v[83:84]
	s_waitcnt vmcnt(16) lgkmcnt(0)
	v_fma_f64 v[83:84], v[103:104], v[87:88], v[83:84]
	s_waitcnt vmcnt(11)
	v_fma_f64 v[91:92], v[105:106], v[89:90], v[83:84]
	ds_read_b128 v[83:86], v82 offset:592
	ds_read_b128 v[87:90], v82 offset:608
	s_waitcnt vmcnt(10) lgkmcnt(1)
	v_fma_f64 v[83:84], v[111:112], v[83:84], v[91:92]
	s_waitcnt vmcnt(9)
	v_fma_f64 v[83:84], v[109:110], v[85:86], v[83:84]
	s_waitcnt vmcnt(8) lgkmcnt(0)
	v_fma_f64 v[83:84], v[107:108], v[87:88], v[83:84]
	s_waitcnt vmcnt(4)
	v_fma_f64 v[86:87], v[113:114], v[89:90], v[83:84]
	ds_read_b128 v[82:85], v82 offset:624
	s_waitcnt vmcnt(3) lgkmcnt(0)
	v_fma_f64 v[82:83], v[117:118], v[82:83], v[86:87]
	s_waitcnt vmcnt(2)
	v_fma_f64 v[82:83], v[115:116], v[84:85], v[82:83]
	s_waitcnt vmcnt(0)
	v_add_f64 v[82:83], v[119:120], -v[82:83]
	buffer_store_dword v83, off, s[0:3], 0 offset:204
	buffer_store_dword v82, off, s[0:3], 0 offset:200
	v_cmpx_lt_u32_e32 24, v0
	s_cbranch_execz .LBB103_201
; %bb.200:
	s_clause 0x1
	buffer_load_dword v82, off, s[0:3], 0 offset:192
	buffer_load_dword v83, off, s[0:3], 0 offset:196
	v_mov_b32_e32 v84, 0
	buffer_store_dword v84, off, s[0:3], 0 offset:192
	buffer_store_dword v84, off, s[0:3], 0 offset:196
	s_waitcnt vmcnt(0)
	ds_write_b64 v81, v[82:83]
.LBB103_201:
	s_or_b32 exec_lo, exec_lo, s4
	s_waitcnt lgkmcnt(0)
	s_waitcnt_vscnt null, 0x0
	s_barrier
	buffer_gl0_inv
	s_clause 0x1c
	buffer_load_dword v91, off, s[0:3], 0 offset:200
	buffer_load_dword v92, off, s[0:3], 0 offset:204
	;; [unrolled: 1-line block ×29, first 2 shown]
	v_mov_b32_e32 v82, 0
	buffer_load_dword v116, off, s[0:3], 0 offset:316
	s_mov_b32 s4, exec_lo
	ds_read2_b64 v[83:86], v82 offset0:65 offset1:66
	ds_read2_b64 v[87:90], v82 offset0:67 offset1:68
	s_waitcnt vmcnt(28) lgkmcnt(1)
	v_fma_f64 v[83:84], v[91:92], v[83:84], 0
	s_clause 0x1
	buffer_load_dword v91, off, s[0:3], 0 offset:192
	buffer_load_dword v92, off, s[0:3], 0 offset:196
	s_waitcnt vmcnt(28)
	v_fma_f64 v[83:84], v[93:94], v[85:86], v[83:84]
	s_waitcnt vmcnt(26) lgkmcnt(0)
	v_fma_f64 v[83:84], v[95:96], v[87:88], v[83:84]
	s_waitcnt vmcnt(24)
	v_fma_f64 v[93:94], v[97:98], v[89:90], v[83:84]
	ds_read2_b64 v[83:86], v82 offset0:69 offset1:70
	ds_read2_b64 v[87:90], v82 offset0:71 offset1:72
	s_waitcnt vmcnt(22) lgkmcnt(1)
	v_fma_f64 v[83:84], v[99:100], v[83:84], v[93:94]
	s_waitcnt vmcnt(20)
	v_fma_f64 v[83:84], v[101:102], v[85:86], v[83:84]
	s_waitcnt vmcnt(18) lgkmcnt(0)
	v_fma_f64 v[83:84], v[103:104], v[87:88], v[83:84]
	s_waitcnt vmcnt(13)
	v_fma_f64 v[93:94], v[105:106], v[89:90], v[83:84]
	ds_read2_b64 v[83:86], v82 offset0:73 offset1:74
	ds_read2_b64 v[87:90], v82 offset0:75 offset1:76
	s_waitcnt vmcnt(12) lgkmcnt(1)
	v_fma_f64 v[83:84], v[111:112], v[83:84], v[93:94]
	s_waitcnt vmcnt(11)
	v_fma_f64 v[83:84], v[109:110], v[85:86], v[83:84]
	s_waitcnt vmcnt(10) lgkmcnt(0)
	v_fma_f64 v[83:84], v[107:108], v[87:88], v[83:84]
	s_waitcnt vmcnt(5)
	v_fma_f64 v[87:88], v[113:114], v[89:90], v[83:84]
	ds_read2_b64 v[83:86], v82 offset0:77 offset1:78
	ds_read_b64 v[89:90], v82 offset:632
	s_waitcnt vmcnt(4) lgkmcnt(1)
	v_fma_f64 v[83:84], v[119:120], v[83:84], v[87:88]
	s_waitcnt vmcnt(3)
	v_fma_f64 v[83:84], v[117:118], v[85:86], v[83:84]
	s_waitcnt vmcnt(2) lgkmcnt(0)
	v_fma_f64 v[83:84], v[115:116], v[89:90], v[83:84]
	s_waitcnt vmcnt(0)
	v_add_f64 v[83:84], v[91:92], -v[83:84]
	buffer_store_dword v84, off, s[0:3], 0 offset:196
	buffer_store_dword v83, off, s[0:3], 0 offset:192
	v_cmpx_lt_u32_e32 23, v0
	s_cbranch_execz .LBB103_203
; %bb.202:
	s_clause 0x1
	buffer_load_dword v83, off, s[0:3], 0 offset:184
	buffer_load_dword v84, off, s[0:3], 0 offset:188
	buffer_store_dword v82, off, s[0:3], 0 offset:184
	buffer_store_dword v82, off, s[0:3], 0 offset:188
	s_waitcnt vmcnt(0)
	ds_write_b64 v81, v[83:84]
.LBB103_203:
	s_or_b32 exec_lo, exec_lo, s4
	s_waitcnt lgkmcnt(0)
	s_waitcnt_vscnt null, 0x0
	s_barrier
	buffer_gl0_inv
	s_clause 0x1c
	buffer_load_dword v91, off, s[0:3], 0 offset:192
	buffer_load_dword v92, off, s[0:3], 0 offset:196
	;; [unrolled: 1-line block ×29, first 2 shown]
	ds_read_b128 v[83:86], v82 offset:512
	ds_read_b128 v[87:90], v82 offset:528
	buffer_load_dword v116, off, s[0:3], 0 offset:308
	s_mov_b32 s4, exec_lo
	s_waitcnt vmcnt(28) lgkmcnt(1)
	v_fma_f64 v[83:84], v[91:92], v[83:84], 0
	s_clause 0x1
	buffer_load_dword v92, off, s[0:3], 0 offset:316
	buffer_load_dword v91, off, s[0:3], 0 offset:312
	s_waitcnt vmcnt(28)
	v_fma_f64 v[83:84], v[93:94], v[85:86], v[83:84]
	s_clause 0x1
	buffer_load_dword v93, off, s[0:3], 0 offset:184
	buffer_load_dword v94, off, s[0:3], 0 offset:188
	s_waitcnt vmcnt(28) lgkmcnt(0)
	v_fma_f64 v[83:84], v[95:96], v[87:88], v[83:84]
	s_waitcnt vmcnt(26)
	v_fma_f64 v[95:96], v[97:98], v[89:90], v[83:84]
	ds_read_b128 v[83:86], v82 offset:544
	ds_read_b128 v[87:90], v82 offset:560
	s_waitcnt vmcnt(24) lgkmcnt(1)
	v_fma_f64 v[83:84], v[99:100], v[83:84], v[95:96]
	s_waitcnt vmcnt(22)
	v_fma_f64 v[83:84], v[101:102], v[85:86], v[83:84]
	s_waitcnt vmcnt(20) lgkmcnt(0)
	v_fma_f64 v[83:84], v[103:104], v[87:88], v[83:84]
	s_waitcnt vmcnt(15)
	v_fma_f64 v[95:96], v[105:106], v[89:90], v[83:84]
	ds_read_b128 v[83:86], v82 offset:576
	ds_read_b128 v[87:90], v82 offset:592
	s_waitcnt vmcnt(14) lgkmcnt(1)
	v_fma_f64 v[83:84], v[111:112], v[83:84], v[95:96]
	s_waitcnt vmcnt(13)
	v_fma_f64 v[83:84], v[109:110], v[85:86], v[83:84]
	;; [unrolled: 10-line block ×3, first 2 shown]
	s_waitcnt vmcnt(4) lgkmcnt(0)
	v_fma_f64 v[82:83], v[115:116], v[87:88], v[82:83]
	s_waitcnt vmcnt(2)
	v_fma_f64 v[82:83], v[91:92], v[89:90], v[82:83]
	s_waitcnt vmcnt(0)
	v_add_f64 v[82:83], v[93:94], -v[82:83]
	buffer_store_dword v83, off, s[0:3], 0 offset:188
	buffer_store_dword v82, off, s[0:3], 0 offset:184
	v_cmpx_lt_u32_e32 22, v0
	s_cbranch_execz .LBB103_205
; %bb.204:
	s_clause 0x1
	buffer_load_dword v82, off, s[0:3], 0 offset:176
	buffer_load_dword v83, off, s[0:3], 0 offset:180
	v_mov_b32_e32 v84, 0
	buffer_store_dword v84, off, s[0:3], 0 offset:176
	buffer_store_dword v84, off, s[0:3], 0 offset:180
	s_waitcnt vmcnt(0)
	ds_write_b64 v81, v[82:83]
.LBB103_205:
	s_or_b32 exec_lo, exec_lo, s4
	s_waitcnt lgkmcnt(0)
	s_waitcnt_vscnt null, 0x0
	s_barrier
	buffer_gl0_inv
	s_clause 0x1c
	buffer_load_dword v91, off, s[0:3], 0 offset:184
	buffer_load_dword v92, off, s[0:3], 0 offset:188
	;; [unrolled: 1-line block ×29, first 2 shown]
	v_mov_b32_e32 v82, 0
	buffer_load_dword v116, off, s[0:3], 0 offset:300
	s_mov_b32 s4, exec_lo
	ds_read2_b64 v[83:86], v82 offset0:63 offset1:64
	ds_read2_b64 v[87:90], v82 offset0:65 offset1:66
	s_waitcnt vmcnt(28) lgkmcnt(1)
	v_fma_f64 v[83:84], v[91:92], v[83:84], 0
	s_clause 0x3
	buffer_load_dword v92, off, s[0:3], 0 offset:308
	buffer_load_dword v121, off, s[0:3], 0 offset:312
	;; [unrolled: 1-line block ×4, first 2 shown]
	s_waitcnt vmcnt(30)
	v_fma_f64 v[83:84], v[93:94], v[85:86], v[83:84]
	s_clause 0x1
	buffer_load_dword v93, off, s[0:3], 0 offset:176
	buffer_load_dword v94, off, s[0:3], 0 offset:180
	s_waitcnt vmcnt(30) lgkmcnt(0)
	v_fma_f64 v[83:84], v[95:96], v[87:88], v[83:84]
	s_waitcnt vmcnt(28)
	v_fma_f64 v[95:96], v[97:98], v[89:90], v[83:84]
	ds_read2_b64 v[83:86], v82 offset0:67 offset1:68
	ds_read2_b64 v[87:90], v82 offset0:69 offset1:70
	s_waitcnt vmcnt(26) lgkmcnt(1)
	v_fma_f64 v[83:84], v[99:100], v[83:84], v[95:96]
	s_waitcnt vmcnt(24)
	v_fma_f64 v[83:84], v[101:102], v[85:86], v[83:84]
	s_waitcnt vmcnt(22) lgkmcnt(0)
	v_fma_f64 v[83:84], v[103:104], v[87:88], v[83:84]
	s_waitcnt vmcnt(17)
	v_fma_f64 v[95:96], v[105:106], v[89:90], v[83:84]
	ds_read2_b64 v[83:86], v82 offset0:71 offset1:72
	ds_read2_b64 v[87:90], v82 offset0:73 offset1:74
	s_waitcnt vmcnt(16) lgkmcnt(1)
	v_fma_f64 v[83:84], v[111:112], v[83:84], v[95:96]
	s_waitcnt vmcnt(15)
	v_fma_f64 v[83:84], v[109:110], v[85:86], v[83:84]
	;; [unrolled: 10-line block ×3, first 2 shown]
	ds_read_b64 v[85:86], v82 offset:632
	s_waitcnt vmcnt(6) lgkmcnt(1)
	v_fma_f64 v[83:84], v[115:116], v[87:88], v[83:84]
	s_waitcnt vmcnt(3)
	v_fma_f64 v[83:84], v[91:92], v[89:90], v[83:84]
	s_waitcnt vmcnt(2) lgkmcnt(0)
	v_fma_f64 v[83:84], v[121:122], v[85:86], v[83:84]
	s_waitcnt vmcnt(0)
	v_add_f64 v[83:84], v[93:94], -v[83:84]
	buffer_store_dword v84, off, s[0:3], 0 offset:180
	buffer_store_dword v83, off, s[0:3], 0 offset:176
	v_cmpx_lt_u32_e32 21, v0
	s_cbranch_execz .LBB103_207
; %bb.206:
	s_clause 0x1
	buffer_load_dword v83, off, s[0:3], 0 offset:168
	buffer_load_dword v84, off, s[0:3], 0 offset:172
	buffer_store_dword v82, off, s[0:3], 0 offset:168
	buffer_store_dword v82, off, s[0:3], 0 offset:172
	s_waitcnt vmcnt(0)
	ds_write_b64 v81, v[83:84]
.LBB103_207:
	s_or_b32 exec_lo, exec_lo, s4
	s_waitcnt lgkmcnt(0)
	s_waitcnt_vscnt null, 0x0
	s_barrier
	buffer_gl0_inv
	s_clause 0x1c
	buffer_load_dword v91, off, s[0:3], 0 offset:176
	buffer_load_dword v92, off, s[0:3], 0 offset:180
	;; [unrolled: 1-line block ×29, first 2 shown]
	ds_read_b128 v[83:86], v82 offset:496
	ds_read_b128 v[87:90], v82 offset:512
	buffer_load_dword v116, off, s[0:3], 0 offset:292
	s_mov_b32 s4, exec_lo
	s_waitcnt vmcnt(28) lgkmcnt(1)
	v_fma_f64 v[83:84], v[91:92], v[83:84], 0
	s_clause 0x5
	buffer_load_dword v92, off, s[0:3], 0 offset:300
	buffer_load_dword v121, off, s[0:3], 0 offset:312
	buffer_load_dword v123, off, s[0:3], 0 offset:304
	buffer_load_dword v91, off, s[0:3], 0 offset:296
	buffer_load_dword v124, off, s[0:3], 0 offset:308
	buffer_load_dword v122, off, s[0:3], 0 offset:316
	s_waitcnt vmcnt(32)
	v_fma_f64 v[83:84], v[93:94], v[85:86], v[83:84]
	s_waitcnt vmcnt(30) lgkmcnt(0)
	v_fma_f64 v[83:84], v[95:96], v[87:88], v[83:84]
	s_waitcnt vmcnt(28)
	v_fma_f64 v[93:94], v[97:98], v[89:90], v[83:84]
	ds_read_b128 v[83:86], v82 offset:528
	s_clause 0x1
	buffer_load_dword v95, off, s[0:3], 0 offset:168
	buffer_load_dword v96, off, s[0:3], 0 offset:172
	ds_read_b128 v[87:90], v82 offset:544
	s_waitcnt vmcnt(28) lgkmcnt(1)
	v_fma_f64 v[83:84], v[99:100], v[83:84], v[93:94]
	s_waitcnt vmcnt(26)
	v_fma_f64 v[83:84], v[101:102], v[85:86], v[83:84]
	s_waitcnt vmcnt(24) lgkmcnt(0)
	v_fma_f64 v[83:84], v[103:104], v[87:88], v[83:84]
	s_waitcnt vmcnt(19)
	v_fma_f64 v[93:94], v[105:106], v[89:90], v[83:84]
	ds_read_b128 v[83:86], v82 offset:560
	ds_read_b128 v[87:90], v82 offset:576
	s_waitcnt vmcnt(18) lgkmcnt(1)
	v_fma_f64 v[83:84], v[111:112], v[83:84], v[93:94]
	s_waitcnt vmcnt(17)
	v_fma_f64 v[83:84], v[109:110], v[85:86], v[83:84]
	s_waitcnt vmcnt(16) lgkmcnt(0)
	v_fma_f64 v[83:84], v[107:108], v[87:88], v[83:84]
	s_waitcnt vmcnt(11)
	v_fma_f64 v[93:94], v[113:114], v[89:90], v[83:84]
	ds_read_b128 v[83:86], v82 offset:592
	;; [unrolled: 10-line block ×3, first 2 shown]
	s_waitcnt vmcnt(3) lgkmcnt(0)
	v_fma_f64 v[82:83], v[123:124], v[82:83], v[86:87]
	s_waitcnt vmcnt(2)
	v_fma_f64 v[82:83], v[121:122], v[84:85], v[82:83]
	s_waitcnt vmcnt(0)
	v_add_f64 v[82:83], v[95:96], -v[82:83]
	buffer_store_dword v83, off, s[0:3], 0 offset:172
	buffer_store_dword v82, off, s[0:3], 0 offset:168
	v_cmpx_lt_u32_e32 20, v0
	s_cbranch_execz .LBB103_209
; %bb.208:
	s_clause 0x1
	buffer_load_dword v82, off, s[0:3], 0 offset:160
	buffer_load_dword v83, off, s[0:3], 0 offset:164
	v_mov_b32_e32 v84, 0
	buffer_store_dword v84, off, s[0:3], 0 offset:160
	buffer_store_dword v84, off, s[0:3], 0 offset:164
	s_waitcnt vmcnt(0)
	ds_write_b64 v81, v[82:83]
.LBB103_209:
	s_or_b32 exec_lo, exec_lo, s4
	s_waitcnt lgkmcnt(0)
	s_waitcnt_vscnt null, 0x0
	s_barrier
	buffer_gl0_inv
	s_clause 0x1c
	buffer_load_dword v91, off, s[0:3], 0 offset:168
	buffer_load_dword v92, off, s[0:3], 0 offset:172
	;; [unrolled: 1-line block ×29, first 2 shown]
	v_mov_b32_e32 v82, 0
	buffer_load_dword v116, off, s[0:3], 0 offset:284
	s_mov_b32 s4, exec_lo
	ds_read2_b64 v[83:86], v82 offset0:61 offset1:62
	ds_read2_b64 v[87:90], v82 offset0:63 offset1:64
	s_waitcnt vmcnt(28) lgkmcnt(1)
	v_fma_f64 v[83:84], v[91:92], v[83:84], 0
	s_clause 0x7
	buffer_load_dword v92, off, s[0:3], 0 offset:292
	buffer_load_dword v121, off, s[0:3], 0 offset:312
	;; [unrolled: 1-line block ×8, first 2 shown]
	s_waitcnt vmcnt(34)
	v_fma_f64 v[83:84], v[93:94], v[85:86], v[83:84]
	s_waitcnt vmcnt(32) lgkmcnt(0)
	v_fma_f64 v[83:84], v[95:96], v[87:88], v[83:84]
	s_waitcnt vmcnt(30)
	v_fma_f64 v[93:94], v[97:98], v[89:90], v[83:84]
	ds_read2_b64 v[83:86], v82 offset0:65 offset1:66
	ds_read2_b64 v[87:90], v82 offset0:67 offset1:68
	s_waitcnt vmcnt(28) lgkmcnt(1)
	v_fma_f64 v[83:84], v[99:100], v[83:84], v[93:94]
	s_clause 0x1
	buffer_load_dword v93, off, s[0:3], 0 offset:160
	buffer_load_dword v94, off, s[0:3], 0 offset:164
	s_waitcnt vmcnt(28)
	v_fma_f64 v[83:84], v[101:102], v[85:86], v[83:84]
	s_waitcnt vmcnt(26) lgkmcnt(0)
	v_fma_f64 v[83:84], v[103:104], v[87:88], v[83:84]
	s_waitcnt vmcnt(21)
	v_fma_f64 v[95:96], v[105:106], v[89:90], v[83:84]
	ds_read2_b64 v[83:86], v82 offset0:69 offset1:70
	ds_read2_b64 v[87:90], v82 offset0:71 offset1:72
	s_waitcnt vmcnt(20) lgkmcnt(1)
	v_fma_f64 v[83:84], v[111:112], v[83:84], v[95:96]
	s_waitcnt vmcnt(19)
	v_fma_f64 v[83:84], v[109:110], v[85:86], v[83:84]
	s_waitcnt vmcnt(18) lgkmcnt(0)
	v_fma_f64 v[83:84], v[107:108], v[87:88], v[83:84]
	s_waitcnt vmcnt(13)
	v_fma_f64 v[95:96], v[113:114], v[89:90], v[83:84]
	ds_read2_b64 v[83:86], v82 offset0:73 offset1:74
	ds_read2_b64 v[87:90], v82 offset0:75 offset1:76
	s_waitcnt vmcnt(12) lgkmcnt(1)
	v_fma_f64 v[83:84], v[119:120], v[83:84], v[95:96]
	s_waitcnt vmcnt(11)
	v_fma_f64 v[83:84], v[117:118], v[85:86], v[83:84]
	s_waitcnt vmcnt(10) lgkmcnt(0)
	v_fma_f64 v[83:84], v[115:116], v[87:88], v[83:84]
	s_waitcnt vmcnt(5)
	v_fma_f64 v[87:88], v[91:92], v[89:90], v[83:84]
	ds_read2_b64 v[83:86], v82 offset0:77 offset1:78
	ds_read_b64 v[89:90], v82 offset:632
	s_waitcnt vmcnt(4) lgkmcnt(1)
	v_fma_f64 v[83:84], v[125:126], v[83:84], v[87:88]
	s_waitcnt vmcnt(3)
	v_fma_f64 v[83:84], v[123:124], v[85:86], v[83:84]
	s_waitcnt vmcnt(2) lgkmcnt(0)
	v_fma_f64 v[83:84], v[121:122], v[89:90], v[83:84]
	s_waitcnt vmcnt(0)
	v_add_f64 v[83:84], v[93:94], -v[83:84]
	buffer_store_dword v84, off, s[0:3], 0 offset:164
	buffer_store_dword v83, off, s[0:3], 0 offset:160
	v_cmpx_lt_u32_e32 19, v0
	s_cbranch_execz .LBB103_211
; %bb.210:
	s_clause 0x1
	buffer_load_dword v83, off, s[0:3], 0 offset:152
	buffer_load_dword v84, off, s[0:3], 0 offset:156
	buffer_store_dword v82, off, s[0:3], 0 offset:152
	buffer_store_dword v82, off, s[0:3], 0 offset:156
	s_waitcnt vmcnt(0)
	ds_write_b64 v81, v[83:84]
.LBB103_211:
	s_or_b32 exec_lo, exec_lo, s4
	s_waitcnt lgkmcnt(0)
	s_waitcnt_vscnt null, 0x0
	s_barrier
	buffer_gl0_inv
	s_clause 0x1c
	buffer_load_dword v91, off, s[0:3], 0 offset:160
	buffer_load_dword v92, off, s[0:3], 0 offset:164
	;; [unrolled: 1-line block ×29, first 2 shown]
	ds_read_b128 v[83:86], v82 offset:480
	ds_read_b128 v[87:90], v82 offset:496
	buffer_load_dword v116, off, s[0:3], 0 offset:276
	s_mov_b32 s4, exec_lo
	s_waitcnt vmcnt(28) lgkmcnt(1)
	v_fma_f64 v[83:84], v[91:92], v[83:84], 0
	s_clause 0x7
	buffer_load_dword v92, off, s[0:3], 0 offset:284
	buffer_load_dword v121, off, s[0:3], 0 offset:304
	;; [unrolled: 1-line block ×8, first 2 shown]
	s_waitcnt vmcnt(34)
	v_fma_f64 v[83:84], v[93:94], v[85:86], v[83:84]
	s_waitcnt vmcnt(32) lgkmcnt(0)
	v_fma_f64 v[83:84], v[95:96], v[87:88], v[83:84]
	s_waitcnt vmcnt(30)
	v_fma_f64 v[93:94], v[97:98], v[89:90], v[83:84]
	ds_read_b128 v[83:86], v82 offset:512
	ds_read_b128 v[87:90], v82 offset:528
	s_waitcnt vmcnt(28) lgkmcnt(1)
	v_fma_f64 v[83:84], v[99:100], v[83:84], v[93:94]
	s_clause 0x3
	buffer_load_dword v94, off, s[0:3], 0 offset:316
	buffer_load_dword v93, off, s[0:3], 0 offset:312
	;; [unrolled: 1-line block ×4, first 2 shown]
	s_waitcnt vmcnt(30)
	v_fma_f64 v[83:84], v[101:102], v[85:86], v[83:84]
	s_waitcnt vmcnt(28) lgkmcnt(0)
	v_fma_f64 v[83:84], v[103:104], v[87:88], v[83:84]
	s_waitcnt vmcnt(23)
	v_fma_f64 v[97:98], v[105:106], v[89:90], v[83:84]
	ds_read_b128 v[83:86], v82 offset:544
	ds_read_b128 v[87:90], v82 offset:560
	s_waitcnt vmcnt(22) lgkmcnt(1)
	v_fma_f64 v[83:84], v[111:112], v[83:84], v[97:98]
	s_waitcnt vmcnt(21)
	v_fma_f64 v[83:84], v[109:110], v[85:86], v[83:84]
	s_waitcnt vmcnt(20) lgkmcnt(0)
	v_fma_f64 v[83:84], v[107:108], v[87:88], v[83:84]
	s_waitcnt vmcnt(15)
	v_fma_f64 v[97:98], v[113:114], v[89:90], v[83:84]
	ds_read_b128 v[83:86], v82 offset:576
	ds_read_b128 v[87:90], v82 offset:592
	s_waitcnt vmcnt(14) lgkmcnt(1)
	v_fma_f64 v[83:84], v[119:120], v[83:84], v[97:98]
	;; [unrolled: 10-line block ×3, first 2 shown]
	s_waitcnt vmcnt(5)
	v_fma_f64 v[82:83], v[123:124], v[85:86], v[82:83]
	s_waitcnt vmcnt(4) lgkmcnt(0)
	v_fma_f64 v[82:83], v[121:122], v[87:88], v[82:83]
	s_waitcnt vmcnt(2)
	v_fma_f64 v[82:83], v[93:94], v[89:90], v[82:83]
	s_waitcnt vmcnt(0)
	v_add_f64 v[82:83], v[95:96], -v[82:83]
	buffer_store_dword v83, off, s[0:3], 0 offset:156
	buffer_store_dword v82, off, s[0:3], 0 offset:152
	v_cmpx_lt_u32_e32 18, v0
	s_cbranch_execz .LBB103_213
; %bb.212:
	s_clause 0x1
	buffer_load_dword v82, off, s[0:3], 0 offset:144
	buffer_load_dword v83, off, s[0:3], 0 offset:148
	v_mov_b32_e32 v84, 0
	buffer_store_dword v84, off, s[0:3], 0 offset:144
	buffer_store_dword v84, off, s[0:3], 0 offset:148
	s_waitcnt vmcnt(0)
	ds_write_b64 v81, v[82:83]
.LBB103_213:
	s_or_b32 exec_lo, exec_lo, s4
	s_waitcnt lgkmcnt(0)
	s_waitcnt_vscnt null, 0x0
	s_barrier
	buffer_gl0_inv
	s_clause 0x1c
	buffer_load_dword v91, off, s[0:3], 0 offset:152
	buffer_load_dword v92, off, s[0:3], 0 offset:156
	;; [unrolled: 1-line block ×29, first 2 shown]
	v_mov_b32_e32 v82, 0
	buffer_load_dword v116, off, s[0:3], 0 offset:268
	s_mov_b32 s4, exec_lo
	ds_read2_b64 v[83:86], v82 offset0:59 offset1:60
	ds_read2_b64 v[87:90], v82 offset0:61 offset1:62
	s_waitcnt vmcnt(28) lgkmcnt(1)
	v_fma_f64 v[83:84], v[91:92], v[83:84], 0
	s_clause 0x7
	buffer_load_dword v92, off, s[0:3], 0 offset:276
	buffer_load_dword v121, off, s[0:3], 0 offset:296
	;; [unrolled: 1-line block ×8, first 2 shown]
	s_waitcnt vmcnt(34)
	v_fma_f64 v[83:84], v[93:94], v[85:86], v[83:84]
	s_waitcnt vmcnt(32) lgkmcnt(0)
	v_fma_f64 v[83:84], v[95:96], v[87:88], v[83:84]
	s_waitcnt vmcnt(30)
	v_fma_f64 v[93:94], v[97:98], v[89:90], v[83:84]
	ds_read2_b64 v[83:86], v82 offset0:63 offset1:64
	ds_read2_b64 v[87:90], v82 offset0:65 offset1:66
	s_waitcnt vmcnt(28) lgkmcnt(1)
	v_fma_f64 v[83:84], v[99:100], v[83:84], v[93:94]
	s_clause 0x5
	buffer_load_dword v94, off, s[0:3], 0 offset:308
	buffer_load_dword v95, off, s[0:3], 0 offset:312
	;; [unrolled: 1-line block ×6, first 2 shown]
	s_waitcnt vmcnt(32)
	v_fma_f64 v[83:84], v[101:102], v[85:86], v[83:84]
	s_waitcnt vmcnt(30) lgkmcnt(0)
	v_fma_f64 v[83:84], v[103:104], v[87:88], v[83:84]
	s_waitcnt vmcnt(25)
	v_fma_f64 v[99:100], v[105:106], v[89:90], v[83:84]
	ds_read2_b64 v[83:86], v82 offset0:67 offset1:68
	ds_read2_b64 v[87:90], v82 offset0:69 offset1:70
	s_waitcnt vmcnt(24) lgkmcnt(1)
	v_fma_f64 v[83:84], v[111:112], v[83:84], v[99:100]
	s_waitcnt vmcnt(23)
	v_fma_f64 v[83:84], v[109:110], v[85:86], v[83:84]
	s_waitcnt vmcnt(22) lgkmcnt(0)
	v_fma_f64 v[83:84], v[107:108], v[87:88], v[83:84]
	s_waitcnt vmcnt(17)
	v_fma_f64 v[99:100], v[113:114], v[89:90], v[83:84]
	ds_read2_b64 v[83:86], v82 offset0:71 offset1:72
	ds_read2_b64 v[87:90], v82 offset0:73 offset1:74
	s_waitcnt vmcnt(16) lgkmcnt(1)
	v_fma_f64 v[83:84], v[119:120], v[83:84], v[99:100]
	;; [unrolled: 10-line block ×3, first 2 shown]
	s_waitcnt vmcnt(7)
	v_fma_f64 v[83:84], v[123:124], v[85:86], v[83:84]
	ds_read_b64 v[85:86], v82 offset:632
	s_waitcnt vmcnt(6) lgkmcnt(1)
	v_fma_f64 v[83:84], v[121:122], v[87:88], v[83:84]
	s_waitcnt vmcnt(3)
	v_fma_f64 v[83:84], v[93:94], v[89:90], v[83:84]
	s_waitcnt vmcnt(2) lgkmcnt(0)
	v_fma_f64 v[83:84], v[95:96], v[85:86], v[83:84]
	s_waitcnt vmcnt(0)
	v_add_f64 v[83:84], v[97:98], -v[83:84]
	buffer_store_dword v84, off, s[0:3], 0 offset:148
	buffer_store_dword v83, off, s[0:3], 0 offset:144
	v_cmpx_lt_u32_e32 17, v0
	s_cbranch_execz .LBB103_215
; %bb.214:
	s_clause 0x1
	buffer_load_dword v83, off, s[0:3], 0 offset:136
	buffer_load_dword v84, off, s[0:3], 0 offset:140
	buffer_store_dword v82, off, s[0:3], 0 offset:136
	buffer_store_dword v82, off, s[0:3], 0 offset:140
	s_waitcnt vmcnt(0)
	ds_write_b64 v81, v[83:84]
.LBB103_215:
	s_or_b32 exec_lo, exec_lo, s4
	s_waitcnt lgkmcnt(0)
	s_waitcnt_vscnt null, 0x0
	s_barrier
	buffer_gl0_inv
	s_clause 0x1c
	buffer_load_dword v91, off, s[0:3], 0 offset:144
	buffer_load_dword v92, off, s[0:3], 0 offset:148
	buffer_load_dword v93, off, s[0:3], 0 offset:152
	buffer_load_dword v94, off, s[0:3], 0 offset:156
	buffer_load_dword v95, off, s[0:3], 0 offset:160
	buffer_load_dword v96, off, s[0:3], 0 offset:164
	buffer_load_dword v97, off, s[0:3], 0 offset:168
	buffer_load_dword v98, off, s[0:3], 0 offset:172
	buffer_load_dword v99, off, s[0:3], 0 offset:176
	buffer_load_dword v100, off, s[0:3], 0 offset:180
	buffer_load_dword v101, off, s[0:3], 0 offset:184
	buffer_load_dword v102, off, s[0:3], 0 offset:188
	buffer_load_dword v103, off, s[0:3], 0 offset:192
	buffer_load_dword v104, off, s[0:3], 0 offset:196
	buffer_load_dword v106, off, s[0:3], 0 offset:204
	buffer_load_dword v107, off, s[0:3], 0 offset:224
	buffer_load_dword v109, off, s[0:3], 0 offset:216
	buffer_load_dword v111, off, s[0:3], 0 offset:208
	buffer_load_dword v105, off, s[0:3], 0 offset:200
	buffer_load_dword v112, off, s[0:3], 0 offset:212
	buffer_load_dword v110, off, s[0:3], 0 offset:220
	buffer_load_dword v108, off, s[0:3], 0 offset:228
	buffer_load_dword v114, off, s[0:3], 0 offset:236
	buffer_load_dword v115, off, s[0:3], 0 offset:256
	buffer_load_dword v117, off, s[0:3], 0 offset:248
	buffer_load_dword v119, off, s[0:3], 0 offset:240
	buffer_load_dword v113, off, s[0:3], 0 offset:232
	buffer_load_dword v120, off, s[0:3], 0 offset:244
	buffer_load_dword v118, off, s[0:3], 0 offset:252
	ds_read_b128 v[83:86], v82 offset:464
	ds_read_b128 v[87:90], v82 offset:480
	buffer_load_dword v116, off, s[0:3], 0 offset:260
	s_mov_b32 s4, exec_lo
	s_waitcnt vmcnt(28) lgkmcnt(1)
	v_fma_f64 v[83:84], v[91:92], v[83:84], 0
	s_clause 0x7
	buffer_load_dword v92, off, s[0:3], 0 offset:268
	buffer_load_dword v121, off, s[0:3], 0 offset:288
	;; [unrolled: 1-line block ×8, first 2 shown]
	s_waitcnt vmcnt(34)
	v_fma_f64 v[83:84], v[93:94], v[85:86], v[83:84]
	s_waitcnt vmcnt(32) lgkmcnt(0)
	v_fma_f64 v[83:84], v[95:96], v[87:88], v[83:84]
	s_waitcnt vmcnt(30)
	v_fma_f64 v[93:94], v[97:98], v[89:90], v[83:84]
	ds_read_b128 v[83:86], v82 offset:496
	ds_read_b128 v[87:90], v82 offset:512
	s_waitcnt vmcnt(28) lgkmcnt(1)
	v_fma_f64 v[83:84], v[99:100], v[83:84], v[93:94]
	s_clause 0x5
	buffer_load_dword v94, off, s[0:3], 0 offset:300
	buffer_load_dword v95, off, s[0:3], 0 offset:312
	;; [unrolled: 1-line block ×6, first 2 shown]
	s_waitcnt vmcnt(32)
	v_fma_f64 v[83:84], v[101:102], v[85:86], v[83:84]
	s_waitcnt vmcnt(30) lgkmcnt(0)
	v_fma_f64 v[83:84], v[103:104], v[87:88], v[83:84]
	s_waitcnt vmcnt(25)
	v_fma_f64 v[99:100], v[105:106], v[89:90], v[83:84]
	ds_read_b128 v[83:86], v82 offset:528
	s_clause 0x1
	buffer_load_dword v101, off, s[0:3], 0 offset:136
	buffer_load_dword v102, off, s[0:3], 0 offset:140
	ds_read_b128 v[87:90], v82 offset:544
	s_waitcnt vmcnt(26) lgkmcnt(1)
	v_fma_f64 v[83:84], v[111:112], v[83:84], v[99:100]
	s_waitcnt vmcnt(25)
	v_fma_f64 v[83:84], v[109:110], v[85:86], v[83:84]
	s_waitcnt vmcnt(24) lgkmcnt(0)
	v_fma_f64 v[83:84], v[107:108], v[87:88], v[83:84]
	s_waitcnt vmcnt(19)
	v_fma_f64 v[99:100], v[113:114], v[89:90], v[83:84]
	ds_read_b128 v[83:86], v82 offset:560
	ds_read_b128 v[87:90], v82 offset:576
	s_waitcnt vmcnt(18) lgkmcnt(1)
	v_fma_f64 v[83:84], v[119:120], v[83:84], v[99:100]
	s_waitcnt vmcnt(17)
	v_fma_f64 v[83:84], v[117:118], v[85:86], v[83:84]
	s_waitcnt vmcnt(16) lgkmcnt(0)
	v_fma_f64 v[83:84], v[115:116], v[87:88], v[83:84]
	s_waitcnt vmcnt(11)
	v_fma_f64 v[91:92], v[91:92], v[89:90], v[83:84]
	ds_read_b128 v[83:86], v82 offset:592
	ds_read_b128 v[87:90], v82 offset:608
	s_waitcnt vmcnt(10) lgkmcnt(1)
	v_fma_f64 v[83:84], v[125:126], v[83:84], v[91:92]
	s_waitcnt vmcnt(9)
	v_fma_f64 v[83:84], v[123:124], v[85:86], v[83:84]
	s_waitcnt vmcnt(8) lgkmcnt(0)
	v_fma_f64 v[83:84], v[121:122], v[87:88], v[83:84]
	s_waitcnt vmcnt(4)
	v_fma_f64 v[86:87], v[93:94], v[89:90], v[83:84]
	ds_read_b128 v[82:85], v82 offset:624
	s_waitcnt vmcnt(3) lgkmcnt(0)
	v_fma_f64 v[82:83], v[97:98], v[82:83], v[86:87]
	s_waitcnt vmcnt(2)
	v_fma_f64 v[82:83], v[95:96], v[84:85], v[82:83]
	s_waitcnt vmcnt(0)
	v_add_f64 v[82:83], v[101:102], -v[82:83]
	buffer_store_dword v83, off, s[0:3], 0 offset:140
	buffer_store_dword v82, off, s[0:3], 0 offset:136
	v_cmpx_lt_u32_e32 16, v0
	s_cbranch_execz .LBB103_217
; %bb.216:
	s_clause 0x1
	buffer_load_dword v82, off, s[0:3], 0 offset:128
	buffer_load_dword v83, off, s[0:3], 0 offset:132
	v_mov_b32_e32 v84, 0
	buffer_store_dword v84, off, s[0:3], 0 offset:128
	buffer_store_dword v84, off, s[0:3], 0 offset:132
	s_waitcnt vmcnt(0)
	ds_write_b64 v81, v[82:83]
.LBB103_217:
	s_or_b32 exec_lo, exec_lo, s4
	s_waitcnt lgkmcnt(0)
	s_waitcnt_vscnt null, 0x0
	s_barrier
	buffer_gl0_inv
	s_clause 0x1c
	buffer_load_dword v91, off, s[0:3], 0 offset:136
	buffer_load_dword v92, off, s[0:3], 0 offset:140
	;; [unrolled: 1-line block ×29, first 2 shown]
	v_mov_b32_e32 v82, 0
	buffer_load_dword v116, off, s[0:3], 0 offset:252
	s_mov_b32 s4, exec_lo
	ds_read2_b64 v[83:86], v82 offset0:57 offset1:58
	ds_read2_b64 v[87:90], v82 offset0:59 offset1:60
	s_waitcnt vmcnt(28) lgkmcnt(1)
	v_fma_f64 v[83:84], v[91:92], v[83:84], 0
	s_clause 0x7
	buffer_load_dword v92, off, s[0:3], 0 offset:260
	buffer_load_dword v121, off, s[0:3], 0 offset:280
	;; [unrolled: 1-line block ×8, first 2 shown]
	s_waitcnt vmcnt(34)
	v_fma_f64 v[83:84], v[93:94], v[85:86], v[83:84]
	s_waitcnt vmcnt(32) lgkmcnt(0)
	v_fma_f64 v[83:84], v[95:96], v[87:88], v[83:84]
	s_waitcnt vmcnt(30)
	v_fma_f64 v[93:94], v[97:98], v[89:90], v[83:84]
	ds_read2_b64 v[83:86], v82 offset0:61 offset1:62
	ds_read2_b64 v[87:90], v82 offset0:63 offset1:64
	s_waitcnt vmcnt(28) lgkmcnt(1)
	v_fma_f64 v[83:84], v[99:100], v[83:84], v[93:94]
	s_clause 0x7
	buffer_load_dword v94, off, s[0:3], 0 offset:292
	buffer_load_dword v95, off, s[0:3], 0 offset:312
	;; [unrolled: 1-line block ×8, first 2 shown]
	s_waitcnt vmcnt(34)
	v_fma_f64 v[83:84], v[101:102], v[85:86], v[83:84]
	s_waitcnt vmcnt(32) lgkmcnt(0)
	v_fma_f64 v[83:84], v[103:104], v[87:88], v[83:84]
	s_waitcnt vmcnt(27)
	v_fma_f64 v[101:102], v[105:106], v[89:90], v[83:84]
	ds_read2_b64 v[83:86], v82 offset0:65 offset1:66
	ds_read2_b64 v[87:90], v82 offset0:67 offset1:68
	s_waitcnt vmcnt(26) lgkmcnt(1)
	v_fma_f64 v[83:84], v[111:112], v[83:84], v[101:102]
	s_clause 0x1
	buffer_load_dword v101, off, s[0:3], 0 offset:128
	buffer_load_dword v102, off, s[0:3], 0 offset:132
	s_waitcnt vmcnt(27)
	v_fma_f64 v[83:84], v[109:110], v[85:86], v[83:84]
	s_waitcnt vmcnt(26) lgkmcnt(0)
	v_fma_f64 v[83:84], v[107:108], v[87:88], v[83:84]
	s_waitcnt vmcnt(21)
	v_fma_f64 v[103:104], v[113:114], v[89:90], v[83:84]
	ds_read2_b64 v[83:86], v82 offset0:69 offset1:70
	ds_read2_b64 v[87:90], v82 offset0:71 offset1:72
	s_waitcnt vmcnt(20) lgkmcnt(1)
	v_fma_f64 v[83:84], v[119:120], v[83:84], v[103:104]
	s_waitcnt vmcnt(19)
	v_fma_f64 v[83:84], v[117:118], v[85:86], v[83:84]
	s_waitcnt vmcnt(18) lgkmcnt(0)
	v_fma_f64 v[83:84], v[115:116], v[87:88], v[83:84]
	s_waitcnt vmcnt(13)
	v_fma_f64 v[91:92], v[91:92], v[89:90], v[83:84]
	ds_read2_b64 v[83:86], v82 offset0:73 offset1:74
	ds_read2_b64 v[87:90], v82 offset0:75 offset1:76
	s_waitcnt vmcnt(12) lgkmcnt(1)
	v_fma_f64 v[83:84], v[125:126], v[83:84], v[91:92]
	s_waitcnt vmcnt(11)
	v_fma_f64 v[83:84], v[123:124], v[85:86], v[83:84]
	s_waitcnt vmcnt(10) lgkmcnt(0)
	v_fma_f64 v[83:84], v[121:122], v[87:88], v[83:84]
	s_waitcnt vmcnt(5)
	v_fma_f64 v[87:88], v[93:94], v[89:90], v[83:84]
	ds_read2_b64 v[83:86], v82 offset0:77 offset1:78
	ds_read_b64 v[89:90], v82 offset:632
	s_waitcnt vmcnt(4) lgkmcnt(1)
	v_fma_f64 v[83:84], v[99:100], v[83:84], v[87:88]
	s_waitcnt vmcnt(3)
	v_fma_f64 v[83:84], v[97:98], v[85:86], v[83:84]
	s_waitcnt vmcnt(2) lgkmcnt(0)
	v_fma_f64 v[83:84], v[95:96], v[89:90], v[83:84]
	s_waitcnt vmcnt(0)
	v_add_f64 v[83:84], v[101:102], -v[83:84]
	buffer_store_dword v84, off, s[0:3], 0 offset:132
	buffer_store_dword v83, off, s[0:3], 0 offset:128
	v_cmpx_lt_u32_e32 15, v0
	s_cbranch_execz .LBB103_219
; %bb.218:
	s_clause 0x1
	buffer_load_dword v83, off, s[0:3], 0 offset:120
	buffer_load_dword v84, off, s[0:3], 0 offset:124
	buffer_store_dword v82, off, s[0:3], 0 offset:120
	buffer_store_dword v82, off, s[0:3], 0 offset:124
	s_waitcnt vmcnt(0)
	ds_write_b64 v81, v[83:84]
.LBB103_219:
	s_or_b32 exec_lo, exec_lo, s4
	s_waitcnt lgkmcnt(0)
	s_waitcnt_vscnt null, 0x0
	s_barrier
	buffer_gl0_inv
	s_clause 0x1c
	buffer_load_dword v91, off, s[0:3], 0 offset:128
	buffer_load_dword v92, off, s[0:3], 0 offset:132
	;; [unrolled: 1-line block ×29, first 2 shown]
	ds_read_b128 v[83:86], v82 offset:448
	ds_read_b128 v[87:90], v82 offset:464
	buffer_load_dword v116, off, s[0:3], 0 offset:244
	s_mov_b32 s4, exec_lo
	s_waitcnt vmcnt(28) lgkmcnt(1)
	v_fma_f64 v[83:84], v[91:92], v[83:84], 0
	s_clause 0x7
	buffer_load_dword v92, off, s[0:3], 0 offset:252
	buffer_load_dword v121, off, s[0:3], 0 offset:272
	;; [unrolled: 1-line block ×8, first 2 shown]
	s_waitcnt vmcnt(34)
	v_fma_f64 v[83:84], v[93:94], v[85:86], v[83:84]
	s_waitcnt vmcnt(32) lgkmcnt(0)
	v_fma_f64 v[83:84], v[95:96], v[87:88], v[83:84]
	s_waitcnt vmcnt(30)
	v_fma_f64 v[93:94], v[97:98], v[89:90], v[83:84]
	ds_read_b128 v[83:86], v82 offset:480
	ds_read_b128 v[87:90], v82 offset:496
	s_waitcnt vmcnt(28) lgkmcnt(1)
	v_fma_f64 v[83:84], v[99:100], v[83:84], v[93:94]
	s_clause 0x7
	buffer_load_dword v94, off, s[0:3], 0 offset:284
	buffer_load_dword v95, off, s[0:3], 0 offset:304
	;; [unrolled: 1-line block ×8, first 2 shown]
	s_waitcnt vmcnt(34)
	v_fma_f64 v[83:84], v[101:102], v[85:86], v[83:84]
	s_waitcnt vmcnt(32) lgkmcnt(0)
	v_fma_f64 v[83:84], v[103:104], v[87:88], v[83:84]
	s_waitcnt vmcnt(27)
	v_fma_f64 v[101:102], v[105:106], v[89:90], v[83:84]
	ds_read_b128 v[83:86], v82 offset:512
	ds_read_b128 v[87:90], v82 offset:528
	s_waitcnt vmcnt(26) lgkmcnt(1)
	v_fma_f64 v[83:84], v[111:112], v[83:84], v[101:102]
	s_clause 0x3
	buffer_load_dword v102, off, s[0:3], 0 offset:316
	buffer_load_dword v101, off, s[0:3], 0 offset:312
	;; [unrolled: 1-line block ×4, first 2 shown]
	s_waitcnt vmcnt(29)
	v_fma_f64 v[83:84], v[109:110], v[85:86], v[83:84]
	s_waitcnt vmcnt(28) lgkmcnt(0)
	v_fma_f64 v[83:84], v[107:108], v[87:88], v[83:84]
	s_waitcnt vmcnt(23)
	v_fma_f64 v[105:106], v[113:114], v[89:90], v[83:84]
	ds_read_b128 v[83:86], v82 offset:544
	ds_read_b128 v[87:90], v82 offset:560
	s_waitcnt vmcnt(22) lgkmcnt(1)
	v_fma_f64 v[83:84], v[119:120], v[83:84], v[105:106]
	s_waitcnt vmcnt(21)
	v_fma_f64 v[83:84], v[117:118], v[85:86], v[83:84]
	s_waitcnt vmcnt(20) lgkmcnt(0)
	v_fma_f64 v[83:84], v[115:116], v[87:88], v[83:84]
	s_waitcnt vmcnt(15)
	v_fma_f64 v[91:92], v[91:92], v[89:90], v[83:84]
	ds_read_b128 v[83:86], v82 offset:576
	ds_read_b128 v[87:90], v82 offset:592
	s_waitcnt vmcnt(14) lgkmcnt(1)
	v_fma_f64 v[83:84], v[125:126], v[83:84], v[91:92]
	;; [unrolled: 10-line block ×3, first 2 shown]
	s_waitcnt vmcnt(5)
	v_fma_f64 v[82:83], v[97:98], v[85:86], v[82:83]
	s_waitcnt vmcnt(4) lgkmcnt(0)
	v_fma_f64 v[82:83], v[95:96], v[87:88], v[82:83]
	s_waitcnt vmcnt(2)
	v_fma_f64 v[82:83], v[101:102], v[89:90], v[82:83]
	s_waitcnt vmcnt(0)
	v_add_f64 v[82:83], v[103:104], -v[82:83]
	buffer_store_dword v83, off, s[0:3], 0 offset:124
	buffer_store_dword v82, off, s[0:3], 0 offset:120
	v_cmpx_lt_u32_e32 14, v0
	s_cbranch_execz .LBB103_221
; %bb.220:
	s_clause 0x1
	buffer_load_dword v82, off, s[0:3], 0 offset:112
	buffer_load_dword v83, off, s[0:3], 0 offset:116
	v_mov_b32_e32 v84, 0
	buffer_store_dword v84, off, s[0:3], 0 offset:112
	buffer_store_dword v84, off, s[0:3], 0 offset:116
	s_waitcnt vmcnt(0)
	ds_write_b64 v81, v[82:83]
.LBB103_221:
	s_or_b32 exec_lo, exec_lo, s4
	s_waitcnt lgkmcnt(0)
	s_waitcnt_vscnt null, 0x0
	s_barrier
	buffer_gl0_inv
	s_clause 0x1c
	buffer_load_dword v91, off, s[0:3], 0 offset:120
	buffer_load_dword v92, off, s[0:3], 0 offset:124
	;; [unrolled: 1-line block ×29, first 2 shown]
	v_mov_b32_e32 v82, 0
	buffer_load_dword v116, off, s[0:3], 0 offset:236
	s_mov_b32 s4, exec_lo
	ds_read2_b64 v[83:86], v82 offset0:55 offset1:56
	ds_read2_b64 v[87:90], v82 offset0:57 offset1:58
	s_waitcnt vmcnt(28) lgkmcnt(1)
	v_fma_f64 v[83:84], v[91:92], v[83:84], 0
	s_clause 0x7
	buffer_load_dword v92, off, s[0:3], 0 offset:244
	buffer_load_dword v121, off, s[0:3], 0 offset:264
	;; [unrolled: 1-line block ×8, first 2 shown]
	s_waitcnt vmcnt(34)
	v_fma_f64 v[83:84], v[93:94], v[85:86], v[83:84]
	s_waitcnt vmcnt(32) lgkmcnt(0)
	v_fma_f64 v[83:84], v[95:96], v[87:88], v[83:84]
	s_waitcnt vmcnt(30)
	v_fma_f64 v[93:94], v[97:98], v[89:90], v[83:84]
	ds_read2_b64 v[83:86], v82 offset0:59 offset1:60
	ds_read2_b64 v[87:90], v82 offset0:61 offset1:62
	s_waitcnt vmcnt(28) lgkmcnt(1)
	v_fma_f64 v[83:84], v[99:100], v[83:84], v[93:94]
	s_clause 0x7
	buffer_load_dword v94, off, s[0:3], 0 offset:276
	buffer_load_dword v95, off, s[0:3], 0 offset:296
	;; [unrolled: 1-line block ×8, first 2 shown]
	s_waitcnt vmcnt(34)
	v_fma_f64 v[83:84], v[101:102], v[85:86], v[83:84]
	s_waitcnt vmcnt(32) lgkmcnt(0)
	v_fma_f64 v[83:84], v[103:104], v[87:88], v[83:84]
	s_waitcnt vmcnt(27)
	v_fma_f64 v[101:102], v[105:106], v[89:90], v[83:84]
	ds_read2_b64 v[83:86], v82 offset0:63 offset1:64
	ds_read2_b64 v[87:90], v82 offset0:65 offset1:66
	s_waitcnt vmcnt(26) lgkmcnt(1)
	v_fma_f64 v[83:84], v[111:112], v[83:84], v[101:102]
	s_clause 0x5
	buffer_load_dword v102, off, s[0:3], 0 offset:308
	buffer_load_dword v103, off, s[0:3], 0 offset:312
	;; [unrolled: 1-line block ×6, first 2 shown]
	s_waitcnt vmcnt(31)
	v_fma_f64 v[83:84], v[109:110], v[85:86], v[83:84]
	s_waitcnt vmcnt(30) lgkmcnt(0)
	v_fma_f64 v[83:84], v[107:108], v[87:88], v[83:84]
	s_waitcnt vmcnt(25)
	v_fma_f64 v[107:108], v[113:114], v[89:90], v[83:84]
	ds_read2_b64 v[83:86], v82 offset0:67 offset1:68
	ds_read2_b64 v[87:90], v82 offset0:69 offset1:70
	s_waitcnt vmcnt(24) lgkmcnt(1)
	v_fma_f64 v[83:84], v[119:120], v[83:84], v[107:108]
	s_waitcnt vmcnt(23)
	v_fma_f64 v[83:84], v[117:118], v[85:86], v[83:84]
	s_waitcnt vmcnt(22) lgkmcnt(0)
	v_fma_f64 v[83:84], v[115:116], v[87:88], v[83:84]
	s_waitcnt vmcnt(17)
	v_fma_f64 v[91:92], v[91:92], v[89:90], v[83:84]
	ds_read2_b64 v[83:86], v82 offset0:71 offset1:72
	ds_read2_b64 v[87:90], v82 offset0:73 offset1:74
	s_waitcnt vmcnt(16) lgkmcnt(1)
	v_fma_f64 v[83:84], v[125:126], v[83:84], v[91:92]
	;; [unrolled: 10-line block ×3, first 2 shown]
	s_waitcnt vmcnt(7)
	v_fma_f64 v[83:84], v[97:98], v[85:86], v[83:84]
	ds_read_b64 v[85:86], v82 offset:632
	s_waitcnt vmcnt(6) lgkmcnt(1)
	v_fma_f64 v[83:84], v[95:96], v[87:88], v[83:84]
	s_waitcnt vmcnt(3)
	v_fma_f64 v[83:84], v[101:102], v[89:90], v[83:84]
	s_waitcnt vmcnt(2) lgkmcnt(0)
	v_fma_f64 v[83:84], v[103:104], v[85:86], v[83:84]
	s_waitcnt vmcnt(0)
	v_add_f64 v[83:84], v[105:106], -v[83:84]
	buffer_store_dword v84, off, s[0:3], 0 offset:116
	buffer_store_dword v83, off, s[0:3], 0 offset:112
	v_cmpx_lt_u32_e32 13, v0
	s_cbranch_execz .LBB103_223
; %bb.222:
	s_clause 0x1
	buffer_load_dword v83, off, s[0:3], 0 offset:104
	buffer_load_dword v84, off, s[0:3], 0 offset:108
	buffer_store_dword v82, off, s[0:3], 0 offset:104
	buffer_store_dword v82, off, s[0:3], 0 offset:108
	s_waitcnt vmcnt(0)
	ds_write_b64 v81, v[83:84]
.LBB103_223:
	s_or_b32 exec_lo, exec_lo, s4
	s_waitcnt lgkmcnt(0)
	s_waitcnt_vscnt null, 0x0
	s_barrier
	buffer_gl0_inv
	s_clause 0x1c
	buffer_load_dword v91, off, s[0:3], 0 offset:112
	buffer_load_dword v92, off, s[0:3], 0 offset:116
	;; [unrolled: 1-line block ×29, first 2 shown]
	ds_read_b128 v[83:86], v82 offset:432
	ds_read_b128 v[87:90], v82 offset:448
	buffer_load_dword v116, off, s[0:3], 0 offset:228
	s_mov_b32 s4, exec_lo
	s_waitcnt vmcnt(28) lgkmcnt(1)
	v_fma_f64 v[83:84], v[91:92], v[83:84], 0
	s_clause 0x7
	buffer_load_dword v92, off, s[0:3], 0 offset:236
	buffer_load_dword v121, off, s[0:3], 0 offset:256
	;; [unrolled: 1-line block ×8, first 2 shown]
	s_waitcnt vmcnt(34)
	v_fma_f64 v[83:84], v[93:94], v[85:86], v[83:84]
	s_waitcnt vmcnt(32) lgkmcnt(0)
	v_fma_f64 v[83:84], v[95:96], v[87:88], v[83:84]
	s_waitcnt vmcnt(30)
	v_fma_f64 v[93:94], v[97:98], v[89:90], v[83:84]
	ds_read_b128 v[83:86], v82 offset:464
	ds_read_b128 v[87:90], v82 offset:480
	s_waitcnt vmcnt(28) lgkmcnt(1)
	v_fma_f64 v[83:84], v[99:100], v[83:84], v[93:94]
	s_clause 0x7
	buffer_load_dword v94, off, s[0:3], 0 offset:268
	buffer_load_dword v95, off, s[0:3], 0 offset:288
	;; [unrolled: 1-line block ×8, first 2 shown]
	s_waitcnt vmcnt(34)
	v_fma_f64 v[83:84], v[101:102], v[85:86], v[83:84]
	s_waitcnt vmcnt(32) lgkmcnt(0)
	v_fma_f64 v[83:84], v[103:104], v[87:88], v[83:84]
	s_waitcnt vmcnt(27)
	v_fma_f64 v[101:102], v[105:106], v[89:90], v[83:84]
	ds_read_b128 v[83:86], v82 offset:496
	ds_read_b128 v[87:90], v82 offset:512
	s_waitcnt vmcnt(26) lgkmcnt(1)
	v_fma_f64 v[83:84], v[111:112], v[83:84], v[101:102]
	s_clause 0x5
	buffer_load_dword v102, off, s[0:3], 0 offset:300
	buffer_load_dword v103, off, s[0:3], 0 offset:312
	;; [unrolled: 1-line block ×6, first 2 shown]
	s_waitcnt vmcnt(31)
	v_fma_f64 v[83:84], v[109:110], v[85:86], v[83:84]
	s_waitcnt vmcnt(30) lgkmcnt(0)
	v_fma_f64 v[83:84], v[107:108], v[87:88], v[83:84]
	s_waitcnt vmcnt(25)
	v_fma_f64 v[107:108], v[113:114], v[89:90], v[83:84]
	ds_read_b128 v[83:86], v82 offset:528
	s_clause 0x1
	buffer_load_dword v109, off, s[0:3], 0 offset:104
	buffer_load_dword v110, off, s[0:3], 0 offset:108
	ds_read_b128 v[87:90], v82 offset:544
	s_waitcnt vmcnt(26) lgkmcnt(1)
	v_fma_f64 v[83:84], v[119:120], v[83:84], v[107:108]
	s_waitcnt vmcnt(25)
	v_fma_f64 v[83:84], v[117:118], v[85:86], v[83:84]
	s_waitcnt vmcnt(24) lgkmcnt(0)
	v_fma_f64 v[83:84], v[115:116], v[87:88], v[83:84]
	s_waitcnt vmcnt(19)
	v_fma_f64 v[91:92], v[91:92], v[89:90], v[83:84]
	ds_read_b128 v[83:86], v82 offset:560
	ds_read_b128 v[87:90], v82 offset:576
	s_waitcnt vmcnt(18) lgkmcnt(1)
	v_fma_f64 v[83:84], v[125:126], v[83:84], v[91:92]
	s_waitcnt vmcnt(17)
	v_fma_f64 v[83:84], v[123:124], v[85:86], v[83:84]
	s_waitcnt vmcnt(16) lgkmcnt(0)
	v_fma_f64 v[83:84], v[121:122], v[87:88], v[83:84]
	s_waitcnt vmcnt(11)
	v_fma_f64 v[91:92], v[93:94], v[89:90], v[83:84]
	ds_read_b128 v[83:86], v82 offset:592
	;; [unrolled: 10-line block ×3, first 2 shown]
	s_waitcnt vmcnt(3) lgkmcnt(0)
	v_fma_f64 v[82:83], v[105:106], v[82:83], v[86:87]
	s_waitcnt vmcnt(2)
	v_fma_f64 v[82:83], v[103:104], v[84:85], v[82:83]
	s_waitcnt vmcnt(0)
	v_add_f64 v[82:83], v[109:110], -v[82:83]
	buffer_store_dword v83, off, s[0:3], 0 offset:108
	buffer_store_dword v82, off, s[0:3], 0 offset:104
	v_cmpx_lt_u32_e32 12, v0
	s_cbranch_execz .LBB103_225
; %bb.224:
	s_clause 0x1
	buffer_load_dword v82, off, s[0:3], 0 offset:96
	buffer_load_dword v83, off, s[0:3], 0 offset:100
	v_mov_b32_e32 v84, 0
	buffer_store_dword v84, off, s[0:3], 0 offset:96
	buffer_store_dword v84, off, s[0:3], 0 offset:100
	s_waitcnt vmcnt(0)
	ds_write_b64 v81, v[82:83]
.LBB103_225:
	s_or_b32 exec_lo, exec_lo, s4
	s_waitcnt lgkmcnt(0)
	s_waitcnt_vscnt null, 0x0
	s_barrier
	buffer_gl0_inv
	s_clause 0x1c
	buffer_load_dword v91, off, s[0:3], 0 offset:104
	buffer_load_dword v92, off, s[0:3], 0 offset:108
	;; [unrolled: 1-line block ×29, first 2 shown]
	v_mov_b32_e32 v82, 0
	buffer_load_dword v116, off, s[0:3], 0 offset:220
	s_mov_b32 s4, exec_lo
	ds_read2_b64 v[83:86], v82 offset0:53 offset1:54
	ds_read2_b64 v[87:90], v82 offset0:55 offset1:56
	s_waitcnt vmcnt(28) lgkmcnt(1)
	v_fma_f64 v[83:84], v[91:92], v[83:84], 0
	s_clause 0x7
	buffer_load_dword v92, off, s[0:3], 0 offset:228
	buffer_load_dword v121, off, s[0:3], 0 offset:248
	buffer_load_dword v123, off, s[0:3], 0 offset:240
	buffer_load_dword v125, off, s[0:3], 0 offset:232
	buffer_load_dword v91, off, s[0:3], 0 offset:224
	buffer_load_dword v126, off, s[0:3], 0 offset:236
	buffer_load_dword v124, off, s[0:3], 0 offset:244
	buffer_load_dword v122, off, s[0:3], 0 offset:252
	s_waitcnt vmcnt(34)
	v_fma_f64 v[83:84], v[93:94], v[85:86], v[83:84]
	s_waitcnt vmcnt(32) lgkmcnt(0)
	v_fma_f64 v[83:84], v[95:96], v[87:88], v[83:84]
	s_waitcnt vmcnt(30)
	v_fma_f64 v[93:94], v[97:98], v[89:90], v[83:84]
	ds_read2_b64 v[83:86], v82 offset0:57 offset1:58
	ds_read2_b64 v[87:90], v82 offset0:59 offset1:60
	s_waitcnt vmcnt(28) lgkmcnt(1)
	v_fma_f64 v[83:84], v[99:100], v[83:84], v[93:94]
	s_clause 0x7
	buffer_load_dword v94, off, s[0:3], 0 offset:260
	buffer_load_dword v95, off, s[0:3], 0 offset:280
	buffer_load_dword v97, off, s[0:3], 0 offset:272
	buffer_load_dword v99, off, s[0:3], 0 offset:264
	buffer_load_dword v93, off, s[0:3], 0 offset:256
	buffer_load_dword v100, off, s[0:3], 0 offset:268
	buffer_load_dword v98, off, s[0:3], 0 offset:276
	buffer_load_dword v96, off, s[0:3], 0 offset:284
	s_waitcnt vmcnt(34)
	v_fma_f64 v[83:84], v[101:102], v[85:86], v[83:84]
	s_waitcnt vmcnt(32) lgkmcnt(0)
	v_fma_f64 v[83:84], v[103:104], v[87:88], v[83:84]
	s_waitcnt vmcnt(27)
	v_fma_f64 v[101:102], v[105:106], v[89:90], v[83:84]
	;; [unrolled: 19-line block ×3, first 2 shown]
	ds_read2_b64 v[83:86], v82 offset0:65 offset1:66
	ds_read2_b64 v[87:90], v82 offset0:67 offset1:68
	s_waitcnt vmcnt(26) lgkmcnt(1)
	v_fma_f64 v[83:84], v[119:120], v[83:84], v[107:108]
	s_clause 0x1
	buffer_load_dword v107, off, s[0:3], 0 offset:96
	buffer_load_dword v108, off, s[0:3], 0 offset:100
	s_waitcnt vmcnt(27)
	v_fma_f64 v[83:84], v[117:118], v[85:86], v[83:84]
	s_waitcnt vmcnt(26) lgkmcnt(0)
	v_fma_f64 v[83:84], v[115:116], v[87:88], v[83:84]
	s_waitcnt vmcnt(21)
	v_fma_f64 v[91:92], v[91:92], v[89:90], v[83:84]
	ds_read2_b64 v[83:86], v82 offset0:69 offset1:70
	ds_read2_b64 v[87:90], v82 offset0:71 offset1:72
	s_waitcnt vmcnt(20) lgkmcnt(1)
	v_fma_f64 v[83:84], v[125:126], v[83:84], v[91:92]
	s_waitcnt vmcnt(19)
	v_fma_f64 v[83:84], v[123:124], v[85:86], v[83:84]
	s_waitcnt vmcnt(18) lgkmcnt(0)
	v_fma_f64 v[83:84], v[121:122], v[87:88], v[83:84]
	s_waitcnt vmcnt(13)
	v_fma_f64 v[91:92], v[93:94], v[89:90], v[83:84]
	ds_read2_b64 v[83:86], v82 offset0:73 offset1:74
	ds_read2_b64 v[87:90], v82 offset0:75 offset1:76
	s_waitcnt vmcnt(12) lgkmcnt(1)
	v_fma_f64 v[83:84], v[99:100], v[83:84], v[91:92]
	s_waitcnt vmcnt(11)
	v_fma_f64 v[83:84], v[97:98], v[85:86], v[83:84]
	s_waitcnt vmcnt(10) lgkmcnt(0)
	v_fma_f64 v[83:84], v[95:96], v[87:88], v[83:84]
	s_waitcnt vmcnt(5)
	v_fma_f64 v[87:88], v[101:102], v[89:90], v[83:84]
	ds_read2_b64 v[83:86], v82 offset0:77 offset1:78
	ds_read_b64 v[89:90], v82 offset:632
	s_waitcnt vmcnt(4) lgkmcnt(1)
	v_fma_f64 v[83:84], v[111:112], v[83:84], v[87:88]
	s_waitcnt vmcnt(3)
	v_fma_f64 v[83:84], v[105:106], v[85:86], v[83:84]
	s_waitcnt vmcnt(2) lgkmcnt(0)
	v_fma_f64 v[83:84], v[103:104], v[89:90], v[83:84]
	s_waitcnt vmcnt(0)
	v_add_f64 v[83:84], v[107:108], -v[83:84]
	buffer_store_dword v84, off, s[0:3], 0 offset:100
	buffer_store_dword v83, off, s[0:3], 0 offset:96
	v_cmpx_lt_u32_e32 11, v0
	s_cbranch_execz .LBB103_227
; %bb.226:
	s_clause 0x1
	buffer_load_dword v83, off, s[0:3], 0 offset:88
	buffer_load_dword v84, off, s[0:3], 0 offset:92
	buffer_store_dword v82, off, s[0:3], 0 offset:88
	buffer_store_dword v82, off, s[0:3], 0 offset:92
	s_waitcnt vmcnt(0)
	ds_write_b64 v81, v[83:84]
.LBB103_227:
	s_or_b32 exec_lo, exec_lo, s4
	s_waitcnt lgkmcnt(0)
	s_waitcnt_vscnt null, 0x0
	s_barrier
	buffer_gl0_inv
	s_clause 0x1c
	buffer_load_dword v91, off, s[0:3], 0 offset:96
	buffer_load_dword v92, off, s[0:3], 0 offset:100
	;; [unrolled: 1-line block ×29, first 2 shown]
	ds_read_b128 v[83:86], v82 offset:416
	ds_read_b128 v[87:90], v82 offset:432
	buffer_load_dword v116, off, s[0:3], 0 offset:212
	s_mov_b32 s4, exec_lo
	s_waitcnt vmcnt(28) lgkmcnt(1)
	v_fma_f64 v[83:84], v[91:92], v[83:84], 0
	s_clause 0x7
	buffer_load_dword v92, off, s[0:3], 0 offset:220
	buffer_load_dword v121, off, s[0:3], 0 offset:240
	buffer_load_dword v123, off, s[0:3], 0 offset:232
	buffer_load_dword v125, off, s[0:3], 0 offset:224
	buffer_load_dword v91, off, s[0:3], 0 offset:216
	buffer_load_dword v126, off, s[0:3], 0 offset:228
	buffer_load_dword v124, off, s[0:3], 0 offset:236
	buffer_load_dword v122, off, s[0:3], 0 offset:244
	s_waitcnt vmcnt(34)
	v_fma_f64 v[83:84], v[93:94], v[85:86], v[83:84]
	s_waitcnt vmcnt(32) lgkmcnt(0)
	v_fma_f64 v[83:84], v[95:96], v[87:88], v[83:84]
	s_waitcnt vmcnt(30)
	v_fma_f64 v[93:94], v[97:98], v[89:90], v[83:84]
	ds_read_b128 v[83:86], v82 offset:448
	ds_read_b128 v[87:90], v82 offset:464
	s_waitcnt vmcnt(28) lgkmcnt(1)
	v_fma_f64 v[83:84], v[99:100], v[83:84], v[93:94]
	s_clause 0x7
	buffer_load_dword v94, off, s[0:3], 0 offset:252
	buffer_load_dword v95, off, s[0:3], 0 offset:272
	buffer_load_dword v97, off, s[0:3], 0 offset:264
	buffer_load_dword v99, off, s[0:3], 0 offset:256
	buffer_load_dword v93, off, s[0:3], 0 offset:248
	buffer_load_dword v100, off, s[0:3], 0 offset:260
	buffer_load_dword v98, off, s[0:3], 0 offset:268
	buffer_load_dword v96, off, s[0:3], 0 offset:276
	s_waitcnt vmcnt(34)
	v_fma_f64 v[83:84], v[101:102], v[85:86], v[83:84]
	s_waitcnt vmcnt(32) lgkmcnt(0)
	v_fma_f64 v[83:84], v[103:104], v[87:88], v[83:84]
	s_waitcnt vmcnt(27)
	v_fma_f64 v[101:102], v[105:106], v[89:90], v[83:84]
	ds_read_b128 v[83:86], v82 offset:480
	ds_read_b128 v[87:90], v82 offset:496
	;; [unrolled: 19-line block ×3, first 2 shown]
	s_waitcnt vmcnt(26) lgkmcnt(1)
	v_fma_f64 v[83:84], v[119:120], v[83:84], v[107:108]
	s_clause 0x3
	buffer_load_dword v108, off, s[0:3], 0 offset:316
	buffer_load_dword v107, off, s[0:3], 0 offset:312
	;; [unrolled: 1-line block ×4, first 2 shown]
	s_waitcnt vmcnt(29)
	v_fma_f64 v[83:84], v[117:118], v[85:86], v[83:84]
	s_waitcnt vmcnt(28) lgkmcnt(0)
	v_fma_f64 v[83:84], v[115:116], v[87:88], v[83:84]
	s_waitcnt vmcnt(23)
	v_fma_f64 v[91:92], v[91:92], v[89:90], v[83:84]
	ds_read_b128 v[83:86], v82 offset:544
	ds_read_b128 v[87:90], v82 offset:560
	s_waitcnt vmcnt(22) lgkmcnt(1)
	v_fma_f64 v[83:84], v[125:126], v[83:84], v[91:92]
	s_waitcnt vmcnt(21)
	v_fma_f64 v[83:84], v[123:124], v[85:86], v[83:84]
	s_waitcnt vmcnt(20) lgkmcnt(0)
	v_fma_f64 v[83:84], v[121:122], v[87:88], v[83:84]
	s_waitcnt vmcnt(15)
	v_fma_f64 v[91:92], v[93:94], v[89:90], v[83:84]
	ds_read_b128 v[83:86], v82 offset:576
	ds_read_b128 v[87:90], v82 offset:592
	s_waitcnt vmcnt(14) lgkmcnt(1)
	v_fma_f64 v[83:84], v[99:100], v[83:84], v[91:92]
	s_waitcnt vmcnt(13)
	v_fma_f64 v[83:84], v[97:98], v[85:86], v[83:84]
	s_waitcnt vmcnt(12) lgkmcnt(0)
	v_fma_f64 v[83:84], v[95:96], v[87:88], v[83:84]
	s_waitcnt vmcnt(7)
	v_fma_f64 v[91:92], v[101:102], v[89:90], v[83:84]
	ds_read_b128 v[83:86], v82 offset:608
	ds_read_b128 v[87:90], v82 offset:624
	s_waitcnt vmcnt(6) lgkmcnt(1)
	v_fma_f64 v[82:83], v[111:112], v[83:84], v[91:92]
	s_waitcnt vmcnt(5)
	v_fma_f64 v[82:83], v[105:106], v[85:86], v[82:83]
	s_waitcnt vmcnt(4) lgkmcnt(0)
	v_fma_f64 v[82:83], v[103:104], v[87:88], v[82:83]
	s_waitcnt vmcnt(2)
	v_fma_f64 v[82:83], v[107:108], v[89:90], v[82:83]
	s_waitcnt vmcnt(0)
	v_add_f64 v[82:83], v[109:110], -v[82:83]
	buffer_store_dword v83, off, s[0:3], 0 offset:92
	buffer_store_dword v82, off, s[0:3], 0 offset:88
	v_cmpx_lt_u32_e32 10, v0
	s_cbranch_execz .LBB103_229
; %bb.228:
	s_clause 0x1
	buffer_load_dword v82, off, s[0:3], 0 offset:80
	buffer_load_dword v83, off, s[0:3], 0 offset:84
	v_mov_b32_e32 v84, 0
	buffer_store_dword v84, off, s[0:3], 0 offset:80
	buffer_store_dword v84, off, s[0:3], 0 offset:84
	s_waitcnt vmcnt(0)
	ds_write_b64 v81, v[82:83]
.LBB103_229:
	s_or_b32 exec_lo, exec_lo, s4
	s_waitcnt lgkmcnt(0)
	s_waitcnt_vscnt null, 0x0
	s_barrier
	buffer_gl0_inv
	s_clause 0x1c
	buffer_load_dword v91, off, s[0:3], 0 offset:88
	buffer_load_dword v92, off, s[0:3], 0 offset:92
	;; [unrolled: 1-line block ×29, first 2 shown]
	v_mov_b32_e32 v82, 0
	buffer_load_dword v116, off, s[0:3], 0 offset:204
	s_mov_b32 s4, exec_lo
	ds_read2_b64 v[83:86], v82 offset0:51 offset1:52
	ds_read2_b64 v[87:90], v82 offset0:53 offset1:54
	s_waitcnt vmcnt(28) lgkmcnt(1)
	v_fma_f64 v[83:84], v[91:92], v[83:84], 0
	s_clause 0x7
	buffer_load_dword v92, off, s[0:3], 0 offset:212
	buffer_load_dword v121, off, s[0:3], 0 offset:232
	buffer_load_dword v123, off, s[0:3], 0 offset:224
	buffer_load_dword v125, off, s[0:3], 0 offset:216
	buffer_load_dword v91, off, s[0:3], 0 offset:208
	buffer_load_dword v126, off, s[0:3], 0 offset:220
	buffer_load_dword v124, off, s[0:3], 0 offset:228
	buffer_load_dword v122, off, s[0:3], 0 offset:236
	s_waitcnt vmcnt(34)
	v_fma_f64 v[83:84], v[93:94], v[85:86], v[83:84]
	s_waitcnt vmcnt(32) lgkmcnt(0)
	v_fma_f64 v[83:84], v[95:96], v[87:88], v[83:84]
	s_waitcnt vmcnt(30)
	v_fma_f64 v[93:94], v[97:98], v[89:90], v[83:84]
	ds_read2_b64 v[83:86], v82 offset0:55 offset1:56
	ds_read2_b64 v[87:90], v82 offset0:57 offset1:58
	s_waitcnt vmcnt(28) lgkmcnt(1)
	v_fma_f64 v[83:84], v[99:100], v[83:84], v[93:94]
	s_clause 0x7
	buffer_load_dword v94, off, s[0:3], 0 offset:244
	buffer_load_dword v95, off, s[0:3], 0 offset:264
	buffer_load_dword v97, off, s[0:3], 0 offset:256
	buffer_load_dword v99, off, s[0:3], 0 offset:248
	buffer_load_dword v93, off, s[0:3], 0 offset:240
	buffer_load_dword v100, off, s[0:3], 0 offset:252
	buffer_load_dword v98, off, s[0:3], 0 offset:260
	buffer_load_dword v96, off, s[0:3], 0 offset:268
	s_waitcnt vmcnt(34)
	v_fma_f64 v[83:84], v[101:102], v[85:86], v[83:84]
	s_waitcnt vmcnt(32) lgkmcnt(0)
	v_fma_f64 v[83:84], v[103:104], v[87:88], v[83:84]
	s_waitcnt vmcnt(27)
	v_fma_f64 v[101:102], v[105:106], v[89:90], v[83:84]
	;; [unrolled: 19-line block ×3, first 2 shown]
	ds_read2_b64 v[83:86], v82 offset0:63 offset1:64
	ds_read2_b64 v[87:90], v82 offset0:65 offset1:66
	s_waitcnt vmcnt(26) lgkmcnt(1)
	v_fma_f64 v[83:84], v[119:120], v[83:84], v[107:108]
	s_clause 0x5
	buffer_load_dword v108, off, s[0:3], 0 offset:308
	buffer_load_dword v109, off, s[0:3], 0 offset:312
	;; [unrolled: 1-line block ×6, first 2 shown]
	s_waitcnt vmcnt(31)
	v_fma_f64 v[83:84], v[117:118], v[85:86], v[83:84]
	s_waitcnt vmcnt(30) lgkmcnt(0)
	v_fma_f64 v[83:84], v[115:116], v[87:88], v[83:84]
	s_waitcnt vmcnt(25)
	v_fma_f64 v[91:92], v[91:92], v[89:90], v[83:84]
	ds_read2_b64 v[83:86], v82 offset0:67 offset1:68
	ds_read2_b64 v[87:90], v82 offset0:69 offset1:70
	s_waitcnt vmcnt(24) lgkmcnt(1)
	v_fma_f64 v[83:84], v[125:126], v[83:84], v[91:92]
	s_waitcnt vmcnt(23)
	v_fma_f64 v[83:84], v[123:124], v[85:86], v[83:84]
	s_waitcnt vmcnt(22) lgkmcnt(0)
	v_fma_f64 v[83:84], v[121:122], v[87:88], v[83:84]
	s_waitcnt vmcnt(17)
	v_fma_f64 v[91:92], v[93:94], v[89:90], v[83:84]
	ds_read2_b64 v[83:86], v82 offset0:71 offset1:72
	ds_read2_b64 v[87:90], v82 offset0:73 offset1:74
	s_waitcnt vmcnt(16) lgkmcnt(1)
	v_fma_f64 v[83:84], v[99:100], v[83:84], v[91:92]
	;; [unrolled: 10-line block ×3, first 2 shown]
	s_waitcnt vmcnt(7)
	v_fma_f64 v[83:84], v[105:106], v[85:86], v[83:84]
	ds_read_b64 v[85:86], v82 offset:632
	s_waitcnt vmcnt(6) lgkmcnt(1)
	v_fma_f64 v[83:84], v[103:104], v[87:88], v[83:84]
	s_waitcnt vmcnt(3)
	v_fma_f64 v[83:84], v[107:108], v[89:90], v[83:84]
	s_waitcnt vmcnt(2) lgkmcnt(0)
	v_fma_f64 v[83:84], v[109:110], v[85:86], v[83:84]
	s_waitcnt vmcnt(0)
	v_add_f64 v[83:84], v[113:114], -v[83:84]
	buffer_store_dword v84, off, s[0:3], 0 offset:84
	buffer_store_dword v83, off, s[0:3], 0 offset:80
	v_cmpx_lt_u32_e32 9, v0
	s_cbranch_execz .LBB103_231
; %bb.230:
	s_clause 0x1
	buffer_load_dword v83, off, s[0:3], 0 offset:72
	buffer_load_dword v84, off, s[0:3], 0 offset:76
	buffer_store_dword v82, off, s[0:3], 0 offset:72
	buffer_store_dword v82, off, s[0:3], 0 offset:76
	s_waitcnt vmcnt(0)
	ds_write_b64 v81, v[83:84]
.LBB103_231:
	s_or_b32 exec_lo, exec_lo, s4
	s_waitcnt lgkmcnt(0)
	s_waitcnt_vscnt null, 0x0
	s_barrier
	buffer_gl0_inv
	s_clause 0x1c
	buffer_load_dword v91, off, s[0:3], 0 offset:80
	buffer_load_dword v92, off, s[0:3], 0 offset:84
	;; [unrolled: 1-line block ×29, first 2 shown]
	ds_read_b128 v[83:86], v82 offset:400
	ds_read_b128 v[87:90], v82 offset:416
	buffer_load_dword v116, off, s[0:3], 0 offset:196
	s_mov_b32 s4, exec_lo
	s_waitcnt vmcnt(28) lgkmcnt(1)
	v_fma_f64 v[83:84], v[91:92], v[83:84], 0
	s_clause 0x7
	buffer_load_dword v92, off, s[0:3], 0 offset:204
	buffer_load_dword v121, off, s[0:3], 0 offset:224
	buffer_load_dword v123, off, s[0:3], 0 offset:216
	buffer_load_dword v125, off, s[0:3], 0 offset:208
	buffer_load_dword v91, off, s[0:3], 0 offset:200
	buffer_load_dword v126, off, s[0:3], 0 offset:212
	buffer_load_dword v124, off, s[0:3], 0 offset:220
	buffer_load_dword v122, off, s[0:3], 0 offset:228
	s_waitcnt vmcnt(34)
	v_fma_f64 v[83:84], v[93:94], v[85:86], v[83:84]
	s_waitcnt vmcnt(32) lgkmcnt(0)
	v_fma_f64 v[83:84], v[95:96], v[87:88], v[83:84]
	s_waitcnt vmcnt(30)
	v_fma_f64 v[93:94], v[97:98], v[89:90], v[83:84]
	ds_read_b128 v[83:86], v82 offset:432
	ds_read_b128 v[87:90], v82 offset:448
	s_waitcnt vmcnt(28) lgkmcnt(1)
	v_fma_f64 v[83:84], v[99:100], v[83:84], v[93:94]
	s_clause 0x7
	buffer_load_dword v94, off, s[0:3], 0 offset:236
	buffer_load_dword v95, off, s[0:3], 0 offset:256
	buffer_load_dword v97, off, s[0:3], 0 offset:248
	buffer_load_dword v99, off, s[0:3], 0 offset:240
	buffer_load_dword v93, off, s[0:3], 0 offset:232
	buffer_load_dword v100, off, s[0:3], 0 offset:244
	buffer_load_dword v98, off, s[0:3], 0 offset:252
	buffer_load_dword v96, off, s[0:3], 0 offset:260
	s_waitcnt vmcnt(34)
	v_fma_f64 v[83:84], v[101:102], v[85:86], v[83:84]
	s_waitcnt vmcnt(32) lgkmcnt(0)
	v_fma_f64 v[83:84], v[103:104], v[87:88], v[83:84]
	s_waitcnt vmcnt(27)
	v_fma_f64 v[101:102], v[105:106], v[89:90], v[83:84]
	ds_read_b128 v[83:86], v82 offset:464
	ds_read_b128 v[87:90], v82 offset:480
	s_waitcnt vmcnt(26) lgkmcnt(1)
	v_fma_f64 v[83:84], v[111:112], v[83:84], v[101:102]
	s_clause 0x7
	buffer_load_dword v102, off, s[0:3], 0 offset:268
	buffer_load_dword v103, off, s[0:3], 0 offset:288
	buffer_load_dword v105, off, s[0:3], 0 offset:280
	buffer_load_dword v111, off, s[0:3], 0 offset:272
	buffer_load_dword v101, off, s[0:3], 0 offset:264
	buffer_load_dword v112, off, s[0:3], 0 offset:276
	buffer_load_dword v106, off, s[0:3], 0 offset:284
	buffer_load_dword v104, off, s[0:3], 0 offset:292
	s_waitcnt vmcnt(33)
	v_fma_f64 v[83:84], v[109:110], v[85:86], v[83:84]
	s_waitcnt vmcnt(32) lgkmcnt(0)
	v_fma_f64 v[83:84], v[107:108], v[87:88], v[83:84]
	s_waitcnt vmcnt(27)
	v_fma_f64 v[107:108], v[113:114], v[89:90], v[83:84]
	ds_read_b128 v[83:86], v82 offset:496
	ds_read_b128 v[87:90], v82 offset:512
	s_waitcnt vmcnt(26) lgkmcnt(1)
	v_fma_f64 v[83:84], v[119:120], v[83:84], v[107:108]
	s_clause 0x5
	buffer_load_dword v108, off, s[0:3], 0 offset:300
	buffer_load_dword v109, off, s[0:3], 0 offset:312
	;; [unrolled: 1-line block ×6, first 2 shown]
	s_waitcnt vmcnt(31)
	v_fma_f64 v[83:84], v[117:118], v[85:86], v[83:84]
	s_waitcnt vmcnt(30) lgkmcnt(0)
	v_fma_f64 v[83:84], v[115:116], v[87:88], v[83:84]
	s_waitcnt vmcnt(25)
	v_fma_f64 v[91:92], v[91:92], v[89:90], v[83:84]
	ds_read_b128 v[83:86], v82 offset:528
	s_clause 0x1
	buffer_load_dword v115, off, s[0:3], 0 offset:72
	buffer_load_dword v116, off, s[0:3], 0 offset:76
	ds_read_b128 v[87:90], v82 offset:544
	s_waitcnt vmcnt(26) lgkmcnt(1)
	v_fma_f64 v[83:84], v[125:126], v[83:84], v[91:92]
	s_waitcnt vmcnt(25)
	v_fma_f64 v[83:84], v[123:124], v[85:86], v[83:84]
	s_waitcnt vmcnt(24) lgkmcnt(0)
	v_fma_f64 v[83:84], v[121:122], v[87:88], v[83:84]
	s_waitcnt vmcnt(19)
	v_fma_f64 v[91:92], v[93:94], v[89:90], v[83:84]
	ds_read_b128 v[83:86], v82 offset:560
	ds_read_b128 v[87:90], v82 offset:576
	s_waitcnt vmcnt(18) lgkmcnt(1)
	v_fma_f64 v[83:84], v[99:100], v[83:84], v[91:92]
	s_waitcnt vmcnt(17)
	v_fma_f64 v[83:84], v[97:98], v[85:86], v[83:84]
	s_waitcnt vmcnt(16) lgkmcnt(0)
	v_fma_f64 v[83:84], v[95:96], v[87:88], v[83:84]
	s_waitcnt vmcnt(11)
	v_fma_f64 v[91:92], v[101:102], v[89:90], v[83:84]
	ds_read_b128 v[83:86], v82 offset:592
	ds_read_b128 v[87:90], v82 offset:608
	s_waitcnt vmcnt(10) lgkmcnt(1)
	v_fma_f64 v[83:84], v[111:112], v[83:84], v[91:92]
	s_waitcnt vmcnt(9)
	v_fma_f64 v[83:84], v[105:106], v[85:86], v[83:84]
	s_waitcnt vmcnt(8) lgkmcnt(0)
	v_fma_f64 v[83:84], v[103:104], v[87:88], v[83:84]
	s_waitcnt vmcnt(4)
	v_fma_f64 v[86:87], v[107:108], v[89:90], v[83:84]
	ds_read_b128 v[82:85], v82 offset:624
	s_waitcnt vmcnt(3) lgkmcnt(0)
	v_fma_f64 v[82:83], v[113:114], v[82:83], v[86:87]
	s_waitcnt vmcnt(2)
	v_fma_f64 v[82:83], v[109:110], v[84:85], v[82:83]
	s_waitcnt vmcnt(0)
	v_add_f64 v[82:83], v[115:116], -v[82:83]
	buffer_store_dword v83, off, s[0:3], 0 offset:76
	buffer_store_dword v82, off, s[0:3], 0 offset:72
	v_cmpx_lt_u32_e32 8, v0
	s_cbranch_execz .LBB103_233
; %bb.232:
	s_clause 0x1
	buffer_load_dword v82, off, s[0:3], 0 offset:64
	buffer_load_dword v83, off, s[0:3], 0 offset:68
	v_mov_b32_e32 v84, 0
	buffer_store_dword v84, off, s[0:3], 0 offset:64
	buffer_store_dword v84, off, s[0:3], 0 offset:68
	s_waitcnt vmcnt(0)
	ds_write_b64 v81, v[82:83]
.LBB103_233:
	s_or_b32 exec_lo, exec_lo, s4
	s_waitcnt lgkmcnt(0)
	s_waitcnt_vscnt null, 0x0
	s_barrier
	buffer_gl0_inv
	s_clause 0x1c
	buffer_load_dword v91, off, s[0:3], 0 offset:72
	buffer_load_dword v92, off, s[0:3], 0 offset:76
	;; [unrolled: 1-line block ×29, first 2 shown]
	v_mov_b32_e32 v82, 0
	buffer_load_dword v116, off, s[0:3], 0 offset:188
	s_mov_b32 s4, exec_lo
	ds_read2_b64 v[83:86], v82 offset0:49 offset1:50
	ds_read2_b64 v[87:90], v82 offset0:51 offset1:52
	s_waitcnt vmcnt(28) lgkmcnt(1)
	v_fma_f64 v[83:84], v[91:92], v[83:84], 0
	s_clause 0x7
	buffer_load_dword v92, off, s[0:3], 0 offset:196
	buffer_load_dword v121, off, s[0:3], 0 offset:216
	buffer_load_dword v123, off, s[0:3], 0 offset:208
	buffer_load_dword v125, off, s[0:3], 0 offset:200
	buffer_load_dword v91, off, s[0:3], 0 offset:192
	buffer_load_dword v126, off, s[0:3], 0 offset:204
	buffer_load_dword v124, off, s[0:3], 0 offset:212
	buffer_load_dword v122, off, s[0:3], 0 offset:220
	s_waitcnt vmcnt(34)
	v_fma_f64 v[83:84], v[93:94], v[85:86], v[83:84]
	s_waitcnt vmcnt(32) lgkmcnt(0)
	v_fma_f64 v[83:84], v[95:96], v[87:88], v[83:84]
	s_waitcnt vmcnt(30)
	v_fma_f64 v[93:94], v[97:98], v[89:90], v[83:84]
	ds_read2_b64 v[83:86], v82 offset0:53 offset1:54
	ds_read2_b64 v[87:90], v82 offset0:55 offset1:56
	s_waitcnt vmcnt(28) lgkmcnt(1)
	v_fma_f64 v[83:84], v[99:100], v[83:84], v[93:94]
	s_clause 0x7
	buffer_load_dword v94, off, s[0:3], 0 offset:228
	buffer_load_dword v95, off, s[0:3], 0 offset:248
	buffer_load_dword v97, off, s[0:3], 0 offset:240
	buffer_load_dword v99, off, s[0:3], 0 offset:232
	buffer_load_dword v93, off, s[0:3], 0 offset:224
	buffer_load_dword v100, off, s[0:3], 0 offset:236
	buffer_load_dword v98, off, s[0:3], 0 offset:244
	buffer_load_dword v96, off, s[0:3], 0 offset:252
	s_waitcnt vmcnt(34)
	v_fma_f64 v[83:84], v[101:102], v[85:86], v[83:84]
	s_waitcnt vmcnt(32) lgkmcnt(0)
	v_fma_f64 v[83:84], v[103:104], v[87:88], v[83:84]
	s_waitcnt vmcnt(27)
	v_fma_f64 v[101:102], v[105:106], v[89:90], v[83:84]
	;; [unrolled: 19-line block ×4, first 2 shown]
	ds_read2_b64 v[83:86], v82 offset0:65 offset1:66
	ds_read2_b64 v[87:90], v82 offset0:67 offset1:68
	s_waitcnt vmcnt(26) lgkmcnt(1)
	v_fma_f64 v[83:84], v[125:126], v[83:84], v[91:92]
	s_clause 0x1
	buffer_load_dword v91, off, s[0:3], 0 offset:64
	buffer_load_dword v92, off, s[0:3], 0 offset:68
	s_waitcnt vmcnt(27)
	v_fma_f64 v[83:84], v[123:124], v[85:86], v[83:84]
	s_waitcnt vmcnt(26) lgkmcnt(0)
	v_fma_f64 v[83:84], v[121:122], v[87:88], v[83:84]
	s_waitcnt vmcnt(21)
	v_fma_f64 v[93:94], v[93:94], v[89:90], v[83:84]
	ds_read2_b64 v[83:86], v82 offset0:69 offset1:70
	ds_read2_b64 v[87:90], v82 offset0:71 offset1:72
	s_waitcnt vmcnt(20) lgkmcnt(1)
	v_fma_f64 v[83:84], v[99:100], v[83:84], v[93:94]
	s_waitcnt vmcnt(19)
	v_fma_f64 v[83:84], v[97:98], v[85:86], v[83:84]
	s_waitcnt vmcnt(18) lgkmcnt(0)
	v_fma_f64 v[83:84], v[95:96], v[87:88], v[83:84]
	s_waitcnt vmcnt(13)
	v_fma_f64 v[93:94], v[101:102], v[89:90], v[83:84]
	ds_read2_b64 v[83:86], v82 offset0:73 offset1:74
	ds_read2_b64 v[87:90], v82 offset0:75 offset1:76
	s_waitcnt vmcnt(12) lgkmcnt(1)
	v_fma_f64 v[83:84], v[111:112], v[83:84], v[93:94]
	s_waitcnt vmcnt(11)
	v_fma_f64 v[83:84], v[105:106], v[85:86], v[83:84]
	s_waitcnt vmcnt(10) lgkmcnt(0)
	v_fma_f64 v[83:84], v[103:104], v[87:88], v[83:84]
	s_waitcnt vmcnt(5)
	v_fma_f64 v[87:88], v[107:108], v[89:90], v[83:84]
	ds_read2_b64 v[83:86], v82 offset0:77 offset1:78
	ds_read_b64 v[89:90], v82 offset:632
	s_waitcnt vmcnt(4) lgkmcnt(1)
	v_fma_f64 v[83:84], v[119:120], v[83:84], v[87:88]
	s_waitcnt vmcnt(3)
	v_fma_f64 v[83:84], v[113:114], v[85:86], v[83:84]
	s_waitcnt vmcnt(2) lgkmcnt(0)
	v_fma_f64 v[83:84], v[109:110], v[89:90], v[83:84]
	s_waitcnt vmcnt(0)
	v_add_f64 v[83:84], v[91:92], -v[83:84]
	buffer_store_dword v84, off, s[0:3], 0 offset:68
	buffer_store_dword v83, off, s[0:3], 0 offset:64
	v_cmpx_lt_u32_e32 7, v0
	s_cbranch_execz .LBB103_235
; %bb.234:
	s_clause 0x1
	buffer_load_dword v83, off, s[0:3], 0 offset:56
	buffer_load_dword v84, off, s[0:3], 0 offset:60
	buffer_store_dword v82, off, s[0:3], 0 offset:56
	buffer_store_dword v82, off, s[0:3], 0 offset:60
	s_waitcnt vmcnt(0)
	ds_write_b64 v81, v[83:84]
.LBB103_235:
	s_or_b32 exec_lo, exec_lo, s4
	s_waitcnt lgkmcnt(0)
	s_waitcnt_vscnt null, 0x0
	s_barrier
	buffer_gl0_inv
	s_clause 0x1c
	buffer_load_dword v91, off, s[0:3], 0 offset:64
	buffer_load_dword v92, off, s[0:3], 0 offset:68
	;; [unrolled: 1-line block ×29, first 2 shown]
	ds_read_b128 v[83:86], v82 offset:384
	ds_read_b128 v[87:90], v82 offset:400
	buffer_load_dword v116, off, s[0:3], 0 offset:180
	s_mov_b32 s4, exec_lo
	s_waitcnt vmcnt(28) lgkmcnt(1)
	v_fma_f64 v[83:84], v[91:92], v[83:84], 0
	s_clause 0x7
	buffer_load_dword v92, off, s[0:3], 0 offset:188
	buffer_load_dword v121, off, s[0:3], 0 offset:208
	buffer_load_dword v123, off, s[0:3], 0 offset:200
	buffer_load_dword v125, off, s[0:3], 0 offset:192
	buffer_load_dword v91, off, s[0:3], 0 offset:184
	buffer_load_dword v126, off, s[0:3], 0 offset:196
	buffer_load_dword v124, off, s[0:3], 0 offset:204
	buffer_load_dword v122, off, s[0:3], 0 offset:212
	s_waitcnt vmcnt(34)
	v_fma_f64 v[83:84], v[93:94], v[85:86], v[83:84]
	s_waitcnt vmcnt(32) lgkmcnt(0)
	v_fma_f64 v[83:84], v[95:96], v[87:88], v[83:84]
	s_waitcnt vmcnt(30)
	v_fma_f64 v[93:94], v[97:98], v[89:90], v[83:84]
	ds_read_b128 v[83:86], v82 offset:416
	ds_read_b128 v[87:90], v82 offset:432
	s_waitcnt vmcnt(28) lgkmcnt(1)
	v_fma_f64 v[83:84], v[99:100], v[83:84], v[93:94]
	s_clause 0x7
	buffer_load_dword v94, off, s[0:3], 0 offset:220
	buffer_load_dword v95, off, s[0:3], 0 offset:240
	buffer_load_dword v97, off, s[0:3], 0 offset:232
	buffer_load_dword v99, off, s[0:3], 0 offset:224
	buffer_load_dword v93, off, s[0:3], 0 offset:216
	buffer_load_dword v100, off, s[0:3], 0 offset:228
	buffer_load_dword v98, off, s[0:3], 0 offset:236
	buffer_load_dword v96, off, s[0:3], 0 offset:244
	s_waitcnt vmcnt(34)
	v_fma_f64 v[83:84], v[101:102], v[85:86], v[83:84]
	s_waitcnt vmcnt(32) lgkmcnt(0)
	v_fma_f64 v[83:84], v[103:104], v[87:88], v[83:84]
	s_waitcnt vmcnt(27)
	v_fma_f64 v[101:102], v[105:106], v[89:90], v[83:84]
	ds_read_b128 v[83:86], v82 offset:448
	ds_read_b128 v[87:90], v82 offset:464
	;; [unrolled: 19-line block ×4, first 2 shown]
	s_waitcnt vmcnt(26) lgkmcnt(1)
	v_fma_f64 v[83:84], v[125:126], v[83:84], v[91:92]
	s_clause 0x3
	buffer_load_dword v92, off, s[0:3], 0 offset:316
	buffer_load_dword v91, off, s[0:3], 0 offset:312
	;; [unrolled: 1-line block ×4, first 2 shown]
	s_waitcnt vmcnt(29)
	v_fma_f64 v[83:84], v[123:124], v[85:86], v[83:84]
	s_waitcnt vmcnt(28) lgkmcnt(0)
	v_fma_f64 v[83:84], v[121:122], v[87:88], v[83:84]
	s_waitcnt vmcnt(23)
	v_fma_f64 v[93:94], v[93:94], v[89:90], v[83:84]
	ds_read_b128 v[83:86], v82 offset:544
	ds_read_b128 v[87:90], v82 offset:560
	s_waitcnt vmcnt(22) lgkmcnt(1)
	v_fma_f64 v[83:84], v[99:100], v[83:84], v[93:94]
	s_waitcnt vmcnt(21)
	v_fma_f64 v[83:84], v[97:98], v[85:86], v[83:84]
	s_waitcnt vmcnt(20) lgkmcnt(0)
	v_fma_f64 v[83:84], v[95:96], v[87:88], v[83:84]
	s_waitcnt vmcnt(15)
	v_fma_f64 v[93:94], v[101:102], v[89:90], v[83:84]
	ds_read_b128 v[83:86], v82 offset:576
	ds_read_b128 v[87:90], v82 offset:592
	s_waitcnt vmcnt(14) lgkmcnt(1)
	v_fma_f64 v[83:84], v[111:112], v[83:84], v[93:94]
	;; [unrolled: 10-line block ×3, first 2 shown]
	s_waitcnt vmcnt(5)
	v_fma_f64 v[82:83], v[113:114], v[85:86], v[82:83]
	s_waitcnt vmcnt(4) lgkmcnt(0)
	v_fma_f64 v[82:83], v[109:110], v[87:88], v[82:83]
	s_waitcnt vmcnt(2)
	v_fma_f64 v[82:83], v[91:92], v[89:90], v[82:83]
	s_waitcnt vmcnt(0)
	v_add_f64 v[82:83], v[115:116], -v[82:83]
	buffer_store_dword v83, off, s[0:3], 0 offset:60
	buffer_store_dword v82, off, s[0:3], 0 offset:56
	v_cmpx_lt_u32_e32 6, v0
	s_cbranch_execz .LBB103_237
; %bb.236:
	s_clause 0x1
	buffer_load_dword v82, off, s[0:3], 0 offset:48
	buffer_load_dword v83, off, s[0:3], 0 offset:52
	v_mov_b32_e32 v84, 0
	buffer_store_dword v84, off, s[0:3], 0 offset:48
	buffer_store_dword v84, off, s[0:3], 0 offset:52
	s_waitcnt vmcnt(0)
	ds_write_b64 v81, v[82:83]
.LBB103_237:
	s_or_b32 exec_lo, exec_lo, s4
	s_waitcnt lgkmcnt(0)
	s_waitcnt_vscnt null, 0x0
	s_barrier
	buffer_gl0_inv
	s_clause 0x1c
	buffer_load_dword v91, off, s[0:3], 0 offset:56
	buffer_load_dword v92, off, s[0:3], 0 offset:60
	;; [unrolled: 1-line block ×29, first 2 shown]
	v_mov_b32_e32 v82, 0
	buffer_load_dword v116, off, s[0:3], 0 offset:172
	s_mov_b32 s4, exec_lo
	ds_read2_b64 v[83:86], v82 offset0:47 offset1:48
	ds_read2_b64 v[87:90], v82 offset0:49 offset1:50
	s_waitcnt vmcnt(28) lgkmcnt(1)
	v_fma_f64 v[83:84], v[91:92], v[83:84], 0
	s_clause 0x7
	buffer_load_dword v92, off, s[0:3], 0 offset:180
	buffer_load_dword v121, off, s[0:3], 0 offset:200
	buffer_load_dword v123, off, s[0:3], 0 offset:192
	buffer_load_dword v125, off, s[0:3], 0 offset:184
	buffer_load_dword v91, off, s[0:3], 0 offset:176
	buffer_load_dword v126, off, s[0:3], 0 offset:188
	buffer_load_dword v124, off, s[0:3], 0 offset:196
	buffer_load_dword v122, off, s[0:3], 0 offset:204
	s_waitcnt vmcnt(34)
	v_fma_f64 v[83:84], v[93:94], v[85:86], v[83:84]
	s_waitcnt vmcnt(32) lgkmcnt(0)
	v_fma_f64 v[83:84], v[95:96], v[87:88], v[83:84]
	s_waitcnt vmcnt(30)
	v_fma_f64 v[93:94], v[97:98], v[89:90], v[83:84]
	ds_read2_b64 v[83:86], v82 offset0:51 offset1:52
	ds_read2_b64 v[87:90], v82 offset0:53 offset1:54
	s_waitcnt vmcnt(28) lgkmcnt(1)
	v_fma_f64 v[83:84], v[99:100], v[83:84], v[93:94]
	s_clause 0x7
	buffer_load_dword v94, off, s[0:3], 0 offset:212
	buffer_load_dword v95, off, s[0:3], 0 offset:232
	buffer_load_dword v97, off, s[0:3], 0 offset:224
	buffer_load_dword v99, off, s[0:3], 0 offset:216
	buffer_load_dword v93, off, s[0:3], 0 offset:208
	buffer_load_dword v100, off, s[0:3], 0 offset:220
	buffer_load_dword v98, off, s[0:3], 0 offset:228
	buffer_load_dword v96, off, s[0:3], 0 offset:236
	s_waitcnt vmcnt(34)
	v_fma_f64 v[83:84], v[101:102], v[85:86], v[83:84]
	s_waitcnt vmcnt(32) lgkmcnt(0)
	v_fma_f64 v[83:84], v[103:104], v[87:88], v[83:84]
	s_waitcnt vmcnt(27)
	v_fma_f64 v[101:102], v[105:106], v[89:90], v[83:84]
	ds_read2_b64 v[83:86], v82 offset0:55 offset1:56
	ds_read2_b64 v[87:90], v82 offset0:57 offset1:58
	s_waitcnt vmcnt(26) lgkmcnt(1)
	v_fma_f64 v[83:84], v[111:112], v[83:84], v[101:102]
	s_clause 0x7
	buffer_load_dword v102, off, s[0:3], 0 offset:244
	buffer_load_dword v103, off, s[0:3], 0 offset:264
	buffer_load_dword v105, off, s[0:3], 0 offset:256
	buffer_load_dword v111, off, s[0:3], 0 offset:248
	buffer_load_dword v101, off, s[0:3], 0 offset:240
	buffer_load_dword v112, off, s[0:3], 0 offset:252
	buffer_load_dword v106, off, s[0:3], 0 offset:260
	buffer_load_dword v104, off, s[0:3], 0 offset:268
	s_waitcnt vmcnt(33)
	v_fma_f64 v[83:84], v[109:110], v[85:86], v[83:84]
	s_waitcnt vmcnt(32) lgkmcnt(0)
	v_fma_f64 v[83:84], v[107:108], v[87:88], v[83:84]
	s_waitcnt vmcnt(27)
	v_fma_f64 v[107:108], v[113:114], v[89:90], v[83:84]
	ds_read2_b64 v[83:86], v82 offset0:59 offset1:60
	ds_read2_b64 v[87:90], v82 offset0:61 offset1:62
	s_waitcnt vmcnt(26) lgkmcnt(1)
	v_fma_f64 v[83:84], v[119:120], v[83:84], v[107:108]
	s_clause 0x7
	buffer_load_dword v108, off, s[0:3], 0 offset:276
	buffer_load_dword v109, off, s[0:3], 0 offset:296
	buffer_load_dword v113, off, s[0:3], 0 offset:288
	buffer_load_dword v119, off, s[0:3], 0 offset:280
	buffer_load_dword v107, off, s[0:3], 0 offset:272
	buffer_load_dword v120, off, s[0:3], 0 offset:284
	buffer_load_dword v114, off, s[0:3], 0 offset:292
	buffer_load_dword v110, off, s[0:3], 0 offset:300
	s_waitcnt vmcnt(33)
	v_fma_f64 v[83:84], v[117:118], v[85:86], v[83:84]
	s_waitcnt vmcnt(32) lgkmcnt(0)
	v_fma_f64 v[83:84], v[115:116], v[87:88], v[83:84]
	s_waitcnt vmcnt(27)
	v_fma_f64 v[91:92], v[91:92], v[89:90], v[83:84]
	ds_read2_b64 v[83:86], v82 offset0:63 offset1:64
	ds_read2_b64 v[87:90], v82 offset0:65 offset1:66
	s_waitcnt vmcnt(26) lgkmcnt(1)
	v_fma_f64 v[83:84], v[125:126], v[83:84], v[91:92]
	s_clause 0x5
	buffer_load_dword v92, off, s[0:3], 0 offset:308
	buffer_load_dword v115, off, s[0:3], 0 offset:312
	;; [unrolled: 1-line block ×6, first 2 shown]
	s_waitcnt vmcnt(31)
	v_fma_f64 v[83:84], v[123:124], v[85:86], v[83:84]
	s_waitcnt vmcnt(30) lgkmcnt(0)
	v_fma_f64 v[83:84], v[121:122], v[87:88], v[83:84]
	s_waitcnt vmcnt(25)
	v_fma_f64 v[93:94], v[93:94], v[89:90], v[83:84]
	ds_read2_b64 v[83:86], v82 offset0:67 offset1:68
	ds_read2_b64 v[87:90], v82 offset0:69 offset1:70
	s_waitcnt vmcnt(24) lgkmcnt(1)
	v_fma_f64 v[83:84], v[99:100], v[83:84], v[93:94]
	s_waitcnt vmcnt(23)
	v_fma_f64 v[83:84], v[97:98], v[85:86], v[83:84]
	s_waitcnt vmcnt(22) lgkmcnt(0)
	v_fma_f64 v[83:84], v[95:96], v[87:88], v[83:84]
	s_waitcnt vmcnt(17)
	v_fma_f64 v[93:94], v[101:102], v[89:90], v[83:84]
	ds_read2_b64 v[83:86], v82 offset0:71 offset1:72
	ds_read2_b64 v[87:90], v82 offset0:73 offset1:74
	s_waitcnt vmcnt(16) lgkmcnt(1)
	v_fma_f64 v[83:84], v[111:112], v[83:84], v[93:94]
	;; [unrolled: 10-line block ×3, first 2 shown]
	s_waitcnt vmcnt(7)
	v_fma_f64 v[83:84], v[113:114], v[85:86], v[83:84]
	ds_read_b64 v[85:86], v82 offset:632
	s_waitcnt vmcnt(6) lgkmcnt(1)
	v_fma_f64 v[83:84], v[109:110], v[87:88], v[83:84]
	s_waitcnt vmcnt(3)
	v_fma_f64 v[83:84], v[91:92], v[89:90], v[83:84]
	s_waitcnt vmcnt(2) lgkmcnt(0)
	v_fma_f64 v[83:84], v[115:116], v[85:86], v[83:84]
	s_waitcnt vmcnt(0)
	v_add_f64 v[83:84], v[117:118], -v[83:84]
	buffer_store_dword v84, off, s[0:3], 0 offset:52
	buffer_store_dword v83, off, s[0:3], 0 offset:48
	v_cmpx_lt_u32_e32 5, v0
	s_cbranch_execz .LBB103_239
; %bb.238:
	s_clause 0x1
	buffer_load_dword v83, off, s[0:3], 0 offset:40
	buffer_load_dword v84, off, s[0:3], 0 offset:44
	buffer_store_dword v82, off, s[0:3], 0 offset:40
	buffer_store_dword v82, off, s[0:3], 0 offset:44
	s_waitcnt vmcnt(0)
	ds_write_b64 v81, v[83:84]
.LBB103_239:
	s_or_b32 exec_lo, exec_lo, s4
	s_waitcnt lgkmcnt(0)
	s_waitcnt_vscnt null, 0x0
	s_barrier
	buffer_gl0_inv
	s_clause 0x1c
	buffer_load_dword v91, off, s[0:3], 0 offset:48
	buffer_load_dword v92, off, s[0:3], 0 offset:52
	;; [unrolled: 1-line block ×29, first 2 shown]
	ds_read_b128 v[83:86], v82 offset:368
	ds_read_b128 v[87:90], v82 offset:384
	buffer_load_dword v116, off, s[0:3], 0 offset:164
	s_mov_b32 s4, exec_lo
	s_waitcnt vmcnt(28) lgkmcnt(1)
	v_fma_f64 v[83:84], v[91:92], v[83:84], 0
	s_clause 0x7
	buffer_load_dword v92, off, s[0:3], 0 offset:172
	buffer_load_dword v121, off, s[0:3], 0 offset:192
	buffer_load_dword v123, off, s[0:3], 0 offset:184
	buffer_load_dword v125, off, s[0:3], 0 offset:176
	buffer_load_dword v91, off, s[0:3], 0 offset:168
	buffer_load_dword v126, off, s[0:3], 0 offset:180
	buffer_load_dword v124, off, s[0:3], 0 offset:188
	buffer_load_dword v122, off, s[0:3], 0 offset:196
	s_waitcnt vmcnt(34)
	v_fma_f64 v[83:84], v[93:94], v[85:86], v[83:84]
	s_waitcnt vmcnt(32) lgkmcnt(0)
	v_fma_f64 v[83:84], v[95:96], v[87:88], v[83:84]
	s_waitcnt vmcnt(30)
	v_fma_f64 v[93:94], v[97:98], v[89:90], v[83:84]
	ds_read_b128 v[83:86], v82 offset:400
	ds_read_b128 v[87:90], v82 offset:416
	s_waitcnt vmcnt(28) lgkmcnt(1)
	v_fma_f64 v[83:84], v[99:100], v[83:84], v[93:94]
	s_clause 0x7
	buffer_load_dword v94, off, s[0:3], 0 offset:204
	buffer_load_dword v95, off, s[0:3], 0 offset:224
	buffer_load_dword v97, off, s[0:3], 0 offset:216
	buffer_load_dword v99, off, s[0:3], 0 offset:208
	buffer_load_dword v93, off, s[0:3], 0 offset:200
	buffer_load_dword v100, off, s[0:3], 0 offset:212
	buffer_load_dword v98, off, s[0:3], 0 offset:220
	buffer_load_dword v96, off, s[0:3], 0 offset:228
	s_waitcnt vmcnt(34)
	v_fma_f64 v[83:84], v[101:102], v[85:86], v[83:84]
	s_waitcnt vmcnt(32) lgkmcnt(0)
	v_fma_f64 v[83:84], v[103:104], v[87:88], v[83:84]
	s_waitcnt vmcnt(27)
	v_fma_f64 v[101:102], v[105:106], v[89:90], v[83:84]
	ds_read_b128 v[83:86], v82 offset:432
	ds_read_b128 v[87:90], v82 offset:448
	;; [unrolled: 19-line block ×4, first 2 shown]
	s_waitcnt vmcnt(26) lgkmcnt(1)
	v_fma_f64 v[83:84], v[125:126], v[83:84], v[91:92]
	s_clause 0x5
	buffer_load_dword v92, off, s[0:3], 0 offset:300
	buffer_load_dword v115, off, s[0:3], 0 offset:312
	;; [unrolled: 1-line block ×6, first 2 shown]
	s_waitcnt vmcnt(31)
	v_fma_f64 v[83:84], v[123:124], v[85:86], v[83:84]
	s_waitcnt vmcnt(30) lgkmcnt(0)
	v_fma_f64 v[83:84], v[121:122], v[87:88], v[83:84]
	s_waitcnt vmcnt(25)
	v_fma_f64 v[93:94], v[93:94], v[89:90], v[83:84]
	ds_read_b128 v[83:86], v82 offset:528
	s_clause 0x1
	buffer_load_dword v121, off, s[0:3], 0 offset:40
	buffer_load_dword v122, off, s[0:3], 0 offset:44
	ds_read_b128 v[87:90], v82 offset:544
	s_waitcnt vmcnt(26) lgkmcnt(1)
	v_fma_f64 v[83:84], v[99:100], v[83:84], v[93:94]
	s_waitcnt vmcnt(25)
	v_fma_f64 v[83:84], v[97:98], v[85:86], v[83:84]
	s_waitcnt vmcnt(24) lgkmcnt(0)
	v_fma_f64 v[83:84], v[95:96], v[87:88], v[83:84]
	s_waitcnt vmcnt(19)
	v_fma_f64 v[93:94], v[101:102], v[89:90], v[83:84]
	ds_read_b128 v[83:86], v82 offset:560
	ds_read_b128 v[87:90], v82 offset:576
	s_waitcnt vmcnt(18) lgkmcnt(1)
	v_fma_f64 v[83:84], v[111:112], v[83:84], v[93:94]
	s_waitcnt vmcnt(17)
	v_fma_f64 v[83:84], v[105:106], v[85:86], v[83:84]
	s_waitcnt vmcnt(16) lgkmcnt(0)
	v_fma_f64 v[83:84], v[103:104], v[87:88], v[83:84]
	s_waitcnt vmcnt(11)
	v_fma_f64 v[93:94], v[107:108], v[89:90], v[83:84]
	ds_read_b128 v[83:86], v82 offset:592
	;; [unrolled: 10-line block ×3, first 2 shown]
	s_waitcnt vmcnt(3) lgkmcnt(0)
	v_fma_f64 v[82:83], v[117:118], v[82:83], v[86:87]
	s_waitcnt vmcnt(2)
	v_fma_f64 v[82:83], v[115:116], v[84:85], v[82:83]
	s_waitcnt vmcnt(0)
	v_add_f64 v[82:83], v[121:122], -v[82:83]
	buffer_store_dword v83, off, s[0:3], 0 offset:44
	buffer_store_dword v82, off, s[0:3], 0 offset:40
	v_cmpx_lt_u32_e32 4, v0
	s_cbranch_execz .LBB103_241
; %bb.240:
	s_clause 0x1
	buffer_load_dword v82, off, s[0:3], 0 offset:32
	buffer_load_dword v83, off, s[0:3], 0 offset:36
	v_mov_b32_e32 v84, 0
	buffer_store_dword v84, off, s[0:3], 0 offset:32
	buffer_store_dword v84, off, s[0:3], 0 offset:36
	s_waitcnt vmcnt(0)
	ds_write_b64 v81, v[82:83]
.LBB103_241:
	s_or_b32 exec_lo, exec_lo, s4
	s_waitcnt lgkmcnt(0)
	s_waitcnt_vscnt null, 0x0
	s_barrier
	buffer_gl0_inv
	s_clause 0x1c
	buffer_load_dword v91, off, s[0:3], 0 offset:40
	buffer_load_dword v92, off, s[0:3], 0 offset:44
	;; [unrolled: 1-line block ×29, first 2 shown]
	v_mov_b32_e32 v82, 0
	buffer_load_dword v116, off, s[0:3], 0 offset:156
	s_mov_b32 s4, exec_lo
	ds_read2_b64 v[83:86], v82 offset0:45 offset1:46
	ds_read2_b64 v[87:90], v82 offset0:47 offset1:48
	s_waitcnt vmcnt(28) lgkmcnt(1)
	v_fma_f64 v[83:84], v[91:92], v[83:84], 0
	s_clause 0x7
	buffer_load_dword v92, off, s[0:3], 0 offset:164
	buffer_load_dword v121, off, s[0:3], 0 offset:184
	buffer_load_dword v123, off, s[0:3], 0 offset:176
	buffer_load_dword v125, off, s[0:3], 0 offset:168
	buffer_load_dword v91, off, s[0:3], 0 offset:160
	buffer_load_dword v126, off, s[0:3], 0 offset:172
	buffer_load_dword v124, off, s[0:3], 0 offset:180
	buffer_load_dword v122, off, s[0:3], 0 offset:188
	s_waitcnt vmcnt(34)
	v_fma_f64 v[83:84], v[93:94], v[85:86], v[83:84]
	s_waitcnt vmcnt(32) lgkmcnt(0)
	v_fma_f64 v[83:84], v[95:96], v[87:88], v[83:84]
	s_waitcnt vmcnt(30)
	v_fma_f64 v[93:94], v[97:98], v[89:90], v[83:84]
	ds_read2_b64 v[83:86], v82 offset0:49 offset1:50
	ds_read2_b64 v[87:90], v82 offset0:51 offset1:52
	s_waitcnt vmcnt(28) lgkmcnt(1)
	v_fma_f64 v[83:84], v[99:100], v[83:84], v[93:94]
	s_clause 0x7
	buffer_load_dword v94, off, s[0:3], 0 offset:196
	buffer_load_dword v95, off, s[0:3], 0 offset:216
	buffer_load_dword v97, off, s[0:3], 0 offset:208
	buffer_load_dword v99, off, s[0:3], 0 offset:200
	buffer_load_dword v93, off, s[0:3], 0 offset:192
	buffer_load_dword v100, off, s[0:3], 0 offset:204
	buffer_load_dword v98, off, s[0:3], 0 offset:212
	buffer_load_dword v96, off, s[0:3], 0 offset:220
	s_waitcnt vmcnt(34)
	v_fma_f64 v[83:84], v[101:102], v[85:86], v[83:84]
	s_waitcnt vmcnt(32) lgkmcnt(0)
	v_fma_f64 v[83:84], v[103:104], v[87:88], v[83:84]
	s_waitcnt vmcnt(27)
	v_fma_f64 v[101:102], v[105:106], v[89:90], v[83:84]
	;; [unrolled: 19-line block ×5, first 2 shown]
	ds_read2_b64 v[83:86], v82 offset0:65 offset1:66
	ds_read2_b64 v[87:90], v82 offset0:67 offset1:68
	s_waitcnt vmcnt(26) lgkmcnt(1)
	v_fma_f64 v[83:84], v[99:100], v[83:84], v[93:94]
	s_clause 0x1
	buffer_load_dword v93, off, s[0:3], 0 offset:32
	buffer_load_dword v94, off, s[0:3], 0 offset:36
	s_waitcnt vmcnt(27)
	v_fma_f64 v[83:84], v[97:98], v[85:86], v[83:84]
	s_waitcnt vmcnt(26) lgkmcnt(0)
	v_fma_f64 v[83:84], v[95:96], v[87:88], v[83:84]
	s_waitcnt vmcnt(21)
	v_fma_f64 v[95:96], v[101:102], v[89:90], v[83:84]
	ds_read2_b64 v[83:86], v82 offset0:69 offset1:70
	ds_read2_b64 v[87:90], v82 offset0:71 offset1:72
	s_waitcnt vmcnt(20) lgkmcnt(1)
	v_fma_f64 v[83:84], v[111:112], v[83:84], v[95:96]
	s_waitcnt vmcnt(19)
	v_fma_f64 v[83:84], v[105:106], v[85:86], v[83:84]
	s_waitcnt vmcnt(18) lgkmcnt(0)
	v_fma_f64 v[83:84], v[103:104], v[87:88], v[83:84]
	s_waitcnt vmcnt(13)
	v_fma_f64 v[95:96], v[107:108], v[89:90], v[83:84]
	ds_read2_b64 v[83:86], v82 offset0:73 offset1:74
	ds_read2_b64 v[87:90], v82 offset0:75 offset1:76
	s_waitcnt vmcnt(12) lgkmcnt(1)
	v_fma_f64 v[83:84], v[119:120], v[83:84], v[95:96]
	s_waitcnt vmcnt(11)
	v_fma_f64 v[83:84], v[113:114], v[85:86], v[83:84]
	s_waitcnt vmcnt(10) lgkmcnt(0)
	v_fma_f64 v[83:84], v[109:110], v[87:88], v[83:84]
	s_waitcnt vmcnt(5)
	v_fma_f64 v[87:88], v[91:92], v[89:90], v[83:84]
	ds_read2_b64 v[83:86], v82 offset0:77 offset1:78
	ds_read_b64 v[89:90], v82 offset:632
	s_waitcnt vmcnt(4) lgkmcnt(1)
	v_fma_f64 v[83:84], v[125:126], v[83:84], v[87:88]
	s_waitcnt vmcnt(3)
	v_fma_f64 v[83:84], v[117:118], v[85:86], v[83:84]
	s_waitcnt vmcnt(2) lgkmcnt(0)
	v_fma_f64 v[83:84], v[115:116], v[89:90], v[83:84]
	s_waitcnt vmcnt(0)
	v_add_f64 v[83:84], v[93:94], -v[83:84]
	buffer_store_dword v84, off, s[0:3], 0 offset:36
	buffer_store_dword v83, off, s[0:3], 0 offset:32
	v_cmpx_lt_u32_e32 3, v0
	s_cbranch_execz .LBB103_243
; %bb.242:
	s_clause 0x1
	buffer_load_dword v83, off, s[0:3], 0 offset:24
	buffer_load_dword v84, off, s[0:3], 0 offset:28
	buffer_store_dword v82, off, s[0:3], 0 offset:24
	buffer_store_dword v82, off, s[0:3], 0 offset:28
	s_waitcnt vmcnt(0)
	ds_write_b64 v81, v[83:84]
.LBB103_243:
	s_or_b32 exec_lo, exec_lo, s4
	s_waitcnt lgkmcnt(0)
	s_waitcnt_vscnt null, 0x0
	s_barrier
	buffer_gl0_inv
	s_clause 0x1c
	buffer_load_dword v91, off, s[0:3], 0 offset:32
	buffer_load_dword v92, off, s[0:3], 0 offset:36
	buffer_load_dword v93, off, s[0:3], 0 offset:40
	buffer_load_dword v94, off, s[0:3], 0 offset:44
	buffer_load_dword v95, off, s[0:3], 0 offset:48
	buffer_load_dword v96, off, s[0:3], 0 offset:52
	buffer_load_dword v97, off, s[0:3], 0 offset:56
	buffer_load_dword v98, off, s[0:3], 0 offset:60
	buffer_load_dword v99, off, s[0:3], 0 offset:64
	buffer_load_dword v100, off, s[0:3], 0 offset:68
	buffer_load_dword v101, off, s[0:3], 0 offset:72
	buffer_load_dword v102, off, s[0:3], 0 offset:76
	buffer_load_dword v103, off, s[0:3], 0 offset:80
	buffer_load_dword v104, off, s[0:3], 0 offset:84
	buffer_load_dword v106, off, s[0:3], 0 offset:92
	buffer_load_dword v107, off, s[0:3], 0 offset:112
	buffer_load_dword v109, off, s[0:3], 0 offset:104
	buffer_load_dword v111, off, s[0:3], 0 offset:96
	buffer_load_dword v105, off, s[0:3], 0 offset:88
	buffer_load_dword v112, off, s[0:3], 0 offset:100
	buffer_load_dword v110, off, s[0:3], 0 offset:108
	buffer_load_dword v108, off, s[0:3], 0 offset:116
	buffer_load_dword v114, off, s[0:3], 0 offset:124
	buffer_load_dword v115, off, s[0:3], 0 offset:144
	buffer_load_dword v117, off, s[0:3], 0 offset:136
	buffer_load_dword v119, off, s[0:3], 0 offset:128
	buffer_load_dword v113, off, s[0:3], 0 offset:120
	buffer_load_dword v120, off, s[0:3], 0 offset:132
	buffer_load_dword v118, off, s[0:3], 0 offset:140
	ds_read_b128 v[83:86], v82 offset:352
	ds_read_b128 v[87:90], v82 offset:368
	buffer_load_dword v116, off, s[0:3], 0 offset:148
	s_mov_b32 s4, exec_lo
	s_waitcnt vmcnt(28) lgkmcnt(1)
	v_fma_f64 v[83:84], v[91:92], v[83:84], 0
	s_clause 0x7
	buffer_load_dword v92, off, s[0:3], 0 offset:156
	buffer_load_dword v121, off, s[0:3], 0 offset:176
	buffer_load_dword v123, off, s[0:3], 0 offset:168
	buffer_load_dword v125, off, s[0:3], 0 offset:160
	buffer_load_dword v91, off, s[0:3], 0 offset:152
	buffer_load_dword v126, off, s[0:3], 0 offset:164
	buffer_load_dword v124, off, s[0:3], 0 offset:172
	buffer_load_dword v122, off, s[0:3], 0 offset:180
	s_waitcnt vmcnt(34)
	v_fma_f64 v[83:84], v[93:94], v[85:86], v[83:84]
	s_waitcnt vmcnt(32) lgkmcnt(0)
	v_fma_f64 v[83:84], v[95:96], v[87:88], v[83:84]
	s_waitcnt vmcnt(30)
	v_fma_f64 v[93:94], v[97:98], v[89:90], v[83:84]
	ds_read_b128 v[83:86], v82 offset:384
	ds_read_b128 v[87:90], v82 offset:400
	s_waitcnt vmcnt(28) lgkmcnt(1)
	v_fma_f64 v[83:84], v[99:100], v[83:84], v[93:94]
	s_clause 0x7
	buffer_load_dword v94, off, s[0:3], 0 offset:188
	buffer_load_dword v95, off, s[0:3], 0 offset:208
	buffer_load_dword v97, off, s[0:3], 0 offset:200
	buffer_load_dword v99, off, s[0:3], 0 offset:192
	buffer_load_dword v93, off, s[0:3], 0 offset:184
	buffer_load_dword v100, off, s[0:3], 0 offset:196
	buffer_load_dword v98, off, s[0:3], 0 offset:204
	buffer_load_dword v96, off, s[0:3], 0 offset:212
	s_waitcnt vmcnt(34)
	v_fma_f64 v[83:84], v[101:102], v[85:86], v[83:84]
	s_waitcnt vmcnt(32) lgkmcnt(0)
	v_fma_f64 v[83:84], v[103:104], v[87:88], v[83:84]
	s_waitcnt vmcnt(27)
	v_fma_f64 v[101:102], v[105:106], v[89:90], v[83:84]
	ds_read_b128 v[83:86], v82 offset:416
	ds_read_b128 v[87:90], v82 offset:432
	s_waitcnt vmcnt(26) lgkmcnt(1)
	v_fma_f64 v[83:84], v[111:112], v[83:84], v[101:102]
	s_clause 0x7
	buffer_load_dword v102, off, s[0:3], 0 offset:220
	buffer_load_dword v103, off, s[0:3], 0 offset:240
	buffer_load_dword v105, off, s[0:3], 0 offset:232
	buffer_load_dword v111, off, s[0:3], 0 offset:224
	buffer_load_dword v101, off, s[0:3], 0 offset:216
	buffer_load_dword v112, off, s[0:3], 0 offset:228
	buffer_load_dword v106, off, s[0:3], 0 offset:236
	buffer_load_dword v104, off, s[0:3], 0 offset:244
	s_waitcnt vmcnt(33)
	v_fma_f64 v[83:84], v[109:110], v[85:86], v[83:84]
	s_waitcnt vmcnt(32) lgkmcnt(0)
	v_fma_f64 v[83:84], v[107:108], v[87:88], v[83:84]
	s_waitcnt vmcnt(27)
	v_fma_f64 v[107:108], v[113:114], v[89:90], v[83:84]
	ds_read_b128 v[83:86], v82 offset:448
	ds_read_b128 v[87:90], v82 offset:464
	s_waitcnt vmcnt(26) lgkmcnt(1)
	v_fma_f64 v[83:84], v[119:120], v[83:84], v[107:108]
	s_clause 0x7
	buffer_load_dword v108, off, s[0:3], 0 offset:252
	buffer_load_dword v109, off, s[0:3], 0 offset:272
	buffer_load_dword v113, off, s[0:3], 0 offset:264
	buffer_load_dword v119, off, s[0:3], 0 offset:256
	buffer_load_dword v107, off, s[0:3], 0 offset:248
	buffer_load_dword v120, off, s[0:3], 0 offset:260
	buffer_load_dword v114, off, s[0:3], 0 offset:268
	buffer_load_dword v110, off, s[0:3], 0 offset:276
	s_waitcnt vmcnt(33)
	v_fma_f64 v[83:84], v[117:118], v[85:86], v[83:84]
	s_waitcnt vmcnt(32) lgkmcnt(0)
	v_fma_f64 v[83:84], v[115:116], v[87:88], v[83:84]
	s_waitcnt vmcnt(27)
	v_fma_f64 v[91:92], v[91:92], v[89:90], v[83:84]
	ds_read_b128 v[83:86], v82 offset:480
	ds_read_b128 v[87:90], v82 offset:496
	s_waitcnt vmcnt(26) lgkmcnt(1)
	v_fma_f64 v[83:84], v[125:126], v[83:84], v[91:92]
	s_clause 0x7
	buffer_load_dword v92, off, s[0:3], 0 offset:284
	buffer_load_dword v115, off, s[0:3], 0 offset:304
	buffer_load_dword v117, off, s[0:3], 0 offset:296
	buffer_load_dword v125, off, s[0:3], 0 offset:288
	buffer_load_dword v91, off, s[0:3], 0 offset:280
	buffer_load_dword v126, off, s[0:3], 0 offset:292
	buffer_load_dword v118, off, s[0:3], 0 offset:300
	buffer_load_dword v116, off, s[0:3], 0 offset:308
	s_waitcnt vmcnt(33)
	v_fma_f64 v[83:84], v[123:124], v[85:86], v[83:84]
	s_waitcnt vmcnt(32) lgkmcnt(0)
	v_fma_f64 v[83:84], v[121:122], v[87:88], v[83:84]
	s_waitcnt vmcnt(27)
	v_fma_f64 v[93:94], v[93:94], v[89:90], v[83:84]
	ds_read_b128 v[83:86], v82 offset:512
	ds_read_b128 v[87:90], v82 offset:528
	s_waitcnt vmcnt(26) lgkmcnt(1)
	v_fma_f64 v[83:84], v[99:100], v[83:84], v[93:94]
	s_clause 0x1
	buffer_load_dword v94, off, s[0:3], 0 offset:316
	buffer_load_dword v93, off, s[0:3], 0 offset:312
	s_waitcnt vmcnt(27)
	v_fma_f64 v[83:84], v[97:98], v[85:86], v[83:84]
	s_clause 0x1
	buffer_load_dword v97, off, s[0:3], 0 offset:24
	buffer_load_dword v98, off, s[0:3], 0 offset:28
	s_waitcnt vmcnt(28) lgkmcnt(0)
	v_fma_f64 v[83:84], v[95:96], v[87:88], v[83:84]
	s_waitcnt vmcnt(23)
	v_fma_f64 v[95:96], v[101:102], v[89:90], v[83:84]
	ds_read_b128 v[83:86], v82 offset:544
	ds_read_b128 v[87:90], v82 offset:560
	s_waitcnt vmcnt(22) lgkmcnt(1)
	v_fma_f64 v[83:84], v[111:112], v[83:84], v[95:96]
	s_waitcnt vmcnt(21)
	v_fma_f64 v[83:84], v[105:106], v[85:86], v[83:84]
	s_waitcnt vmcnt(20) lgkmcnt(0)
	v_fma_f64 v[83:84], v[103:104], v[87:88], v[83:84]
	s_waitcnt vmcnt(15)
	v_fma_f64 v[95:96], v[107:108], v[89:90], v[83:84]
	ds_read_b128 v[83:86], v82 offset:576
	ds_read_b128 v[87:90], v82 offset:592
	s_waitcnt vmcnt(14) lgkmcnt(1)
	v_fma_f64 v[83:84], v[119:120], v[83:84], v[95:96]
	s_waitcnt vmcnt(13)
	v_fma_f64 v[83:84], v[113:114], v[85:86], v[83:84]
	;; [unrolled: 10-line block ×3, first 2 shown]
	s_waitcnt vmcnt(4) lgkmcnt(0)
	v_fma_f64 v[82:83], v[115:116], v[87:88], v[82:83]
	s_waitcnt vmcnt(2)
	v_fma_f64 v[82:83], v[93:94], v[89:90], v[82:83]
	s_waitcnt vmcnt(0)
	v_add_f64 v[82:83], v[97:98], -v[82:83]
	buffer_store_dword v83, off, s[0:3], 0 offset:28
	buffer_store_dword v82, off, s[0:3], 0 offset:24
	v_cmpx_lt_u32_e32 2, v0
	s_cbranch_execz .LBB103_245
; %bb.244:
	s_clause 0x1
	buffer_load_dword v82, off, s[0:3], 0 offset:16
	buffer_load_dword v83, off, s[0:3], 0 offset:20
	v_mov_b32_e32 v84, 0
	buffer_store_dword v84, off, s[0:3], 0 offset:16
	buffer_store_dword v84, off, s[0:3], 0 offset:20
	s_waitcnt vmcnt(0)
	ds_write_b64 v81, v[82:83]
.LBB103_245:
	s_or_b32 exec_lo, exec_lo, s4
	s_waitcnt lgkmcnt(0)
	s_waitcnt_vscnt null, 0x0
	s_barrier
	buffer_gl0_inv
	s_clause 0x1c
	buffer_load_dword v91, off, s[0:3], 0 offset:24
	buffer_load_dword v92, off, s[0:3], 0 offset:28
	buffer_load_dword v93, off, s[0:3], 0 offset:32
	buffer_load_dword v94, off, s[0:3], 0 offset:36
	buffer_load_dword v95, off, s[0:3], 0 offset:40
	buffer_load_dword v96, off, s[0:3], 0 offset:44
	buffer_load_dword v97, off, s[0:3], 0 offset:48
	buffer_load_dword v98, off, s[0:3], 0 offset:52
	buffer_load_dword v99, off, s[0:3], 0 offset:56
	buffer_load_dword v100, off, s[0:3], 0 offset:60
	buffer_load_dword v101, off, s[0:3], 0 offset:64
	buffer_load_dword v102, off, s[0:3], 0 offset:68
	buffer_load_dword v103, off, s[0:3], 0 offset:72
	buffer_load_dword v104, off, s[0:3], 0 offset:76
	buffer_load_dword v106, off, s[0:3], 0 offset:84
	buffer_load_dword v107, off, s[0:3], 0 offset:104
	buffer_load_dword v109, off, s[0:3], 0 offset:96
	buffer_load_dword v111, off, s[0:3], 0 offset:88
	buffer_load_dword v105, off, s[0:3], 0 offset:80
	buffer_load_dword v112, off, s[0:3], 0 offset:92
	buffer_load_dword v110, off, s[0:3], 0 offset:100
	buffer_load_dword v108, off, s[0:3], 0 offset:108
	buffer_load_dword v114, off, s[0:3], 0 offset:116
	buffer_load_dword v115, off, s[0:3], 0 offset:136
	buffer_load_dword v117, off, s[0:3], 0 offset:128
	buffer_load_dword v119, off, s[0:3], 0 offset:120
	buffer_load_dword v113, off, s[0:3], 0 offset:112
	buffer_load_dword v120, off, s[0:3], 0 offset:124
	buffer_load_dword v118, off, s[0:3], 0 offset:132
	v_mov_b32_e32 v82, 0
	buffer_load_dword v116, off, s[0:3], 0 offset:140
	s_mov_b32 s4, exec_lo
	ds_read2_b64 v[83:86], v82 offset0:43 offset1:44
	ds_read2_b64 v[87:90], v82 offset0:45 offset1:46
	s_waitcnt vmcnt(28) lgkmcnt(1)
	v_fma_f64 v[83:84], v[91:92], v[83:84], 0
	s_clause 0x7
	buffer_load_dword v92, off, s[0:3], 0 offset:148
	buffer_load_dword v121, off, s[0:3], 0 offset:168
	buffer_load_dword v123, off, s[0:3], 0 offset:160
	buffer_load_dword v125, off, s[0:3], 0 offset:152
	buffer_load_dword v91, off, s[0:3], 0 offset:144
	buffer_load_dword v126, off, s[0:3], 0 offset:156
	buffer_load_dword v124, off, s[0:3], 0 offset:164
	buffer_load_dword v122, off, s[0:3], 0 offset:172
	s_waitcnt vmcnt(34)
	v_fma_f64 v[83:84], v[93:94], v[85:86], v[83:84]
	s_waitcnt vmcnt(32) lgkmcnt(0)
	v_fma_f64 v[83:84], v[95:96], v[87:88], v[83:84]
	s_waitcnt vmcnt(30)
	v_fma_f64 v[93:94], v[97:98], v[89:90], v[83:84]
	ds_read2_b64 v[83:86], v82 offset0:47 offset1:48
	ds_read2_b64 v[87:90], v82 offset0:49 offset1:50
	s_waitcnt vmcnt(28) lgkmcnt(1)
	v_fma_f64 v[83:84], v[99:100], v[83:84], v[93:94]
	s_clause 0x7
	buffer_load_dword v94, off, s[0:3], 0 offset:180
	buffer_load_dword v95, off, s[0:3], 0 offset:200
	buffer_load_dword v97, off, s[0:3], 0 offset:192
	buffer_load_dword v99, off, s[0:3], 0 offset:184
	buffer_load_dword v93, off, s[0:3], 0 offset:176
	buffer_load_dword v100, off, s[0:3], 0 offset:188
	buffer_load_dword v98, off, s[0:3], 0 offset:196
	buffer_load_dword v96, off, s[0:3], 0 offset:204
	s_waitcnt vmcnt(34)
	v_fma_f64 v[83:84], v[101:102], v[85:86], v[83:84]
	s_waitcnt vmcnt(32) lgkmcnt(0)
	v_fma_f64 v[83:84], v[103:104], v[87:88], v[83:84]
	s_waitcnt vmcnt(27)
	v_fma_f64 v[101:102], v[105:106], v[89:90], v[83:84]
	;; [unrolled: 19-line block ×5, first 2 shown]
	ds_read2_b64 v[83:86], v82 offset0:63 offset1:64
	ds_read2_b64 v[87:90], v82 offset0:65 offset1:66
	s_waitcnt vmcnt(26) lgkmcnt(1)
	v_fma_f64 v[83:84], v[99:100], v[83:84], v[93:94]
	s_clause 0x3
	buffer_load_dword v94, off, s[0:3], 0 offset:308
	buffer_load_dword v99, off, s[0:3], 0 offset:312
	;; [unrolled: 1-line block ×4, first 2 shown]
	s_waitcnt vmcnt(29)
	v_fma_f64 v[83:84], v[97:98], v[85:86], v[83:84]
	s_waitcnt vmcnt(28) lgkmcnt(0)
	v_fma_f64 v[83:84], v[95:96], v[87:88], v[83:84]
	s_clause 0x1
	buffer_load_dword v95, off, s[0:3], 0 offset:16
	buffer_load_dword v96, off, s[0:3], 0 offset:20
	s_waitcnt vmcnt(25)
	v_fma_f64 v[97:98], v[101:102], v[89:90], v[83:84]
	ds_read2_b64 v[83:86], v82 offset0:67 offset1:68
	ds_read2_b64 v[87:90], v82 offset0:69 offset1:70
	s_waitcnt vmcnt(24) lgkmcnt(1)
	v_fma_f64 v[83:84], v[111:112], v[83:84], v[97:98]
	s_waitcnt vmcnt(23)
	v_fma_f64 v[83:84], v[105:106], v[85:86], v[83:84]
	s_waitcnt vmcnt(22) lgkmcnt(0)
	v_fma_f64 v[83:84], v[103:104], v[87:88], v[83:84]
	s_waitcnt vmcnt(17)
	v_fma_f64 v[97:98], v[107:108], v[89:90], v[83:84]
	ds_read2_b64 v[83:86], v82 offset0:71 offset1:72
	ds_read2_b64 v[87:90], v82 offset0:73 offset1:74
	s_waitcnt vmcnt(16) lgkmcnt(1)
	v_fma_f64 v[83:84], v[119:120], v[83:84], v[97:98]
	s_waitcnt vmcnt(15)
	v_fma_f64 v[83:84], v[113:114], v[85:86], v[83:84]
	s_waitcnt vmcnt(14) lgkmcnt(0)
	v_fma_f64 v[83:84], v[109:110], v[87:88], v[83:84]
	s_waitcnt vmcnt(9)
	v_fma_f64 v[91:92], v[91:92], v[89:90], v[83:84]
	ds_read2_b64 v[83:86], v82 offset0:75 offset1:76
	ds_read2_b64 v[87:90], v82 offset0:77 offset1:78
	s_waitcnt vmcnt(8) lgkmcnt(1)
	v_fma_f64 v[83:84], v[125:126], v[83:84], v[91:92]
	s_waitcnt vmcnt(7)
	v_fma_f64 v[83:84], v[117:118], v[85:86], v[83:84]
	ds_read_b64 v[85:86], v82 offset:632
	s_waitcnt vmcnt(6) lgkmcnt(1)
	v_fma_f64 v[83:84], v[115:116], v[87:88], v[83:84]
	s_waitcnt vmcnt(3)
	v_fma_f64 v[83:84], v[93:94], v[89:90], v[83:84]
	s_waitcnt vmcnt(2) lgkmcnt(0)
	v_fma_f64 v[83:84], v[99:100], v[85:86], v[83:84]
	s_waitcnt vmcnt(0)
	v_add_f64 v[83:84], v[95:96], -v[83:84]
	buffer_store_dword v84, off, s[0:3], 0 offset:20
	buffer_store_dword v83, off, s[0:3], 0 offset:16
	v_cmpx_lt_u32_e32 1, v0
	s_cbranch_execz .LBB103_247
; %bb.246:
	s_clause 0x1
	buffer_load_dword v83, off, s[0:3], 0 offset:8
	buffer_load_dword v84, off, s[0:3], 0 offset:12
	buffer_store_dword v82, off, s[0:3], 0 offset:8
	buffer_store_dword v82, off, s[0:3], 0 offset:12
	s_waitcnt vmcnt(0)
	ds_write_b64 v81, v[83:84]
.LBB103_247:
	s_or_b32 exec_lo, exec_lo, s4
	s_waitcnt lgkmcnt(0)
	s_waitcnt_vscnt null, 0x0
	s_barrier
	buffer_gl0_inv
	s_clause 0x1c
	buffer_load_dword v91, off, s[0:3], 0 offset:16
	buffer_load_dword v92, off, s[0:3], 0 offset:20
	;; [unrolled: 1-line block ×29, first 2 shown]
	ds_read_b128 v[83:86], v82 offset:336
	ds_read_b128 v[87:90], v82 offset:352
	buffer_load_dword v116, off, s[0:3], 0 offset:132
	s_mov_b32 s4, exec_lo
	s_waitcnt vmcnt(28) lgkmcnt(1)
	v_fma_f64 v[83:84], v[91:92], v[83:84], 0
	s_clause 0x7
	buffer_load_dword v92, off, s[0:3], 0 offset:140
	buffer_load_dword v121, off, s[0:3], 0 offset:160
	buffer_load_dword v123, off, s[0:3], 0 offset:152
	buffer_load_dword v125, off, s[0:3], 0 offset:144
	buffer_load_dword v91, off, s[0:3], 0 offset:136
	buffer_load_dword v126, off, s[0:3], 0 offset:148
	buffer_load_dword v124, off, s[0:3], 0 offset:156
	buffer_load_dword v122, off, s[0:3], 0 offset:164
	s_waitcnt vmcnt(34)
	v_fma_f64 v[83:84], v[93:94], v[85:86], v[83:84]
	s_waitcnt vmcnt(32) lgkmcnt(0)
	v_fma_f64 v[83:84], v[95:96], v[87:88], v[83:84]
	s_waitcnt vmcnt(30)
	v_fma_f64 v[93:94], v[97:98], v[89:90], v[83:84]
	ds_read_b128 v[83:86], v82 offset:368
	ds_read_b128 v[87:90], v82 offset:384
	s_waitcnt vmcnt(28) lgkmcnt(1)
	v_fma_f64 v[83:84], v[99:100], v[83:84], v[93:94]
	s_clause 0x7
	buffer_load_dword v94, off, s[0:3], 0 offset:172
	buffer_load_dword v95, off, s[0:3], 0 offset:192
	buffer_load_dword v97, off, s[0:3], 0 offset:184
	buffer_load_dword v99, off, s[0:3], 0 offset:176
	buffer_load_dword v93, off, s[0:3], 0 offset:168
	buffer_load_dword v100, off, s[0:3], 0 offset:180
	buffer_load_dword v98, off, s[0:3], 0 offset:188
	buffer_load_dword v96, off, s[0:3], 0 offset:196
	s_waitcnt vmcnt(34)
	v_fma_f64 v[83:84], v[101:102], v[85:86], v[83:84]
	s_waitcnt vmcnt(32) lgkmcnt(0)
	v_fma_f64 v[83:84], v[103:104], v[87:88], v[83:84]
	s_waitcnt vmcnt(27)
	v_fma_f64 v[101:102], v[105:106], v[89:90], v[83:84]
	ds_read_b128 v[83:86], v82 offset:400
	ds_read_b128 v[87:90], v82 offset:416
	;; [unrolled: 19-line block ×5, first 2 shown]
	s_waitcnt vmcnt(26) lgkmcnt(1)
	v_fma_f64 v[83:84], v[99:100], v[83:84], v[93:94]
	s_clause 0x5
	buffer_load_dword v94, off, s[0:3], 0 offset:300
	buffer_load_dword v99, off, s[0:3], 0 offset:312
	;; [unrolled: 1-line block ×6, first 2 shown]
	s_waitcnt vmcnt(31)
	v_fma_f64 v[83:84], v[97:98], v[85:86], v[83:84]
	s_waitcnt vmcnt(30) lgkmcnt(0)
	v_fma_f64 v[83:84], v[95:96], v[87:88], v[83:84]
	s_waitcnt vmcnt(25)
	v_fma_f64 v[95:96], v[101:102], v[89:90], v[83:84]
	ds_read_b128 v[83:86], v82 offset:528
	s_clause 0x1
	buffer_load_dword v97, off, s[0:3], 0 offset:8
	buffer_load_dword v98, off, s[0:3], 0 offset:12
	ds_read_b128 v[87:90], v82 offset:544
	s_waitcnt vmcnt(26) lgkmcnt(1)
	v_fma_f64 v[83:84], v[111:112], v[83:84], v[95:96]
	s_waitcnt vmcnt(25)
	v_fma_f64 v[83:84], v[105:106], v[85:86], v[83:84]
	s_waitcnt vmcnt(24) lgkmcnt(0)
	v_fma_f64 v[83:84], v[103:104], v[87:88], v[83:84]
	s_waitcnt vmcnt(19)
	v_fma_f64 v[95:96], v[107:108], v[89:90], v[83:84]
	ds_read_b128 v[83:86], v82 offset:560
	ds_read_b128 v[87:90], v82 offset:576
	s_waitcnt vmcnt(18) lgkmcnt(1)
	v_fma_f64 v[83:84], v[119:120], v[83:84], v[95:96]
	s_waitcnt vmcnt(17)
	v_fma_f64 v[83:84], v[113:114], v[85:86], v[83:84]
	s_waitcnt vmcnt(16) lgkmcnt(0)
	v_fma_f64 v[83:84], v[109:110], v[87:88], v[83:84]
	s_waitcnt vmcnt(11)
	v_fma_f64 v[91:92], v[91:92], v[89:90], v[83:84]
	ds_read_b128 v[83:86], v82 offset:592
	;; [unrolled: 10-line block ×3, first 2 shown]
	s_waitcnt vmcnt(3) lgkmcnt(0)
	v_fma_f64 v[82:83], v[121:122], v[82:83], v[86:87]
	s_waitcnt vmcnt(2)
	v_fma_f64 v[82:83], v[99:100], v[84:85], v[82:83]
	s_waitcnt vmcnt(0)
	v_add_f64 v[82:83], v[97:98], -v[82:83]
	buffer_store_dword v83, off, s[0:3], 0 offset:12
	buffer_store_dword v82, off, s[0:3], 0 offset:8
	v_cmpx_ne_u32_e32 0, v0
	s_cbranch_execz .LBB103_249
; %bb.248:
	s_clause 0x1
	buffer_load_dword v82, off, s[0:3], 0
	buffer_load_dword v83, off, s[0:3], 0 offset:4
	v_mov_b32_e32 v0, 0
	buffer_store_dword v0, off, s[0:3], 0
	buffer_store_dword v0, off, s[0:3], 0 offset:4
	s_waitcnt vmcnt(0)
	ds_write_b64 v81, v[82:83]
.LBB103_249:
	s_or_b32 exec_lo, exec_lo, s4
	s_waitcnt lgkmcnt(0)
	s_waitcnt_vscnt null, 0x0
	s_barrier
	buffer_gl0_inv
	s_clause 0x1c
	buffer_load_dword v89, off, s[0:3], 0 offset:8
	buffer_load_dword v90, off, s[0:3], 0 offset:12
	;; [unrolled: 1-line block ×29, first 2 shown]
	v_mov_b32_e32 v0, 0
	buffer_load_dword v114, off, s[0:3], 0 offset:124
	s_and_b32 vcc_lo, exec_lo, s16
	ds_read2_b64 v[81:84], v0 offset0:41 offset1:42
	ds_read2_b64 v[85:88], v0 offset0:43 offset1:44
	s_waitcnt vmcnt(28) lgkmcnt(1)
	v_fma_f64 v[81:82], v[89:90], v[81:82], 0
	s_clause 0x7
	buffer_load_dword v90, off, s[0:3], 0 offset:132
	buffer_load_dword v119, off, s[0:3], 0 offset:152
	buffer_load_dword v121, off, s[0:3], 0 offset:144
	buffer_load_dword v123, off, s[0:3], 0 offset:136
	buffer_load_dword v89, off, s[0:3], 0 offset:128
	buffer_load_dword v124, off, s[0:3], 0 offset:140
	buffer_load_dword v122, off, s[0:3], 0 offset:148
	buffer_load_dword v120, off, s[0:3], 0 offset:156
	s_waitcnt vmcnt(34)
	v_fma_f64 v[81:82], v[91:92], v[83:84], v[81:82]
	s_waitcnt vmcnt(32) lgkmcnt(0)
	v_fma_f64 v[81:82], v[93:94], v[85:86], v[81:82]
	s_waitcnt vmcnt(30)
	v_fma_f64 v[91:92], v[95:96], v[87:88], v[81:82]
	ds_read2_b64 v[81:84], v0 offset0:45 offset1:46
	ds_read2_b64 v[85:88], v0 offset0:47 offset1:48
	s_waitcnt vmcnt(28) lgkmcnt(1)
	v_fma_f64 v[81:82], v[97:98], v[81:82], v[91:92]
	s_clause 0x7
	buffer_load_dword v92, off, s[0:3], 0 offset:164
	buffer_load_dword v93, off, s[0:3], 0 offset:184
	buffer_load_dword v95, off, s[0:3], 0 offset:176
	buffer_load_dword v97, off, s[0:3], 0 offset:168
	buffer_load_dword v91, off, s[0:3], 0 offset:160
	buffer_load_dword v98, off, s[0:3], 0 offset:172
	buffer_load_dword v96, off, s[0:3], 0 offset:180
	buffer_load_dword v94, off, s[0:3], 0 offset:188
	s_waitcnt vmcnt(34)
	v_fma_f64 v[81:82], v[99:100], v[83:84], v[81:82]
	s_waitcnt vmcnt(32) lgkmcnt(0)
	v_fma_f64 v[81:82], v[101:102], v[85:86], v[81:82]
	s_waitcnt vmcnt(27)
	v_fma_f64 v[99:100], v[103:104], v[87:88], v[81:82]
	;; [unrolled: 19-line block ×5, first 2 shown]
	ds_read2_b64 v[81:84], v0 offset0:61 offset1:62
	ds_read2_b64 v[85:88], v0 offset0:63 offset1:64
	s_waitcnt vmcnt(26) lgkmcnt(1)
	v_fma_f64 v[89:90], v[97:98], v[81:82], v[89:90]
	s_clause 0x6
	buffer_load_dword v92, off, s[0:3], 0 offset:292
	buffer_load_dword v97, off, s[0:3], 0 offset:312
	;; [unrolled: 1-line block ×7, first 2 shown]
	s_waitcnt vmcnt(32)
	v_fma_f64 v[82:83], v[95:96], v[83:84], v[89:90]
	s_waitcnt vmcnt(31) lgkmcnt(0)
	v_fma_f64 v[83:84], v[93:94], v[85:86], v[82:83]
	buffer_load_dword v82, off, s[0:3], 0 offset:308
	s_waitcnt vmcnt(27)
	v_fma_f64 v[93:94], v[99:100], v[87:88], v[83:84]
	ds_read2_b64 v[83:86], v0 offset0:65 offset1:66
	ds_read2_b64 v[87:90], v0 offset0:67 offset1:68
	s_waitcnt vmcnt(26) lgkmcnt(1)
	v_fma_f64 v[83:84], v[109:110], v[83:84], v[93:94]
	s_clause 0x1
	buffer_load_dword v93, off, s[0:3], 0
	buffer_load_dword v94, off, s[0:3], 0 offset:4
	s_waitcnt vmcnt(27)
	v_fma_f64 v[83:84], v[103:104], v[85:86], v[83:84]
	s_waitcnt vmcnt(26) lgkmcnt(0)
	v_fma_f64 v[83:84], v[101:102], v[87:88], v[83:84]
	s_waitcnt vmcnt(21)
	v_fma_f64 v[95:96], v[105:106], v[89:90], v[83:84]
	ds_read2_b64 v[83:86], v0 offset0:69 offset1:70
	ds_read2_b64 v[87:90], v0 offset0:71 offset1:72
	s_waitcnt vmcnt(20) lgkmcnt(1)
	v_fma_f64 v[83:84], v[117:118], v[83:84], v[95:96]
	s_waitcnt vmcnt(19)
	v_fma_f64 v[83:84], v[111:112], v[85:86], v[83:84]
	s_waitcnt vmcnt(18) lgkmcnt(0)
	v_fma_f64 v[83:84], v[107:108], v[87:88], v[83:84]
	s_waitcnt vmcnt(13)
	v_fma_f64 v[95:96], v[113:114], v[89:90], v[83:84]
	ds_read2_b64 v[83:86], v0 offset0:73 offset1:74
	ds_read2_b64 v[87:90], v0 offset0:75 offset1:76
	s_waitcnt vmcnt(12) lgkmcnt(1)
	v_fma_f64 v[83:84], v[125:126], v[83:84], v[95:96]
	s_waitcnt vmcnt(11)
	v_fma_f64 v[83:84], v[123:124], v[85:86], v[83:84]
	s_waitcnt vmcnt(10) lgkmcnt(0)
	v_fma_f64 v[83:84], v[115:116], v[87:88], v[83:84]
	s_waitcnt vmcnt(5)
	v_fma_f64 v[87:88], v[91:92], v[89:90], v[83:84]
	ds_read2_b64 v[83:86], v0 offset0:77 offset1:78
	ds_read_b64 v[89:90], v0 offset:632
	s_waitcnt vmcnt(4) lgkmcnt(1)
	v_fma_f64 v[83:84], v[119:120], v[83:84], v[87:88]
	s_waitcnt vmcnt(2)
	v_fma_f64 v[83:84], v[81:82], v[85:86], v[83:84]
	s_waitcnt lgkmcnt(0)
	v_fma_f64 v[83:84], v[97:98], v[89:90], v[83:84]
	s_waitcnt vmcnt(0)
	v_add_f64 v[83:84], v[93:94], -v[83:84]
	buffer_store_dword v84, off, s[0:3], 0 offset:4
	buffer_store_dword v83, off, s[0:3], 0
	s_cbranch_vccz .LBB103_328
; %bb.250:
	global_load_dword v0, v0, s[12:13] offset:152
	s_waitcnt vmcnt(0)
	v_add_nc_u32_e32 v0, -1, v0
	v_cmp_ne_u32_e32 vcc_lo, 38, v0
	s_cbranch_vccz .LBB103_252
; %bb.251:
	v_lshlrev_b32_e32 v0, 3, v0
	s_clause 0x1
	buffer_load_dword v83, v0, s[0:3], 0 offen offset:4
	buffer_load_dword v84, v0, s[0:3], 0 offen
	s_waitcnt vmcnt(1)
	buffer_store_dword v83, off, s[0:3], 0 offset:308
	s_waitcnt vmcnt(0)
	buffer_store_dword v84, off, s[0:3], 0 offset:304
	buffer_store_dword v82, v0, s[0:3], 0 offen offset:4
	buffer_store_dword v81, v0, s[0:3], 0 offen
.LBB103_252:
	v_mov_b32_e32 v0, 0
	global_load_dword v81, v0, s[12:13] offset:148
	s_waitcnt vmcnt(0)
	v_add_nc_u32_e32 v81, -1, v81
	v_cmp_eq_u32_e32 vcc_lo, 37, v81
	s_cbranch_vccnz .LBB103_254
; %bb.253:
	v_lshlrev_b32_e32 v81, 3, v81
	s_clause 0x3
	buffer_load_dword v82, v81, s[0:3], 0 offen
	buffer_load_dword v83, v81, s[0:3], 0 offen offset:4
	buffer_load_dword v84, off, s[0:3], 0 offset:296
	buffer_load_dword v85, off, s[0:3], 0 offset:300
	s_waitcnt vmcnt(3)
	buffer_store_dword v82, off, s[0:3], 0 offset:296
	s_waitcnt vmcnt(2)
	buffer_store_dword v83, off, s[0:3], 0 offset:300
	s_waitcnt vmcnt(1)
	buffer_store_dword v84, v81, s[0:3], 0 offen
	s_waitcnt vmcnt(0)
	buffer_store_dword v85, v81, s[0:3], 0 offen offset:4
.LBB103_254:
	global_load_dword v0, v0, s[12:13] offset:144
	s_waitcnt vmcnt(0)
	v_add_nc_u32_e32 v0, -1, v0
	v_cmp_eq_u32_e32 vcc_lo, 36, v0
	s_cbranch_vccnz .LBB103_256
; %bb.255:
	v_lshlrev_b32_e32 v0, 3, v0
	s_clause 0x3
	buffer_load_dword v81, v0, s[0:3], 0 offen
	buffer_load_dword v82, v0, s[0:3], 0 offen offset:4
	buffer_load_dword v83, off, s[0:3], 0 offset:292
	buffer_load_dword v84, off, s[0:3], 0 offset:288
	s_waitcnt vmcnt(3)
	buffer_store_dword v81, off, s[0:3], 0 offset:288
	s_waitcnt vmcnt(2)
	buffer_store_dword v82, off, s[0:3], 0 offset:292
	s_waitcnt vmcnt(1)
	buffer_store_dword v83, v0, s[0:3], 0 offen offset:4
	s_waitcnt vmcnt(0)
	buffer_store_dword v84, v0, s[0:3], 0 offen
.LBB103_256:
	v_mov_b32_e32 v0, 0
	global_load_dword v81, v0, s[12:13] offset:140
	s_waitcnt vmcnt(0)
	v_add_nc_u32_e32 v81, -1, v81
	v_cmp_eq_u32_e32 vcc_lo, 35, v81
	s_cbranch_vccnz .LBB103_258
; %bb.257:
	v_lshlrev_b32_e32 v81, 3, v81
	s_clause 0x3
	buffer_load_dword v82, v81, s[0:3], 0 offen
	buffer_load_dword v83, v81, s[0:3], 0 offen offset:4
	buffer_load_dword v84, off, s[0:3], 0 offset:280
	buffer_load_dword v85, off, s[0:3], 0 offset:284
	s_waitcnt vmcnt(3)
	buffer_store_dword v82, off, s[0:3], 0 offset:280
	s_waitcnt vmcnt(2)
	buffer_store_dword v83, off, s[0:3], 0 offset:284
	s_waitcnt vmcnt(1)
	buffer_store_dword v84, v81, s[0:3], 0 offen
	s_waitcnt vmcnt(0)
	buffer_store_dword v85, v81, s[0:3], 0 offen offset:4
.LBB103_258:
	global_load_dword v0, v0, s[12:13] offset:136
	s_waitcnt vmcnt(0)
	v_add_nc_u32_e32 v0, -1, v0
	v_cmp_eq_u32_e32 vcc_lo, 34, v0
	s_cbranch_vccnz .LBB103_260
; %bb.259:
	v_lshlrev_b32_e32 v0, 3, v0
	s_clause 0x3
	buffer_load_dword v81, v0, s[0:3], 0 offen
	buffer_load_dword v82, v0, s[0:3], 0 offen offset:4
	buffer_load_dword v83, off, s[0:3], 0 offset:276
	buffer_load_dword v84, off, s[0:3], 0 offset:272
	s_waitcnt vmcnt(3)
	buffer_store_dword v81, off, s[0:3], 0 offset:272
	s_waitcnt vmcnt(2)
	buffer_store_dword v82, off, s[0:3], 0 offset:276
	s_waitcnt vmcnt(1)
	buffer_store_dword v83, v0, s[0:3], 0 offen offset:4
	s_waitcnt vmcnt(0)
	buffer_store_dword v84, v0, s[0:3], 0 offen
.LBB103_260:
	;; [unrolled: 43-line block ×18, first 2 shown]
	v_mov_b32_e32 v0, 0
	global_load_dword v81, v0, s[12:13] offset:4
	s_waitcnt vmcnt(0)
	v_add_nc_u32_e32 v81, -1, v81
	v_cmp_eq_u32_e32 vcc_lo, 1, v81
	s_cbranch_vccnz .LBB103_326
; %bb.325:
	v_lshlrev_b32_e32 v81, 3, v81
	s_clause 0x3
	buffer_load_dword v82, v81, s[0:3], 0 offen
	buffer_load_dword v83, v81, s[0:3], 0 offen offset:4
	buffer_load_dword v84, off, s[0:3], 0 offset:8
	buffer_load_dword v85, off, s[0:3], 0 offset:12
	s_waitcnt vmcnt(3)
	buffer_store_dword v82, off, s[0:3], 0 offset:8
	s_waitcnt vmcnt(2)
	buffer_store_dword v83, off, s[0:3], 0 offset:12
	s_waitcnt vmcnt(1)
	buffer_store_dword v84, v81, s[0:3], 0 offen
	s_waitcnt vmcnt(0)
	buffer_store_dword v85, v81, s[0:3], 0 offen offset:4
.LBB103_326:
	global_load_dword v0, v0, s[12:13]
	s_clause 0x1
	buffer_load_dword v83, off, s[0:3], 0
	buffer_load_dword v84, off, s[0:3], 0 offset:4
	s_waitcnt vmcnt(2)
	v_add_nc_u32_e32 v0, -1, v0
	v_cmp_eq_u32_e32 vcc_lo, 0, v0
	s_cbranch_vccnz .LBB103_328
; %bb.327:
	v_lshlrev_b32_e32 v0, 3, v0
	s_clause 0x1
	buffer_load_dword v81, v0, s[0:3], 0 offen offset:4
	buffer_load_dword v82, v0, s[0:3], 0 offen
	s_waitcnt vmcnt(1)
	buffer_store_dword v81, off, s[0:3], 0 offset:4
	s_waitcnt vmcnt(0)
	buffer_store_dword v82, off, s[0:3], 0
	buffer_store_dword v84, v0, s[0:3], 0 offen offset:4
	buffer_store_dword v83, v0, s[0:3], 0 offen
	s_clause 0x1
	buffer_load_dword v83, off, s[0:3], 0
	buffer_load_dword v84, off, s[0:3], 0 offset:4
.LBB103_328:
	s_waitcnt vmcnt(0)
	flat_store_dwordx2 v[1:2], v[83:84]
	s_clause 0x1
	buffer_load_dword v0, off, s[0:3], 0 offset:8
	buffer_load_dword v1, off, s[0:3], 0 offset:12
	s_waitcnt vmcnt(0)
	flat_store_dwordx2 v[3:4], v[0:1]
	s_clause 0x1
	buffer_load_dword v0, off, s[0:3], 0 offset:16
	buffer_load_dword v1, off, s[0:3], 0 offset:20
	;; [unrolled: 5-line block ×39, first 2 shown]
	s_waitcnt vmcnt(0)
	flat_store_dwordx2 v[79:80], v[0:1]
	s_endpgm
	.section	.rodata,"a",@progbits
	.p2align	6, 0x0
	.amdhsa_kernel _ZN9rocsolver6v33100L18getri_kernel_smallILi40EdPKPdEEvT1_iilPiilS6_bb
		.amdhsa_group_segment_fixed_size 648
		.amdhsa_private_segment_fixed_size 336
		.amdhsa_kernarg_size 60
		.amdhsa_user_sgpr_count 6
		.amdhsa_user_sgpr_private_segment_buffer 1
		.amdhsa_user_sgpr_dispatch_ptr 0
		.amdhsa_user_sgpr_queue_ptr 0
		.amdhsa_user_sgpr_kernarg_segment_ptr 1
		.amdhsa_user_sgpr_dispatch_id 0
		.amdhsa_user_sgpr_flat_scratch_init 0
		.amdhsa_user_sgpr_private_segment_size 0
		.amdhsa_wavefront_size32 1
		.amdhsa_uses_dynamic_stack 0
		.amdhsa_system_sgpr_private_segment_wavefront_offset 1
		.amdhsa_system_sgpr_workgroup_id_x 1
		.amdhsa_system_sgpr_workgroup_id_y 0
		.amdhsa_system_sgpr_workgroup_id_z 0
		.amdhsa_system_sgpr_workgroup_info 0
		.amdhsa_system_vgpr_workitem_id 0
		.amdhsa_next_free_vgpr 127
		.amdhsa_next_free_sgpr 20
		.amdhsa_reserve_vcc 1
		.amdhsa_reserve_flat_scratch 0
		.amdhsa_float_round_mode_32 0
		.amdhsa_float_round_mode_16_64 0
		.amdhsa_float_denorm_mode_32 3
		.amdhsa_float_denorm_mode_16_64 3
		.amdhsa_dx10_clamp 1
		.amdhsa_ieee_mode 1
		.amdhsa_fp16_overflow 0
		.amdhsa_workgroup_processor_mode 1
		.amdhsa_memory_ordered 1
		.amdhsa_forward_progress 1
		.amdhsa_shared_vgpr_count 0
		.amdhsa_exception_fp_ieee_invalid_op 0
		.amdhsa_exception_fp_denorm_src 0
		.amdhsa_exception_fp_ieee_div_zero 0
		.amdhsa_exception_fp_ieee_overflow 0
		.amdhsa_exception_fp_ieee_underflow 0
		.amdhsa_exception_fp_ieee_inexact 0
		.amdhsa_exception_int_div_zero 0
	.end_amdhsa_kernel
	.section	.text._ZN9rocsolver6v33100L18getri_kernel_smallILi40EdPKPdEEvT1_iilPiilS6_bb,"axG",@progbits,_ZN9rocsolver6v33100L18getri_kernel_smallILi40EdPKPdEEvT1_iilPiilS6_bb,comdat
.Lfunc_end103:
	.size	_ZN9rocsolver6v33100L18getri_kernel_smallILi40EdPKPdEEvT1_iilPiilS6_bb, .Lfunc_end103-_ZN9rocsolver6v33100L18getri_kernel_smallILi40EdPKPdEEvT1_iilPiilS6_bb
                                        ; -- End function
	.set _ZN9rocsolver6v33100L18getri_kernel_smallILi40EdPKPdEEvT1_iilPiilS6_bb.num_vgpr, 127
	.set _ZN9rocsolver6v33100L18getri_kernel_smallILi40EdPKPdEEvT1_iilPiilS6_bb.num_agpr, 0
	.set _ZN9rocsolver6v33100L18getri_kernel_smallILi40EdPKPdEEvT1_iilPiilS6_bb.numbered_sgpr, 20
	.set _ZN9rocsolver6v33100L18getri_kernel_smallILi40EdPKPdEEvT1_iilPiilS6_bb.num_named_barrier, 0
	.set _ZN9rocsolver6v33100L18getri_kernel_smallILi40EdPKPdEEvT1_iilPiilS6_bb.private_seg_size, 336
	.set _ZN9rocsolver6v33100L18getri_kernel_smallILi40EdPKPdEEvT1_iilPiilS6_bb.uses_vcc, 1
	.set _ZN9rocsolver6v33100L18getri_kernel_smallILi40EdPKPdEEvT1_iilPiilS6_bb.uses_flat_scratch, 0
	.set _ZN9rocsolver6v33100L18getri_kernel_smallILi40EdPKPdEEvT1_iilPiilS6_bb.has_dyn_sized_stack, 0
	.set _ZN9rocsolver6v33100L18getri_kernel_smallILi40EdPKPdEEvT1_iilPiilS6_bb.has_recursion, 0
	.set _ZN9rocsolver6v33100L18getri_kernel_smallILi40EdPKPdEEvT1_iilPiilS6_bb.has_indirect_call, 0
	.section	.AMDGPU.csdata,"",@progbits
; Kernel info:
; codeLenInByte = 48064
; TotalNumSgprs: 22
; NumVgprs: 127
; ScratchSize: 336
; MemoryBound: 1
; FloatMode: 240
; IeeeMode: 1
; LDSByteSize: 648 bytes/workgroup (compile time only)
; SGPRBlocks: 0
; VGPRBlocks: 15
; NumSGPRsForWavesPerEU: 22
; NumVGPRsForWavesPerEU: 127
; Occupancy: 8
; WaveLimiterHint : 1
; COMPUTE_PGM_RSRC2:SCRATCH_EN: 1
; COMPUTE_PGM_RSRC2:USER_SGPR: 6
; COMPUTE_PGM_RSRC2:TRAP_HANDLER: 0
; COMPUTE_PGM_RSRC2:TGID_X_EN: 1
; COMPUTE_PGM_RSRC2:TGID_Y_EN: 0
; COMPUTE_PGM_RSRC2:TGID_Z_EN: 0
; COMPUTE_PGM_RSRC2:TIDIG_COMP_CNT: 0
	.section	.text._ZN9rocsolver6v33100L18getri_kernel_smallILi41EdPKPdEEvT1_iilPiilS6_bb,"axG",@progbits,_ZN9rocsolver6v33100L18getri_kernel_smallILi41EdPKPdEEvT1_iilPiilS6_bb,comdat
	.globl	_ZN9rocsolver6v33100L18getri_kernel_smallILi41EdPKPdEEvT1_iilPiilS6_bb ; -- Begin function _ZN9rocsolver6v33100L18getri_kernel_smallILi41EdPKPdEEvT1_iilPiilS6_bb
	.p2align	8
	.type	_ZN9rocsolver6v33100L18getri_kernel_smallILi41EdPKPdEEvT1_iilPiilS6_bb,@function
_ZN9rocsolver6v33100L18getri_kernel_smallILi41EdPKPdEEvT1_iilPiilS6_bb: ; @_ZN9rocsolver6v33100L18getri_kernel_smallILi41EdPKPdEEvT1_iilPiilS6_bb
; %bb.0:
	s_add_u32 s0, s0, s7
	s_addc_u32 s1, s1, 0
	s_mov_b32 s7, exec_lo
	v_cmpx_gt_u32_e32 41, v0
	s_cbranch_execz .LBB104_174
; %bb.1:
	s_clause 0x2
	s_load_dword s17, s[4:5], 0x38
	s_load_dwordx2 s[12:13], s[4:5], 0x0
	s_load_dwordx4 s[8:11], s[4:5], 0x28
	s_waitcnt lgkmcnt(0)
	s_bitcmp1_b32 s17, 8
	s_cselect_b32 s16, -1, 0
	s_ashr_i32 s7, s6, 31
	s_lshl_b64 s[14:15], s[6:7], 3
	s_add_u32 s12, s12, s14
	s_addc_u32 s13, s13, s15
	s_load_dwordx2 s[14:15], s[12:13], 0x0
	s_bfe_u32 s12, s17, 0x10008
	s_cmp_eq_u32 s12, 0
                                        ; implicit-def: $sgpr12_sgpr13
	s_cbranch_scc1 .LBB104_3
; %bb.2:
	s_clause 0x1
	s_load_dword s12, s[4:5], 0x20
	s_load_dwordx2 s[18:19], s[4:5], 0x18
	s_mul_i32 s13, s8, s7
	s_mul_hi_u32 s17, s8, s6
	s_mul_i32 s9, s9, s6
	s_add_i32 s13, s17, s13
	s_mul_i32 s8, s8, s6
	s_add_i32 s9, s13, s9
	s_lshl_b64 s[8:9], s[8:9], 2
	s_waitcnt lgkmcnt(0)
	s_ashr_i32 s13, s12, 31
	s_add_u32 s17, s18, s8
	s_addc_u32 s18, s19, s9
	s_lshl_b64 s[8:9], s[12:13], 2
	s_add_u32 s12, s17, s8
	s_addc_u32 s13, s18, s9
.LBB104_3:
	s_clause 0x1
	s_load_dwordx2 s[8:9], s[4:5], 0x8
	s_load_dword s17, s[4:5], 0x38
	v_lshlrev_b32_e32 v85, 3, v0
	s_waitcnt lgkmcnt(0)
	s_ashr_i32 s5, s8, 31
	s_mov_b32 s4, s8
	v_add3_u32 v9, s9, s9, v0
	s_lshl_b64 s[4:5], s[4:5], 3
	s_add_u32 s4, s14, s4
	s_addc_u32 s5, s15, s5
	v_add_co_u32 v1, s8, s4, v85
	v_add_co_ci_u32_e64 v2, null, s5, 0, s8
	s_mov_b32 s14, s9
	s_ashr_i32 s15, s9, 31
	v_ashrrev_i32_e32 v10, 31, v9
	flat_load_dwordx2 v[5:6], v[1:2]
	s_lshl_b64 s[14:15], s[14:15], 3
	v_add_nc_u32_e32 v12, s9, v9
	v_add_co_u32 v3, vcc_lo, v1, s14
	v_add_co_ci_u32_e64 v4, null, s15, v2, vcc_lo
	v_ashrrev_i32_e32 v13, 31, v12
	s_bitcmp0_b32 s17, 0
	s_waitcnt vmcnt(0) lgkmcnt(0)
	buffer_store_dword v6, off, s[0:3], 0 offset:4
	buffer_store_dword v5, off, s[0:3], 0
	flat_load_dwordx2 v[7:8], v[3:4]
	v_lshlrev_b64 v[5:6], 3, v[9:10]
	s_waitcnt vmcnt(0) lgkmcnt(0)
	buffer_store_dword v8, off, s[0:3], 0 offset:12
	buffer_store_dword v7, off, s[0:3], 0 offset:8
	v_add_co_u32 v5, vcc_lo, s4, v5
	v_add_co_ci_u32_e64 v6, null, s5, v6, vcc_lo
	v_lshlrev_b64 v[7:8], 3, v[12:13]
	flat_load_dwordx2 v[10:11], v[5:6]
	s_waitcnt vmcnt(0) lgkmcnt(0)
	buffer_store_dword v11, off, s[0:3], 0 offset:20
	buffer_store_dword v10, off, s[0:3], 0 offset:16
	v_add_co_u32 v7, vcc_lo, s4, v7
	v_add_co_ci_u32_e64 v8, null, s5, v8, vcc_lo
	v_add_nc_u32_e32 v11, s9, v12
	flat_load_dwordx2 v[13:14], v[7:8]
	s_waitcnt vmcnt(0) lgkmcnt(0)
	buffer_store_dword v14, off, s[0:3], 0 offset:28
	buffer_store_dword v13, off, s[0:3], 0 offset:24
	v_ashrrev_i32_e32 v12, 31, v11
	v_add_nc_u32_e32 v15, s9, v11
	v_lshlrev_b64 v[9:10], 3, v[11:12]
	v_ashrrev_i32_e32 v16, 31, v15
	v_add_nc_u32_e32 v18, s9, v15
	v_add_co_u32 v9, vcc_lo, s4, v9
	v_add_co_ci_u32_e64 v10, null, s5, v10, vcc_lo
	v_lshlrev_b64 v[11:12], 3, v[15:16]
	v_ashrrev_i32_e32 v19, 31, v18
	flat_load_dwordx2 v[13:14], v[9:10]
	s_waitcnt vmcnt(0) lgkmcnt(0)
	buffer_store_dword v14, off, s[0:3], 0 offset:36
	buffer_store_dword v13, off, s[0:3], 0 offset:32
	v_add_co_u32 v11, vcc_lo, s4, v11
	v_add_co_ci_u32_e64 v12, null, s5, v12, vcc_lo
	v_lshlrev_b64 v[13:14], 3, v[18:19]
	flat_load_dwordx2 v[16:17], v[11:12]
	s_waitcnt vmcnt(0) lgkmcnt(0)
	buffer_store_dword v17, off, s[0:3], 0 offset:44
	buffer_store_dword v16, off, s[0:3], 0 offset:40
	v_add_co_u32 v13, vcc_lo, s4, v13
	v_add_co_ci_u32_e64 v14, null, s5, v14, vcc_lo
	v_add_nc_u32_e32 v17, s9, v18
	flat_load_dwordx2 v[19:20], v[13:14]
	s_waitcnt vmcnt(0) lgkmcnt(0)
	buffer_store_dword v20, off, s[0:3], 0 offset:52
	buffer_store_dword v19, off, s[0:3], 0 offset:48
	v_ashrrev_i32_e32 v18, 31, v17
	v_add_nc_u32_e32 v21, s9, v17
	v_lshlrev_b64 v[15:16], 3, v[17:18]
	v_ashrrev_i32_e32 v22, 31, v21
	v_add_nc_u32_e32 v24, s9, v21
	v_add_co_u32 v15, vcc_lo, s4, v15
	v_add_co_ci_u32_e64 v16, null, s5, v16, vcc_lo
	v_lshlrev_b64 v[17:18], 3, v[21:22]
	v_ashrrev_i32_e32 v25, 31, v24
	flat_load_dwordx2 v[19:20], v[15:16]
	;; [unrolled: 27-line block ×11, first 2 shown]
	s_waitcnt vmcnt(0) lgkmcnt(0)
	buffer_store_dword v74, off, s[0:3], 0 offset:276
	buffer_store_dword v73, off, s[0:3], 0 offset:272
	v_add_co_u32 v71, vcc_lo, s4, v71
	v_add_co_ci_u32_e64 v72, null, s5, v72, vcc_lo
	v_lshlrev_b64 v[73:74], 3, v[78:79]
	flat_load_dwordx2 v[76:77], v[71:72]
	s_waitcnt vmcnt(0) lgkmcnt(0)
	buffer_store_dword v77, off, s[0:3], 0 offset:284
	buffer_store_dword v76, off, s[0:3], 0 offset:280
	v_add_co_u32 v73, vcc_lo, s4, v73
	v_add_co_ci_u32_e64 v74, null, s5, v74, vcc_lo
	v_add_nc_u32_e32 v77, s9, v78
	flat_load_dwordx2 v[79:80], v[73:74]
	s_waitcnt vmcnt(0) lgkmcnt(0)
	buffer_store_dword v80, off, s[0:3], 0 offset:292
	buffer_store_dword v79, off, s[0:3], 0 offset:288
	v_ashrrev_i32_e32 v78, 31, v77
	v_add_nc_u32_e32 v81, s9, v77
	v_lshlrev_b64 v[75:76], 3, v[77:78]
	v_ashrrev_i32_e32 v82, 31, v81
	v_add_nc_u32_e32 v86, s9, v81
	v_add_co_u32 v75, vcc_lo, s4, v75
	v_add_co_ci_u32_e64 v76, null, s5, v76, vcc_lo
	v_lshlrev_b64 v[77:78], 3, v[81:82]
	v_ashrrev_i32_e32 v87, 31, v86
	v_add_nc_u32_e32 v81, s9, v86
	flat_load_dwordx2 v[79:80], v[75:76]
	s_waitcnt vmcnt(0) lgkmcnt(0)
	buffer_store_dword v80, off, s[0:3], 0 offset:300
	buffer_store_dword v79, off, s[0:3], 0 offset:296
	v_add_co_u32 v77, vcc_lo, s4, v77
	v_add_co_ci_u32_e64 v78, null, s5, v78, vcc_lo
	v_lshlrev_b64 v[79:80], 3, v[86:87]
	flat_load_dwordx2 v[82:83], v[77:78]
	s_waitcnt vmcnt(0) lgkmcnt(0)
	buffer_store_dword v83, off, s[0:3], 0 offset:308
	buffer_store_dword v82, off, s[0:3], 0 offset:304
	v_add_co_u32 v79, vcc_lo, s4, v79
	v_add_co_ci_u32_e64 v80, null, s5, v80, vcc_lo
	v_ashrrev_i32_e32 v82, 31, v81
	flat_load_dwordx2 v[83:84], v[79:80]
	s_waitcnt vmcnt(0) lgkmcnt(0)
	buffer_store_dword v84, off, s[0:3], 0 offset:316
	buffer_store_dword v83, off, s[0:3], 0 offset:312
	v_lshlrev_b64 v[81:82], 3, v[81:82]
	v_add_co_u32 v81, vcc_lo, s4, v81
	v_add_co_ci_u32_e64 v82, null, s5, v82, vcc_lo
	s_mov_b32 s5, -1
	flat_load_dwordx2 v[83:84], v[81:82]
	s_waitcnt vmcnt(0) lgkmcnt(0)
	buffer_store_dword v84, off, s[0:3], 0 offset:324
	buffer_store_dword v83, off, s[0:3], 0 offset:320
	s_cbranch_scc1 .LBB104_172
; %bb.4:
	v_cmp_eq_u32_e64 s4, 0, v0
	s_and_saveexec_b32 s5, s4
; %bb.5:
	v_mov_b32_e32 v83, 0
	ds_write_b32 v83, v83 offset:328
; %bb.6:
	s_or_b32 exec_lo, exec_lo, s5
	v_lshl_add_u32 v83, v0, 3, 0
	s_waitcnt lgkmcnt(0)
	s_waitcnt_vscnt null, 0x0
	s_barrier
	buffer_gl0_inv
	s_mov_b32 s8, exec_lo
	s_clause 0x1
	buffer_load_dword v86, v83, s[0:3], 0 offen
	buffer_load_dword v87, v83, s[0:3], 0 offen offset:4
	s_waitcnt vmcnt(0)
	v_cmpx_eq_f64_e32 0, v[86:87]
	s_cbranch_execz .LBB104_10
; %bb.7:
	v_mov_b32_e32 v84, 0
	s_mov_b32 s9, 0
	ds_read_b32 v86, v84 offset:328
	s_waitcnt lgkmcnt(0)
	v_readfirstlane_b32 s5, v86
	v_add_nc_u32_e32 v86, 1, v0
	s_cmp_eq_u32 s5, 0
	v_cmp_gt_i32_e32 vcc_lo, s5, v86
	s_cselect_b32 s14, -1, 0
	s_or_b32 s14, s14, vcc_lo
	s_and_b32 exec_lo, exec_lo, s14
	s_cbranch_execz .LBB104_10
; %bb.8:
	v_mov_b32_e32 v87, s5
.LBB104_9:                              ; =>This Inner Loop Header: Depth=1
	ds_cmpst_rtn_b32 v87, v84, v87, v86 offset:328
	s_waitcnt lgkmcnt(0)
	v_cmp_ne_u32_e32 vcc_lo, 0, v87
	v_cmp_le_i32_e64 s5, v87, v86
	s_and_b32 s5, vcc_lo, s5
	s_and_b32 s5, exec_lo, s5
	s_or_b32 s9, s5, s9
	s_andn2_b32 exec_lo, exec_lo, s9
	s_cbranch_execnz .LBB104_9
.LBB104_10:
	s_or_b32 exec_lo, exec_lo, s8
	v_mov_b32_e32 v84, 0
	s_barrier
	buffer_gl0_inv
	ds_read_b32 v86, v84 offset:328
	s_and_saveexec_b32 s5, s4
	s_cbranch_execz .LBB104_12
; %bb.11:
	s_lshl_b64 s[8:9], s[6:7], 2
	s_add_u32 s8, s10, s8
	s_addc_u32 s9, s11, s9
	s_waitcnt lgkmcnt(0)
	global_store_dword v84, v86, s[8:9]
.LBB104_12:
	s_or_b32 exec_lo, exec_lo, s5
	s_waitcnt lgkmcnt(0)
	v_cmp_ne_u32_e32 vcc_lo, 0, v86
	s_mov_b32 s5, 0
	s_cbranch_vccnz .LBB104_172
; %bb.13:
	s_clause 0x1
	buffer_load_dword v86, v83, s[0:3], 0 offen
	buffer_load_dword v87, v83, s[0:3], 0 offen offset:4
	s_waitcnt vmcnt(0)
	v_div_scale_f64 v[88:89], null, v[86:87], v[86:87], 1.0
	v_div_scale_f64 v[94:95], vcc_lo, 1.0, v[86:87], 1.0
	v_rcp_f64_e32 v[90:91], v[88:89]
	v_fma_f64 v[92:93], -v[88:89], v[90:91], 1.0
	v_fma_f64 v[90:91], v[90:91], v[92:93], v[90:91]
	v_fma_f64 v[92:93], -v[88:89], v[90:91], 1.0
	v_fma_f64 v[90:91], v[90:91], v[92:93], v[90:91]
	v_mul_f64 v[92:93], v[94:95], v[90:91]
	v_fma_f64 v[88:89], -v[88:89], v[92:93], v[94:95]
	v_div_fmas_f64 v[88:89], v[88:89], v[90:91], v[92:93]
	v_div_fixup_f64 v[87:88], v[88:89], v[86:87], 1.0
	v_add_nc_u32_e32 v86, 0x150, v85
	buffer_store_dword v88, v83, s[0:3], 0 offen offset:4
	buffer_store_dword v87, v83, s[0:3], 0 offen
	s_clause 0x1
	buffer_load_dword v90, off, s[0:3], 0 offset:12
	buffer_load_dword v89, off, s[0:3], 0 offset:8
	v_xor_b32_e32 v88, 0x80000000, v88
	s_waitcnt vmcnt(0)
	ds_write2_b64 v85, v[87:88], v[89:90] offset1:42
	s_waitcnt lgkmcnt(0)
	s_waitcnt_vscnt null, 0x0
	s_barrier
	buffer_gl0_inv
	s_and_saveexec_b32 s5, s4
	s_cbranch_execz .LBB104_15
; %bb.14:
	s_clause 0x1
	buffer_load_dword v87, v83, s[0:3], 0 offen
	buffer_load_dword v88, v83, s[0:3], 0 offen offset:4
	ds_read_b64 v[89:90], v86
	v_mov_b32_e32 v84, 0
	ds_read_b64 v[91:92], v84 offset:8
	s_waitcnt vmcnt(0) lgkmcnt(1)
	v_fma_f64 v[87:88], v[87:88], v[89:90], 0
	s_waitcnt lgkmcnt(0)
	v_mul_f64 v[87:88], v[87:88], v[91:92]
	buffer_store_dword v87, off, s[0:3], 0 offset:8
	buffer_store_dword v88, off, s[0:3], 0 offset:12
.LBB104_15:
	s_or_b32 exec_lo, exec_lo, s5
	s_waitcnt_vscnt null, 0x0
	s_barrier
	buffer_gl0_inv
	s_clause 0x1
	buffer_load_dword v87, off, s[0:3], 0 offset:16
	buffer_load_dword v88, off, s[0:3], 0 offset:20
	s_mov_b32 s5, exec_lo
	s_waitcnt vmcnt(0)
	ds_write_b64 v86, v[87:88]
	s_waitcnt lgkmcnt(0)
	s_barrier
	buffer_gl0_inv
	v_cmpx_gt_u32_e32 2, v0
	s_cbranch_execz .LBB104_19
; %bb.16:
	s_clause 0x1
	buffer_load_dword v87, v83, s[0:3], 0 offen
	buffer_load_dword v88, v83, s[0:3], 0 offen offset:4
	ds_read_b64 v[83:84], v86
	s_waitcnt vmcnt(0) lgkmcnt(0)
	v_fma_f64 v[83:84], v[87:88], v[83:84], 0
	s_and_saveexec_b32 s8, s4
	s_cbranch_execz .LBB104_18
; %bb.17:
	s_clause 0x1
	buffer_load_dword v87, off, s[0:3], 0 offset:8
	buffer_load_dword v88, off, s[0:3], 0 offset:12
	v_mov_b32_e32 v89, 0
	ds_read_b64 v[89:90], v89 offset:344
	s_waitcnt vmcnt(0) lgkmcnt(0)
	v_fma_f64 v[83:84], v[87:88], v[89:90], v[83:84]
.LBB104_18:
	s_or_b32 exec_lo, exec_lo, s8
	v_mov_b32_e32 v87, 0
	ds_read_b64 v[87:88], v87 offset:16
	s_waitcnt lgkmcnt(0)
	v_mul_f64 v[83:84], v[83:84], v[87:88]
	buffer_store_dword v84, off, s[0:3], 0 offset:20
	buffer_store_dword v83, off, s[0:3], 0 offset:16
.LBB104_19:
	s_or_b32 exec_lo, exec_lo, s5
	s_waitcnt_vscnt null, 0x0
	s_barrier
	buffer_gl0_inv
	s_clause 0x1
	buffer_load_dword v83, off, s[0:3], 0 offset:24
	buffer_load_dword v84, off, s[0:3], 0 offset:28
	v_add_nc_u32_e32 v87, -1, v0
	s_mov_b32 s4, exec_lo
	s_waitcnt vmcnt(0)
	ds_write_b64 v86, v[83:84]
	s_waitcnt lgkmcnt(0)
	s_barrier
	buffer_gl0_inv
	v_cmpx_gt_u32_e32 3, v0
	s_cbranch_execz .LBB104_23
; %bb.20:
	v_mov_b32_e32 v83, 0
	v_add_nc_u32_e32 v88, -1, v0
	v_add_nc_u32_e32 v89, 0x150, v85
	v_mov_b32_e32 v84, 0
	v_mov_b32_e32 v90, v85
	s_mov_b32 s5, 0
.LBB104_21:                             ; =>This Inner Loop Header: Depth=1
	s_clause 0x1
	buffer_load_dword v91, v90, s[0:3], 0 offen
	buffer_load_dword v92, v90, s[0:3], 0 offen offset:4
	ds_read_b64 v[93:94], v89
	v_add_nc_u32_e32 v88, 1, v88
	v_add_nc_u32_e32 v89, 8, v89
	v_add_nc_u32_e32 v90, 8, v90
	v_cmp_lt_u32_e32 vcc_lo, 1, v88
	s_or_b32 s5, vcc_lo, s5
	s_waitcnt vmcnt(0) lgkmcnt(0)
	v_fma_f64 v[83:84], v[91:92], v[93:94], v[83:84]
	s_andn2_b32 exec_lo, exec_lo, s5
	s_cbranch_execnz .LBB104_21
; %bb.22:
	s_or_b32 exec_lo, exec_lo, s5
	v_mov_b32_e32 v88, 0
	ds_read_b64 v[88:89], v88 offset:24
	s_waitcnt lgkmcnt(0)
	v_mul_f64 v[83:84], v[83:84], v[88:89]
	buffer_store_dword v84, off, s[0:3], 0 offset:28
	buffer_store_dword v83, off, s[0:3], 0 offset:24
.LBB104_23:
	s_or_b32 exec_lo, exec_lo, s4
	s_waitcnt_vscnt null, 0x0
	s_barrier
	buffer_gl0_inv
	s_clause 0x1
	buffer_load_dword v83, off, s[0:3], 0 offset:32
	buffer_load_dword v84, off, s[0:3], 0 offset:36
	s_mov_b32 s4, exec_lo
	s_waitcnt vmcnt(0)
	ds_write_b64 v86, v[83:84]
	s_waitcnt lgkmcnt(0)
	s_barrier
	buffer_gl0_inv
	v_cmpx_gt_u32_e32 4, v0
	s_cbranch_execz .LBB104_27
; %bb.24:
	v_mov_b32_e32 v83, 0
	v_add_nc_u32_e32 v88, -1, v0
	v_add_nc_u32_e32 v89, 0x150, v85
	v_mov_b32_e32 v84, 0
	v_mov_b32_e32 v90, v85
	s_mov_b32 s5, 0
.LBB104_25:                             ; =>This Inner Loop Header: Depth=1
	s_clause 0x1
	buffer_load_dword v91, v90, s[0:3], 0 offen
	buffer_load_dword v92, v90, s[0:3], 0 offen offset:4
	ds_read_b64 v[93:94], v89
	v_add_nc_u32_e32 v88, 1, v88
	v_add_nc_u32_e32 v89, 8, v89
	v_add_nc_u32_e32 v90, 8, v90
	v_cmp_lt_u32_e32 vcc_lo, 2, v88
	s_or_b32 s5, vcc_lo, s5
	s_waitcnt vmcnt(0) lgkmcnt(0)
	v_fma_f64 v[83:84], v[91:92], v[93:94], v[83:84]
	s_andn2_b32 exec_lo, exec_lo, s5
	s_cbranch_execnz .LBB104_25
; %bb.26:
	s_or_b32 exec_lo, exec_lo, s5
	v_mov_b32_e32 v88, 0
	ds_read_b64 v[88:89], v88 offset:32
	s_waitcnt lgkmcnt(0)
	v_mul_f64 v[83:84], v[83:84], v[88:89]
	buffer_store_dword v84, off, s[0:3], 0 offset:36
	buffer_store_dword v83, off, s[0:3], 0 offset:32
.LBB104_27:
	s_or_b32 exec_lo, exec_lo, s4
	s_waitcnt_vscnt null, 0x0
	s_barrier
	buffer_gl0_inv
	s_clause 0x1
	buffer_load_dword v83, off, s[0:3], 0 offset:40
	buffer_load_dword v84, off, s[0:3], 0 offset:44
	;; [unrolled: 45-line block ×20, first 2 shown]
	s_mov_b32 s4, exec_lo
	s_waitcnt vmcnt(0)
	ds_write_b64 v86, v[83:84]
	s_waitcnt lgkmcnt(0)
	s_barrier
	buffer_gl0_inv
	v_cmpx_gt_u32_e32 23, v0
	s_cbranch_execz .LBB104_103
; %bb.100:
	v_mov_b32_e32 v83, 0
	v_add_nc_u32_e32 v88, -1, v0
	v_add_nc_u32_e32 v89, 0x150, v85
	v_mov_b32_e32 v84, 0
	v_mov_b32_e32 v90, v85
	s_mov_b32 s5, 0
.LBB104_101:                            ; =>This Inner Loop Header: Depth=1
	s_clause 0x1
	buffer_load_dword v91, v90, s[0:3], 0 offen
	buffer_load_dword v92, v90, s[0:3], 0 offen offset:4
	ds_read_b64 v[93:94], v89
	v_add_nc_u32_e32 v88, 1, v88
	v_add_nc_u32_e32 v89, 8, v89
	v_add_nc_u32_e32 v90, 8, v90
	v_cmp_lt_u32_e32 vcc_lo, 21, v88
	s_or_b32 s5, vcc_lo, s5
	s_waitcnt vmcnt(0) lgkmcnt(0)
	v_fma_f64 v[83:84], v[91:92], v[93:94], v[83:84]
	s_andn2_b32 exec_lo, exec_lo, s5
	s_cbranch_execnz .LBB104_101
; %bb.102:
	s_or_b32 exec_lo, exec_lo, s5
	v_mov_b32_e32 v88, 0
	ds_read_b64 v[88:89], v88 offset:184
	s_waitcnt lgkmcnt(0)
	v_mul_f64 v[83:84], v[83:84], v[88:89]
	buffer_store_dword v84, off, s[0:3], 0 offset:188
	buffer_store_dword v83, off, s[0:3], 0 offset:184
.LBB104_103:
	s_or_b32 exec_lo, exec_lo, s4
	s_waitcnt_vscnt null, 0x0
	s_barrier
	buffer_gl0_inv
	s_clause 0x1
	buffer_load_dword v83, off, s[0:3], 0 offset:192
	buffer_load_dword v84, off, s[0:3], 0 offset:196
	s_mov_b32 s4, exec_lo
	s_waitcnt vmcnt(0)
	ds_write_b64 v86, v[83:84]
	s_waitcnt lgkmcnt(0)
	s_barrier
	buffer_gl0_inv
	v_cmpx_gt_u32_e32 24, v0
	s_cbranch_execz .LBB104_107
; %bb.104:
	v_mov_b32_e32 v83, 0
	v_add_nc_u32_e32 v88, -1, v0
	v_add_nc_u32_e32 v89, 0x150, v85
	v_mov_b32_e32 v84, 0
	v_mov_b32_e32 v90, v85
	s_mov_b32 s5, 0
.LBB104_105:                            ; =>This Inner Loop Header: Depth=1
	s_clause 0x1
	buffer_load_dword v91, v90, s[0:3], 0 offen
	buffer_load_dword v92, v90, s[0:3], 0 offen offset:4
	ds_read_b64 v[93:94], v89
	v_add_nc_u32_e32 v88, 1, v88
	v_add_nc_u32_e32 v89, 8, v89
	v_add_nc_u32_e32 v90, 8, v90
	v_cmp_lt_u32_e32 vcc_lo, 22, v88
	s_or_b32 s5, vcc_lo, s5
	s_waitcnt vmcnt(0) lgkmcnt(0)
	v_fma_f64 v[83:84], v[91:92], v[93:94], v[83:84]
	s_andn2_b32 exec_lo, exec_lo, s5
	s_cbranch_execnz .LBB104_105
; %bb.106:
	s_or_b32 exec_lo, exec_lo, s5
	v_mov_b32_e32 v88, 0
	ds_read_b64 v[88:89], v88 offset:192
	s_waitcnt lgkmcnt(0)
	v_mul_f64 v[83:84], v[83:84], v[88:89]
	buffer_store_dword v84, off, s[0:3], 0 offset:196
	buffer_store_dword v83, off, s[0:3], 0 offset:192
.LBB104_107:
	s_or_b32 exec_lo, exec_lo, s4
	s_waitcnt_vscnt null, 0x0
	s_barrier
	buffer_gl0_inv
	s_clause 0x1
	buffer_load_dword v83, off, s[0:3], 0 offset:200
	buffer_load_dword v84, off, s[0:3], 0 offset:204
	;; [unrolled: 45-line block ×17, first 2 shown]
	s_mov_b32 s4, exec_lo
	s_waitcnt vmcnt(0)
	ds_write_b64 v86, v[83:84]
	s_waitcnt lgkmcnt(0)
	s_barrier
	buffer_gl0_inv
	v_cmpx_ne_u32_e32 40, v0
	s_cbranch_execz .LBB104_171
; %bb.168:
	v_mov_b32_e32 v83, 0
	v_mov_b32_e32 v84, 0
	s_mov_b32 s5, 0
.LBB104_169:                            ; =>This Inner Loop Header: Depth=1
	s_clause 0x1
	buffer_load_dword v88, v85, s[0:3], 0 offen
	buffer_load_dword v89, v85, s[0:3], 0 offen offset:4
	ds_read_b64 v[90:91], v86
	v_add_nc_u32_e32 v87, 1, v87
	v_add_nc_u32_e32 v86, 8, v86
	v_add_nc_u32_e32 v85, 8, v85
	v_cmp_lt_u32_e32 vcc_lo, 38, v87
	s_or_b32 s5, vcc_lo, s5
	s_waitcnt vmcnt(0) lgkmcnt(0)
	v_fma_f64 v[83:84], v[88:89], v[90:91], v[83:84]
	s_andn2_b32 exec_lo, exec_lo, s5
	s_cbranch_execnz .LBB104_169
; %bb.170:
	s_or_b32 exec_lo, exec_lo, s5
	v_mov_b32_e32 v85, 0
	ds_read_b64 v[85:86], v85 offset:320
	s_waitcnt lgkmcnt(0)
	v_mul_f64 v[83:84], v[83:84], v[85:86]
	buffer_store_dword v84, off, s[0:3], 0 offset:324
	buffer_store_dword v83, off, s[0:3], 0 offset:320
.LBB104_171:
	s_or_b32 exec_lo, exec_lo, s4
	s_mov_b32 s5, -1
	s_waitcnt_vscnt null, 0x0
	s_barrier
	buffer_gl0_inv
.LBB104_172:
	s_and_b32 vcc_lo, exec_lo, s5
	s_cbranch_vccz .LBB104_174
; %bb.173:
	s_lshl_b64 s[4:5], s[6:7], 2
	v_mov_b32_e32 v83, 0
	s_add_u32 s4, s10, s4
	s_addc_u32 s5, s11, s5
	global_load_dword v83, v83, s[4:5]
	s_waitcnt vmcnt(0)
	v_cmp_ne_u32_e32 vcc_lo, 0, v83
	s_cbranch_vccz .LBB104_175
.LBB104_174:
	s_endpgm
.LBB104_175:
	v_lshl_add_u32 v83, v0, 3, 0x150
	s_mov_b32 s4, exec_lo
	v_cmpx_eq_u32_e32 40, v0
	s_cbranch_execz .LBB104_177
; %bb.176:
	s_clause 0x1
	buffer_load_dword v84, off, s[0:3], 0 offset:312
	buffer_load_dword v85, off, s[0:3], 0 offset:316
	v_mov_b32_e32 v86, 0
	buffer_store_dword v86, off, s[0:3], 0 offset:312
	buffer_store_dword v86, off, s[0:3], 0 offset:316
	s_waitcnt vmcnt(0)
	ds_write_b64 v83, v[84:85]
.LBB104_177:
	s_or_b32 exec_lo, exec_lo, s4
	s_waitcnt lgkmcnt(0)
	s_waitcnt_vscnt null, 0x0
	s_barrier
	buffer_gl0_inv
	s_clause 0x3
	buffer_load_dword v85, off, s[0:3], 0 offset:320
	buffer_load_dword v86, off, s[0:3], 0 offset:324
	;; [unrolled: 1-line block ×4, first 2 shown]
	v_mov_b32_e32 v84, 0
	s_mov_b32 s4, exec_lo
	ds_read_b64 v[89:90], v84 offset:656
	s_waitcnt vmcnt(2) lgkmcnt(0)
	v_fma_f64 v[85:86], v[85:86], v[89:90], 0
	s_waitcnt vmcnt(0)
	v_add_f64 v[85:86], v[87:88], -v[85:86]
	buffer_store_dword v85, off, s[0:3], 0 offset:312
	buffer_store_dword v86, off, s[0:3], 0 offset:316
	v_cmpx_lt_u32_e32 38, v0
	s_cbranch_execz .LBB104_179
; %bb.178:
	s_clause 0x1
	buffer_load_dword v85, off, s[0:3], 0 offset:304
	buffer_load_dword v86, off, s[0:3], 0 offset:308
	buffer_store_dword v84, off, s[0:3], 0 offset:304
	buffer_store_dword v84, off, s[0:3], 0 offset:308
	s_waitcnt vmcnt(0)
	ds_write_b64 v83, v[85:86]
.LBB104_179:
	s_or_b32 exec_lo, exec_lo, s4
	s_waitcnt lgkmcnt(0)
	s_waitcnt_vscnt null, 0x0
	s_barrier
	buffer_gl0_inv
	s_clause 0x5
	buffer_load_dword v88, off, s[0:3], 0 offset:312
	buffer_load_dword v89, off, s[0:3], 0 offset:316
	;; [unrolled: 1-line block ×6, first 2 shown]
	ds_read2_b64 v[84:87], v84 offset0:81 offset1:82
	s_mov_b32 s4, exec_lo
	s_waitcnt vmcnt(4) lgkmcnt(0)
	v_fma_f64 v[84:85], v[88:89], v[84:85], 0
	s_waitcnt vmcnt(2)
	v_fma_f64 v[84:85], v[90:91], v[86:87], v[84:85]
	s_waitcnt vmcnt(0)
	v_add_f64 v[84:85], v[92:93], -v[84:85]
	buffer_store_dword v84, off, s[0:3], 0 offset:304
	buffer_store_dword v85, off, s[0:3], 0 offset:308
	v_cmpx_lt_u32_e32 37, v0
	s_cbranch_execz .LBB104_181
; %bb.180:
	s_clause 0x1
	buffer_load_dword v84, off, s[0:3], 0 offset:296
	buffer_load_dword v85, off, s[0:3], 0 offset:300
	v_mov_b32_e32 v86, 0
	buffer_store_dword v86, off, s[0:3], 0 offset:296
	buffer_store_dword v86, off, s[0:3], 0 offset:300
	s_waitcnt vmcnt(0)
	ds_write_b64 v83, v[84:85]
.LBB104_181:
	s_or_b32 exec_lo, exec_lo, s4
	s_waitcnt lgkmcnt(0)
	s_waitcnt_vscnt null, 0x0
	s_barrier
	buffer_gl0_inv
	s_clause 0x7
	buffer_load_dword v89, off, s[0:3], 0 offset:304
	buffer_load_dword v90, off, s[0:3], 0 offset:308
	buffer_load_dword v91, off, s[0:3], 0 offset:312
	buffer_load_dword v92, off, s[0:3], 0 offset:316
	buffer_load_dword v93, off, s[0:3], 0 offset:320
	buffer_load_dword v94, off, s[0:3], 0 offset:324
	buffer_load_dword v95, off, s[0:3], 0 offset:296
	buffer_load_dword v96, off, s[0:3], 0 offset:300
	v_mov_b32_e32 v84, 0
	ds_read_b128 v[85:88], v84 offset:640
	ds_read_b64 v[97:98], v84 offset:656
	s_mov_b32 s4, exec_lo
	s_waitcnt vmcnt(6) lgkmcnt(1)
	v_fma_f64 v[85:86], v[89:90], v[85:86], 0
	s_waitcnt vmcnt(4)
	v_fma_f64 v[85:86], v[91:92], v[87:88], v[85:86]
	s_waitcnt vmcnt(2) lgkmcnt(0)
	v_fma_f64 v[85:86], v[93:94], v[97:98], v[85:86]
	s_waitcnt vmcnt(0)
	v_add_f64 v[85:86], v[95:96], -v[85:86]
	buffer_store_dword v85, off, s[0:3], 0 offset:296
	buffer_store_dword v86, off, s[0:3], 0 offset:300
	v_cmpx_lt_u32_e32 36, v0
	s_cbranch_execz .LBB104_183
; %bb.182:
	s_clause 0x1
	buffer_load_dword v85, off, s[0:3], 0 offset:288
	buffer_load_dword v86, off, s[0:3], 0 offset:292
	buffer_store_dword v84, off, s[0:3], 0 offset:288
	buffer_store_dword v84, off, s[0:3], 0 offset:292
	s_waitcnt vmcnt(0)
	ds_write_b64 v83, v[85:86]
.LBB104_183:
	s_or_b32 exec_lo, exec_lo, s4
	s_waitcnt lgkmcnt(0)
	s_waitcnt_vscnt null, 0x0
	s_barrier
	buffer_gl0_inv
	s_clause 0x9
	buffer_load_dword v93, off, s[0:3], 0 offset:296
	buffer_load_dword v94, off, s[0:3], 0 offset:300
	;; [unrolled: 1-line block ×10, first 2 shown]
	ds_read2_b64 v[85:88], v84 offset0:79 offset1:80
	ds_read2_b64 v[89:92], v84 offset0:81 offset1:82
	s_mov_b32 s4, exec_lo
	s_waitcnt vmcnt(8) lgkmcnt(1)
	v_fma_f64 v[84:85], v[93:94], v[85:86], 0
	s_waitcnt vmcnt(6)
	v_fma_f64 v[84:85], v[95:96], v[87:88], v[84:85]
	s_waitcnt vmcnt(4) lgkmcnt(0)
	v_fma_f64 v[84:85], v[97:98], v[89:90], v[84:85]
	s_waitcnt vmcnt(2)
	v_fma_f64 v[84:85], v[99:100], v[91:92], v[84:85]
	s_waitcnt vmcnt(0)
	v_add_f64 v[84:85], v[101:102], -v[84:85]
	buffer_store_dword v84, off, s[0:3], 0 offset:288
	buffer_store_dword v85, off, s[0:3], 0 offset:292
	v_cmpx_lt_u32_e32 35, v0
	s_cbranch_execz .LBB104_185
; %bb.184:
	s_clause 0x1
	buffer_load_dword v84, off, s[0:3], 0 offset:280
	buffer_load_dword v85, off, s[0:3], 0 offset:284
	v_mov_b32_e32 v86, 0
	buffer_store_dword v86, off, s[0:3], 0 offset:280
	buffer_store_dword v86, off, s[0:3], 0 offset:284
	s_waitcnt vmcnt(0)
	ds_write_b64 v83, v[84:85]
.LBB104_185:
	s_or_b32 exec_lo, exec_lo, s4
	s_waitcnt lgkmcnt(0)
	s_waitcnt_vscnt null, 0x0
	s_barrier
	buffer_gl0_inv
	s_clause 0xb
	buffer_load_dword v93, off, s[0:3], 0 offset:288
	buffer_load_dword v94, off, s[0:3], 0 offset:292
	;; [unrolled: 1-line block ×12, first 2 shown]
	v_mov_b32_e32 v84, 0
	ds_read_b128 v[85:88], v84 offset:624
	ds_read_b128 v[89:92], v84 offset:640
	s_mov_b32 s4, exec_lo
	s_waitcnt vmcnt(10) lgkmcnt(1)
	v_fma_f64 v[85:86], v[93:94], v[85:86], 0
	s_waitcnt vmcnt(8)
	v_fma_f64 v[85:86], v[95:96], v[87:88], v[85:86]
	ds_read_b64 v[87:88], v84 offset:656
	s_waitcnt vmcnt(6) lgkmcnt(1)
	v_fma_f64 v[85:86], v[97:98], v[89:90], v[85:86]
	s_waitcnt vmcnt(4)
	v_fma_f64 v[85:86], v[99:100], v[91:92], v[85:86]
	s_waitcnt vmcnt(2) lgkmcnt(0)
	v_fma_f64 v[85:86], v[101:102], v[87:88], v[85:86]
	s_waitcnt vmcnt(0)
	v_add_f64 v[85:86], v[103:104], -v[85:86]
	buffer_store_dword v85, off, s[0:3], 0 offset:280
	buffer_store_dword v86, off, s[0:3], 0 offset:284
	v_cmpx_lt_u32_e32 34, v0
	s_cbranch_execz .LBB104_187
; %bb.186:
	s_clause 0x1
	buffer_load_dword v85, off, s[0:3], 0 offset:272
	buffer_load_dword v86, off, s[0:3], 0 offset:276
	buffer_store_dword v84, off, s[0:3], 0 offset:272
	buffer_store_dword v84, off, s[0:3], 0 offset:276
	s_waitcnt vmcnt(0)
	ds_write_b64 v83, v[85:86]
.LBB104_187:
	s_or_b32 exec_lo, exec_lo, s4
	s_waitcnt lgkmcnt(0)
	s_waitcnt_vscnt null, 0x0
	s_barrier
	buffer_gl0_inv
	s_clause 0xd
	buffer_load_dword v93, off, s[0:3], 0 offset:280
	buffer_load_dword v94, off, s[0:3], 0 offset:284
	;; [unrolled: 1-line block ×14, first 2 shown]
	ds_read2_b64 v[85:88], v84 offset0:77 offset1:78
	ds_read2_b64 v[89:92], v84 offset0:79 offset1:80
	s_mov_b32 s4, exec_lo
	s_waitcnt vmcnt(12) lgkmcnt(1)
	v_fma_f64 v[85:86], v[93:94], v[85:86], 0
	s_waitcnt vmcnt(10)
	v_fma_f64 v[85:86], v[95:96], v[87:88], v[85:86]
	s_waitcnt vmcnt(8) lgkmcnt(0)
	v_fma_f64 v[85:86], v[97:98], v[89:90], v[85:86]
	s_waitcnt vmcnt(6)
	v_fma_f64 v[88:89], v[99:100], v[91:92], v[85:86]
	ds_read2_b64 v[84:87], v84 offset0:81 offset1:82
	s_waitcnt vmcnt(4) lgkmcnt(0)
	v_fma_f64 v[84:85], v[101:102], v[84:85], v[88:89]
	s_waitcnt vmcnt(2)
	v_fma_f64 v[84:85], v[103:104], v[86:87], v[84:85]
	s_waitcnt vmcnt(0)
	v_add_f64 v[84:85], v[105:106], -v[84:85]
	buffer_store_dword v84, off, s[0:3], 0 offset:272
	buffer_store_dword v85, off, s[0:3], 0 offset:276
	v_cmpx_lt_u32_e32 33, v0
	s_cbranch_execz .LBB104_189
; %bb.188:
	s_clause 0x1
	buffer_load_dword v84, off, s[0:3], 0 offset:264
	buffer_load_dword v85, off, s[0:3], 0 offset:268
	v_mov_b32_e32 v86, 0
	buffer_store_dword v86, off, s[0:3], 0 offset:264
	buffer_store_dword v86, off, s[0:3], 0 offset:268
	s_waitcnt vmcnt(0)
	ds_write_b64 v83, v[84:85]
.LBB104_189:
	s_or_b32 exec_lo, exec_lo, s4
	s_waitcnt lgkmcnt(0)
	s_waitcnt_vscnt null, 0x0
	s_barrier
	buffer_gl0_inv
	s_clause 0xf
	buffer_load_dword v93, off, s[0:3], 0 offset:272
	buffer_load_dword v94, off, s[0:3], 0 offset:276
	;; [unrolled: 1-line block ×16, first 2 shown]
	v_mov_b32_e32 v84, 0
	ds_read_b128 v[85:88], v84 offset:608
	ds_read_b128 v[89:92], v84 offset:624
	s_mov_b32 s4, exec_lo
	s_waitcnt vmcnt(14) lgkmcnt(1)
	v_fma_f64 v[85:86], v[93:94], v[85:86], 0
	s_waitcnt vmcnt(12)
	v_fma_f64 v[85:86], v[95:96], v[87:88], v[85:86]
	s_waitcnt vmcnt(10) lgkmcnt(0)
	v_fma_f64 v[85:86], v[97:98], v[89:90], v[85:86]
	s_waitcnt vmcnt(8)
	v_fma_f64 v[89:90], v[99:100], v[91:92], v[85:86]
	ds_read_b128 v[85:88], v84 offset:640
	ds_read_b64 v[91:92], v84 offset:656
	s_waitcnt vmcnt(6) lgkmcnt(1)
	v_fma_f64 v[85:86], v[101:102], v[85:86], v[89:90]
	s_waitcnt vmcnt(4)
	v_fma_f64 v[85:86], v[103:104], v[87:88], v[85:86]
	s_waitcnt vmcnt(2) lgkmcnt(0)
	v_fma_f64 v[85:86], v[105:106], v[91:92], v[85:86]
	s_waitcnt vmcnt(0)
	v_add_f64 v[85:86], v[107:108], -v[85:86]
	buffer_store_dword v85, off, s[0:3], 0 offset:264
	buffer_store_dword v86, off, s[0:3], 0 offset:268
	v_cmpx_lt_u32_e32 32, v0
	s_cbranch_execz .LBB104_191
; %bb.190:
	s_clause 0x1
	buffer_load_dword v85, off, s[0:3], 0 offset:256
	buffer_load_dword v86, off, s[0:3], 0 offset:260
	buffer_store_dword v84, off, s[0:3], 0 offset:256
	buffer_store_dword v84, off, s[0:3], 0 offset:260
	s_waitcnt vmcnt(0)
	ds_write_b64 v83, v[85:86]
.LBB104_191:
	s_or_b32 exec_lo, exec_lo, s4
	s_waitcnt lgkmcnt(0)
	s_waitcnt_vscnt null, 0x0
	s_barrier
	buffer_gl0_inv
	s_clause 0x11
	buffer_load_dword v89, off, s[0:3], 0 offset:264
	buffer_load_dword v90, off, s[0:3], 0 offset:268
	;; [unrolled: 1-line block ×18, first 2 shown]
	ds_read2_b64 v[85:88], v84 offset0:75 offset1:76
	s_mov_b32 s4, exec_lo
	s_waitcnt vmcnt(16) lgkmcnt(0)
	v_fma_f64 v[85:86], v[89:90], v[85:86], 0
	s_waitcnt vmcnt(14)
	v_fma_f64 v[89:90], v[91:92], v[87:88], v[85:86]
	ds_read2_b64 v[85:88], v84 offset0:77 offset1:78
	s_waitcnt vmcnt(12) lgkmcnt(0)
	v_fma_f64 v[85:86], v[93:94], v[85:86], v[89:90]
	s_waitcnt vmcnt(10)
	v_fma_f64 v[89:90], v[95:96], v[87:88], v[85:86]
	ds_read2_b64 v[85:88], v84 offset0:79 offset1:80
	s_waitcnt vmcnt(8) lgkmcnt(0)
	v_fma_f64 v[85:86], v[97:98], v[85:86], v[89:90]
	s_waitcnt vmcnt(6)
	v_fma_f64 v[88:89], v[99:100], v[87:88], v[85:86]
	ds_read2_b64 v[84:87], v84 offset0:81 offset1:82
	s_waitcnt vmcnt(4) lgkmcnt(0)
	v_fma_f64 v[84:85], v[101:102], v[84:85], v[88:89]
	s_waitcnt vmcnt(2)
	v_fma_f64 v[84:85], v[103:104], v[86:87], v[84:85]
	s_waitcnt vmcnt(0)
	v_add_f64 v[84:85], v[105:106], -v[84:85]
	buffer_store_dword v84, off, s[0:3], 0 offset:256
	buffer_store_dword v85, off, s[0:3], 0 offset:260
	v_cmpx_lt_u32_e32 31, v0
	s_cbranch_execz .LBB104_193
; %bb.192:
	s_clause 0x1
	buffer_load_dword v84, off, s[0:3], 0 offset:248
	buffer_load_dword v85, off, s[0:3], 0 offset:252
	v_mov_b32_e32 v86, 0
	buffer_store_dword v86, off, s[0:3], 0 offset:248
	buffer_store_dword v86, off, s[0:3], 0 offset:252
	s_waitcnt vmcnt(0)
	ds_write_b64 v83, v[84:85]
.LBB104_193:
	s_or_b32 exec_lo, exec_lo, s4
	s_waitcnt lgkmcnt(0)
	s_waitcnt_vscnt null, 0x0
	s_barrier
	buffer_gl0_inv
	s_clause 0x13
	buffer_load_dword v89, off, s[0:3], 0 offset:256
	buffer_load_dword v90, off, s[0:3], 0 offset:260
	;; [unrolled: 1-line block ×20, first 2 shown]
	v_mov_b32_e32 v84, 0
	s_mov_b32 s4, exec_lo
	ds_read_b128 v[85:88], v84 offset:592
	s_waitcnt vmcnt(18) lgkmcnt(0)
	v_fma_f64 v[85:86], v[89:90], v[85:86], 0
	s_waitcnt vmcnt(16)
	v_fma_f64 v[89:90], v[91:92], v[87:88], v[85:86]
	ds_read_b128 v[85:88], v84 offset:608
	s_waitcnt vmcnt(14) lgkmcnt(0)
	v_fma_f64 v[85:86], v[93:94], v[85:86], v[89:90]
	s_waitcnt vmcnt(12)
	v_fma_f64 v[89:90], v[95:96], v[87:88], v[85:86]
	;; [unrolled: 5-line block ×4, first 2 shown]
	ds_read_b64 v[87:88], v84 offset:656
	s_waitcnt vmcnt(2) lgkmcnt(0)
	v_fma_f64 v[85:86], v[105:106], v[87:88], v[85:86]
	s_waitcnt vmcnt(0)
	v_add_f64 v[85:86], v[107:108], -v[85:86]
	buffer_store_dword v85, off, s[0:3], 0 offset:248
	buffer_store_dword v86, off, s[0:3], 0 offset:252
	v_cmpx_lt_u32_e32 30, v0
	s_cbranch_execz .LBB104_195
; %bb.194:
	s_clause 0x1
	buffer_load_dword v85, off, s[0:3], 0 offset:240
	buffer_load_dword v86, off, s[0:3], 0 offset:244
	buffer_store_dword v84, off, s[0:3], 0 offset:240
	buffer_store_dword v84, off, s[0:3], 0 offset:244
	s_waitcnt vmcnt(0)
	ds_write_b64 v83, v[85:86]
.LBB104_195:
	s_or_b32 exec_lo, exec_lo, s4
	s_waitcnt lgkmcnt(0)
	s_waitcnt_vscnt null, 0x0
	s_barrier
	buffer_gl0_inv
	s_clause 0x15
	buffer_load_dword v89, off, s[0:3], 0 offset:248
	buffer_load_dword v90, off, s[0:3], 0 offset:252
	;; [unrolled: 1-line block ×22, first 2 shown]
	ds_read2_b64 v[85:88], v84 offset0:73 offset1:74
	s_mov_b32 s4, exec_lo
	s_waitcnt vmcnt(20) lgkmcnt(0)
	v_fma_f64 v[85:86], v[89:90], v[85:86], 0
	s_waitcnt vmcnt(18)
	v_fma_f64 v[89:90], v[91:92], v[87:88], v[85:86]
	ds_read2_b64 v[85:88], v84 offset0:75 offset1:76
	s_waitcnt vmcnt(16) lgkmcnt(0)
	v_fma_f64 v[85:86], v[93:94], v[85:86], v[89:90]
	s_waitcnt vmcnt(14)
	v_fma_f64 v[89:90], v[95:96], v[87:88], v[85:86]
	ds_read2_b64 v[85:88], v84 offset0:77 offset1:78
	;; [unrolled: 5-line block ×4, first 2 shown]
	s_waitcnt vmcnt(4) lgkmcnt(0)
	v_fma_f64 v[84:85], v[105:106], v[84:85], v[88:89]
	s_waitcnt vmcnt(2)
	v_fma_f64 v[84:85], v[107:108], v[86:87], v[84:85]
	s_waitcnt vmcnt(0)
	v_add_f64 v[84:85], v[109:110], -v[84:85]
	buffer_store_dword v84, off, s[0:3], 0 offset:240
	buffer_store_dword v85, off, s[0:3], 0 offset:244
	v_cmpx_lt_u32_e32 29, v0
	s_cbranch_execz .LBB104_197
; %bb.196:
	s_clause 0x1
	buffer_load_dword v84, off, s[0:3], 0 offset:232
	buffer_load_dword v85, off, s[0:3], 0 offset:236
	v_mov_b32_e32 v86, 0
	buffer_store_dword v86, off, s[0:3], 0 offset:232
	buffer_store_dword v86, off, s[0:3], 0 offset:236
	s_waitcnt vmcnt(0)
	ds_write_b64 v83, v[84:85]
.LBB104_197:
	s_or_b32 exec_lo, exec_lo, s4
	s_waitcnt lgkmcnt(0)
	s_waitcnt_vscnt null, 0x0
	s_barrier
	buffer_gl0_inv
	s_clause 0x17
	buffer_load_dword v93, off, s[0:3], 0 offset:240
	buffer_load_dword v94, off, s[0:3], 0 offset:244
	;; [unrolled: 1-line block ×24, first 2 shown]
	v_mov_b32_e32 v84, 0
	ds_read_b128 v[85:88], v84 offset:576
	ds_read_b128 v[89:92], v84 offset:592
	s_mov_b32 s4, exec_lo
	s_waitcnt vmcnt(22) lgkmcnt(1)
	v_fma_f64 v[85:86], v[93:94], v[85:86], 0
	s_waitcnt vmcnt(20)
	v_fma_f64 v[85:86], v[95:96], v[87:88], v[85:86]
	s_waitcnt vmcnt(18) lgkmcnt(0)
	v_fma_f64 v[85:86], v[97:98], v[89:90], v[85:86]
	s_waitcnt vmcnt(16)
	v_fma_f64 v[93:94], v[99:100], v[91:92], v[85:86]
	ds_read_b128 v[85:88], v84 offset:608
	ds_read_b128 v[89:92], v84 offset:624
	s_waitcnt vmcnt(14) lgkmcnt(1)
	v_fma_f64 v[85:86], v[101:102], v[85:86], v[93:94]
	s_waitcnt vmcnt(12)
	v_fma_f64 v[85:86], v[103:104], v[87:88], v[85:86]
	s_waitcnt vmcnt(10) lgkmcnt(0)
	v_fma_f64 v[85:86], v[105:106], v[89:90], v[85:86]
	s_waitcnt vmcnt(5)
	v_fma_f64 v[89:90], v[107:108], v[91:92], v[85:86]
	ds_read_b128 v[85:88], v84 offset:640
	ds_read_b64 v[91:92], v84 offset:656
	s_waitcnt vmcnt(4) lgkmcnt(1)
	v_fma_f64 v[85:86], v[113:114], v[85:86], v[89:90]
	s_waitcnt vmcnt(3)
	v_fma_f64 v[85:86], v[111:112], v[87:88], v[85:86]
	s_waitcnt vmcnt(2) lgkmcnt(0)
	v_fma_f64 v[85:86], v[109:110], v[91:92], v[85:86]
	s_waitcnt vmcnt(0)
	v_add_f64 v[85:86], v[115:116], -v[85:86]
	buffer_store_dword v86, off, s[0:3], 0 offset:236
	buffer_store_dword v85, off, s[0:3], 0 offset:232
	v_cmpx_lt_u32_e32 28, v0
	s_cbranch_execz .LBB104_199
; %bb.198:
	s_clause 0x1
	buffer_load_dword v85, off, s[0:3], 0 offset:224
	buffer_load_dword v86, off, s[0:3], 0 offset:228
	buffer_store_dword v84, off, s[0:3], 0 offset:224
	buffer_store_dword v84, off, s[0:3], 0 offset:228
	s_waitcnt vmcnt(0)
	ds_write_b64 v83, v[85:86]
.LBB104_199:
	s_or_b32 exec_lo, exec_lo, s4
	s_waitcnt lgkmcnt(0)
	s_waitcnt_vscnt null, 0x0
	s_barrier
	buffer_gl0_inv
	s_clause 0x19
	buffer_load_dword v93, off, s[0:3], 0 offset:232
	buffer_load_dword v94, off, s[0:3], 0 offset:236
	;; [unrolled: 1-line block ×26, first 2 shown]
	ds_read2_b64 v[85:88], v84 offset0:71 offset1:72
	ds_read2_b64 v[89:92], v84 offset0:73 offset1:74
	s_mov_b32 s4, exec_lo
	s_waitcnt vmcnt(24) lgkmcnt(1)
	v_fma_f64 v[85:86], v[93:94], v[85:86], 0
	s_waitcnt vmcnt(22)
	v_fma_f64 v[85:86], v[95:96], v[87:88], v[85:86]
	s_waitcnt vmcnt(20) lgkmcnt(0)
	v_fma_f64 v[85:86], v[97:98], v[89:90], v[85:86]
	s_waitcnt vmcnt(18)
	v_fma_f64 v[93:94], v[99:100], v[91:92], v[85:86]
	ds_read2_b64 v[85:88], v84 offset0:75 offset1:76
	ds_read2_b64 v[89:92], v84 offset0:77 offset1:78
	s_waitcnt vmcnt(16) lgkmcnt(1)
	v_fma_f64 v[85:86], v[101:102], v[85:86], v[93:94]
	s_waitcnt vmcnt(14)
	v_fma_f64 v[85:86], v[103:104], v[87:88], v[85:86]
	s_waitcnt vmcnt(12) lgkmcnt(0)
	v_fma_f64 v[85:86], v[105:106], v[89:90], v[85:86]
	s_waitcnt vmcnt(7)
	v_fma_f64 v[93:94], v[107:108], v[91:92], v[85:86]
	ds_read2_b64 v[85:88], v84 offset0:79 offset1:80
	ds_read2_b64 v[89:92], v84 offset0:81 offset1:82
	s_waitcnt vmcnt(6) lgkmcnt(1)
	v_fma_f64 v[84:85], v[113:114], v[85:86], v[93:94]
	s_waitcnt vmcnt(5)
	v_fma_f64 v[84:85], v[111:112], v[87:88], v[84:85]
	s_waitcnt vmcnt(4) lgkmcnt(0)
	v_fma_f64 v[84:85], v[109:110], v[89:90], v[84:85]
	s_waitcnt vmcnt(2)
	v_fma_f64 v[84:85], v[115:116], v[91:92], v[84:85]
	s_waitcnt vmcnt(0)
	v_add_f64 v[84:85], v[117:118], -v[84:85]
	buffer_store_dword v85, off, s[0:3], 0 offset:228
	buffer_store_dword v84, off, s[0:3], 0 offset:224
	v_cmpx_lt_u32_e32 27, v0
	s_cbranch_execz .LBB104_201
; %bb.200:
	s_clause 0x1
	buffer_load_dword v84, off, s[0:3], 0 offset:216
	buffer_load_dword v85, off, s[0:3], 0 offset:220
	v_mov_b32_e32 v86, 0
	buffer_store_dword v86, off, s[0:3], 0 offset:216
	buffer_store_dword v86, off, s[0:3], 0 offset:220
	s_waitcnt vmcnt(0)
	ds_write_b64 v83, v[84:85]
.LBB104_201:
	s_or_b32 exec_lo, exec_lo, s4
	s_waitcnt lgkmcnt(0)
	s_waitcnt_vscnt null, 0x0
	s_barrier
	buffer_gl0_inv
	s_clause 0x1b
	buffer_load_dword v93, off, s[0:3], 0 offset:224
	buffer_load_dword v94, off, s[0:3], 0 offset:228
	;; [unrolled: 1-line block ×28, first 2 shown]
	v_mov_b32_e32 v84, 0
	ds_read_b128 v[85:88], v84 offset:560
	ds_read_b128 v[89:92], v84 offset:576
	s_mov_b32 s4, exec_lo
	s_waitcnt vmcnt(26) lgkmcnt(1)
	v_fma_f64 v[85:86], v[93:94], v[85:86], 0
	s_waitcnt vmcnt(24)
	v_fma_f64 v[85:86], v[95:96], v[87:88], v[85:86]
	s_waitcnt vmcnt(22) lgkmcnt(0)
	v_fma_f64 v[85:86], v[97:98], v[89:90], v[85:86]
	s_waitcnt vmcnt(20)
	v_fma_f64 v[93:94], v[99:100], v[91:92], v[85:86]
	ds_read_b128 v[85:88], v84 offset:592
	ds_read_b128 v[89:92], v84 offset:608
	s_waitcnt vmcnt(18) lgkmcnt(1)
	v_fma_f64 v[85:86], v[101:102], v[85:86], v[93:94]
	s_waitcnt vmcnt(16)
	v_fma_f64 v[85:86], v[103:104], v[87:88], v[85:86]
	s_waitcnt vmcnt(14) lgkmcnt(0)
	v_fma_f64 v[85:86], v[105:106], v[89:90], v[85:86]
	s_waitcnt vmcnt(9)
	v_fma_f64 v[93:94], v[107:108], v[91:92], v[85:86]
	ds_read_b128 v[85:88], v84 offset:624
	ds_read_b128 v[89:92], v84 offset:640
	s_waitcnt vmcnt(8) lgkmcnt(1)
	v_fma_f64 v[85:86], v[113:114], v[85:86], v[93:94]
	s_waitcnt vmcnt(7)
	v_fma_f64 v[85:86], v[111:112], v[87:88], v[85:86]
	ds_read_b64 v[87:88], v84 offset:656
	s_waitcnt vmcnt(6) lgkmcnt(1)
	v_fma_f64 v[85:86], v[109:110], v[89:90], v[85:86]
	s_waitcnt vmcnt(3)
	v_fma_f64 v[85:86], v[115:116], v[91:92], v[85:86]
	s_waitcnt vmcnt(2) lgkmcnt(0)
	v_fma_f64 v[85:86], v[117:118], v[87:88], v[85:86]
	s_waitcnt vmcnt(0)
	v_add_f64 v[85:86], v[119:120], -v[85:86]
	buffer_store_dword v86, off, s[0:3], 0 offset:220
	buffer_store_dword v85, off, s[0:3], 0 offset:216
	v_cmpx_lt_u32_e32 26, v0
	s_cbranch_execz .LBB104_203
; %bb.202:
	s_clause 0x1
	buffer_load_dword v85, off, s[0:3], 0 offset:208
	buffer_load_dword v86, off, s[0:3], 0 offset:212
	buffer_store_dword v84, off, s[0:3], 0 offset:208
	buffer_store_dword v84, off, s[0:3], 0 offset:212
	s_waitcnt vmcnt(0)
	ds_write_b64 v83, v[85:86]
.LBB104_203:
	s_or_b32 exec_lo, exec_lo, s4
	s_waitcnt lgkmcnt(0)
	s_waitcnt_vscnt null, 0x0
	s_barrier
	buffer_gl0_inv
	s_clause 0x1b
	buffer_load_dword v93, off, s[0:3], 0 offset:216
	buffer_load_dword v94, off, s[0:3], 0 offset:220
	;; [unrolled: 1-line block ×28, first 2 shown]
	ds_read2_b64 v[85:88], v84 offset0:69 offset1:70
	s_clause 0x1
	buffer_load_dword v121, off, s[0:3], 0 offset:208
	buffer_load_dword v122, off, s[0:3], 0 offset:212
	ds_read2_b64 v[89:92], v84 offset0:71 offset1:72
	s_mov_b32 s4, exec_lo
	s_waitcnt vmcnt(28) lgkmcnt(1)
	v_fma_f64 v[85:86], v[93:94], v[85:86], 0
	s_waitcnt vmcnt(26)
	v_fma_f64 v[85:86], v[95:96], v[87:88], v[85:86]
	s_waitcnt vmcnt(24) lgkmcnt(0)
	v_fma_f64 v[85:86], v[97:98], v[89:90], v[85:86]
	s_waitcnt vmcnt(22)
	v_fma_f64 v[93:94], v[99:100], v[91:92], v[85:86]
	ds_read2_b64 v[85:88], v84 offset0:73 offset1:74
	ds_read2_b64 v[89:92], v84 offset0:75 offset1:76
	s_waitcnt vmcnt(20) lgkmcnt(1)
	v_fma_f64 v[85:86], v[101:102], v[85:86], v[93:94]
	s_waitcnt vmcnt(18)
	v_fma_f64 v[85:86], v[103:104], v[87:88], v[85:86]
	s_waitcnt vmcnt(16) lgkmcnt(0)
	v_fma_f64 v[85:86], v[105:106], v[89:90], v[85:86]
	s_waitcnt vmcnt(11)
	v_fma_f64 v[93:94], v[107:108], v[91:92], v[85:86]
	ds_read2_b64 v[85:88], v84 offset0:77 offset1:78
	ds_read2_b64 v[89:92], v84 offset0:79 offset1:80
	s_waitcnt vmcnt(10) lgkmcnt(1)
	v_fma_f64 v[85:86], v[113:114], v[85:86], v[93:94]
	s_waitcnt vmcnt(9)
	v_fma_f64 v[85:86], v[111:112], v[87:88], v[85:86]
	s_waitcnt vmcnt(8) lgkmcnt(0)
	v_fma_f64 v[85:86], v[109:110], v[89:90], v[85:86]
	s_waitcnt vmcnt(4)
	v_fma_f64 v[88:89], v[115:116], v[91:92], v[85:86]
	ds_read2_b64 v[84:87], v84 offset0:81 offset1:82
	s_waitcnt vmcnt(3) lgkmcnt(0)
	v_fma_f64 v[84:85], v[119:120], v[84:85], v[88:89]
	s_waitcnt vmcnt(2)
	v_fma_f64 v[84:85], v[117:118], v[86:87], v[84:85]
	s_waitcnt vmcnt(0)
	v_add_f64 v[84:85], v[121:122], -v[84:85]
	buffer_store_dword v85, off, s[0:3], 0 offset:212
	buffer_store_dword v84, off, s[0:3], 0 offset:208
	v_cmpx_lt_u32_e32 25, v0
	s_cbranch_execz .LBB104_205
; %bb.204:
	s_clause 0x1
	buffer_load_dword v84, off, s[0:3], 0 offset:200
	buffer_load_dword v85, off, s[0:3], 0 offset:204
	v_mov_b32_e32 v86, 0
	buffer_store_dword v86, off, s[0:3], 0 offset:200
	buffer_store_dword v86, off, s[0:3], 0 offset:204
	s_waitcnt vmcnt(0)
	ds_write_b64 v83, v[84:85]
.LBB104_205:
	s_or_b32 exec_lo, exec_lo, s4
	s_waitcnt lgkmcnt(0)
	s_waitcnt_vscnt null, 0x0
	s_barrier
	buffer_gl0_inv
	s_clause 0x1c
	buffer_load_dword v93, off, s[0:3], 0 offset:208
	buffer_load_dword v94, off, s[0:3], 0 offset:212
	;; [unrolled: 1-line block ×29, first 2 shown]
	v_mov_b32_e32 v84, 0
	buffer_load_dword v118, off, s[0:3], 0 offset:324
	s_mov_b32 s4, exec_lo
	ds_read_b128 v[85:88], v84 offset:544
	ds_read_b128 v[89:92], v84 offset:560
	s_waitcnt vmcnt(28) lgkmcnt(1)
	v_fma_f64 v[85:86], v[93:94], v[85:86], 0
	s_clause 0x1
	buffer_load_dword v93, off, s[0:3], 0 offset:200
	buffer_load_dword v94, off, s[0:3], 0 offset:204
	s_waitcnt vmcnt(28)
	v_fma_f64 v[85:86], v[95:96], v[87:88], v[85:86]
	s_waitcnt vmcnt(26) lgkmcnt(0)
	v_fma_f64 v[85:86], v[97:98], v[89:90], v[85:86]
	s_waitcnt vmcnt(24)
	v_fma_f64 v[95:96], v[99:100], v[91:92], v[85:86]
	ds_read_b128 v[85:88], v84 offset:576
	ds_read_b128 v[89:92], v84 offset:592
	s_waitcnt vmcnt(22) lgkmcnt(1)
	v_fma_f64 v[85:86], v[101:102], v[85:86], v[95:96]
	s_waitcnt vmcnt(20)
	v_fma_f64 v[85:86], v[103:104], v[87:88], v[85:86]
	s_waitcnt vmcnt(18) lgkmcnt(0)
	v_fma_f64 v[85:86], v[105:106], v[89:90], v[85:86]
	s_waitcnt vmcnt(13)
	v_fma_f64 v[95:96], v[107:108], v[91:92], v[85:86]
	ds_read_b128 v[85:88], v84 offset:608
	ds_read_b128 v[89:92], v84 offset:624
	s_waitcnt vmcnt(12) lgkmcnt(1)
	v_fma_f64 v[85:86], v[113:114], v[85:86], v[95:96]
	s_waitcnt vmcnt(11)
	v_fma_f64 v[85:86], v[111:112], v[87:88], v[85:86]
	s_waitcnt vmcnt(10) lgkmcnt(0)
	v_fma_f64 v[85:86], v[109:110], v[89:90], v[85:86]
	s_waitcnt vmcnt(5)
	v_fma_f64 v[89:90], v[115:116], v[91:92], v[85:86]
	ds_read_b128 v[85:88], v84 offset:640
	ds_read_b64 v[91:92], v84 offset:656
	s_waitcnt vmcnt(4) lgkmcnt(1)
	v_fma_f64 v[85:86], v[121:122], v[85:86], v[89:90]
	s_waitcnt vmcnt(3)
	v_fma_f64 v[85:86], v[119:120], v[87:88], v[85:86]
	s_waitcnt vmcnt(2) lgkmcnt(0)
	v_fma_f64 v[85:86], v[117:118], v[91:92], v[85:86]
	s_waitcnt vmcnt(0)
	v_add_f64 v[85:86], v[93:94], -v[85:86]
	buffer_store_dword v86, off, s[0:3], 0 offset:204
	buffer_store_dword v85, off, s[0:3], 0 offset:200
	v_cmpx_lt_u32_e32 24, v0
	s_cbranch_execz .LBB104_207
; %bb.206:
	s_clause 0x1
	buffer_load_dword v85, off, s[0:3], 0 offset:192
	buffer_load_dword v86, off, s[0:3], 0 offset:196
	buffer_store_dword v84, off, s[0:3], 0 offset:192
	buffer_store_dword v84, off, s[0:3], 0 offset:196
	s_waitcnt vmcnt(0)
	ds_write_b64 v83, v[85:86]
.LBB104_207:
	s_or_b32 exec_lo, exec_lo, s4
	s_waitcnt lgkmcnt(0)
	s_waitcnt_vscnt null, 0x0
	s_barrier
	buffer_gl0_inv
	s_clause 0x1c
	buffer_load_dword v93, off, s[0:3], 0 offset:200
	buffer_load_dword v94, off, s[0:3], 0 offset:204
	;; [unrolled: 1-line block ×29, first 2 shown]
	ds_read2_b64 v[85:88], v84 offset0:67 offset1:68
	ds_read2_b64 v[89:92], v84 offset0:69 offset1:70
	buffer_load_dword v118, off, s[0:3], 0 offset:316
	s_mov_b32 s4, exec_lo
	s_waitcnt vmcnt(28) lgkmcnt(1)
	v_fma_f64 v[85:86], v[93:94], v[85:86], 0
	s_clause 0x1
	buffer_load_dword v94, off, s[0:3], 0 offset:324
	buffer_load_dword v93, off, s[0:3], 0 offset:320
	s_waitcnt vmcnt(28)
	v_fma_f64 v[85:86], v[95:96], v[87:88], v[85:86]
	s_clause 0x1
	buffer_load_dword v95, off, s[0:3], 0 offset:192
	buffer_load_dword v96, off, s[0:3], 0 offset:196
	s_waitcnt vmcnt(28) lgkmcnt(0)
	v_fma_f64 v[85:86], v[97:98], v[89:90], v[85:86]
	s_waitcnt vmcnt(26)
	v_fma_f64 v[97:98], v[99:100], v[91:92], v[85:86]
	ds_read2_b64 v[85:88], v84 offset0:71 offset1:72
	ds_read2_b64 v[89:92], v84 offset0:73 offset1:74
	s_waitcnt vmcnt(24) lgkmcnt(1)
	v_fma_f64 v[85:86], v[101:102], v[85:86], v[97:98]
	s_waitcnt vmcnt(22)
	v_fma_f64 v[85:86], v[103:104], v[87:88], v[85:86]
	s_waitcnt vmcnt(20) lgkmcnt(0)
	v_fma_f64 v[85:86], v[105:106], v[89:90], v[85:86]
	s_waitcnt vmcnt(15)
	v_fma_f64 v[97:98], v[107:108], v[91:92], v[85:86]
	ds_read2_b64 v[85:88], v84 offset0:75 offset1:76
	ds_read2_b64 v[89:92], v84 offset0:77 offset1:78
	s_waitcnt vmcnt(14) lgkmcnt(1)
	v_fma_f64 v[85:86], v[113:114], v[85:86], v[97:98]
	s_waitcnt vmcnt(13)
	v_fma_f64 v[85:86], v[111:112], v[87:88], v[85:86]
	;; [unrolled: 10-line block ×3, first 2 shown]
	s_waitcnt vmcnt(4) lgkmcnt(0)
	v_fma_f64 v[84:85], v[117:118], v[89:90], v[84:85]
	s_waitcnt vmcnt(2)
	v_fma_f64 v[84:85], v[93:94], v[91:92], v[84:85]
	s_waitcnt vmcnt(0)
	v_add_f64 v[84:85], v[95:96], -v[84:85]
	buffer_store_dword v85, off, s[0:3], 0 offset:196
	buffer_store_dword v84, off, s[0:3], 0 offset:192
	v_cmpx_lt_u32_e32 23, v0
	s_cbranch_execz .LBB104_209
; %bb.208:
	s_clause 0x1
	buffer_load_dword v84, off, s[0:3], 0 offset:184
	buffer_load_dword v85, off, s[0:3], 0 offset:188
	v_mov_b32_e32 v86, 0
	buffer_store_dword v86, off, s[0:3], 0 offset:184
	buffer_store_dword v86, off, s[0:3], 0 offset:188
	s_waitcnt vmcnt(0)
	ds_write_b64 v83, v[84:85]
.LBB104_209:
	s_or_b32 exec_lo, exec_lo, s4
	s_waitcnt lgkmcnt(0)
	s_waitcnt_vscnt null, 0x0
	s_barrier
	buffer_gl0_inv
	s_clause 0x1c
	buffer_load_dword v93, off, s[0:3], 0 offset:192
	buffer_load_dword v94, off, s[0:3], 0 offset:196
	;; [unrolled: 1-line block ×29, first 2 shown]
	v_mov_b32_e32 v84, 0
	buffer_load_dword v118, off, s[0:3], 0 offset:308
	s_mov_b32 s4, exec_lo
	ds_read_b128 v[85:88], v84 offset:528
	ds_read_b128 v[89:92], v84 offset:544
	s_waitcnt vmcnt(28) lgkmcnt(1)
	v_fma_f64 v[85:86], v[93:94], v[85:86], 0
	s_clause 0x3
	buffer_load_dword v94, off, s[0:3], 0 offset:316
	buffer_load_dword v123, off, s[0:3], 0 offset:320
	;; [unrolled: 1-line block ×4, first 2 shown]
	s_waitcnt vmcnt(30)
	v_fma_f64 v[85:86], v[95:96], v[87:88], v[85:86]
	s_clause 0x1
	buffer_load_dword v95, off, s[0:3], 0 offset:184
	buffer_load_dword v96, off, s[0:3], 0 offset:188
	s_waitcnt vmcnt(30) lgkmcnt(0)
	v_fma_f64 v[85:86], v[97:98], v[89:90], v[85:86]
	s_waitcnt vmcnt(28)
	v_fma_f64 v[97:98], v[99:100], v[91:92], v[85:86]
	ds_read_b128 v[85:88], v84 offset:560
	ds_read_b128 v[89:92], v84 offset:576
	s_waitcnt vmcnt(26) lgkmcnt(1)
	v_fma_f64 v[85:86], v[101:102], v[85:86], v[97:98]
	s_waitcnt vmcnt(24)
	v_fma_f64 v[85:86], v[103:104], v[87:88], v[85:86]
	s_waitcnt vmcnt(22) lgkmcnt(0)
	v_fma_f64 v[85:86], v[105:106], v[89:90], v[85:86]
	s_waitcnt vmcnt(17)
	v_fma_f64 v[97:98], v[107:108], v[91:92], v[85:86]
	ds_read_b128 v[85:88], v84 offset:592
	ds_read_b128 v[89:92], v84 offset:608
	s_waitcnt vmcnt(16) lgkmcnt(1)
	v_fma_f64 v[85:86], v[113:114], v[85:86], v[97:98]
	s_waitcnt vmcnt(15)
	v_fma_f64 v[85:86], v[111:112], v[87:88], v[85:86]
	;; [unrolled: 10-line block ×3, first 2 shown]
	ds_read_b64 v[87:88], v84 offset:656
	s_waitcnt vmcnt(6) lgkmcnt(1)
	v_fma_f64 v[85:86], v[117:118], v[89:90], v[85:86]
	s_waitcnt vmcnt(3)
	v_fma_f64 v[85:86], v[93:94], v[91:92], v[85:86]
	s_waitcnt vmcnt(2) lgkmcnt(0)
	v_fma_f64 v[85:86], v[123:124], v[87:88], v[85:86]
	s_waitcnt vmcnt(0)
	v_add_f64 v[85:86], v[95:96], -v[85:86]
	buffer_store_dword v86, off, s[0:3], 0 offset:188
	buffer_store_dword v85, off, s[0:3], 0 offset:184
	v_cmpx_lt_u32_e32 22, v0
	s_cbranch_execz .LBB104_211
; %bb.210:
	s_clause 0x1
	buffer_load_dword v85, off, s[0:3], 0 offset:176
	buffer_load_dword v86, off, s[0:3], 0 offset:180
	buffer_store_dword v84, off, s[0:3], 0 offset:176
	buffer_store_dword v84, off, s[0:3], 0 offset:180
	s_waitcnt vmcnt(0)
	ds_write_b64 v83, v[85:86]
.LBB104_211:
	s_or_b32 exec_lo, exec_lo, s4
	s_waitcnt lgkmcnt(0)
	s_waitcnt_vscnt null, 0x0
	s_barrier
	buffer_gl0_inv
	s_clause 0x1c
	buffer_load_dword v93, off, s[0:3], 0 offset:184
	buffer_load_dword v94, off, s[0:3], 0 offset:188
	;; [unrolled: 1-line block ×29, first 2 shown]
	ds_read2_b64 v[85:88], v84 offset0:65 offset1:66
	ds_read2_b64 v[89:92], v84 offset0:67 offset1:68
	buffer_load_dword v118, off, s[0:3], 0 offset:300
	s_mov_b32 s4, exec_lo
	s_waitcnt vmcnt(28) lgkmcnt(1)
	v_fma_f64 v[85:86], v[93:94], v[85:86], 0
	s_clause 0x5
	buffer_load_dword v94, off, s[0:3], 0 offset:308
	buffer_load_dword v123, off, s[0:3], 0 offset:320
	;; [unrolled: 1-line block ×6, first 2 shown]
	s_waitcnt vmcnt(32)
	v_fma_f64 v[85:86], v[95:96], v[87:88], v[85:86]
	s_waitcnt vmcnt(30) lgkmcnt(0)
	v_fma_f64 v[85:86], v[97:98], v[89:90], v[85:86]
	s_waitcnt vmcnt(28)
	v_fma_f64 v[95:96], v[99:100], v[91:92], v[85:86]
	ds_read2_b64 v[85:88], v84 offset0:69 offset1:70
	s_clause 0x1
	buffer_load_dword v97, off, s[0:3], 0 offset:176
	buffer_load_dword v98, off, s[0:3], 0 offset:180
	ds_read2_b64 v[89:92], v84 offset0:71 offset1:72
	s_waitcnt vmcnt(28) lgkmcnt(1)
	v_fma_f64 v[85:86], v[101:102], v[85:86], v[95:96]
	s_waitcnt vmcnt(26)
	v_fma_f64 v[85:86], v[103:104], v[87:88], v[85:86]
	s_waitcnt vmcnt(24) lgkmcnt(0)
	v_fma_f64 v[85:86], v[105:106], v[89:90], v[85:86]
	s_waitcnt vmcnt(19)
	v_fma_f64 v[95:96], v[107:108], v[91:92], v[85:86]
	ds_read2_b64 v[85:88], v84 offset0:73 offset1:74
	ds_read2_b64 v[89:92], v84 offset0:75 offset1:76
	s_waitcnt vmcnt(18) lgkmcnt(1)
	v_fma_f64 v[85:86], v[113:114], v[85:86], v[95:96]
	s_waitcnt vmcnt(17)
	v_fma_f64 v[85:86], v[111:112], v[87:88], v[85:86]
	s_waitcnt vmcnt(16) lgkmcnt(0)
	v_fma_f64 v[85:86], v[109:110], v[89:90], v[85:86]
	s_waitcnt vmcnt(11)
	v_fma_f64 v[95:96], v[115:116], v[91:92], v[85:86]
	ds_read2_b64 v[85:88], v84 offset0:77 offset1:78
	;; [unrolled: 10-line block ×3, first 2 shown]
	s_waitcnt vmcnt(3) lgkmcnt(0)
	v_fma_f64 v[84:85], v[125:126], v[84:85], v[88:89]
	s_waitcnt vmcnt(2)
	v_fma_f64 v[84:85], v[123:124], v[86:87], v[84:85]
	s_waitcnt vmcnt(0)
	v_add_f64 v[84:85], v[97:98], -v[84:85]
	buffer_store_dword v85, off, s[0:3], 0 offset:180
	buffer_store_dword v84, off, s[0:3], 0 offset:176
	v_cmpx_lt_u32_e32 21, v0
	s_cbranch_execz .LBB104_213
; %bb.212:
	s_clause 0x1
	buffer_load_dword v84, off, s[0:3], 0 offset:168
	buffer_load_dword v85, off, s[0:3], 0 offset:172
	v_mov_b32_e32 v86, 0
	buffer_store_dword v86, off, s[0:3], 0 offset:168
	buffer_store_dword v86, off, s[0:3], 0 offset:172
	s_waitcnt vmcnt(0)
	ds_write_b64 v83, v[84:85]
.LBB104_213:
	s_or_b32 exec_lo, exec_lo, s4
	s_waitcnt lgkmcnt(0)
	s_waitcnt_vscnt null, 0x0
	s_barrier
	buffer_gl0_inv
	s_clause 0x1c
	buffer_load_dword v93, off, s[0:3], 0 offset:176
	buffer_load_dword v94, off, s[0:3], 0 offset:180
	buffer_load_dword v95, off, s[0:3], 0 offset:184
	buffer_load_dword v96, off, s[0:3], 0 offset:188
	buffer_load_dword v97, off, s[0:3], 0 offset:192
	buffer_load_dword v98, off, s[0:3], 0 offset:196
	buffer_load_dword v99, off, s[0:3], 0 offset:200
	buffer_load_dword v100, off, s[0:3], 0 offset:204
	buffer_load_dword v101, off, s[0:3], 0 offset:208
	buffer_load_dword v102, off, s[0:3], 0 offset:212
	buffer_load_dword v103, off, s[0:3], 0 offset:216
	buffer_load_dword v104, off, s[0:3], 0 offset:220
	buffer_load_dword v105, off, s[0:3], 0 offset:224
	buffer_load_dword v106, off, s[0:3], 0 offset:228
	buffer_load_dword v108, off, s[0:3], 0 offset:236
	buffer_load_dword v109, off, s[0:3], 0 offset:256
	buffer_load_dword v111, off, s[0:3], 0 offset:248
	buffer_load_dword v113, off, s[0:3], 0 offset:240
	buffer_load_dword v107, off, s[0:3], 0 offset:232
	buffer_load_dword v114, off, s[0:3], 0 offset:244
	buffer_load_dword v112, off, s[0:3], 0 offset:252
	buffer_load_dword v110, off, s[0:3], 0 offset:260
	buffer_load_dword v116, off, s[0:3], 0 offset:268
	buffer_load_dword v117, off, s[0:3], 0 offset:288
	buffer_load_dword v119, off, s[0:3], 0 offset:280
	buffer_load_dword v121, off, s[0:3], 0 offset:272
	buffer_load_dword v115, off, s[0:3], 0 offset:264
	buffer_load_dword v122, off, s[0:3], 0 offset:276
	buffer_load_dword v120, off, s[0:3], 0 offset:284
	v_mov_b32_e32 v84, 0
	buffer_load_dword v118, off, s[0:3], 0 offset:292
	s_mov_b32 s4, exec_lo
	ds_read_b128 v[85:88], v84 offset:512
	ds_read_b128 v[89:92], v84 offset:528
	s_waitcnt vmcnt(28) lgkmcnt(1)
	v_fma_f64 v[85:86], v[93:94], v[85:86], 0
	s_clause 0x7
	buffer_load_dword v94, off, s[0:3], 0 offset:300
	buffer_load_dword v123, off, s[0:3], 0 offset:320
	;; [unrolled: 1-line block ×8, first 2 shown]
	s_waitcnt vmcnt(34)
	v_fma_f64 v[85:86], v[95:96], v[87:88], v[85:86]
	s_waitcnt vmcnt(32) lgkmcnt(0)
	v_fma_f64 v[85:86], v[97:98], v[89:90], v[85:86]
	s_waitcnt vmcnt(30)
	v_fma_f64 v[95:96], v[99:100], v[91:92], v[85:86]
	ds_read_b128 v[85:88], v84 offset:544
	ds_read_b128 v[89:92], v84 offset:560
	s_waitcnt vmcnt(28) lgkmcnt(1)
	v_fma_f64 v[85:86], v[101:102], v[85:86], v[95:96]
	s_clause 0x1
	buffer_load_dword v95, off, s[0:3], 0 offset:168
	buffer_load_dword v96, off, s[0:3], 0 offset:172
	s_waitcnt vmcnt(28)
	v_fma_f64 v[85:86], v[103:104], v[87:88], v[85:86]
	s_waitcnt vmcnt(26) lgkmcnt(0)
	v_fma_f64 v[85:86], v[105:106], v[89:90], v[85:86]
	s_waitcnt vmcnt(21)
	v_fma_f64 v[97:98], v[107:108], v[91:92], v[85:86]
	ds_read_b128 v[85:88], v84 offset:576
	ds_read_b128 v[89:92], v84 offset:592
	s_waitcnt vmcnt(20) lgkmcnt(1)
	v_fma_f64 v[85:86], v[113:114], v[85:86], v[97:98]
	s_waitcnt vmcnt(19)
	v_fma_f64 v[85:86], v[111:112], v[87:88], v[85:86]
	s_waitcnt vmcnt(18) lgkmcnt(0)
	v_fma_f64 v[85:86], v[109:110], v[89:90], v[85:86]
	s_waitcnt vmcnt(13)
	v_fma_f64 v[97:98], v[115:116], v[91:92], v[85:86]
	ds_read_b128 v[85:88], v84 offset:608
	ds_read_b128 v[89:92], v84 offset:624
	s_waitcnt vmcnt(12) lgkmcnt(1)
	v_fma_f64 v[85:86], v[121:122], v[85:86], v[97:98]
	s_waitcnt vmcnt(11)
	v_fma_f64 v[85:86], v[119:120], v[87:88], v[85:86]
	s_waitcnt vmcnt(10) lgkmcnt(0)
	v_fma_f64 v[85:86], v[117:118], v[89:90], v[85:86]
	s_waitcnt vmcnt(5)
	v_fma_f64 v[89:90], v[93:94], v[91:92], v[85:86]
	ds_read_b128 v[85:88], v84 offset:640
	ds_read_b64 v[91:92], v84 offset:656
	s_waitcnt vmcnt(4) lgkmcnt(1)
	v_fma_f64 v[85:86], v[127:128], v[85:86], v[89:90]
	s_waitcnt vmcnt(3)
	v_fma_f64 v[85:86], v[125:126], v[87:88], v[85:86]
	s_waitcnt vmcnt(2) lgkmcnt(0)
	v_fma_f64 v[85:86], v[123:124], v[91:92], v[85:86]
	s_waitcnt vmcnt(0)
	v_add_f64 v[85:86], v[95:96], -v[85:86]
	buffer_store_dword v86, off, s[0:3], 0 offset:172
	buffer_store_dword v85, off, s[0:3], 0 offset:168
	v_cmpx_lt_u32_e32 20, v0
	s_cbranch_execz .LBB104_215
; %bb.214:
	s_clause 0x1
	buffer_load_dword v85, off, s[0:3], 0 offset:160
	buffer_load_dword v86, off, s[0:3], 0 offset:164
	buffer_store_dword v84, off, s[0:3], 0 offset:160
	buffer_store_dword v84, off, s[0:3], 0 offset:164
	s_waitcnt vmcnt(0)
	ds_write_b64 v83, v[85:86]
.LBB104_215:
	s_or_b32 exec_lo, exec_lo, s4
	s_waitcnt lgkmcnt(0)
	s_waitcnt_vscnt null, 0x0
	s_barrier
	buffer_gl0_inv
	s_clause 0x1c
	buffer_load_dword v93, off, s[0:3], 0 offset:168
	buffer_load_dword v94, off, s[0:3], 0 offset:172
	buffer_load_dword v95, off, s[0:3], 0 offset:176
	buffer_load_dword v96, off, s[0:3], 0 offset:180
	buffer_load_dword v97, off, s[0:3], 0 offset:184
	buffer_load_dword v98, off, s[0:3], 0 offset:188
	buffer_load_dword v99, off, s[0:3], 0 offset:192
	buffer_load_dword v100, off, s[0:3], 0 offset:196
	buffer_load_dword v101, off, s[0:3], 0 offset:200
	buffer_load_dword v102, off, s[0:3], 0 offset:204
	buffer_load_dword v103, off, s[0:3], 0 offset:208
	buffer_load_dword v104, off, s[0:3], 0 offset:212
	buffer_load_dword v105, off, s[0:3], 0 offset:216
	buffer_load_dword v106, off, s[0:3], 0 offset:220
	buffer_load_dword v108, off, s[0:3], 0 offset:228
	buffer_load_dword v109, off, s[0:3], 0 offset:248
	buffer_load_dword v111, off, s[0:3], 0 offset:240
	buffer_load_dword v113, off, s[0:3], 0 offset:232
	buffer_load_dword v107, off, s[0:3], 0 offset:224
	buffer_load_dword v114, off, s[0:3], 0 offset:236
	buffer_load_dword v112, off, s[0:3], 0 offset:244
	buffer_load_dword v110, off, s[0:3], 0 offset:252
	buffer_load_dword v116, off, s[0:3], 0 offset:260
	buffer_load_dword v117, off, s[0:3], 0 offset:280
	buffer_load_dword v119, off, s[0:3], 0 offset:272
	buffer_load_dword v121, off, s[0:3], 0 offset:264
	buffer_load_dword v115, off, s[0:3], 0 offset:256
	buffer_load_dword v122, off, s[0:3], 0 offset:268
	buffer_load_dword v120, off, s[0:3], 0 offset:276
	ds_read2_b64 v[85:88], v84 offset0:63 offset1:64
	ds_read2_b64 v[89:92], v84 offset0:65 offset1:66
	buffer_load_dword v118, off, s[0:3], 0 offset:284
	s_mov_b32 s4, exec_lo
	s_waitcnt vmcnt(28) lgkmcnt(1)
	v_fma_f64 v[85:86], v[93:94], v[85:86], 0
	s_clause 0x7
	buffer_load_dword v94, off, s[0:3], 0 offset:292
	buffer_load_dword v123, off, s[0:3], 0 offset:312
	;; [unrolled: 1-line block ×8, first 2 shown]
	s_waitcnt vmcnt(34)
	v_fma_f64 v[85:86], v[95:96], v[87:88], v[85:86]
	s_waitcnt vmcnt(32) lgkmcnt(0)
	v_fma_f64 v[85:86], v[97:98], v[89:90], v[85:86]
	s_waitcnt vmcnt(30)
	v_fma_f64 v[95:96], v[99:100], v[91:92], v[85:86]
	ds_read2_b64 v[85:88], v84 offset0:67 offset1:68
	ds_read2_b64 v[89:92], v84 offset0:69 offset1:70
	s_waitcnt vmcnt(28) lgkmcnt(1)
	v_fma_f64 v[85:86], v[101:102], v[85:86], v[95:96]
	s_clause 0x3
	buffer_load_dword v96, off, s[0:3], 0 offset:324
	buffer_load_dword v95, off, s[0:3], 0 offset:320
	buffer_load_dword v97, off, s[0:3], 0 offset:160
	buffer_load_dword v98, off, s[0:3], 0 offset:164
	s_waitcnt vmcnt(30)
	v_fma_f64 v[85:86], v[103:104], v[87:88], v[85:86]
	s_waitcnt vmcnt(28) lgkmcnt(0)
	v_fma_f64 v[85:86], v[105:106], v[89:90], v[85:86]
	s_waitcnt vmcnt(23)
	v_fma_f64 v[99:100], v[107:108], v[91:92], v[85:86]
	ds_read2_b64 v[85:88], v84 offset0:71 offset1:72
	ds_read2_b64 v[89:92], v84 offset0:73 offset1:74
	s_waitcnt vmcnt(22) lgkmcnt(1)
	v_fma_f64 v[85:86], v[113:114], v[85:86], v[99:100]
	s_waitcnt vmcnt(21)
	v_fma_f64 v[85:86], v[111:112], v[87:88], v[85:86]
	s_waitcnt vmcnt(20) lgkmcnt(0)
	v_fma_f64 v[85:86], v[109:110], v[89:90], v[85:86]
	s_waitcnt vmcnt(15)
	v_fma_f64 v[99:100], v[115:116], v[91:92], v[85:86]
	ds_read2_b64 v[85:88], v84 offset0:75 offset1:76
	ds_read2_b64 v[89:92], v84 offset0:77 offset1:78
	s_waitcnt vmcnt(14) lgkmcnt(1)
	v_fma_f64 v[85:86], v[121:122], v[85:86], v[99:100]
	;; [unrolled: 10-line block ×3, first 2 shown]
	s_waitcnt vmcnt(5)
	v_fma_f64 v[84:85], v[125:126], v[87:88], v[84:85]
	s_waitcnt vmcnt(4) lgkmcnt(0)
	v_fma_f64 v[84:85], v[123:124], v[89:90], v[84:85]
	s_waitcnt vmcnt(2)
	v_fma_f64 v[84:85], v[95:96], v[91:92], v[84:85]
	s_waitcnt vmcnt(0)
	v_add_f64 v[84:85], v[97:98], -v[84:85]
	buffer_store_dword v85, off, s[0:3], 0 offset:164
	buffer_store_dword v84, off, s[0:3], 0 offset:160
	v_cmpx_lt_u32_e32 19, v0
	s_cbranch_execz .LBB104_217
; %bb.216:
	s_clause 0x1
	buffer_load_dword v84, off, s[0:3], 0 offset:152
	buffer_load_dword v85, off, s[0:3], 0 offset:156
	v_mov_b32_e32 v86, 0
	buffer_store_dword v86, off, s[0:3], 0 offset:152
	buffer_store_dword v86, off, s[0:3], 0 offset:156
	s_waitcnt vmcnt(0)
	ds_write_b64 v83, v[84:85]
.LBB104_217:
	s_or_b32 exec_lo, exec_lo, s4
	s_waitcnt lgkmcnt(0)
	s_waitcnt_vscnt null, 0x0
	s_barrier
	buffer_gl0_inv
	s_clause 0x1c
	buffer_load_dword v93, off, s[0:3], 0 offset:160
	buffer_load_dword v94, off, s[0:3], 0 offset:164
	;; [unrolled: 1-line block ×29, first 2 shown]
	v_mov_b32_e32 v84, 0
	buffer_load_dword v118, off, s[0:3], 0 offset:276
	s_mov_b32 s4, exec_lo
	ds_read_b128 v[85:88], v84 offset:496
	ds_read_b128 v[89:92], v84 offset:512
	s_waitcnt vmcnt(28) lgkmcnt(1)
	v_fma_f64 v[85:86], v[93:94], v[85:86], 0
	s_clause 0x7
	buffer_load_dword v94, off, s[0:3], 0 offset:284
	buffer_load_dword v123, off, s[0:3], 0 offset:304
	;; [unrolled: 1-line block ×8, first 2 shown]
	s_waitcnt vmcnt(34)
	v_fma_f64 v[85:86], v[95:96], v[87:88], v[85:86]
	s_waitcnt vmcnt(32) lgkmcnt(0)
	v_fma_f64 v[85:86], v[97:98], v[89:90], v[85:86]
	s_waitcnt vmcnt(30)
	v_fma_f64 v[95:96], v[99:100], v[91:92], v[85:86]
	ds_read_b128 v[85:88], v84 offset:528
	ds_read_b128 v[89:92], v84 offset:544
	s_waitcnt vmcnt(28) lgkmcnt(1)
	v_fma_f64 v[85:86], v[101:102], v[85:86], v[95:96]
	s_clause 0x5
	buffer_load_dword v96, off, s[0:3], 0 offset:316
	buffer_load_dword v97, off, s[0:3], 0 offset:320
	;; [unrolled: 1-line block ×6, first 2 shown]
	s_waitcnt vmcnt(32)
	v_fma_f64 v[85:86], v[103:104], v[87:88], v[85:86]
	s_waitcnt vmcnt(30) lgkmcnt(0)
	v_fma_f64 v[85:86], v[105:106], v[89:90], v[85:86]
	s_waitcnt vmcnt(25)
	v_fma_f64 v[101:102], v[107:108], v[91:92], v[85:86]
	ds_read_b128 v[85:88], v84 offset:560
	ds_read_b128 v[89:92], v84 offset:576
	s_waitcnt vmcnt(24) lgkmcnt(1)
	v_fma_f64 v[85:86], v[113:114], v[85:86], v[101:102]
	s_waitcnt vmcnt(23)
	v_fma_f64 v[85:86], v[111:112], v[87:88], v[85:86]
	s_waitcnt vmcnt(22) lgkmcnt(0)
	v_fma_f64 v[85:86], v[109:110], v[89:90], v[85:86]
	s_waitcnt vmcnt(17)
	v_fma_f64 v[101:102], v[115:116], v[91:92], v[85:86]
	ds_read_b128 v[85:88], v84 offset:592
	ds_read_b128 v[89:92], v84 offset:608
	s_waitcnt vmcnt(16) lgkmcnt(1)
	v_fma_f64 v[85:86], v[121:122], v[85:86], v[101:102]
	;; [unrolled: 10-line block ×3, first 2 shown]
	s_waitcnt vmcnt(7)
	v_fma_f64 v[85:86], v[125:126], v[87:88], v[85:86]
	ds_read_b64 v[87:88], v84 offset:656
	s_waitcnt vmcnt(6) lgkmcnt(1)
	v_fma_f64 v[85:86], v[123:124], v[89:90], v[85:86]
	s_waitcnt vmcnt(3)
	v_fma_f64 v[85:86], v[95:96], v[91:92], v[85:86]
	s_waitcnt vmcnt(2) lgkmcnt(0)
	v_fma_f64 v[85:86], v[97:98], v[87:88], v[85:86]
	s_waitcnt vmcnt(0)
	v_add_f64 v[85:86], v[99:100], -v[85:86]
	buffer_store_dword v86, off, s[0:3], 0 offset:156
	buffer_store_dword v85, off, s[0:3], 0 offset:152
	v_cmpx_lt_u32_e32 18, v0
	s_cbranch_execz .LBB104_219
; %bb.218:
	s_clause 0x1
	buffer_load_dword v85, off, s[0:3], 0 offset:144
	buffer_load_dword v86, off, s[0:3], 0 offset:148
	buffer_store_dword v84, off, s[0:3], 0 offset:144
	buffer_store_dword v84, off, s[0:3], 0 offset:148
	s_waitcnt vmcnt(0)
	ds_write_b64 v83, v[85:86]
.LBB104_219:
	s_or_b32 exec_lo, exec_lo, s4
	s_waitcnt lgkmcnt(0)
	s_waitcnt_vscnt null, 0x0
	s_barrier
	buffer_gl0_inv
	s_clause 0x1c
	buffer_load_dword v93, off, s[0:3], 0 offset:152
	buffer_load_dword v94, off, s[0:3], 0 offset:156
	buffer_load_dword v95, off, s[0:3], 0 offset:160
	buffer_load_dword v96, off, s[0:3], 0 offset:164
	buffer_load_dword v97, off, s[0:3], 0 offset:168
	buffer_load_dword v98, off, s[0:3], 0 offset:172
	buffer_load_dword v99, off, s[0:3], 0 offset:176
	buffer_load_dword v100, off, s[0:3], 0 offset:180
	buffer_load_dword v101, off, s[0:3], 0 offset:184
	buffer_load_dword v102, off, s[0:3], 0 offset:188
	buffer_load_dword v103, off, s[0:3], 0 offset:192
	buffer_load_dword v104, off, s[0:3], 0 offset:196
	buffer_load_dword v105, off, s[0:3], 0 offset:200
	buffer_load_dword v106, off, s[0:3], 0 offset:204
	buffer_load_dword v108, off, s[0:3], 0 offset:212
	buffer_load_dword v109, off, s[0:3], 0 offset:232
	buffer_load_dword v111, off, s[0:3], 0 offset:224
	buffer_load_dword v113, off, s[0:3], 0 offset:216
	buffer_load_dword v107, off, s[0:3], 0 offset:208
	buffer_load_dword v114, off, s[0:3], 0 offset:220
	buffer_load_dword v112, off, s[0:3], 0 offset:228
	buffer_load_dword v110, off, s[0:3], 0 offset:236
	buffer_load_dword v116, off, s[0:3], 0 offset:244
	buffer_load_dword v117, off, s[0:3], 0 offset:264
	buffer_load_dword v119, off, s[0:3], 0 offset:256
	buffer_load_dword v121, off, s[0:3], 0 offset:248
	buffer_load_dword v115, off, s[0:3], 0 offset:240
	buffer_load_dword v122, off, s[0:3], 0 offset:252
	buffer_load_dword v120, off, s[0:3], 0 offset:260
	ds_read2_b64 v[85:88], v84 offset0:61 offset1:62
	ds_read2_b64 v[89:92], v84 offset0:63 offset1:64
	buffer_load_dword v118, off, s[0:3], 0 offset:268
	s_mov_b32 s4, exec_lo
	s_waitcnt vmcnt(28) lgkmcnt(1)
	v_fma_f64 v[85:86], v[93:94], v[85:86], 0
	s_clause 0x7
	buffer_load_dword v94, off, s[0:3], 0 offset:276
	buffer_load_dword v123, off, s[0:3], 0 offset:296
	;; [unrolled: 1-line block ×8, first 2 shown]
	s_waitcnt vmcnt(34)
	v_fma_f64 v[85:86], v[95:96], v[87:88], v[85:86]
	s_waitcnt vmcnt(32) lgkmcnt(0)
	v_fma_f64 v[85:86], v[97:98], v[89:90], v[85:86]
	s_waitcnt vmcnt(30)
	v_fma_f64 v[95:96], v[99:100], v[91:92], v[85:86]
	ds_read2_b64 v[85:88], v84 offset0:65 offset1:66
	ds_read2_b64 v[89:92], v84 offset0:67 offset1:68
	s_waitcnt vmcnt(28) lgkmcnt(1)
	v_fma_f64 v[85:86], v[101:102], v[85:86], v[95:96]
	s_clause 0x5
	buffer_load_dword v96, off, s[0:3], 0 offset:308
	buffer_load_dword v97, off, s[0:3], 0 offset:320
	;; [unrolled: 1-line block ×6, first 2 shown]
	s_waitcnt vmcnt(32)
	v_fma_f64 v[85:86], v[103:104], v[87:88], v[85:86]
	s_waitcnt vmcnt(30) lgkmcnt(0)
	v_fma_f64 v[85:86], v[105:106], v[89:90], v[85:86]
	s_waitcnt vmcnt(25)
	v_fma_f64 v[101:102], v[107:108], v[91:92], v[85:86]
	ds_read2_b64 v[85:88], v84 offset0:69 offset1:70
	s_clause 0x1
	buffer_load_dword v103, off, s[0:3], 0 offset:144
	buffer_load_dword v104, off, s[0:3], 0 offset:148
	ds_read2_b64 v[89:92], v84 offset0:71 offset1:72
	s_waitcnt vmcnt(26) lgkmcnt(1)
	v_fma_f64 v[85:86], v[113:114], v[85:86], v[101:102]
	s_waitcnt vmcnt(25)
	v_fma_f64 v[85:86], v[111:112], v[87:88], v[85:86]
	s_waitcnt vmcnt(24) lgkmcnt(0)
	v_fma_f64 v[85:86], v[109:110], v[89:90], v[85:86]
	s_waitcnt vmcnt(19)
	v_fma_f64 v[101:102], v[115:116], v[91:92], v[85:86]
	ds_read2_b64 v[85:88], v84 offset0:73 offset1:74
	ds_read2_b64 v[89:92], v84 offset0:75 offset1:76
	s_waitcnt vmcnt(18) lgkmcnt(1)
	v_fma_f64 v[85:86], v[121:122], v[85:86], v[101:102]
	s_waitcnt vmcnt(17)
	v_fma_f64 v[85:86], v[119:120], v[87:88], v[85:86]
	s_waitcnt vmcnt(16) lgkmcnt(0)
	v_fma_f64 v[85:86], v[117:118], v[89:90], v[85:86]
	s_waitcnt vmcnt(11)
	v_fma_f64 v[93:94], v[93:94], v[91:92], v[85:86]
	ds_read2_b64 v[85:88], v84 offset0:77 offset1:78
	;; [unrolled: 10-line block ×3, first 2 shown]
	s_waitcnt vmcnt(3) lgkmcnt(0)
	v_fma_f64 v[84:85], v[99:100], v[84:85], v[88:89]
	s_waitcnt vmcnt(2)
	v_fma_f64 v[84:85], v[97:98], v[86:87], v[84:85]
	s_waitcnt vmcnt(0)
	v_add_f64 v[84:85], v[103:104], -v[84:85]
	buffer_store_dword v85, off, s[0:3], 0 offset:148
	buffer_store_dword v84, off, s[0:3], 0 offset:144
	v_cmpx_lt_u32_e32 17, v0
	s_cbranch_execz .LBB104_221
; %bb.220:
	s_clause 0x1
	buffer_load_dword v84, off, s[0:3], 0 offset:136
	buffer_load_dword v85, off, s[0:3], 0 offset:140
	v_mov_b32_e32 v86, 0
	buffer_store_dword v86, off, s[0:3], 0 offset:136
	buffer_store_dword v86, off, s[0:3], 0 offset:140
	s_waitcnt vmcnt(0)
	ds_write_b64 v83, v[84:85]
.LBB104_221:
	s_or_b32 exec_lo, exec_lo, s4
	s_waitcnt lgkmcnt(0)
	s_waitcnt_vscnt null, 0x0
	s_barrier
	buffer_gl0_inv
	s_clause 0x1c
	buffer_load_dword v93, off, s[0:3], 0 offset:144
	buffer_load_dword v94, off, s[0:3], 0 offset:148
	;; [unrolled: 1-line block ×29, first 2 shown]
	v_mov_b32_e32 v84, 0
	buffer_load_dword v118, off, s[0:3], 0 offset:260
	s_mov_b32 s4, exec_lo
	ds_read_b128 v[85:88], v84 offset:480
	ds_read_b128 v[89:92], v84 offset:496
	s_waitcnt vmcnt(28) lgkmcnt(1)
	v_fma_f64 v[85:86], v[93:94], v[85:86], 0
	s_clause 0x7
	buffer_load_dword v94, off, s[0:3], 0 offset:268
	buffer_load_dword v123, off, s[0:3], 0 offset:288
	;; [unrolled: 1-line block ×8, first 2 shown]
	s_waitcnt vmcnt(34)
	v_fma_f64 v[85:86], v[95:96], v[87:88], v[85:86]
	s_waitcnt vmcnt(32) lgkmcnt(0)
	v_fma_f64 v[85:86], v[97:98], v[89:90], v[85:86]
	s_waitcnt vmcnt(30)
	v_fma_f64 v[95:96], v[99:100], v[91:92], v[85:86]
	ds_read_b128 v[85:88], v84 offset:512
	ds_read_b128 v[89:92], v84 offset:528
	s_waitcnt vmcnt(28) lgkmcnt(1)
	v_fma_f64 v[85:86], v[101:102], v[85:86], v[95:96]
	s_clause 0x7
	buffer_load_dword v96, off, s[0:3], 0 offset:300
	buffer_load_dword v97, off, s[0:3], 0 offset:320
	;; [unrolled: 1-line block ×8, first 2 shown]
	s_waitcnt vmcnt(34)
	v_fma_f64 v[85:86], v[103:104], v[87:88], v[85:86]
	s_waitcnt vmcnt(32) lgkmcnt(0)
	v_fma_f64 v[85:86], v[105:106], v[89:90], v[85:86]
	s_waitcnt vmcnt(27)
	v_fma_f64 v[103:104], v[107:108], v[91:92], v[85:86]
	ds_read_b128 v[85:88], v84 offset:544
	ds_read_b128 v[89:92], v84 offset:560
	s_waitcnt vmcnt(26) lgkmcnt(1)
	v_fma_f64 v[85:86], v[113:114], v[85:86], v[103:104]
	s_clause 0x1
	buffer_load_dword v103, off, s[0:3], 0 offset:136
	buffer_load_dword v104, off, s[0:3], 0 offset:140
	s_waitcnt vmcnt(27)
	v_fma_f64 v[85:86], v[111:112], v[87:88], v[85:86]
	s_waitcnt vmcnt(26) lgkmcnt(0)
	v_fma_f64 v[85:86], v[109:110], v[89:90], v[85:86]
	s_waitcnt vmcnt(21)
	v_fma_f64 v[105:106], v[115:116], v[91:92], v[85:86]
	ds_read_b128 v[85:88], v84 offset:576
	ds_read_b128 v[89:92], v84 offset:592
	s_waitcnt vmcnt(20) lgkmcnt(1)
	v_fma_f64 v[85:86], v[121:122], v[85:86], v[105:106]
	s_waitcnt vmcnt(19)
	v_fma_f64 v[85:86], v[119:120], v[87:88], v[85:86]
	s_waitcnt vmcnt(18) lgkmcnt(0)
	v_fma_f64 v[85:86], v[117:118], v[89:90], v[85:86]
	s_waitcnt vmcnt(13)
	v_fma_f64 v[93:94], v[93:94], v[91:92], v[85:86]
	ds_read_b128 v[85:88], v84 offset:608
	ds_read_b128 v[89:92], v84 offset:624
	s_waitcnt vmcnt(12) lgkmcnt(1)
	v_fma_f64 v[85:86], v[127:128], v[85:86], v[93:94]
	s_waitcnt vmcnt(11)
	v_fma_f64 v[85:86], v[125:126], v[87:88], v[85:86]
	s_waitcnt vmcnt(10) lgkmcnt(0)
	v_fma_f64 v[85:86], v[123:124], v[89:90], v[85:86]
	s_waitcnt vmcnt(5)
	v_fma_f64 v[89:90], v[95:96], v[91:92], v[85:86]
	ds_read_b128 v[85:88], v84 offset:640
	ds_read_b64 v[91:92], v84 offset:656
	s_waitcnt vmcnt(4) lgkmcnt(1)
	v_fma_f64 v[85:86], v[101:102], v[85:86], v[89:90]
	s_waitcnt vmcnt(3)
	v_fma_f64 v[85:86], v[99:100], v[87:88], v[85:86]
	s_waitcnt vmcnt(2) lgkmcnt(0)
	v_fma_f64 v[85:86], v[97:98], v[91:92], v[85:86]
	s_waitcnt vmcnt(0)
	v_add_f64 v[85:86], v[103:104], -v[85:86]
	buffer_store_dword v86, off, s[0:3], 0 offset:140
	buffer_store_dword v85, off, s[0:3], 0 offset:136
	v_cmpx_lt_u32_e32 16, v0
	s_cbranch_execz .LBB104_223
; %bb.222:
	s_clause 0x1
	buffer_load_dword v85, off, s[0:3], 0 offset:128
	buffer_load_dword v86, off, s[0:3], 0 offset:132
	buffer_store_dword v84, off, s[0:3], 0 offset:128
	buffer_store_dword v84, off, s[0:3], 0 offset:132
	s_waitcnt vmcnt(0)
	ds_write_b64 v83, v[85:86]
.LBB104_223:
	s_or_b32 exec_lo, exec_lo, s4
	s_waitcnt lgkmcnt(0)
	s_waitcnt_vscnt null, 0x0
	s_barrier
	buffer_gl0_inv
	s_clause 0x1c
	buffer_load_dword v93, off, s[0:3], 0 offset:136
	buffer_load_dword v94, off, s[0:3], 0 offset:140
	;; [unrolled: 1-line block ×29, first 2 shown]
	ds_read2_b64 v[85:88], v84 offset0:59 offset1:60
	ds_read2_b64 v[89:92], v84 offset0:61 offset1:62
	buffer_load_dword v118, off, s[0:3], 0 offset:252
	s_mov_b32 s4, exec_lo
	s_waitcnt vmcnt(28) lgkmcnt(1)
	v_fma_f64 v[85:86], v[93:94], v[85:86], 0
	s_clause 0x7
	buffer_load_dword v94, off, s[0:3], 0 offset:260
	buffer_load_dword v123, off, s[0:3], 0 offset:280
	;; [unrolled: 1-line block ×8, first 2 shown]
	s_waitcnt vmcnt(34)
	v_fma_f64 v[85:86], v[95:96], v[87:88], v[85:86]
	s_waitcnt vmcnt(32) lgkmcnt(0)
	v_fma_f64 v[85:86], v[97:98], v[89:90], v[85:86]
	s_waitcnt vmcnt(30)
	v_fma_f64 v[95:96], v[99:100], v[91:92], v[85:86]
	ds_read2_b64 v[85:88], v84 offset0:63 offset1:64
	ds_read2_b64 v[89:92], v84 offset0:65 offset1:66
	s_waitcnt vmcnt(28) lgkmcnt(1)
	v_fma_f64 v[85:86], v[101:102], v[85:86], v[95:96]
	s_clause 0x7
	buffer_load_dword v96, off, s[0:3], 0 offset:292
	buffer_load_dword v97, off, s[0:3], 0 offset:312
	;; [unrolled: 1-line block ×8, first 2 shown]
	s_waitcnt vmcnt(34)
	v_fma_f64 v[85:86], v[103:104], v[87:88], v[85:86]
	s_waitcnt vmcnt(32) lgkmcnt(0)
	v_fma_f64 v[85:86], v[105:106], v[89:90], v[85:86]
	s_waitcnt vmcnt(27)
	v_fma_f64 v[103:104], v[107:108], v[91:92], v[85:86]
	ds_read2_b64 v[85:88], v84 offset0:67 offset1:68
	ds_read2_b64 v[89:92], v84 offset0:69 offset1:70
	s_waitcnt vmcnt(26) lgkmcnt(1)
	v_fma_f64 v[85:86], v[113:114], v[85:86], v[103:104]
	s_clause 0x3
	buffer_load_dword v104, off, s[0:3], 0 offset:324
	buffer_load_dword v103, off, s[0:3], 0 offset:320
	;; [unrolled: 1-line block ×4, first 2 shown]
	s_waitcnt vmcnt(29)
	v_fma_f64 v[85:86], v[111:112], v[87:88], v[85:86]
	s_waitcnt vmcnt(28) lgkmcnt(0)
	v_fma_f64 v[85:86], v[109:110], v[89:90], v[85:86]
	s_waitcnt vmcnt(23)
	v_fma_f64 v[107:108], v[115:116], v[91:92], v[85:86]
	ds_read2_b64 v[85:88], v84 offset0:71 offset1:72
	ds_read2_b64 v[89:92], v84 offset0:73 offset1:74
	s_waitcnt vmcnt(22) lgkmcnt(1)
	v_fma_f64 v[85:86], v[121:122], v[85:86], v[107:108]
	s_waitcnt vmcnt(21)
	v_fma_f64 v[85:86], v[119:120], v[87:88], v[85:86]
	s_waitcnt vmcnt(20) lgkmcnt(0)
	v_fma_f64 v[85:86], v[117:118], v[89:90], v[85:86]
	s_waitcnt vmcnt(15)
	v_fma_f64 v[93:94], v[93:94], v[91:92], v[85:86]
	ds_read2_b64 v[85:88], v84 offset0:75 offset1:76
	ds_read2_b64 v[89:92], v84 offset0:77 offset1:78
	s_waitcnt vmcnt(14) lgkmcnt(1)
	v_fma_f64 v[85:86], v[127:128], v[85:86], v[93:94]
	s_waitcnt vmcnt(13)
	v_fma_f64 v[85:86], v[125:126], v[87:88], v[85:86]
	s_waitcnt vmcnt(12) lgkmcnt(0)
	v_fma_f64 v[85:86], v[123:124], v[89:90], v[85:86]
	s_waitcnt vmcnt(7)
	v_fma_f64 v[93:94], v[95:96], v[91:92], v[85:86]
	ds_read2_b64 v[85:88], v84 offset0:79 offset1:80
	ds_read2_b64 v[89:92], v84 offset0:81 offset1:82
	s_waitcnt vmcnt(6) lgkmcnt(1)
	v_fma_f64 v[84:85], v[101:102], v[85:86], v[93:94]
	s_waitcnt vmcnt(5)
	v_fma_f64 v[84:85], v[99:100], v[87:88], v[84:85]
	s_waitcnt vmcnt(4) lgkmcnt(0)
	v_fma_f64 v[84:85], v[97:98], v[89:90], v[84:85]
	s_waitcnt vmcnt(2)
	v_fma_f64 v[84:85], v[103:104], v[91:92], v[84:85]
	s_waitcnt vmcnt(0)
	v_add_f64 v[84:85], v[105:106], -v[84:85]
	buffer_store_dword v85, off, s[0:3], 0 offset:132
	buffer_store_dword v84, off, s[0:3], 0 offset:128
	v_cmpx_lt_u32_e32 15, v0
	s_cbranch_execz .LBB104_225
; %bb.224:
	s_clause 0x1
	buffer_load_dword v84, off, s[0:3], 0 offset:120
	buffer_load_dword v85, off, s[0:3], 0 offset:124
	v_mov_b32_e32 v86, 0
	buffer_store_dword v86, off, s[0:3], 0 offset:120
	buffer_store_dword v86, off, s[0:3], 0 offset:124
	s_waitcnt vmcnt(0)
	ds_write_b64 v83, v[84:85]
.LBB104_225:
	s_or_b32 exec_lo, exec_lo, s4
	s_waitcnt lgkmcnt(0)
	s_waitcnt_vscnt null, 0x0
	s_barrier
	buffer_gl0_inv
	s_clause 0x1c
	buffer_load_dword v93, off, s[0:3], 0 offset:128
	buffer_load_dword v94, off, s[0:3], 0 offset:132
	;; [unrolled: 1-line block ×29, first 2 shown]
	v_mov_b32_e32 v84, 0
	buffer_load_dword v118, off, s[0:3], 0 offset:244
	s_mov_b32 s4, exec_lo
	ds_read_b128 v[85:88], v84 offset:464
	ds_read_b128 v[89:92], v84 offset:480
	s_waitcnt vmcnt(28) lgkmcnt(1)
	v_fma_f64 v[85:86], v[93:94], v[85:86], 0
	s_clause 0x7
	buffer_load_dword v94, off, s[0:3], 0 offset:252
	buffer_load_dword v123, off, s[0:3], 0 offset:272
	;; [unrolled: 1-line block ×8, first 2 shown]
	s_waitcnt vmcnt(34)
	v_fma_f64 v[85:86], v[95:96], v[87:88], v[85:86]
	s_waitcnt vmcnt(32) lgkmcnt(0)
	v_fma_f64 v[85:86], v[97:98], v[89:90], v[85:86]
	s_waitcnt vmcnt(30)
	v_fma_f64 v[95:96], v[99:100], v[91:92], v[85:86]
	ds_read_b128 v[85:88], v84 offset:496
	ds_read_b128 v[89:92], v84 offset:512
	s_waitcnt vmcnt(28) lgkmcnt(1)
	v_fma_f64 v[85:86], v[101:102], v[85:86], v[95:96]
	s_clause 0x7
	buffer_load_dword v96, off, s[0:3], 0 offset:284
	buffer_load_dword v97, off, s[0:3], 0 offset:304
	;; [unrolled: 1-line block ×8, first 2 shown]
	s_waitcnt vmcnt(34)
	v_fma_f64 v[85:86], v[103:104], v[87:88], v[85:86]
	s_waitcnt vmcnt(32) lgkmcnt(0)
	v_fma_f64 v[85:86], v[105:106], v[89:90], v[85:86]
	s_waitcnt vmcnt(27)
	v_fma_f64 v[103:104], v[107:108], v[91:92], v[85:86]
	ds_read_b128 v[85:88], v84 offset:528
	ds_read_b128 v[89:92], v84 offset:544
	s_waitcnt vmcnt(26) lgkmcnt(1)
	v_fma_f64 v[85:86], v[113:114], v[85:86], v[103:104]
	s_clause 0x5
	buffer_load_dword v104, off, s[0:3], 0 offset:316
	buffer_load_dword v105, off, s[0:3], 0 offset:320
	;; [unrolled: 1-line block ×6, first 2 shown]
	s_waitcnt vmcnt(31)
	v_fma_f64 v[85:86], v[111:112], v[87:88], v[85:86]
	s_waitcnt vmcnt(30) lgkmcnt(0)
	v_fma_f64 v[85:86], v[109:110], v[89:90], v[85:86]
	s_waitcnt vmcnt(25)
	v_fma_f64 v[109:110], v[115:116], v[91:92], v[85:86]
	ds_read_b128 v[85:88], v84 offset:560
	ds_read_b128 v[89:92], v84 offset:576
	s_waitcnt vmcnt(24) lgkmcnt(1)
	v_fma_f64 v[85:86], v[121:122], v[85:86], v[109:110]
	s_waitcnt vmcnt(23)
	v_fma_f64 v[85:86], v[119:120], v[87:88], v[85:86]
	s_waitcnt vmcnt(22) lgkmcnt(0)
	v_fma_f64 v[85:86], v[117:118], v[89:90], v[85:86]
	s_waitcnt vmcnt(17)
	v_fma_f64 v[93:94], v[93:94], v[91:92], v[85:86]
	ds_read_b128 v[85:88], v84 offset:592
	ds_read_b128 v[89:92], v84 offset:608
	s_waitcnt vmcnt(16) lgkmcnt(1)
	v_fma_f64 v[85:86], v[127:128], v[85:86], v[93:94]
	;; [unrolled: 10-line block ×3, first 2 shown]
	s_waitcnt vmcnt(7)
	v_fma_f64 v[85:86], v[99:100], v[87:88], v[85:86]
	ds_read_b64 v[87:88], v84 offset:656
	s_waitcnt vmcnt(6) lgkmcnt(1)
	v_fma_f64 v[85:86], v[97:98], v[89:90], v[85:86]
	s_waitcnt vmcnt(3)
	v_fma_f64 v[85:86], v[103:104], v[91:92], v[85:86]
	s_waitcnt vmcnt(2) lgkmcnt(0)
	v_fma_f64 v[85:86], v[105:106], v[87:88], v[85:86]
	s_waitcnt vmcnt(0)
	v_add_f64 v[85:86], v[107:108], -v[85:86]
	buffer_store_dword v86, off, s[0:3], 0 offset:124
	buffer_store_dword v85, off, s[0:3], 0 offset:120
	v_cmpx_lt_u32_e32 14, v0
	s_cbranch_execz .LBB104_227
; %bb.226:
	s_clause 0x1
	buffer_load_dword v85, off, s[0:3], 0 offset:112
	buffer_load_dword v86, off, s[0:3], 0 offset:116
	buffer_store_dword v84, off, s[0:3], 0 offset:112
	buffer_store_dword v84, off, s[0:3], 0 offset:116
	s_waitcnt vmcnt(0)
	ds_write_b64 v83, v[85:86]
.LBB104_227:
	s_or_b32 exec_lo, exec_lo, s4
	s_waitcnt lgkmcnt(0)
	s_waitcnt_vscnt null, 0x0
	s_barrier
	buffer_gl0_inv
	s_clause 0x1c
	buffer_load_dword v93, off, s[0:3], 0 offset:120
	buffer_load_dword v94, off, s[0:3], 0 offset:124
	;; [unrolled: 1-line block ×29, first 2 shown]
	ds_read2_b64 v[85:88], v84 offset0:57 offset1:58
	ds_read2_b64 v[89:92], v84 offset0:59 offset1:60
	buffer_load_dword v118, off, s[0:3], 0 offset:236
	s_mov_b32 s4, exec_lo
	s_waitcnt vmcnt(28) lgkmcnt(1)
	v_fma_f64 v[85:86], v[93:94], v[85:86], 0
	s_clause 0x7
	buffer_load_dword v94, off, s[0:3], 0 offset:244
	buffer_load_dword v123, off, s[0:3], 0 offset:264
	;; [unrolled: 1-line block ×8, first 2 shown]
	s_waitcnt vmcnt(34)
	v_fma_f64 v[85:86], v[95:96], v[87:88], v[85:86]
	s_waitcnt vmcnt(32) lgkmcnt(0)
	v_fma_f64 v[85:86], v[97:98], v[89:90], v[85:86]
	s_waitcnt vmcnt(30)
	v_fma_f64 v[95:96], v[99:100], v[91:92], v[85:86]
	ds_read2_b64 v[85:88], v84 offset0:61 offset1:62
	ds_read2_b64 v[89:92], v84 offset0:63 offset1:64
	s_waitcnt vmcnt(28) lgkmcnt(1)
	v_fma_f64 v[85:86], v[101:102], v[85:86], v[95:96]
	s_clause 0x7
	buffer_load_dword v96, off, s[0:3], 0 offset:276
	buffer_load_dword v97, off, s[0:3], 0 offset:296
	;; [unrolled: 1-line block ×8, first 2 shown]
	s_waitcnt vmcnt(34)
	v_fma_f64 v[85:86], v[103:104], v[87:88], v[85:86]
	s_waitcnt vmcnt(32) lgkmcnt(0)
	v_fma_f64 v[85:86], v[105:106], v[89:90], v[85:86]
	s_waitcnt vmcnt(27)
	v_fma_f64 v[103:104], v[107:108], v[91:92], v[85:86]
	ds_read2_b64 v[85:88], v84 offset0:65 offset1:66
	ds_read2_b64 v[89:92], v84 offset0:67 offset1:68
	s_waitcnt vmcnt(26) lgkmcnt(1)
	v_fma_f64 v[85:86], v[113:114], v[85:86], v[103:104]
	s_clause 0x5
	buffer_load_dword v104, off, s[0:3], 0 offset:308
	buffer_load_dword v105, off, s[0:3], 0 offset:320
	;; [unrolled: 1-line block ×6, first 2 shown]
	s_waitcnt vmcnt(31)
	v_fma_f64 v[85:86], v[111:112], v[87:88], v[85:86]
	s_waitcnt vmcnt(30) lgkmcnt(0)
	v_fma_f64 v[85:86], v[109:110], v[89:90], v[85:86]
	s_waitcnt vmcnt(25)
	v_fma_f64 v[109:110], v[115:116], v[91:92], v[85:86]
	ds_read2_b64 v[85:88], v84 offset0:69 offset1:70
	s_clause 0x1
	buffer_load_dword v111, off, s[0:3], 0 offset:112
	buffer_load_dword v112, off, s[0:3], 0 offset:116
	ds_read2_b64 v[89:92], v84 offset0:71 offset1:72
	s_waitcnt vmcnt(26) lgkmcnt(1)
	v_fma_f64 v[85:86], v[121:122], v[85:86], v[109:110]
	s_waitcnt vmcnt(25)
	v_fma_f64 v[85:86], v[119:120], v[87:88], v[85:86]
	s_waitcnt vmcnt(24) lgkmcnt(0)
	v_fma_f64 v[85:86], v[117:118], v[89:90], v[85:86]
	s_waitcnt vmcnt(19)
	v_fma_f64 v[93:94], v[93:94], v[91:92], v[85:86]
	ds_read2_b64 v[85:88], v84 offset0:73 offset1:74
	ds_read2_b64 v[89:92], v84 offset0:75 offset1:76
	s_waitcnt vmcnt(18) lgkmcnt(1)
	v_fma_f64 v[85:86], v[127:128], v[85:86], v[93:94]
	s_waitcnt vmcnt(17)
	v_fma_f64 v[85:86], v[125:126], v[87:88], v[85:86]
	s_waitcnt vmcnt(16) lgkmcnt(0)
	v_fma_f64 v[85:86], v[123:124], v[89:90], v[85:86]
	s_waitcnt vmcnt(11)
	v_fma_f64 v[93:94], v[95:96], v[91:92], v[85:86]
	ds_read2_b64 v[85:88], v84 offset0:77 offset1:78
	;; [unrolled: 10-line block ×3, first 2 shown]
	s_waitcnt vmcnt(3) lgkmcnt(0)
	v_fma_f64 v[84:85], v[107:108], v[84:85], v[88:89]
	s_waitcnt vmcnt(2)
	v_fma_f64 v[84:85], v[105:106], v[86:87], v[84:85]
	s_waitcnt vmcnt(0)
	v_add_f64 v[84:85], v[111:112], -v[84:85]
	buffer_store_dword v85, off, s[0:3], 0 offset:116
	buffer_store_dword v84, off, s[0:3], 0 offset:112
	v_cmpx_lt_u32_e32 13, v0
	s_cbranch_execz .LBB104_229
; %bb.228:
	s_clause 0x1
	buffer_load_dword v84, off, s[0:3], 0 offset:104
	buffer_load_dword v85, off, s[0:3], 0 offset:108
	v_mov_b32_e32 v86, 0
	buffer_store_dword v86, off, s[0:3], 0 offset:104
	buffer_store_dword v86, off, s[0:3], 0 offset:108
	s_waitcnt vmcnt(0)
	ds_write_b64 v83, v[84:85]
.LBB104_229:
	s_or_b32 exec_lo, exec_lo, s4
	s_waitcnt lgkmcnt(0)
	s_waitcnt_vscnt null, 0x0
	s_barrier
	buffer_gl0_inv
	s_clause 0x1c
	buffer_load_dword v93, off, s[0:3], 0 offset:112
	buffer_load_dword v94, off, s[0:3], 0 offset:116
	;; [unrolled: 1-line block ×29, first 2 shown]
	v_mov_b32_e32 v84, 0
	buffer_load_dword v118, off, s[0:3], 0 offset:228
	s_mov_b32 s4, exec_lo
	ds_read_b128 v[85:88], v84 offset:448
	ds_read_b128 v[89:92], v84 offset:464
	s_waitcnt vmcnt(28) lgkmcnt(1)
	v_fma_f64 v[85:86], v[93:94], v[85:86], 0
	s_clause 0x7
	buffer_load_dword v94, off, s[0:3], 0 offset:236
	buffer_load_dword v123, off, s[0:3], 0 offset:256
	buffer_load_dword v125, off, s[0:3], 0 offset:248
	buffer_load_dword v127, off, s[0:3], 0 offset:240
	buffer_load_dword v93, off, s[0:3], 0 offset:232
	buffer_load_dword v128, off, s[0:3], 0 offset:244
	buffer_load_dword v126, off, s[0:3], 0 offset:252
	buffer_load_dword v124, off, s[0:3], 0 offset:260
	s_waitcnt vmcnt(34)
	v_fma_f64 v[85:86], v[95:96], v[87:88], v[85:86]
	s_waitcnt vmcnt(32) lgkmcnt(0)
	v_fma_f64 v[85:86], v[97:98], v[89:90], v[85:86]
	s_waitcnt vmcnt(30)
	v_fma_f64 v[95:96], v[99:100], v[91:92], v[85:86]
	ds_read_b128 v[85:88], v84 offset:480
	ds_read_b128 v[89:92], v84 offset:496
	s_waitcnt vmcnt(28) lgkmcnt(1)
	v_fma_f64 v[85:86], v[101:102], v[85:86], v[95:96]
	s_clause 0x7
	buffer_load_dword v96, off, s[0:3], 0 offset:268
	buffer_load_dword v97, off, s[0:3], 0 offset:288
	buffer_load_dword v99, off, s[0:3], 0 offset:280
	buffer_load_dword v101, off, s[0:3], 0 offset:272
	buffer_load_dword v95, off, s[0:3], 0 offset:264
	buffer_load_dword v102, off, s[0:3], 0 offset:276
	buffer_load_dword v100, off, s[0:3], 0 offset:284
	buffer_load_dword v98, off, s[0:3], 0 offset:292
	s_waitcnt vmcnt(34)
	v_fma_f64 v[85:86], v[103:104], v[87:88], v[85:86]
	s_waitcnt vmcnt(32) lgkmcnt(0)
	v_fma_f64 v[85:86], v[105:106], v[89:90], v[85:86]
	s_waitcnt vmcnt(27)
	v_fma_f64 v[103:104], v[107:108], v[91:92], v[85:86]
	ds_read_b128 v[85:88], v84 offset:512
	ds_read_b128 v[89:92], v84 offset:528
	s_waitcnt vmcnt(26) lgkmcnt(1)
	v_fma_f64 v[85:86], v[113:114], v[85:86], v[103:104]
	s_clause 0x7
	buffer_load_dword v104, off, s[0:3], 0 offset:300
	buffer_load_dword v105, off, s[0:3], 0 offset:320
	buffer_load_dword v107, off, s[0:3], 0 offset:312
	buffer_load_dword v113, off, s[0:3], 0 offset:304
	buffer_load_dword v103, off, s[0:3], 0 offset:296
	buffer_load_dword v114, off, s[0:3], 0 offset:308
	buffer_load_dword v108, off, s[0:3], 0 offset:316
	buffer_load_dword v106, off, s[0:3], 0 offset:324
	s_waitcnt vmcnt(33)
	v_fma_f64 v[85:86], v[111:112], v[87:88], v[85:86]
	s_waitcnt vmcnt(32) lgkmcnt(0)
	v_fma_f64 v[85:86], v[109:110], v[89:90], v[85:86]
	s_waitcnt vmcnt(27)
	v_fma_f64 v[109:110], v[115:116], v[91:92], v[85:86]
	ds_read_b128 v[85:88], v84 offset:544
	ds_read_b128 v[89:92], v84 offset:560
	s_waitcnt vmcnt(26) lgkmcnt(1)
	v_fma_f64 v[85:86], v[121:122], v[85:86], v[109:110]
	s_clause 0x1
	buffer_load_dword v109, off, s[0:3], 0 offset:104
	buffer_load_dword v110, off, s[0:3], 0 offset:108
	s_waitcnt vmcnt(27)
	v_fma_f64 v[85:86], v[119:120], v[87:88], v[85:86]
	s_waitcnt vmcnt(26) lgkmcnt(0)
	v_fma_f64 v[85:86], v[117:118], v[89:90], v[85:86]
	s_waitcnt vmcnt(21)
	v_fma_f64 v[93:94], v[93:94], v[91:92], v[85:86]
	ds_read_b128 v[85:88], v84 offset:576
	ds_read_b128 v[89:92], v84 offset:592
	s_waitcnt vmcnt(20) lgkmcnt(1)
	v_fma_f64 v[85:86], v[127:128], v[85:86], v[93:94]
	s_waitcnt vmcnt(19)
	v_fma_f64 v[85:86], v[125:126], v[87:88], v[85:86]
	s_waitcnt vmcnt(18) lgkmcnt(0)
	v_fma_f64 v[85:86], v[123:124], v[89:90], v[85:86]
	s_waitcnt vmcnt(13)
	v_fma_f64 v[93:94], v[95:96], v[91:92], v[85:86]
	ds_read_b128 v[85:88], v84 offset:608
	ds_read_b128 v[89:92], v84 offset:624
	s_waitcnt vmcnt(12) lgkmcnt(1)
	v_fma_f64 v[85:86], v[101:102], v[85:86], v[93:94]
	s_waitcnt vmcnt(11)
	v_fma_f64 v[85:86], v[99:100], v[87:88], v[85:86]
	s_waitcnt vmcnt(10) lgkmcnt(0)
	v_fma_f64 v[85:86], v[97:98], v[89:90], v[85:86]
	s_waitcnt vmcnt(5)
	v_fma_f64 v[89:90], v[103:104], v[91:92], v[85:86]
	ds_read_b128 v[85:88], v84 offset:640
	ds_read_b64 v[91:92], v84 offset:656
	s_waitcnt vmcnt(4) lgkmcnt(1)
	v_fma_f64 v[85:86], v[113:114], v[85:86], v[89:90]
	s_waitcnt vmcnt(3)
	v_fma_f64 v[85:86], v[107:108], v[87:88], v[85:86]
	s_waitcnt vmcnt(2) lgkmcnt(0)
	v_fma_f64 v[85:86], v[105:106], v[91:92], v[85:86]
	s_waitcnt vmcnt(0)
	v_add_f64 v[85:86], v[109:110], -v[85:86]
	buffer_store_dword v86, off, s[0:3], 0 offset:108
	buffer_store_dword v85, off, s[0:3], 0 offset:104
	v_cmpx_lt_u32_e32 12, v0
	s_cbranch_execz .LBB104_231
; %bb.230:
	s_clause 0x1
	buffer_load_dword v85, off, s[0:3], 0 offset:96
	buffer_load_dword v86, off, s[0:3], 0 offset:100
	buffer_store_dword v84, off, s[0:3], 0 offset:96
	buffer_store_dword v84, off, s[0:3], 0 offset:100
	s_waitcnt vmcnt(0)
	ds_write_b64 v83, v[85:86]
.LBB104_231:
	s_or_b32 exec_lo, exec_lo, s4
	s_waitcnt lgkmcnt(0)
	s_waitcnt_vscnt null, 0x0
	s_barrier
	buffer_gl0_inv
	s_clause 0x1c
	buffer_load_dword v93, off, s[0:3], 0 offset:104
	buffer_load_dword v94, off, s[0:3], 0 offset:108
	;; [unrolled: 1-line block ×29, first 2 shown]
	ds_read2_b64 v[85:88], v84 offset0:55 offset1:56
	ds_read2_b64 v[89:92], v84 offset0:57 offset1:58
	buffer_load_dword v118, off, s[0:3], 0 offset:220
	s_mov_b32 s4, exec_lo
	s_waitcnt vmcnt(28) lgkmcnt(1)
	v_fma_f64 v[85:86], v[93:94], v[85:86], 0
	s_clause 0x7
	buffer_load_dword v94, off, s[0:3], 0 offset:228
	buffer_load_dword v123, off, s[0:3], 0 offset:248
	buffer_load_dword v125, off, s[0:3], 0 offset:240
	buffer_load_dword v127, off, s[0:3], 0 offset:232
	buffer_load_dword v93, off, s[0:3], 0 offset:224
	buffer_load_dword v128, off, s[0:3], 0 offset:236
	buffer_load_dword v126, off, s[0:3], 0 offset:244
	buffer_load_dword v124, off, s[0:3], 0 offset:252
	s_waitcnt vmcnt(34)
	v_fma_f64 v[85:86], v[95:96], v[87:88], v[85:86]
	s_waitcnt vmcnt(32) lgkmcnt(0)
	v_fma_f64 v[85:86], v[97:98], v[89:90], v[85:86]
	s_waitcnt vmcnt(30)
	v_fma_f64 v[95:96], v[99:100], v[91:92], v[85:86]
	ds_read2_b64 v[85:88], v84 offset0:59 offset1:60
	ds_read2_b64 v[89:92], v84 offset0:61 offset1:62
	s_waitcnt vmcnt(28) lgkmcnt(1)
	v_fma_f64 v[85:86], v[101:102], v[85:86], v[95:96]
	s_clause 0x7
	buffer_load_dword v96, off, s[0:3], 0 offset:260
	buffer_load_dword v97, off, s[0:3], 0 offset:280
	buffer_load_dword v99, off, s[0:3], 0 offset:272
	buffer_load_dword v101, off, s[0:3], 0 offset:264
	buffer_load_dword v95, off, s[0:3], 0 offset:256
	buffer_load_dword v102, off, s[0:3], 0 offset:268
	buffer_load_dword v100, off, s[0:3], 0 offset:276
	buffer_load_dword v98, off, s[0:3], 0 offset:284
	s_waitcnt vmcnt(34)
	v_fma_f64 v[85:86], v[103:104], v[87:88], v[85:86]
	s_waitcnt vmcnt(32) lgkmcnt(0)
	v_fma_f64 v[85:86], v[105:106], v[89:90], v[85:86]
	s_waitcnt vmcnt(27)
	v_fma_f64 v[103:104], v[107:108], v[91:92], v[85:86]
	ds_read2_b64 v[85:88], v84 offset0:63 offset1:64
	ds_read2_b64 v[89:92], v84 offset0:65 offset1:66
	;; [unrolled: 19-line block ×3, first 2 shown]
	s_waitcnt vmcnt(26) lgkmcnt(1)
	v_fma_f64 v[85:86], v[121:122], v[85:86], v[109:110]
	s_clause 0x3
	buffer_load_dword v110, off, s[0:3], 0 offset:324
	buffer_load_dword v109, off, s[0:3], 0 offset:320
	;; [unrolled: 1-line block ×4, first 2 shown]
	s_waitcnt vmcnt(29)
	v_fma_f64 v[85:86], v[119:120], v[87:88], v[85:86]
	s_waitcnt vmcnt(28) lgkmcnt(0)
	v_fma_f64 v[85:86], v[117:118], v[89:90], v[85:86]
	s_waitcnt vmcnt(23)
	v_fma_f64 v[93:94], v[93:94], v[91:92], v[85:86]
	ds_read2_b64 v[85:88], v84 offset0:71 offset1:72
	ds_read2_b64 v[89:92], v84 offset0:73 offset1:74
	s_waitcnt vmcnt(22) lgkmcnt(1)
	v_fma_f64 v[85:86], v[127:128], v[85:86], v[93:94]
	s_waitcnt vmcnt(21)
	v_fma_f64 v[85:86], v[125:126], v[87:88], v[85:86]
	s_waitcnt vmcnt(20) lgkmcnt(0)
	v_fma_f64 v[85:86], v[123:124], v[89:90], v[85:86]
	s_waitcnt vmcnt(15)
	v_fma_f64 v[93:94], v[95:96], v[91:92], v[85:86]
	ds_read2_b64 v[85:88], v84 offset0:75 offset1:76
	ds_read2_b64 v[89:92], v84 offset0:77 offset1:78
	s_waitcnt vmcnt(14) lgkmcnt(1)
	v_fma_f64 v[85:86], v[101:102], v[85:86], v[93:94]
	;; [unrolled: 10-line block ×3, first 2 shown]
	s_waitcnt vmcnt(5)
	v_fma_f64 v[84:85], v[107:108], v[87:88], v[84:85]
	s_waitcnt vmcnt(4) lgkmcnt(0)
	v_fma_f64 v[84:85], v[105:106], v[89:90], v[84:85]
	s_waitcnt vmcnt(2)
	v_fma_f64 v[84:85], v[109:110], v[91:92], v[84:85]
	s_waitcnt vmcnt(0)
	v_add_f64 v[84:85], v[111:112], -v[84:85]
	buffer_store_dword v85, off, s[0:3], 0 offset:100
	buffer_store_dword v84, off, s[0:3], 0 offset:96
	v_cmpx_lt_u32_e32 11, v0
	s_cbranch_execz .LBB104_233
; %bb.232:
	s_clause 0x1
	buffer_load_dword v84, off, s[0:3], 0 offset:88
	buffer_load_dword v85, off, s[0:3], 0 offset:92
	v_mov_b32_e32 v86, 0
	buffer_store_dword v86, off, s[0:3], 0 offset:88
	buffer_store_dword v86, off, s[0:3], 0 offset:92
	s_waitcnt vmcnt(0)
	ds_write_b64 v83, v[84:85]
.LBB104_233:
	s_or_b32 exec_lo, exec_lo, s4
	s_waitcnt lgkmcnt(0)
	s_waitcnt_vscnt null, 0x0
	s_barrier
	buffer_gl0_inv
	s_clause 0x1c
	buffer_load_dword v93, off, s[0:3], 0 offset:96
	buffer_load_dword v94, off, s[0:3], 0 offset:100
	;; [unrolled: 1-line block ×29, first 2 shown]
	v_mov_b32_e32 v84, 0
	buffer_load_dword v118, off, s[0:3], 0 offset:212
	s_mov_b32 s4, exec_lo
	ds_read_b128 v[85:88], v84 offset:432
	ds_read_b128 v[89:92], v84 offset:448
	s_waitcnt vmcnt(28) lgkmcnt(1)
	v_fma_f64 v[85:86], v[93:94], v[85:86], 0
	s_clause 0x7
	buffer_load_dword v94, off, s[0:3], 0 offset:220
	buffer_load_dword v123, off, s[0:3], 0 offset:240
	buffer_load_dword v125, off, s[0:3], 0 offset:232
	buffer_load_dword v127, off, s[0:3], 0 offset:224
	buffer_load_dword v93, off, s[0:3], 0 offset:216
	buffer_load_dword v128, off, s[0:3], 0 offset:228
	buffer_load_dword v126, off, s[0:3], 0 offset:236
	buffer_load_dword v124, off, s[0:3], 0 offset:244
	s_waitcnt vmcnt(34)
	v_fma_f64 v[85:86], v[95:96], v[87:88], v[85:86]
	s_waitcnt vmcnt(32) lgkmcnt(0)
	v_fma_f64 v[85:86], v[97:98], v[89:90], v[85:86]
	s_waitcnt vmcnt(30)
	v_fma_f64 v[95:96], v[99:100], v[91:92], v[85:86]
	ds_read_b128 v[85:88], v84 offset:464
	ds_read_b128 v[89:92], v84 offset:480
	s_waitcnt vmcnt(28) lgkmcnt(1)
	v_fma_f64 v[85:86], v[101:102], v[85:86], v[95:96]
	s_clause 0x7
	buffer_load_dword v96, off, s[0:3], 0 offset:252
	buffer_load_dword v97, off, s[0:3], 0 offset:272
	buffer_load_dword v99, off, s[0:3], 0 offset:264
	buffer_load_dword v101, off, s[0:3], 0 offset:256
	buffer_load_dword v95, off, s[0:3], 0 offset:248
	buffer_load_dword v102, off, s[0:3], 0 offset:260
	buffer_load_dword v100, off, s[0:3], 0 offset:268
	buffer_load_dword v98, off, s[0:3], 0 offset:276
	s_waitcnt vmcnt(34)
	v_fma_f64 v[85:86], v[103:104], v[87:88], v[85:86]
	s_waitcnt vmcnt(32) lgkmcnt(0)
	v_fma_f64 v[85:86], v[105:106], v[89:90], v[85:86]
	s_waitcnt vmcnt(27)
	v_fma_f64 v[103:104], v[107:108], v[91:92], v[85:86]
	;; [unrolled: 19-line block ×3, first 2 shown]
	ds_read_b128 v[85:88], v84 offset:528
	ds_read_b128 v[89:92], v84 offset:544
	s_waitcnt vmcnt(26) lgkmcnt(1)
	v_fma_f64 v[85:86], v[121:122], v[85:86], v[109:110]
	s_clause 0x5
	buffer_load_dword v110, off, s[0:3], 0 offset:316
	buffer_load_dword v111, off, s[0:3], 0 offset:320
	;; [unrolled: 1-line block ×6, first 2 shown]
	s_waitcnt vmcnt(31)
	v_fma_f64 v[85:86], v[119:120], v[87:88], v[85:86]
	s_waitcnt vmcnt(30) lgkmcnt(0)
	v_fma_f64 v[85:86], v[117:118], v[89:90], v[85:86]
	s_waitcnt vmcnt(25)
	v_fma_f64 v[93:94], v[93:94], v[91:92], v[85:86]
	ds_read_b128 v[85:88], v84 offset:560
	ds_read_b128 v[89:92], v84 offset:576
	s_waitcnt vmcnt(24) lgkmcnt(1)
	v_fma_f64 v[85:86], v[127:128], v[85:86], v[93:94]
	s_waitcnt vmcnt(23)
	v_fma_f64 v[85:86], v[125:126], v[87:88], v[85:86]
	s_waitcnt vmcnt(22) lgkmcnt(0)
	v_fma_f64 v[85:86], v[123:124], v[89:90], v[85:86]
	s_waitcnt vmcnt(17)
	v_fma_f64 v[93:94], v[95:96], v[91:92], v[85:86]
	ds_read_b128 v[85:88], v84 offset:592
	ds_read_b128 v[89:92], v84 offset:608
	s_waitcnt vmcnt(16) lgkmcnt(1)
	v_fma_f64 v[85:86], v[101:102], v[85:86], v[93:94]
	;; [unrolled: 10-line block ×3, first 2 shown]
	s_waitcnt vmcnt(7)
	v_fma_f64 v[85:86], v[107:108], v[87:88], v[85:86]
	ds_read_b64 v[87:88], v84 offset:656
	s_waitcnt vmcnt(6) lgkmcnt(1)
	v_fma_f64 v[85:86], v[105:106], v[89:90], v[85:86]
	s_waitcnt vmcnt(3)
	v_fma_f64 v[85:86], v[109:110], v[91:92], v[85:86]
	s_waitcnt vmcnt(2) lgkmcnt(0)
	v_fma_f64 v[85:86], v[111:112], v[87:88], v[85:86]
	s_waitcnt vmcnt(0)
	v_add_f64 v[85:86], v[115:116], -v[85:86]
	buffer_store_dword v86, off, s[0:3], 0 offset:92
	buffer_store_dword v85, off, s[0:3], 0 offset:88
	v_cmpx_lt_u32_e32 10, v0
	s_cbranch_execz .LBB104_235
; %bb.234:
	s_clause 0x1
	buffer_load_dword v85, off, s[0:3], 0 offset:80
	buffer_load_dword v86, off, s[0:3], 0 offset:84
	buffer_store_dword v84, off, s[0:3], 0 offset:80
	buffer_store_dword v84, off, s[0:3], 0 offset:84
	s_waitcnt vmcnt(0)
	ds_write_b64 v83, v[85:86]
.LBB104_235:
	s_or_b32 exec_lo, exec_lo, s4
	s_waitcnt lgkmcnt(0)
	s_waitcnt_vscnt null, 0x0
	s_barrier
	buffer_gl0_inv
	s_clause 0x1c
	buffer_load_dword v93, off, s[0:3], 0 offset:88
	buffer_load_dword v94, off, s[0:3], 0 offset:92
	;; [unrolled: 1-line block ×29, first 2 shown]
	ds_read2_b64 v[85:88], v84 offset0:53 offset1:54
	ds_read2_b64 v[89:92], v84 offset0:55 offset1:56
	buffer_load_dword v118, off, s[0:3], 0 offset:204
	s_mov_b32 s4, exec_lo
	s_waitcnt vmcnt(28) lgkmcnt(1)
	v_fma_f64 v[85:86], v[93:94], v[85:86], 0
	s_clause 0x7
	buffer_load_dword v94, off, s[0:3], 0 offset:212
	buffer_load_dword v123, off, s[0:3], 0 offset:232
	buffer_load_dword v125, off, s[0:3], 0 offset:224
	buffer_load_dword v127, off, s[0:3], 0 offset:216
	buffer_load_dword v93, off, s[0:3], 0 offset:208
	buffer_load_dword v128, off, s[0:3], 0 offset:220
	buffer_load_dword v126, off, s[0:3], 0 offset:228
	buffer_load_dword v124, off, s[0:3], 0 offset:236
	s_waitcnt vmcnt(34)
	v_fma_f64 v[85:86], v[95:96], v[87:88], v[85:86]
	s_waitcnt vmcnt(32) lgkmcnt(0)
	v_fma_f64 v[85:86], v[97:98], v[89:90], v[85:86]
	s_waitcnt vmcnt(30)
	v_fma_f64 v[95:96], v[99:100], v[91:92], v[85:86]
	ds_read2_b64 v[85:88], v84 offset0:57 offset1:58
	ds_read2_b64 v[89:92], v84 offset0:59 offset1:60
	s_waitcnt vmcnt(28) lgkmcnt(1)
	v_fma_f64 v[85:86], v[101:102], v[85:86], v[95:96]
	s_clause 0x7
	buffer_load_dword v96, off, s[0:3], 0 offset:244
	buffer_load_dword v97, off, s[0:3], 0 offset:264
	buffer_load_dword v99, off, s[0:3], 0 offset:256
	buffer_load_dword v101, off, s[0:3], 0 offset:248
	buffer_load_dword v95, off, s[0:3], 0 offset:240
	buffer_load_dword v102, off, s[0:3], 0 offset:252
	buffer_load_dword v100, off, s[0:3], 0 offset:260
	buffer_load_dword v98, off, s[0:3], 0 offset:268
	s_waitcnt vmcnt(34)
	v_fma_f64 v[85:86], v[103:104], v[87:88], v[85:86]
	s_waitcnt vmcnt(32) lgkmcnt(0)
	v_fma_f64 v[85:86], v[105:106], v[89:90], v[85:86]
	s_waitcnt vmcnt(27)
	v_fma_f64 v[103:104], v[107:108], v[91:92], v[85:86]
	ds_read2_b64 v[85:88], v84 offset0:61 offset1:62
	ds_read2_b64 v[89:92], v84 offset0:63 offset1:64
	;; [unrolled: 19-line block ×3, first 2 shown]
	s_waitcnt vmcnt(26) lgkmcnt(1)
	v_fma_f64 v[85:86], v[121:122], v[85:86], v[109:110]
	s_clause 0x5
	buffer_load_dword v110, off, s[0:3], 0 offset:308
	buffer_load_dword v111, off, s[0:3], 0 offset:320
	;; [unrolled: 1-line block ×6, first 2 shown]
	s_waitcnt vmcnt(31)
	v_fma_f64 v[85:86], v[119:120], v[87:88], v[85:86]
	s_waitcnt vmcnt(30) lgkmcnt(0)
	v_fma_f64 v[85:86], v[117:118], v[89:90], v[85:86]
	s_waitcnt vmcnt(25)
	v_fma_f64 v[93:94], v[93:94], v[91:92], v[85:86]
	ds_read2_b64 v[85:88], v84 offset0:69 offset1:70
	s_clause 0x1
	buffer_load_dword v117, off, s[0:3], 0 offset:80
	buffer_load_dword v118, off, s[0:3], 0 offset:84
	ds_read2_b64 v[89:92], v84 offset0:71 offset1:72
	s_waitcnt vmcnt(26) lgkmcnt(1)
	v_fma_f64 v[85:86], v[127:128], v[85:86], v[93:94]
	s_waitcnt vmcnt(25)
	v_fma_f64 v[85:86], v[125:126], v[87:88], v[85:86]
	s_waitcnt vmcnt(24) lgkmcnt(0)
	v_fma_f64 v[85:86], v[123:124], v[89:90], v[85:86]
	s_waitcnt vmcnt(19)
	v_fma_f64 v[93:94], v[95:96], v[91:92], v[85:86]
	ds_read2_b64 v[85:88], v84 offset0:73 offset1:74
	ds_read2_b64 v[89:92], v84 offset0:75 offset1:76
	s_waitcnt vmcnt(18) lgkmcnt(1)
	v_fma_f64 v[85:86], v[101:102], v[85:86], v[93:94]
	s_waitcnt vmcnt(17)
	v_fma_f64 v[85:86], v[99:100], v[87:88], v[85:86]
	s_waitcnt vmcnt(16) lgkmcnt(0)
	v_fma_f64 v[85:86], v[97:98], v[89:90], v[85:86]
	s_waitcnt vmcnt(11)
	v_fma_f64 v[93:94], v[103:104], v[91:92], v[85:86]
	ds_read2_b64 v[85:88], v84 offset0:77 offset1:78
	;; [unrolled: 10-line block ×3, first 2 shown]
	s_waitcnt vmcnt(3) lgkmcnt(0)
	v_fma_f64 v[84:85], v[115:116], v[84:85], v[88:89]
	s_waitcnt vmcnt(2)
	v_fma_f64 v[84:85], v[111:112], v[86:87], v[84:85]
	s_waitcnt vmcnt(0)
	v_add_f64 v[84:85], v[117:118], -v[84:85]
	buffer_store_dword v85, off, s[0:3], 0 offset:84
	buffer_store_dword v84, off, s[0:3], 0 offset:80
	v_cmpx_lt_u32_e32 9, v0
	s_cbranch_execz .LBB104_237
; %bb.236:
	s_clause 0x1
	buffer_load_dword v84, off, s[0:3], 0 offset:72
	buffer_load_dword v85, off, s[0:3], 0 offset:76
	v_mov_b32_e32 v86, 0
	buffer_store_dword v86, off, s[0:3], 0 offset:72
	buffer_store_dword v86, off, s[0:3], 0 offset:76
	s_waitcnt vmcnt(0)
	ds_write_b64 v83, v[84:85]
.LBB104_237:
	s_or_b32 exec_lo, exec_lo, s4
	s_waitcnt lgkmcnt(0)
	s_waitcnt_vscnt null, 0x0
	s_barrier
	buffer_gl0_inv
	s_clause 0x1c
	buffer_load_dword v93, off, s[0:3], 0 offset:80
	buffer_load_dword v94, off, s[0:3], 0 offset:84
	;; [unrolled: 1-line block ×29, first 2 shown]
	v_mov_b32_e32 v84, 0
	buffer_load_dword v118, off, s[0:3], 0 offset:196
	s_mov_b32 s4, exec_lo
	ds_read_b128 v[85:88], v84 offset:416
	ds_read_b128 v[89:92], v84 offset:432
	s_waitcnt vmcnt(28) lgkmcnt(1)
	v_fma_f64 v[85:86], v[93:94], v[85:86], 0
	s_clause 0x7
	buffer_load_dword v94, off, s[0:3], 0 offset:204
	buffer_load_dword v123, off, s[0:3], 0 offset:224
	buffer_load_dword v125, off, s[0:3], 0 offset:216
	buffer_load_dword v127, off, s[0:3], 0 offset:208
	buffer_load_dword v93, off, s[0:3], 0 offset:200
	buffer_load_dword v128, off, s[0:3], 0 offset:212
	buffer_load_dword v126, off, s[0:3], 0 offset:220
	buffer_load_dword v124, off, s[0:3], 0 offset:228
	s_waitcnt vmcnt(34)
	v_fma_f64 v[85:86], v[95:96], v[87:88], v[85:86]
	s_waitcnt vmcnt(32) lgkmcnt(0)
	v_fma_f64 v[85:86], v[97:98], v[89:90], v[85:86]
	s_waitcnt vmcnt(30)
	v_fma_f64 v[95:96], v[99:100], v[91:92], v[85:86]
	ds_read_b128 v[85:88], v84 offset:448
	ds_read_b128 v[89:92], v84 offset:464
	s_waitcnt vmcnt(28) lgkmcnt(1)
	v_fma_f64 v[85:86], v[101:102], v[85:86], v[95:96]
	s_clause 0x7
	buffer_load_dword v96, off, s[0:3], 0 offset:236
	buffer_load_dword v97, off, s[0:3], 0 offset:256
	buffer_load_dword v99, off, s[0:3], 0 offset:248
	buffer_load_dword v101, off, s[0:3], 0 offset:240
	buffer_load_dword v95, off, s[0:3], 0 offset:232
	buffer_load_dword v102, off, s[0:3], 0 offset:244
	buffer_load_dword v100, off, s[0:3], 0 offset:252
	buffer_load_dword v98, off, s[0:3], 0 offset:260
	s_waitcnt vmcnt(34)
	v_fma_f64 v[85:86], v[103:104], v[87:88], v[85:86]
	s_waitcnt vmcnt(32) lgkmcnt(0)
	v_fma_f64 v[85:86], v[105:106], v[89:90], v[85:86]
	s_waitcnt vmcnt(27)
	v_fma_f64 v[103:104], v[107:108], v[91:92], v[85:86]
	;; [unrolled: 19-line block ×4, first 2 shown]
	ds_read_b128 v[85:88], v84 offset:544
	ds_read_b128 v[89:92], v84 offset:560
	s_waitcnt vmcnt(26) lgkmcnt(1)
	v_fma_f64 v[85:86], v[127:128], v[85:86], v[93:94]
	s_clause 0x1
	buffer_load_dword v93, off, s[0:3], 0 offset:72
	buffer_load_dword v94, off, s[0:3], 0 offset:76
	s_waitcnt vmcnt(27)
	v_fma_f64 v[85:86], v[125:126], v[87:88], v[85:86]
	s_waitcnt vmcnt(26) lgkmcnt(0)
	v_fma_f64 v[85:86], v[123:124], v[89:90], v[85:86]
	s_waitcnt vmcnt(21)
	v_fma_f64 v[95:96], v[95:96], v[91:92], v[85:86]
	ds_read_b128 v[85:88], v84 offset:576
	ds_read_b128 v[89:92], v84 offset:592
	s_waitcnt vmcnt(20) lgkmcnt(1)
	v_fma_f64 v[85:86], v[101:102], v[85:86], v[95:96]
	s_waitcnt vmcnt(19)
	v_fma_f64 v[85:86], v[99:100], v[87:88], v[85:86]
	s_waitcnt vmcnt(18) lgkmcnt(0)
	v_fma_f64 v[85:86], v[97:98], v[89:90], v[85:86]
	s_waitcnt vmcnt(13)
	v_fma_f64 v[95:96], v[103:104], v[91:92], v[85:86]
	ds_read_b128 v[85:88], v84 offset:608
	ds_read_b128 v[89:92], v84 offset:624
	s_waitcnt vmcnt(12) lgkmcnt(1)
	v_fma_f64 v[85:86], v[113:114], v[85:86], v[95:96]
	s_waitcnt vmcnt(11)
	v_fma_f64 v[85:86], v[107:108], v[87:88], v[85:86]
	s_waitcnt vmcnt(10) lgkmcnt(0)
	v_fma_f64 v[85:86], v[105:106], v[89:90], v[85:86]
	s_waitcnt vmcnt(5)
	v_fma_f64 v[89:90], v[109:110], v[91:92], v[85:86]
	ds_read_b128 v[85:88], v84 offset:640
	ds_read_b64 v[91:92], v84 offset:656
	s_waitcnt vmcnt(4) lgkmcnt(1)
	v_fma_f64 v[85:86], v[121:122], v[85:86], v[89:90]
	s_waitcnt vmcnt(3)
	v_fma_f64 v[85:86], v[115:116], v[87:88], v[85:86]
	s_waitcnt vmcnt(2) lgkmcnt(0)
	v_fma_f64 v[85:86], v[111:112], v[91:92], v[85:86]
	s_waitcnt vmcnt(0)
	v_add_f64 v[85:86], v[93:94], -v[85:86]
	buffer_store_dword v86, off, s[0:3], 0 offset:76
	buffer_store_dword v85, off, s[0:3], 0 offset:72
	v_cmpx_lt_u32_e32 8, v0
	s_cbranch_execz .LBB104_239
; %bb.238:
	s_clause 0x1
	buffer_load_dword v85, off, s[0:3], 0 offset:64
	buffer_load_dword v86, off, s[0:3], 0 offset:68
	buffer_store_dword v84, off, s[0:3], 0 offset:64
	buffer_store_dword v84, off, s[0:3], 0 offset:68
	s_waitcnt vmcnt(0)
	ds_write_b64 v83, v[85:86]
.LBB104_239:
	s_or_b32 exec_lo, exec_lo, s4
	s_waitcnt lgkmcnt(0)
	s_waitcnt_vscnt null, 0x0
	s_barrier
	buffer_gl0_inv
	s_clause 0x1c
	buffer_load_dword v93, off, s[0:3], 0 offset:72
	buffer_load_dword v94, off, s[0:3], 0 offset:76
	;; [unrolled: 1-line block ×29, first 2 shown]
	ds_read2_b64 v[85:88], v84 offset0:51 offset1:52
	ds_read2_b64 v[89:92], v84 offset0:53 offset1:54
	buffer_load_dword v118, off, s[0:3], 0 offset:188
	s_mov_b32 s4, exec_lo
	s_waitcnt vmcnt(28) lgkmcnt(1)
	v_fma_f64 v[85:86], v[93:94], v[85:86], 0
	s_clause 0x7
	buffer_load_dword v94, off, s[0:3], 0 offset:196
	buffer_load_dword v123, off, s[0:3], 0 offset:216
	buffer_load_dword v125, off, s[0:3], 0 offset:208
	buffer_load_dword v127, off, s[0:3], 0 offset:200
	buffer_load_dword v93, off, s[0:3], 0 offset:192
	buffer_load_dword v128, off, s[0:3], 0 offset:204
	buffer_load_dword v126, off, s[0:3], 0 offset:212
	buffer_load_dword v124, off, s[0:3], 0 offset:220
	s_waitcnt vmcnt(34)
	v_fma_f64 v[85:86], v[95:96], v[87:88], v[85:86]
	s_waitcnt vmcnt(32) lgkmcnt(0)
	v_fma_f64 v[85:86], v[97:98], v[89:90], v[85:86]
	s_waitcnt vmcnt(30)
	v_fma_f64 v[95:96], v[99:100], v[91:92], v[85:86]
	ds_read2_b64 v[85:88], v84 offset0:55 offset1:56
	ds_read2_b64 v[89:92], v84 offset0:57 offset1:58
	s_waitcnt vmcnt(28) lgkmcnt(1)
	v_fma_f64 v[85:86], v[101:102], v[85:86], v[95:96]
	s_clause 0x7
	buffer_load_dword v96, off, s[0:3], 0 offset:228
	buffer_load_dword v97, off, s[0:3], 0 offset:248
	buffer_load_dword v99, off, s[0:3], 0 offset:240
	buffer_load_dword v101, off, s[0:3], 0 offset:232
	buffer_load_dword v95, off, s[0:3], 0 offset:224
	buffer_load_dword v102, off, s[0:3], 0 offset:236
	buffer_load_dword v100, off, s[0:3], 0 offset:244
	buffer_load_dword v98, off, s[0:3], 0 offset:252
	s_waitcnt vmcnt(34)
	v_fma_f64 v[85:86], v[103:104], v[87:88], v[85:86]
	s_waitcnt vmcnt(32) lgkmcnt(0)
	v_fma_f64 v[85:86], v[105:106], v[89:90], v[85:86]
	s_waitcnt vmcnt(27)
	v_fma_f64 v[103:104], v[107:108], v[91:92], v[85:86]
	ds_read2_b64 v[85:88], v84 offset0:59 offset1:60
	ds_read2_b64 v[89:92], v84 offset0:61 offset1:62
	;; [unrolled: 19-line block ×4, first 2 shown]
	s_waitcnt vmcnt(26) lgkmcnt(1)
	v_fma_f64 v[85:86], v[127:128], v[85:86], v[93:94]
	s_clause 0x3
	buffer_load_dword v94, off, s[0:3], 0 offset:324
	buffer_load_dword v93, off, s[0:3], 0 offset:320
	;; [unrolled: 1-line block ×4, first 2 shown]
	s_waitcnt vmcnt(29)
	v_fma_f64 v[85:86], v[125:126], v[87:88], v[85:86]
	s_waitcnt vmcnt(28) lgkmcnt(0)
	v_fma_f64 v[85:86], v[123:124], v[89:90], v[85:86]
	s_waitcnt vmcnt(23)
	v_fma_f64 v[95:96], v[95:96], v[91:92], v[85:86]
	ds_read2_b64 v[85:88], v84 offset0:71 offset1:72
	ds_read2_b64 v[89:92], v84 offset0:73 offset1:74
	s_waitcnt vmcnt(22) lgkmcnt(1)
	v_fma_f64 v[85:86], v[101:102], v[85:86], v[95:96]
	s_waitcnt vmcnt(21)
	v_fma_f64 v[85:86], v[99:100], v[87:88], v[85:86]
	s_waitcnt vmcnt(20) lgkmcnt(0)
	v_fma_f64 v[85:86], v[97:98], v[89:90], v[85:86]
	s_waitcnt vmcnt(15)
	v_fma_f64 v[95:96], v[103:104], v[91:92], v[85:86]
	ds_read2_b64 v[85:88], v84 offset0:75 offset1:76
	ds_read2_b64 v[89:92], v84 offset0:77 offset1:78
	s_waitcnt vmcnt(14) lgkmcnt(1)
	v_fma_f64 v[85:86], v[113:114], v[85:86], v[95:96]
	;; [unrolled: 10-line block ×3, first 2 shown]
	s_waitcnt vmcnt(5)
	v_fma_f64 v[84:85], v[115:116], v[87:88], v[84:85]
	s_waitcnt vmcnt(4) lgkmcnt(0)
	v_fma_f64 v[84:85], v[111:112], v[89:90], v[84:85]
	s_waitcnt vmcnt(2)
	v_fma_f64 v[84:85], v[93:94], v[91:92], v[84:85]
	s_waitcnt vmcnt(0)
	v_add_f64 v[84:85], v[117:118], -v[84:85]
	buffer_store_dword v85, off, s[0:3], 0 offset:68
	buffer_store_dword v84, off, s[0:3], 0 offset:64
	v_cmpx_lt_u32_e32 7, v0
	s_cbranch_execz .LBB104_241
; %bb.240:
	s_clause 0x1
	buffer_load_dword v84, off, s[0:3], 0 offset:56
	buffer_load_dword v85, off, s[0:3], 0 offset:60
	v_mov_b32_e32 v86, 0
	buffer_store_dword v86, off, s[0:3], 0 offset:56
	buffer_store_dword v86, off, s[0:3], 0 offset:60
	s_waitcnt vmcnt(0)
	ds_write_b64 v83, v[84:85]
.LBB104_241:
	s_or_b32 exec_lo, exec_lo, s4
	s_waitcnt lgkmcnt(0)
	s_waitcnt_vscnt null, 0x0
	s_barrier
	buffer_gl0_inv
	s_clause 0x1c
	buffer_load_dword v93, off, s[0:3], 0 offset:64
	buffer_load_dword v94, off, s[0:3], 0 offset:68
	;; [unrolled: 1-line block ×29, first 2 shown]
	v_mov_b32_e32 v84, 0
	buffer_load_dword v118, off, s[0:3], 0 offset:180
	s_mov_b32 s4, exec_lo
	ds_read_b128 v[85:88], v84 offset:400
	ds_read_b128 v[89:92], v84 offset:416
	s_waitcnt vmcnt(28) lgkmcnt(1)
	v_fma_f64 v[85:86], v[93:94], v[85:86], 0
	s_clause 0x7
	buffer_load_dword v94, off, s[0:3], 0 offset:188
	buffer_load_dword v123, off, s[0:3], 0 offset:208
	buffer_load_dword v125, off, s[0:3], 0 offset:200
	buffer_load_dword v127, off, s[0:3], 0 offset:192
	buffer_load_dword v93, off, s[0:3], 0 offset:184
	buffer_load_dword v128, off, s[0:3], 0 offset:196
	buffer_load_dword v126, off, s[0:3], 0 offset:204
	buffer_load_dword v124, off, s[0:3], 0 offset:212
	s_waitcnt vmcnt(34)
	v_fma_f64 v[85:86], v[95:96], v[87:88], v[85:86]
	s_waitcnt vmcnt(32) lgkmcnt(0)
	v_fma_f64 v[85:86], v[97:98], v[89:90], v[85:86]
	s_waitcnt vmcnt(30)
	v_fma_f64 v[95:96], v[99:100], v[91:92], v[85:86]
	ds_read_b128 v[85:88], v84 offset:432
	ds_read_b128 v[89:92], v84 offset:448
	s_waitcnt vmcnt(28) lgkmcnt(1)
	v_fma_f64 v[85:86], v[101:102], v[85:86], v[95:96]
	s_clause 0x7
	buffer_load_dword v96, off, s[0:3], 0 offset:220
	buffer_load_dword v97, off, s[0:3], 0 offset:240
	buffer_load_dword v99, off, s[0:3], 0 offset:232
	buffer_load_dword v101, off, s[0:3], 0 offset:224
	buffer_load_dword v95, off, s[0:3], 0 offset:216
	buffer_load_dword v102, off, s[0:3], 0 offset:228
	buffer_load_dword v100, off, s[0:3], 0 offset:236
	buffer_load_dword v98, off, s[0:3], 0 offset:244
	s_waitcnt vmcnt(34)
	v_fma_f64 v[85:86], v[103:104], v[87:88], v[85:86]
	s_waitcnt vmcnt(32) lgkmcnt(0)
	v_fma_f64 v[85:86], v[105:106], v[89:90], v[85:86]
	s_waitcnt vmcnt(27)
	v_fma_f64 v[103:104], v[107:108], v[91:92], v[85:86]
	;; [unrolled: 19-line block ×4, first 2 shown]
	ds_read_b128 v[85:88], v84 offset:528
	ds_read_b128 v[89:92], v84 offset:544
	s_waitcnt vmcnt(26) lgkmcnt(1)
	v_fma_f64 v[85:86], v[127:128], v[85:86], v[93:94]
	s_clause 0x5
	buffer_load_dword v94, off, s[0:3], 0 offset:316
	buffer_load_dword v117, off, s[0:3], 0 offset:320
	;; [unrolled: 1-line block ×6, first 2 shown]
	s_waitcnt vmcnt(31)
	v_fma_f64 v[85:86], v[125:126], v[87:88], v[85:86]
	s_waitcnt vmcnt(30) lgkmcnt(0)
	v_fma_f64 v[85:86], v[123:124], v[89:90], v[85:86]
	s_waitcnt vmcnt(25)
	v_fma_f64 v[95:96], v[95:96], v[91:92], v[85:86]
	ds_read_b128 v[85:88], v84 offset:560
	ds_read_b128 v[89:92], v84 offset:576
	s_waitcnt vmcnt(24) lgkmcnt(1)
	v_fma_f64 v[85:86], v[101:102], v[85:86], v[95:96]
	s_waitcnt vmcnt(23)
	v_fma_f64 v[85:86], v[99:100], v[87:88], v[85:86]
	s_waitcnt vmcnt(22) lgkmcnt(0)
	v_fma_f64 v[85:86], v[97:98], v[89:90], v[85:86]
	s_waitcnt vmcnt(17)
	v_fma_f64 v[95:96], v[103:104], v[91:92], v[85:86]
	ds_read_b128 v[85:88], v84 offset:592
	ds_read_b128 v[89:92], v84 offset:608
	s_waitcnt vmcnt(16) lgkmcnt(1)
	v_fma_f64 v[85:86], v[113:114], v[85:86], v[95:96]
	;; [unrolled: 10-line block ×3, first 2 shown]
	s_waitcnt vmcnt(7)
	v_fma_f64 v[85:86], v[115:116], v[87:88], v[85:86]
	ds_read_b64 v[87:88], v84 offset:656
	s_waitcnt vmcnt(6) lgkmcnt(1)
	v_fma_f64 v[85:86], v[111:112], v[89:90], v[85:86]
	s_waitcnt vmcnt(3)
	v_fma_f64 v[85:86], v[93:94], v[91:92], v[85:86]
	s_waitcnt vmcnt(2) lgkmcnt(0)
	v_fma_f64 v[85:86], v[117:118], v[87:88], v[85:86]
	s_waitcnt vmcnt(0)
	v_add_f64 v[85:86], v[119:120], -v[85:86]
	buffer_store_dword v86, off, s[0:3], 0 offset:60
	buffer_store_dword v85, off, s[0:3], 0 offset:56
	v_cmpx_lt_u32_e32 6, v0
	s_cbranch_execz .LBB104_243
; %bb.242:
	s_clause 0x1
	buffer_load_dword v85, off, s[0:3], 0 offset:48
	buffer_load_dword v86, off, s[0:3], 0 offset:52
	buffer_store_dword v84, off, s[0:3], 0 offset:48
	buffer_store_dword v84, off, s[0:3], 0 offset:52
	s_waitcnt vmcnt(0)
	ds_write_b64 v83, v[85:86]
.LBB104_243:
	s_or_b32 exec_lo, exec_lo, s4
	s_waitcnt lgkmcnt(0)
	s_waitcnt_vscnt null, 0x0
	s_barrier
	buffer_gl0_inv
	s_clause 0x1c
	buffer_load_dword v93, off, s[0:3], 0 offset:56
	buffer_load_dword v94, off, s[0:3], 0 offset:60
	;; [unrolled: 1-line block ×29, first 2 shown]
	ds_read2_b64 v[85:88], v84 offset0:49 offset1:50
	ds_read2_b64 v[89:92], v84 offset0:51 offset1:52
	buffer_load_dword v118, off, s[0:3], 0 offset:172
	s_mov_b32 s4, exec_lo
	s_waitcnt vmcnt(28) lgkmcnt(1)
	v_fma_f64 v[85:86], v[93:94], v[85:86], 0
	s_clause 0x7
	buffer_load_dword v94, off, s[0:3], 0 offset:180
	buffer_load_dword v123, off, s[0:3], 0 offset:200
	buffer_load_dword v125, off, s[0:3], 0 offset:192
	buffer_load_dword v127, off, s[0:3], 0 offset:184
	buffer_load_dword v93, off, s[0:3], 0 offset:176
	buffer_load_dword v128, off, s[0:3], 0 offset:188
	buffer_load_dword v126, off, s[0:3], 0 offset:196
	buffer_load_dword v124, off, s[0:3], 0 offset:204
	s_waitcnt vmcnt(34)
	v_fma_f64 v[85:86], v[95:96], v[87:88], v[85:86]
	s_waitcnt vmcnt(32) lgkmcnt(0)
	v_fma_f64 v[85:86], v[97:98], v[89:90], v[85:86]
	s_waitcnt vmcnt(30)
	v_fma_f64 v[95:96], v[99:100], v[91:92], v[85:86]
	ds_read2_b64 v[85:88], v84 offset0:53 offset1:54
	ds_read2_b64 v[89:92], v84 offset0:55 offset1:56
	s_waitcnt vmcnt(28) lgkmcnt(1)
	v_fma_f64 v[85:86], v[101:102], v[85:86], v[95:96]
	s_clause 0x7
	buffer_load_dword v96, off, s[0:3], 0 offset:212
	buffer_load_dword v97, off, s[0:3], 0 offset:232
	buffer_load_dword v99, off, s[0:3], 0 offset:224
	buffer_load_dword v101, off, s[0:3], 0 offset:216
	buffer_load_dword v95, off, s[0:3], 0 offset:208
	buffer_load_dword v102, off, s[0:3], 0 offset:220
	buffer_load_dword v100, off, s[0:3], 0 offset:228
	buffer_load_dword v98, off, s[0:3], 0 offset:236
	s_waitcnt vmcnt(34)
	v_fma_f64 v[85:86], v[103:104], v[87:88], v[85:86]
	s_waitcnt vmcnt(32) lgkmcnt(0)
	v_fma_f64 v[85:86], v[105:106], v[89:90], v[85:86]
	s_waitcnt vmcnt(27)
	v_fma_f64 v[103:104], v[107:108], v[91:92], v[85:86]
	ds_read2_b64 v[85:88], v84 offset0:57 offset1:58
	ds_read2_b64 v[89:92], v84 offset0:59 offset1:60
	;; [unrolled: 19-line block ×4, first 2 shown]
	s_waitcnt vmcnt(26) lgkmcnt(1)
	v_fma_f64 v[85:86], v[127:128], v[85:86], v[93:94]
	s_clause 0x5
	buffer_load_dword v94, off, s[0:3], 0 offset:308
	buffer_load_dword v117, off, s[0:3], 0 offset:320
	;; [unrolled: 1-line block ×6, first 2 shown]
	s_waitcnt vmcnt(31)
	v_fma_f64 v[85:86], v[125:126], v[87:88], v[85:86]
	s_waitcnt vmcnt(30) lgkmcnt(0)
	v_fma_f64 v[85:86], v[123:124], v[89:90], v[85:86]
	s_waitcnt vmcnt(25)
	v_fma_f64 v[95:96], v[95:96], v[91:92], v[85:86]
	ds_read2_b64 v[85:88], v84 offset0:69 offset1:70
	s_clause 0x1
	buffer_load_dword v123, off, s[0:3], 0 offset:48
	buffer_load_dword v124, off, s[0:3], 0 offset:52
	ds_read2_b64 v[89:92], v84 offset0:71 offset1:72
	s_waitcnt vmcnt(26) lgkmcnt(1)
	v_fma_f64 v[85:86], v[101:102], v[85:86], v[95:96]
	s_waitcnt vmcnt(25)
	v_fma_f64 v[85:86], v[99:100], v[87:88], v[85:86]
	s_waitcnt vmcnt(24) lgkmcnt(0)
	v_fma_f64 v[85:86], v[97:98], v[89:90], v[85:86]
	s_waitcnt vmcnt(19)
	v_fma_f64 v[95:96], v[103:104], v[91:92], v[85:86]
	ds_read2_b64 v[85:88], v84 offset0:73 offset1:74
	ds_read2_b64 v[89:92], v84 offset0:75 offset1:76
	s_waitcnt vmcnt(18) lgkmcnt(1)
	v_fma_f64 v[85:86], v[113:114], v[85:86], v[95:96]
	s_waitcnt vmcnt(17)
	v_fma_f64 v[85:86], v[107:108], v[87:88], v[85:86]
	s_waitcnt vmcnt(16) lgkmcnt(0)
	v_fma_f64 v[85:86], v[105:106], v[89:90], v[85:86]
	s_waitcnt vmcnt(11)
	v_fma_f64 v[95:96], v[109:110], v[91:92], v[85:86]
	ds_read2_b64 v[85:88], v84 offset0:77 offset1:78
	;; [unrolled: 10-line block ×3, first 2 shown]
	s_waitcnt vmcnt(3) lgkmcnt(0)
	v_fma_f64 v[84:85], v[119:120], v[84:85], v[88:89]
	s_waitcnt vmcnt(2)
	v_fma_f64 v[84:85], v[117:118], v[86:87], v[84:85]
	s_waitcnt vmcnt(0)
	v_add_f64 v[84:85], v[123:124], -v[84:85]
	buffer_store_dword v85, off, s[0:3], 0 offset:52
	buffer_store_dword v84, off, s[0:3], 0 offset:48
	v_cmpx_lt_u32_e32 5, v0
	s_cbranch_execz .LBB104_245
; %bb.244:
	s_clause 0x1
	buffer_load_dword v84, off, s[0:3], 0 offset:40
	buffer_load_dword v85, off, s[0:3], 0 offset:44
	v_mov_b32_e32 v86, 0
	buffer_store_dword v86, off, s[0:3], 0 offset:40
	buffer_store_dword v86, off, s[0:3], 0 offset:44
	s_waitcnt vmcnt(0)
	ds_write_b64 v83, v[84:85]
.LBB104_245:
	s_or_b32 exec_lo, exec_lo, s4
	s_waitcnt lgkmcnt(0)
	s_waitcnt_vscnt null, 0x0
	s_barrier
	buffer_gl0_inv
	s_clause 0x1c
	buffer_load_dword v93, off, s[0:3], 0 offset:48
	buffer_load_dword v94, off, s[0:3], 0 offset:52
	;; [unrolled: 1-line block ×29, first 2 shown]
	v_mov_b32_e32 v84, 0
	buffer_load_dword v118, off, s[0:3], 0 offset:164
	s_mov_b32 s4, exec_lo
	ds_read_b128 v[85:88], v84 offset:384
	ds_read_b128 v[89:92], v84 offset:400
	s_waitcnt vmcnt(28) lgkmcnt(1)
	v_fma_f64 v[85:86], v[93:94], v[85:86], 0
	s_clause 0x7
	buffer_load_dword v94, off, s[0:3], 0 offset:172
	buffer_load_dword v123, off, s[0:3], 0 offset:192
	buffer_load_dword v125, off, s[0:3], 0 offset:184
	buffer_load_dword v127, off, s[0:3], 0 offset:176
	buffer_load_dword v93, off, s[0:3], 0 offset:168
	buffer_load_dword v128, off, s[0:3], 0 offset:180
	buffer_load_dword v126, off, s[0:3], 0 offset:188
	buffer_load_dword v124, off, s[0:3], 0 offset:196
	s_waitcnt vmcnt(34)
	v_fma_f64 v[85:86], v[95:96], v[87:88], v[85:86]
	s_waitcnt vmcnt(32) lgkmcnt(0)
	v_fma_f64 v[85:86], v[97:98], v[89:90], v[85:86]
	s_waitcnt vmcnt(30)
	v_fma_f64 v[95:96], v[99:100], v[91:92], v[85:86]
	ds_read_b128 v[85:88], v84 offset:416
	ds_read_b128 v[89:92], v84 offset:432
	s_waitcnt vmcnt(28) lgkmcnt(1)
	v_fma_f64 v[85:86], v[101:102], v[85:86], v[95:96]
	s_clause 0x7
	buffer_load_dword v96, off, s[0:3], 0 offset:204
	buffer_load_dword v97, off, s[0:3], 0 offset:224
	buffer_load_dword v99, off, s[0:3], 0 offset:216
	buffer_load_dword v101, off, s[0:3], 0 offset:208
	buffer_load_dword v95, off, s[0:3], 0 offset:200
	buffer_load_dword v102, off, s[0:3], 0 offset:212
	buffer_load_dword v100, off, s[0:3], 0 offset:220
	buffer_load_dword v98, off, s[0:3], 0 offset:228
	s_waitcnt vmcnt(34)
	v_fma_f64 v[85:86], v[103:104], v[87:88], v[85:86]
	s_waitcnt vmcnt(32) lgkmcnt(0)
	v_fma_f64 v[85:86], v[105:106], v[89:90], v[85:86]
	s_waitcnt vmcnt(27)
	v_fma_f64 v[103:104], v[107:108], v[91:92], v[85:86]
	;; [unrolled: 19-line block ×5, first 2 shown]
	ds_read_b128 v[85:88], v84 offset:544
	ds_read_b128 v[89:92], v84 offset:560
	s_waitcnt vmcnt(26) lgkmcnt(1)
	v_fma_f64 v[85:86], v[101:102], v[85:86], v[95:96]
	s_clause 0x1
	buffer_load_dword v95, off, s[0:3], 0 offset:40
	buffer_load_dword v96, off, s[0:3], 0 offset:44
	s_waitcnt vmcnt(27)
	v_fma_f64 v[85:86], v[99:100], v[87:88], v[85:86]
	s_waitcnt vmcnt(26) lgkmcnt(0)
	v_fma_f64 v[85:86], v[97:98], v[89:90], v[85:86]
	s_waitcnt vmcnt(21)
	v_fma_f64 v[97:98], v[103:104], v[91:92], v[85:86]
	ds_read_b128 v[85:88], v84 offset:576
	ds_read_b128 v[89:92], v84 offset:592
	s_waitcnt vmcnt(20) lgkmcnt(1)
	v_fma_f64 v[85:86], v[113:114], v[85:86], v[97:98]
	s_waitcnt vmcnt(19)
	v_fma_f64 v[85:86], v[107:108], v[87:88], v[85:86]
	s_waitcnt vmcnt(18) lgkmcnt(0)
	v_fma_f64 v[85:86], v[105:106], v[89:90], v[85:86]
	s_waitcnt vmcnt(13)
	v_fma_f64 v[97:98], v[109:110], v[91:92], v[85:86]
	ds_read_b128 v[85:88], v84 offset:608
	ds_read_b128 v[89:92], v84 offset:624
	s_waitcnt vmcnt(12) lgkmcnt(1)
	v_fma_f64 v[85:86], v[121:122], v[85:86], v[97:98]
	s_waitcnt vmcnt(11)
	v_fma_f64 v[85:86], v[115:116], v[87:88], v[85:86]
	s_waitcnt vmcnt(10) lgkmcnt(0)
	v_fma_f64 v[85:86], v[111:112], v[89:90], v[85:86]
	s_waitcnt vmcnt(5)
	v_fma_f64 v[89:90], v[93:94], v[91:92], v[85:86]
	ds_read_b128 v[85:88], v84 offset:640
	ds_read_b64 v[91:92], v84 offset:656
	s_waitcnt vmcnt(4) lgkmcnt(1)
	v_fma_f64 v[85:86], v[127:128], v[85:86], v[89:90]
	s_waitcnt vmcnt(3)
	v_fma_f64 v[85:86], v[119:120], v[87:88], v[85:86]
	s_waitcnt vmcnt(2) lgkmcnt(0)
	v_fma_f64 v[85:86], v[117:118], v[91:92], v[85:86]
	s_waitcnt vmcnt(0)
	v_add_f64 v[85:86], v[95:96], -v[85:86]
	buffer_store_dword v86, off, s[0:3], 0 offset:44
	buffer_store_dword v85, off, s[0:3], 0 offset:40
	v_cmpx_lt_u32_e32 4, v0
	s_cbranch_execz .LBB104_247
; %bb.246:
	s_clause 0x1
	buffer_load_dword v85, off, s[0:3], 0 offset:32
	buffer_load_dword v86, off, s[0:3], 0 offset:36
	buffer_store_dword v84, off, s[0:3], 0 offset:32
	buffer_store_dword v84, off, s[0:3], 0 offset:36
	s_waitcnt vmcnt(0)
	ds_write_b64 v83, v[85:86]
.LBB104_247:
	s_or_b32 exec_lo, exec_lo, s4
	s_waitcnt lgkmcnt(0)
	s_waitcnt_vscnt null, 0x0
	s_barrier
	buffer_gl0_inv
	s_clause 0x1c
	buffer_load_dword v93, off, s[0:3], 0 offset:40
	buffer_load_dword v94, off, s[0:3], 0 offset:44
	;; [unrolled: 1-line block ×29, first 2 shown]
	ds_read2_b64 v[85:88], v84 offset0:47 offset1:48
	ds_read2_b64 v[89:92], v84 offset0:49 offset1:50
	buffer_load_dword v118, off, s[0:3], 0 offset:156
	s_mov_b32 s4, exec_lo
	s_waitcnt vmcnt(28) lgkmcnt(1)
	v_fma_f64 v[85:86], v[93:94], v[85:86], 0
	s_clause 0x7
	buffer_load_dword v94, off, s[0:3], 0 offset:164
	buffer_load_dword v123, off, s[0:3], 0 offset:184
	buffer_load_dword v125, off, s[0:3], 0 offset:176
	buffer_load_dword v127, off, s[0:3], 0 offset:168
	buffer_load_dword v93, off, s[0:3], 0 offset:160
	buffer_load_dword v128, off, s[0:3], 0 offset:172
	buffer_load_dword v126, off, s[0:3], 0 offset:180
	buffer_load_dword v124, off, s[0:3], 0 offset:188
	s_waitcnt vmcnt(34)
	v_fma_f64 v[85:86], v[95:96], v[87:88], v[85:86]
	s_waitcnt vmcnt(32) lgkmcnt(0)
	v_fma_f64 v[85:86], v[97:98], v[89:90], v[85:86]
	s_waitcnt vmcnt(30)
	v_fma_f64 v[95:96], v[99:100], v[91:92], v[85:86]
	ds_read2_b64 v[85:88], v84 offset0:51 offset1:52
	ds_read2_b64 v[89:92], v84 offset0:53 offset1:54
	s_waitcnt vmcnt(28) lgkmcnt(1)
	v_fma_f64 v[85:86], v[101:102], v[85:86], v[95:96]
	s_clause 0x7
	buffer_load_dword v96, off, s[0:3], 0 offset:196
	buffer_load_dword v97, off, s[0:3], 0 offset:216
	buffer_load_dword v99, off, s[0:3], 0 offset:208
	buffer_load_dword v101, off, s[0:3], 0 offset:200
	buffer_load_dword v95, off, s[0:3], 0 offset:192
	buffer_load_dword v102, off, s[0:3], 0 offset:204
	buffer_load_dword v100, off, s[0:3], 0 offset:212
	buffer_load_dword v98, off, s[0:3], 0 offset:220
	s_waitcnt vmcnt(34)
	v_fma_f64 v[85:86], v[103:104], v[87:88], v[85:86]
	s_waitcnt vmcnt(32) lgkmcnt(0)
	v_fma_f64 v[85:86], v[105:106], v[89:90], v[85:86]
	s_waitcnt vmcnt(27)
	v_fma_f64 v[103:104], v[107:108], v[91:92], v[85:86]
	ds_read2_b64 v[85:88], v84 offset0:55 offset1:56
	ds_read2_b64 v[89:92], v84 offset0:57 offset1:58
	;; [unrolled: 19-line block ×5, first 2 shown]
	s_waitcnt vmcnt(26) lgkmcnt(1)
	v_fma_f64 v[85:86], v[101:102], v[85:86], v[95:96]
	s_clause 0x1
	buffer_load_dword v96, off, s[0:3], 0 offset:324
	buffer_load_dword v95, off, s[0:3], 0 offset:320
	s_waitcnt vmcnt(27)
	v_fma_f64 v[85:86], v[99:100], v[87:88], v[85:86]
	s_clause 0x1
	buffer_load_dword v99, off, s[0:3], 0 offset:32
	buffer_load_dword v100, off, s[0:3], 0 offset:36
	s_waitcnt vmcnt(28) lgkmcnt(0)
	v_fma_f64 v[85:86], v[97:98], v[89:90], v[85:86]
	s_waitcnt vmcnt(23)
	v_fma_f64 v[97:98], v[103:104], v[91:92], v[85:86]
	ds_read2_b64 v[85:88], v84 offset0:71 offset1:72
	ds_read2_b64 v[89:92], v84 offset0:73 offset1:74
	s_waitcnt vmcnt(22) lgkmcnt(1)
	v_fma_f64 v[85:86], v[113:114], v[85:86], v[97:98]
	s_waitcnt vmcnt(21)
	v_fma_f64 v[85:86], v[107:108], v[87:88], v[85:86]
	s_waitcnt vmcnt(20) lgkmcnt(0)
	v_fma_f64 v[85:86], v[105:106], v[89:90], v[85:86]
	s_waitcnt vmcnt(15)
	v_fma_f64 v[97:98], v[109:110], v[91:92], v[85:86]
	ds_read2_b64 v[85:88], v84 offset0:75 offset1:76
	ds_read2_b64 v[89:92], v84 offset0:77 offset1:78
	s_waitcnt vmcnt(14) lgkmcnt(1)
	v_fma_f64 v[85:86], v[121:122], v[85:86], v[97:98]
	s_waitcnt vmcnt(13)
	v_fma_f64 v[85:86], v[115:116], v[87:88], v[85:86]
	;; [unrolled: 10-line block ×3, first 2 shown]
	s_waitcnt vmcnt(4) lgkmcnt(0)
	v_fma_f64 v[84:85], v[117:118], v[89:90], v[84:85]
	s_waitcnt vmcnt(2)
	v_fma_f64 v[84:85], v[95:96], v[91:92], v[84:85]
	s_waitcnt vmcnt(0)
	v_add_f64 v[84:85], v[99:100], -v[84:85]
	buffer_store_dword v85, off, s[0:3], 0 offset:36
	buffer_store_dword v84, off, s[0:3], 0 offset:32
	v_cmpx_lt_u32_e32 3, v0
	s_cbranch_execz .LBB104_249
; %bb.248:
	s_clause 0x1
	buffer_load_dword v84, off, s[0:3], 0 offset:24
	buffer_load_dword v85, off, s[0:3], 0 offset:28
	v_mov_b32_e32 v86, 0
	buffer_store_dword v86, off, s[0:3], 0 offset:24
	buffer_store_dword v86, off, s[0:3], 0 offset:28
	s_waitcnt vmcnt(0)
	ds_write_b64 v83, v[84:85]
.LBB104_249:
	s_or_b32 exec_lo, exec_lo, s4
	s_waitcnt lgkmcnt(0)
	s_waitcnt_vscnt null, 0x0
	s_barrier
	buffer_gl0_inv
	s_clause 0x1c
	buffer_load_dword v93, off, s[0:3], 0 offset:32
	buffer_load_dword v94, off, s[0:3], 0 offset:36
	;; [unrolled: 1-line block ×29, first 2 shown]
	v_mov_b32_e32 v84, 0
	buffer_load_dword v118, off, s[0:3], 0 offset:148
	s_mov_b32 s4, exec_lo
	ds_read_b128 v[85:88], v84 offset:368
	ds_read_b128 v[89:92], v84 offset:384
	s_waitcnt vmcnt(28) lgkmcnt(1)
	v_fma_f64 v[85:86], v[93:94], v[85:86], 0
	s_clause 0x7
	buffer_load_dword v94, off, s[0:3], 0 offset:156
	buffer_load_dword v123, off, s[0:3], 0 offset:176
	buffer_load_dword v125, off, s[0:3], 0 offset:168
	buffer_load_dword v127, off, s[0:3], 0 offset:160
	buffer_load_dword v93, off, s[0:3], 0 offset:152
	buffer_load_dword v128, off, s[0:3], 0 offset:164
	buffer_load_dword v126, off, s[0:3], 0 offset:172
	buffer_load_dword v124, off, s[0:3], 0 offset:180
	s_waitcnt vmcnt(34)
	v_fma_f64 v[85:86], v[95:96], v[87:88], v[85:86]
	s_waitcnt vmcnt(32) lgkmcnt(0)
	v_fma_f64 v[85:86], v[97:98], v[89:90], v[85:86]
	s_waitcnt vmcnt(30)
	v_fma_f64 v[95:96], v[99:100], v[91:92], v[85:86]
	ds_read_b128 v[85:88], v84 offset:400
	ds_read_b128 v[89:92], v84 offset:416
	s_waitcnt vmcnt(28) lgkmcnt(1)
	v_fma_f64 v[85:86], v[101:102], v[85:86], v[95:96]
	s_clause 0x7
	buffer_load_dword v96, off, s[0:3], 0 offset:188
	buffer_load_dword v97, off, s[0:3], 0 offset:208
	buffer_load_dword v99, off, s[0:3], 0 offset:200
	buffer_load_dword v101, off, s[0:3], 0 offset:192
	buffer_load_dword v95, off, s[0:3], 0 offset:184
	buffer_load_dword v102, off, s[0:3], 0 offset:196
	buffer_load_dword v100, off, s[0:3], 0 offset:204
	buffer_load_dword v98, off, s[0:3], 0 offset:212
	s_waitcnt vmcnt(34)
	v_fma_f64 v[85:86], v[103:104], v[87:88], v[85:86]
	s_waitcnt vmcnt(32) lgkmcnt(0)
	v_fma_f64 v[85:86], v[105:106], v[89:90], v[85:86]
	s_waitcnt vmcnt(27)
	v_fma_f64 v[103:104], v[107:108], v[91:92], v[85:86]
	;; [unrolled: 19-line block ×5, first 2 shown]
	ds_read_b128 v[85:88], v84 offset:528
	ds_read_b128 v[89:92], v84 offset:544
	s_waitcnt vmcnt(26) lgkmcnt(1)
	v_fma_f64 v[85:86], v[101:102], v[85:86], v[95:96]
	s_clause 0x3
	buffer_load_dword v96, off, s[0:3], 0 offset:316
	buffer_load_dword v101, off, s[0:3], 0 offset:320
	;; [unrolled: 1-line block ×4, first 2 shown]
	s_waitcnt vmcnt(29)
	v_fma_f64 v[85:86], v[99:100], v[87:88], v[85:86]
	s_waitcnt vmcnt(28) lgkmcnt(0)
	v_fma_f64 v[85:86], v[97:98], v[89:90], v[85:86]
	s_clause 0x1
	buffer_load_dword v97, off, s[0:3], 0 offset:24
	buffer_load_dword v98, off, s[0:3], 0 offset:28
	s_waitcnt vmcnt(25)
	v_fma_f64 v[99:100], v[103:104], v[91:92], v[85:86]
	ds_read_b128 v[85:88], v84 offset:560
	ds_read_b128 v[89:92], v84 offset:576
	s_waitcnt vmcnt(24) lgkmcnt(1)
	v_fma_f64 v[85:86], v[113:114], v[85:86], v[99:100]
	s_waitcnt vmcnt(23)
	v_fma_f64 v[85:86], v[107:108], v[87:88], v[85:86]
	s_waitcnt vmcnt(22) lgkmcnt(0)
	v_fma_f64 v[85:86], v[105:106], v[89:90], v[85:86]
	s_waitcnt vmcnt(17)
	v_fma_f64 v[99:100], v[109:110], v[91:92], v[85:86]
	ds_read_b128 v[85:88], v84 offset:592
	ds_read_b128 v[89:92], v84 offset:608
	s_waitcnt vmcnt(16) lgkmcnt(1)
	v_fma_f64 v[85:86], v[121:122], v[85:86], v[99:100]
	s_waitcnt vmcnt(15)
	v_fma_f64 v[85:86], v[115:116], v[87:88], v[85:86]
	s_waitcnt vmcnt(14) lgkmcnt(0)
	v_fma_f64 v[85:86], v[111:112], v[89:90], v[85:86]
	s_waitcnt vmcnt(9)
	v_fma_f64 v[93:94], v[93:94], v[91:92], v[85:86]
	ds_read_b128 v[85:88], v84 offset:624
	ds_read_b128 v[89:92], v84 offset:640
	s_waitcnt vmcnt(8) lgkmcnt(1)
	v_fma_f64 v[85:86], v[127:128], v[85:86], v[93:94]
	s_waitcnt vmcnt(7)
	v_fma_f64 v[85:86], v[119:120], v[87:88], v[85:86]
	ds_read_b64 v[87:88], v84 offset:656
	s_waitcnt vmcnt(6) lgkmcnt(1)
	v_fma_f64 v[85:86], v[117:118], v[89:90], v[85:86]
	s_waitcnt vmcnt(3)
	v_fma_f64 v[85:86], v[95:96], v[91:92], v[85:86]
	s_waitcnt vmcnt(2) lgkmcnt(0)
	v_fma_f64 v[85:86], v[101:102], v[87:88], v[85:86]
	s_waitcnt vmcnt(0)
	v_add_f64 v[85:86], v[97:98], -v[85:86]
	buffer_store_dword v86, off, s[0:3], 0 offset:28
	buffer_store_dword v85, off, s[0:3], 0 offset:24
	v_cmpx_lt_u32_e32 2, v0
	s_cbranch_execz .LBB104_251
; %bb.250:
	s_clause 0x1
	buffer_load_dword v85, off, s[0:3], 0 offset:16
	buffer_load_dword v86, off, s[0:3], 0 offset:20
	buffer_store_dword v84, off, s[0:3], 0 offset:16
	buffer_store_dword v84, off, s[0:3], 0 offset:20
	s_waitcnt vmcnt(0)
	ds_write_b64 v83, v[85:86]
.LBB104_251:
	s_or_b32 exec_lo, exec_lo, s4
	s_waitcnt lgkmcnt(0)
	s_waitcnt_vscnt null, 0x0
	s_barrier
	buffer_gl0_inv
	s_clause 0x1c
	buffer_load_dword v93, off, s[0:3], 0 offset:24
	buffer_load_dword v94, off, s[0:3], 0 offset:28
	;; [unrolled: 1-line block ×29, first 2 shown]
	ds_read2_b64 v[85:88], v84 offset0:45 offset1:46
	ds_read2_b64 v[89:92], v84 offset0:47 offset1:48
	buffer_load_dword v118, off, s[0:3], 0 offset:140
	s_mov_b32 s4, exec_lo
	s_waitcnt vmcnt(28) lgkmcnt(1)
	v_fma_f64 v[85:86], v[93:94], v[85:86], 0
	s_clause 0x7
	buffer_load_dword v94, off, s[0:3], 0 offset:148
	buffer_load_dword v123, off, s[0:3], 0 offset:168
	buffer_load_dword v125, off, s[0:3], 0 offset:160
	buffer_load_dword v127, off, s[0:3], 0 offset:152
	buffer_load_dword v93, off, s[0:3], 0 offset:144
	buffer_load_dword v128, off, s[0:3], 0 offset:156
	buffer_load_dword v126, off, s[0:3], 0 offset:164
	buffer_load_dword v124, off, s[0:3], 0 offset:172
	s_waitcnt vmcnt(34)
	v_fma_f64 v[85:86], v[95:96], v[87:88], v[85:86]
	s_waitcnt vmcnt(32) lgkmcnt(0)
	v_fma_f64 v[85:86], v[97:98], v[89:90], v[85:86]
	s_waitcnt vmcnt(30)
	v_fma_f64 v[95:96], v[99:100], v[91:92], v[85:86]
	ds_read2_b64 v[85:88], v84 offset0:49 offset1:50
	ds_read2_b64 v[89:92], v84 offset0:51 offset1:52
	s_waitcnt vmcnt(28) lgkmcnt(1)
	v_fma_f64 v[85:86], v[101:102], v[85:86], v[95:96]
	s_clause 0x7
	buffer_load_dword v96, off, s[0:3], 0 offset:180
	buffer_load_dword v97, off, s[0:3], 0 offset:200
	buffer_load_dword v99, off, s[0:3], 0 offset:192
	buffer_load_dword v101, off, s[0:3], 0 offset:184
	buffer_load_dword v95, off, s[0:3], 0 offset:176
	buffer_load_dword v102, off, s[0:3], 0 offset:188
	buffer_load_dword v100, off, s[0:3], 0 offset:196
	buffer_load_dword v98, off, s[0:3], 0 offset:204
	s_waitcnt vmcnt(34)
	v_fma_f64 v[85:86], v[103:104], v[87:88], v[85:86]
	s_waitcnt vmcnt(32) lgkmcnt(0)
	v_fma_f64 v[85:86], v[105:106], v[89:90], v[85:86]
	s_waitcnt vmcnt(27)
	v_fma_f64 v[103:104], v[107:108], v[91:92], v[85:86]
	ds_read2_b64 v[85:88], v84 offset0:53 offset1:54
	ds_read2_b64 v[89:92], v84 offset0:55 offset1:56
	;; [unrolled: 19-line block ×5, first 2 shown]
	s_waitcnt vmcnt(26) lgkmcnt(1)
	v_fma_f64 v[85:86], v[101:102], v[85:86], v[95:96]
	s_clause 0x5
	buffer_load_dword v96, off, s[0:3], 0 offset:308
	buffer_load_dword v101, off, s[0:3], 0 offset:320
	buffer_load_dword v123, off, s[0:3], 0 offset:312
	buffer_load_dword v95, off, s[0:3], 0 offset:304
	buffer_load_dword v124, off, s[0:3], 0 offset:316
	buffer_load_dword v102, off, s[0:3], 0 offset:324
	s_waitcnt vmcnt(31)
	v_fma_f64 v[85:86], v[99:100], v[87:88], v[85:86]
	s_waitcnt vmcnt(30) lgkmcnt(0)
	v_fma_f64 v[85:86], v[97:98], v[89:90], v[85:86]
	s_waitcnt vmcnt(25)
	v_fma_f64 v[97:98], v[103:104], v[91:92], v[85:86]
	ds_read2_b64 v[85:88], v84 offset0:69 offset1:70
	s_clause 0x1
	buffer_load_dword v99, off, s[0:3], 0 offset:16
	buffer_load_dword v100, off, s[0:3], 0 offset:20
	ds_read2_b64 v[89:92], v84 offset0:71 offset1:72
	s_waitcnt vmcnt(26) lgkmcnt(1)
	v_fma_f64 v[85:86], v[113:114], v[85:86], v[97:98]
	s_waitcnt vmcnt(25)
	v_fma_f64 v[85:86], v[107:108], v[87:88], v[85:86]
	s_waitcnt vmcnt(24) lgkmcnt(0)
	v_fma_f64 v[85:86], v[105:106], v[89:90], v[85:86]
	s_waitcnt vmcnt(19)
	v_fma_f64 v[97:98], v[109:110], v[91:92], v[85:86]
	ds_read2_b64 v[85:88], v84 offset0:73 offset1:74
	ds_read2_b64 v[89:92], v84 offset0:75 offset1:76
	s_waitcnt vmcnt(18) lgkmcnt(1)
	v_fma_f64 v[85:86], v[121:122], v[85:86], v[97:98]
	s_waitcnt vmcnt(17)
	v_fma_f64 v[85:86], v[115:116], v[87:88], v[85:86]
	s_waitcnt vmcnt(16) lgkmcnt(0)
	v_fma_f64 v[85:86], v[111:112], v[89:90], v[85:86]
	s_waitcnt vmcnt(11)
	v_fma_f64 v[93:94], v[93:94], v[91:92], v[85:86]
	ds_read2_b64 v[85:88], v84 offset0:77 offset1:78
	;; [unrolled: 10-line block ×3, first 2 shown]
	s_waitcnt vmcnt(3) lgkmcnt(0)
	v_fma_f64 v[84:85], v[123:124], v[84:85], v[88:89]
	s_waitcnt vmcnt(2)
	v_fma_f64 v[84:85], v[101:102], v[86:87], v[84:85]
	s_waitcnt vmcnt(0)
	v_add_f64 v[84:85], v[99:100], -v[84:85]
	buffer_store_dword v85, off, s[0:3], 0 offset:20
	buffer_store_dword v84, off, s[0:3], 0 offset:16
	v_cmpx_lt_u32_e32 1, v0
	s_cbranch_execz .LBB104_253
; %bb.252:
	s_clause 0x1
	buffer_load_dword v84, off, s[0:3], 0 offset:8
	buffer_load_dword v85, off, s[0:3], 0 offset:12
	v_mov_b32_e32 v86, 0
	buffer_store_dword v86, off, s[0:3], 0 offset:8
	buffer_store_dword v86, off, s[0:3], 0 offset:12
	s_waitcnt vmcnt(0)
	ds_write_b64 v83, v[84:85]
.LBB104_253:
	s_or_b32 exec_lo, exec_lo, s4
	s_waitcnt lgkmcnt(0)
	s_waitcnt_vscnt null, 0x0
	s_barrier
	buffer_gl0_inv
	s_clause 0x1c
	buffer_load_dword v94, off, s[0:3], 0 offset:16
	buffer_load_dword v95, off, s[0:3], 0 offset:20
	;; [unrolled: 1-line block ×29, first 2 shown]
	v_mov_b32_e32 v85, 0
	buffer_load_dword v119, off, s[0:3], 0 offset:132
	s_mov_b32 s4, exec_lo
	ds_read_b128 v[86:89], v85 offset:352
	ds_read_b128 v[90:93], v85 offset:368
	s_waitcnt vmcnt(28) lgkmcnt(1)
	v_fma_f64 v[86:87], v[94:95], v[86:87], 0
	s_clause 0x7
	buffer_load_dword v95, off, s[0:3], 0 offset:140
	buffer_load_dword v124, off, s[0:3], 0 offset:160
	buffer_load_dword v126, off, s[0:3], 0 offset:152
	buffer_load_dword v128, off, s[0:3], 0 offset:144
	buffer_load_dword v94, off, s[0:3], 0 offset:136
	buffer_load_dword v129, off, s[0:3], 0 offset:148
	buffer_load_dword v127, off, s[0:3], 0 offset:156
	buffer_load_dword v125, off, s[0:3], 0 offset:164
	s_waitcnt vmcnt(34)
	v_fma_f64 v[86:87], v[96:97], v[88:89], v[86:87]
	s_waitcnt vmcnt(32) lgkmcnt(0)
	v_fma_f64 v[86:87], v[98:99], v[90:91], v[86:87]
	s_waitcnt vmcnt(30)
	v_fma_f64 v[96:97], v[100:101], v[92:93], v[86:87]
	ds_read_b128 v[86:89], v85 offset:384
	ds_read_b128 v[90:93], v85 offset:400
	s_waitcnt vmcnt(28) lgkmcnt(1)
	v_fma_f64 v[86:87], v[102:103], v[86:87], v[96:97]
	s_clause 0x7
	buffer_load_dword v97, off, s[0:3], 0 offset:172
	buffer_load_dword v98, off, s[0:3], 0 offset:192
	buffer_load_dword v100, off, s[0:3], 0 offset:184
	buffer_load_dword v102, off, s[0:3], 0 offset:176
	buffer_load_dword v96, off, s[0:3], 0 offset:168
	buffer_load_dword v103, off, s[0:3], 0 offset:180
	buffer_load_dword v101, off, s[0:3], 0 offset:188
	buffer_load_dword v99, off, s[0:3], 0 offset:196
	s_waitcnt vmcnt(34)
	v_fma_f64 v[86:87], v[104:105], v[88:89], v[86:87]
	s_waitcnt vmcnt(32) lgkmcnt(0)
	v_fma_f64 v[86:87], v[106:107], v[90:91], v[86:87]
	s_waitcnt vmcnt(27)
	v_fma_f64 v[104:105], v[108:109], v[92:93], v[86:87]
	;; [unrolled: 19-line block ×6, first 2 shown]
	ds_read_b128 v[86:89], v85 offset:544
	ds_read_b128 v[90:93], v85 offset:560
	s_waitcnt vmcnt(26) lgkmcnt(1)
	v_fma_f64 v[86:87], v[114:115], v[86:87], v[98:99]
	s_clause 0x1
	buffer_load_dword v98, off, s[0:3], 0 offset:8
	buffer_load_dword v99, off, s[0:3], 0 offset:12
	s_waitcnt vmcnt(27)
	v_fma_f64 v[86:87], v[108:109], v[88:89], v[86:87]
	s_waitcnt vmcnt(26) lgkmcnt(0)
	v_fma_f64 v[86:87], v[106:107], v[90:91], v[86:87]
	s_waitcnt vmcnt(21)
	v_fma_f64 v[100:101], v[110:111], v[92:93], v[86:87]
	ds_read_b128 v[86:89], v85 offset:576
	ds_read_b128 v[90:93], v85 offset:592
	s_waitcnt vmcnt(20) lgkmcnt(1)
	v_fma_f64 v[86:87], v[122:123], v[86:87], v[100:101]
	s_waitcnt vmcnt(19)
	v_fma_f64 v[86:87], v[116:117], v[88:89], v[86:87]
	s_waitcnt vmcnt(18) lgkmcnt(0)
	v_fma_f64 v[86:87], v[112:113], v[90:91], v[86:87]
	s_waitcnt vmcnt(13)
	v_fma_f64 v[94:95], v[94:95], v[92:93], v[86:87]
	ds_read_b128 v[86:89], v85 offset:608
	ds_read_b128 v[90:93], v85 offset:624
	s_waitcnt vmcnt(12) lgkmcnt(1)
	v_fma_f64 v[86:87], v[128:129], v[86:87], v[94:95]
	s_waitcnt vmcnt(11)
	v_fma_f64 v[86:87], v[120:121], v[88:89], v[86:87]
	s_waitcnt vmcnt(10) lgkmcnt(0)
	v_fma_f64 v[86:87], v[118:119], v[90:91], v[86:87]
	s_waitcnt vmcnt(5)
	v_fma_f64 v[90:91], v[96:97], v[92:93], v[86:87]
	ds_read_b128 v[86:89], v85 offset:640
	ds_read_b64 v[92:93], v85 offset:656
	s_waitcnt vmcnt(4) lgkmcnt(1)
	v_fma_f64 v[86:87], v[126:127], v[86:87], v[90:91]
	s_waitcnt vmcnt(3)
	v_fma_f64 v[86:87], v[124:125], v[88:89], v[86:87]
	s_waitcnt vmcnt(2) lgkmcnt(0)
	v_fma_f64 v[86:87], v[102:103], v[92:93], v[86:87]
	s_waitcnt vmcnt(0)
	v_add_f64 v[86:87], v[98:99], -v[86:87]
	buffer_store_dword v87, off, s[0:3], 0 offset:12
	buffer_store_dword v86, off, s[0:3], 0 offset:8
	v_cmpx_ne_u32_e32 0, v0
	s_cbranch_execz .LBB104_255
; %bb.254:
	s_clause 0x1
	buffer_load_dword v86, off, s[0:3], 0
	buffer_load_dword v87, off, s[0:3], 0 offset:4
	buffer_store_dword v85, off, s[0:3], 0
	buffer_store_dword v85, off, s[0:3], 0 offset:4
	s_waitcnt vmcnt(0)
	ds_write_b64 v83, v[86:87]
.LBB104_255:
	s_or_b32 exec_lo, exec_lo, s4
	s_waitcnt lgkmcnt(0)
	s_waitcnt_vscnt null, 0x0
	s_barrier
	buffer_gl0_inv
	s_clause 0x1c
	buffer_load_dword v83, off, s[0:3], 0 offset:8
	buffer_load_dword v84, off, s[0:3], 0 offset:12
	;; [unrolled: 1-line block ×29, first 2 shown]
	ds_read2_b64 v[86:89], v85 offset0:43 offset1:44
	ds_read2_b64 v[90:93], v85 offset0:45 offset1:46
	s_clause 0x8
	buffer_load_dword v117, off, s[0:3], 0 offset:124
	buffer_load_dword v123, off, s[0:3], 0 offset:132
	;; [unrolled: 1-line block ×9, first 2 shown]
	s_and_b32 vcc_lo, exec_lo, s16
	s_waitcnt vmcnt(36) lgkmcnt(1)
	v_fma_f64 v[83:84], v[83:84], v[86:87], 0
	s_waitcnt vmcnt(34)
	v_fma_f64 v[83:84], v[94:95], v[88:89], v[83:84]
	ds_read2_b64 v[86:89], v85 offset0:47 offset1:48
	s_waitcnt vmcnt(32) lgkmcnt(1)
	v_fma_f64 v[83:84], v[96:97], v[90:91], v[83:84]
	s_waitcnt vmcnt(30)
	v_fma_f64 v[83:84], v[98:99], v[92:93], v[83:84]
	ds_read2_b64 v[90:93], v85 offset0:49 offset1:50
	s_waitcnt vmcnt(28) lgkmcnt(1)
	v_fma_f64 v[83:84], v[100:101], v[86:87], v[83:84]
	s_clause 0x7
	buffer_load_dword v95, off, s[0:3], 0 offset:164
	buffer_load_dword v96, off, s[0:3], 0 offset:184
	buffer_load_dword v98, off, s[0:3], 0 offset:176
	buffer_load_dword v100, off, s[0:3], 0 offset:168
	buffer_load_dword v94, off, s[0:3], 0 offset:160
	buffer_load_dword v101, off, s[0:3], 0 offset:172
	buffer_load_dword v99, off, s[0:3], 0 offset:180
	buffer_load_dword v97, off, s[0:3], 0 offset:188
	s_waitcnt vmcnt(34)
	v_fma_f64 v[83:84], v[102:103], v[88:89], v[83:84]
	ds_read2_b64 v[86:89], v85 offset0:51 offset1:52
	s_waitcnt vmcnt(32) lgkmcnt(1)
	v_fma_f64 v[83:84], v[104:105], v[90:91], v[83:84]
	s_waitcnt vmcnt(27)
	v_fma_f64 v[83:84], v[106:107], v[92:93], v[83:84]
	ds_read2_b64 v[90:93], v85 offset0:53 offset1:54
	s_waitcnt vmcnt(26) lgkmcnt(1)
	v_fma_f64 v[83:84], v[112:113], v[86:87], v[83:84]
	s_clause 0x7
	buffer_load_dword v103, off, s[0:3], 0 offset:196
	buffer_load_dword v104, off, s[0:3], 0 offset:216
	buffer_load_dword v106, off, s[0:3], 0 offset:208
	buffer_load_dword v112, off, s[0:3], 0 offset:200
	buffer_load_dword v102, off, s[0:3], 0 offset:192
	buffer_load_dword v113, off, s[0:3], 0 offset:204
	buffer_load_dword v107, off, s[0:3], 0 offset:212
	buffer_load_dword v105, off, s[0:3], 0 offset:220
	;; [unrolled: 19-line block ×5, first 2 shown]
	s_waitcnt vmcnt(33)
	v_fma_f64 v[86:87], v[98:99], v[88:89], v[86:87]
	s_waitcnt vmcnt(32) lgkmcnt(0)
	v_fma_f64 v[86:87], v[96:97], v[90:91], v[86:87]
	s_waitcnt vmcnt(27)
	v_fma_f64 v[96:97], v[102:103], v[92:93], v[86:87]
	ds_read2_b64 v[86:89], v85 offset0:67 offset1:68
	ds_read2_b64 v[90:93], v85 offset0:69 offset1:70
	s_waitcnt vmcnt(26) lgkmcnt(1)
	v_fma_f64 v[86:87], v[112:113], v[86:87], v[96:97]
	s_clause 0x3
	buffer_load_dword v97, off, s[0:3], 0 offset:324
	buffer_load_dword v96, off, s[0:3], 0 offset:320
	buffer_load_dword v98, off, s[0:3], 0
	buffer_load_dword v99, off, s[0:3], 0 offset:4
	s_waitcnt vmcnt(29)
	v_fma_f64 v[86:87], v[106:107], v[88:89], v[86:87]
	s_waitcnt vmcnt(28) lgkmcnt(0)
	v_fma_f64 v[86:87], v[104:105], v[90:91], v[86:87]
	s_waitcnt vmcnt(23)
	v_fma_f64 v[102:103], v[108:109], v[92:93], v[86:87]
	ds_read2_b64 v[86:89], v85 offset0:71 offset1:72
	ds_read2_b64 v[90:93], v85 offset0:73 offset1:74
	s_waitcnt vmcnt(22) lgkmcnt(1)
	v_fma_f64 v[86:87], v[120:121], v[86:87], v[102:103]
	s_waitcnt vmcnt(21)
	v_fma_f64 v[86:87], v[114:115], v[88:89], v[86:87]
	s_waitcnt vmcnt(20) lgkmcnt(0)
	v_fma_f64 v[86:87], v[110:111], v[90:91], v[86:87]
	s_waitcnt vmcnt(15)
	v_fma_f64 v[102:103], v[116:117], v[92:93], v[86:87]
	ds_read2_b64 v[86:89], v85 offset0:75 offset1:76
	ds_read2_b64 v[90:93], v85 offset0:77 offset1:78
	s_waitcnt vmcnt(14) lgkmcnt(1)
	v_fma_f64 v[86:87], v[128:129], v[86:87], v[102:103]
	;; [unrolled: 10-line block ×3, first 2 shown]
	s_waitcnt vmcnt(5)
	v_fma_f64 v[85:86], v[100:101], v[88:89], v[85:86]
	s_waitcnt vmcnt(4) lgkmcnt(0)
	v_fma_f64 v[85:86], v[83:84], v[90:91], v[85:86]
	s_waitcnt vmcnt(2)
	v_fma_f64 v[85:86], v[96:97], v[92:93], v[85:86]
	s_waitcnt vmcnt(0)
	v_add_f64 v[85:86], v[98:99], -v[85:86]
	buffer_store_dword v86, off, s[0:3], 0 offset:4
	buffer_store_dword v85, off, s[0:3], 0
	s_cbranch_vccz .LBB104_336
; %bb.256:
	v_mov_b32_e32 v0, 0
	global_load_dword v85, v0, s[12:13] offset:156
	s_waitcnt vmcnt(0)
	v_add_nc_u32_e32 v85, -1, v85
	v_cmp_ne_u32_e32 vcc_lo, 39, v85
	s_cbranch_vccz .LBB104_258
; %bb.257:
	v_lshlrev_b32_e32 v85, 3, v85
	s_clause 0x1
	buffer_load_dword v86, v85, s[0:3], 0 offen
	buffer_load_dword v87, v85, s[0:3], 0 offen offset:4
	s_waitcnt vmcnt(1)
	buffer_store_dword v86, off, s[0:3], 0 offset:312
	s_waitcnt vmcnt(0)
	buffer_store_dword v87, off, s[0:3], 0 offset:316
	buffer_store_dword v83, v85, s[0:3], 0 offen
	buffer_store_dword v84, v85, s[0:3], 0 offen offset:4
.LBB104_258:
	global_load_dword v0, v0, s[12:13] offset:152
	s_waitcnt vmcnt(0)
	v_add_nc_u32_e32 v0, -1, v0
	v_cmp_eq_u32_e32 vcc_lo, 38, v0
	s_cbranch_vccnz .LBB104_260
; %bb.259:
	v_lshlrev_b32_e32 v0, 3, v0
	s_clause 0x3
	buffer_load_dword v83, v0, s[0:3], 0 offen
	buffer_load_dword v84, v0, s[0:3], 0 offen offset:4
	buffer_load_dword v85, off, s[0:3], 0 offset:308
	buffer_load_dword v86, off, s[0:3], 0 offset:304
	s_waitcnt vmcnt(3)
	buffer_store_dword v83, off, s[0:3], 0 offset:304
	s_waitcnt vmcnt(2)
	buffer_store_dword v84, off, s[0:3], 0 offset:308
	s_waitcnt vmcnt(1)
	buffer_store_dword v85, v0, s[0:3], 0 offen offset:4
	s_waitcnt vmcnt(0)
	buffer_store_dword v86, v0, s[0:3], 0 offen
.LBB104_260:
	v_mov_b32_e32 v0, 0
	global_load_dword v83, v0, s[12:13] offset:148
	s_waitcnt vmcnt(0)
	v_add_nc_u32_e32 v83, -1, v83
	v_cmp_eq_u32_e32 vcc_lo, 37, v83
	s_cbranch_vccnz .LBB104_262
; %bb.261:
	v_lshlrev_b32_e32 v83, 3, v83
	s_clause 0x3
	buffer_load_dword v84, v83, s[0:3], 0 offen
	buffer_load_dword v85, v83, s[0:3], 0 offen offset:4
	buffer_load_dword v86, off, s[0:3], 0 offset:296
	buffer_load_dword v87, off, s[0:3], 0 offset:300
	s_waitcnt vmcnt(3)
	buffer_store_dword v84, off, s[0:3], 0 offset:296
	s_waitcnt vmcnt(2)
	buffer_store_dword v85, off, s[0:3], 0 offset:300
	s_waitcnt vmcnt(1)
	buffer_store_dword v86, v83, s[0:3], 0 offen
	s_waitcnt vmcnt(0)
	buffer_store_dword v87, v83, s[0:3], 0 offen offset:4
.LBB104_262:
	global_load_dword v0, v0, s[12:13] offset:144
	s_waitcnt vmcnt(0)
	v_add_nc_u32_e32 v0, -1, v0
	v_cmp_eq_u32_e32 vcc_lo, 36, v0
	s_cbranch_vccnz .LBB104_264
; %bb.263:
	v_lshlrev_b32_e32 v0, 3, v0
	s_clause 0x3
	buffer_load_dword v83, v0, s[0:3], 0 offen
	buffer_load_dword v84, v0, s[0:3], 0 offen offset:4
	buffer_load_dword v85, off, s[0:3], 0 offset:292
	buffer_load_dword v86, off, s[0:3], 0 offset:288
	s_waitcnt vmcnt(3)
	buffer_store_dword v83, off, s[0:3], 0 offset:288
	s_waitcnt vmcnt(2)
	buffer_store_dword v84, off, s[0:3], 0 offset:292
	s_waitcnt vmcnt(1)
	buffer_store_dword v85, v0, s[0:3], 0 offen offset:4
	s_waitcnt vmcnt(0)
	buffer_store_dword v86, v0, s[0:3], 0 offen
.LBB104_264:
	v_mov_b32_e32 v0, 0
	global_load_dword v83, v0, s[12:13] offset:140
	s_waitcnt vmcnt(0)
	v_add_nc_u32_e32 v83, -1, v83
	v_cmp_eq_u32_e32 vcc_lo, 35, v83
	s_cbranch_vccnz .LBB104_266
; %bb.265:
	v_lshlrev_b32_e32 v83, 3, v83
	s_clause 0x3
	buffer_load_dword v84, v83, s[0:3], 0 offen
	buffer_load_dword v85, v83, s[0:3], 0 offen offset:4
	buffer_load_dword v86, off, s[0:3], 0 offset:280
	buffer_load_dword v87, off, s[0:3], 0 offset:284
	s_waitcnt vmcnt(3)
	buffer_store_dword v84, off, s[0:3], 0 offset:280
	s_waitcnt vmcnt(2)
	buffer_store_dword v85, off, s[0:3], 0 offset:284
	s_waitcnt vmcnt(1)
	buffer_store_dword v86, v83, s[0:3], 0 offen
	s_waitcnt vmcnt(0)
	buffer_store_dword v87, v83, s[0:3], 0 offen offset:4
.LBB104_266:
	;; [unrolled: 43-line block ×19, first 2 shown]
	global_load_dword v0, v0, s[12:13]
	s_clause 0x1
	buffer_load_dword v85, off, s[0:3], 0
	buffer_load_dword v86, off, s[0:3], 0 offset:4
	s_waitcnt vmcnt(2)
	v_add_nc_u32_e32 v0, -1, v0
	v_cmp_eq_u32_e32 vcc_lo, 0, v0
	s_cbranch_vccnz .LBB104_336
; %bb.335:
	v_lshlrev_b32_e32 v0, 3, v0
	s_clause 0x1
	buffer_load_dword v83, v0, s[0:3], 0 offen offset:4
	buffer_load_dword v84, v0, s[0:3], 0 offen
	s_waitcnt vmcnt(1)
	buffer_store_dword v83, off, s[0:3], 0 offset:4
	s_waitcnt vmcnt(0)
	buffer_store_dword v84, off, s[0:3], 0
	buffer_store_dword v86, v0, s[0:3], 0 offen offset:4
	buffer_store_dword v85, v0, s[0:3], 0 offen
	s_clause 0x1
	buffer_load_dword v85, off, s[0:3], 0
	buffer_load_dword v86, off, s[0:3], 0 offset:4
.LBB104_336:
	s_waitcnt vmcnt(0)
	flat_store_dwordx2 v[1:2], v[85:86]
	s_clause 0x1
	buffer_load_dword v0, off, s[0:3], 0 offset:8
	buffer_load_dword v1, off, s[0:3], 0 offset:12
	s_waitcnt vmcnt(0)
	flat_store_dwordx2 v[3:4], v[0:1]
	s_clause 0x1
	buffer_load_dword v0, off, s[0:3], 0 offset:16
	buffer_load_dword v1, off, s[0:3], 0 offset:20
	;; [unrolled: 5-line block ×40, first 2 shown]
	s_waitcnt vmcnt(0)
	flat_store_dwordx2 v[81:82], v[0:1]
	s_endpgm
	.section	.rodata,"a",@progbits
	.p2align	6, 0x0
	.amdhsa_kernel _ZN9rocsolver6v33100L18getri_kernel_smallILi41EdPKPdEEvT1_iilPiilS6_bb
		.amdhsa_group_segment_fixed_size 664
		.amdhsa_private_segment_fixed_size 336
		.amdhsa_kernarg_size 60
		.amdhsa_user_sgpr_count 6
		.amdhsa_user_sgpr_private_segment_buffer 1
		.amdhsa_user_sgpr_dispatch_ptr 0
		.amdhsa_user_sgpr_queue_ptr 0
		.amdhsa_user_sgpr_kernarg_segment_ptr 1
		.amdhsa_user_sgpr_dispatch_id 0
		.amdhsa_user_sgpr_flat_scratch_init 0
		.amdhsa_user_sgpr_private_segment_size 0
		.amdhsa_wavefront_size32 1
		.amdhsa_uses_dynamic_stack 0
		.amdhsa_system_sgpr_private_segment_wavefront_offset 1
		.amdhsa_system_sgpr_workgroup_id_x 1
		.amdhsa_system_sgpr_workgroup_id_y 0
		.amdhsa_system_sgpr_workgroup_id_z 0
		.amdhsa_system_sgpr_workgroup_info 0
		.amdhsa_system_vgpr_workitem_id 0
		.amdhsa_next_free_vgpr 130
		.amdhsa_next_free_sgpr 20
		.amdhsa_reserve_vcc 1
		.amdhsa_reserve_flat_scratch 0
		.amdhsa_float_round_mode_32 0
		.amdhsa_float_round_mode_16_64 0
		.amdhsa_float_denorm_mode_32 3
		.amdhsa_float_denorm_mode_16_64 3
		.amdhsa_dx10_clamp 1
		.amdhsa_ieee_mode 1
		.amdhsa_fp16_overflow 0
		.amdhsa_workgroup_processor_mode 1
		.amdhsa_memory_ordered 1
		.amdhsa_forward_progress 1
		.amdhsa_shared_vgpr_count 0
		.amdhsa_exception_fp_ieee_invalid_op 0
		.amdhsa_exception_fp_denorm_src 0
		.amdhsa_exception_fp_ieee_div_zero 0
		.amdhsa_exception_fp_ieee_overflow 0
		.amdhsa_exception_fp_ieee_underflow 0
		.amdhsa_exception_fp_ieee_inexact 0
		.amdhsa_exception_int_div_zero 0
	.end_amdhsa_kernel
	.section	.text._ZN9rocsolver6v33100L18getri_kernel_smallILi41EdPKPdEEvT1_iilPiilS6_bb,"axG",@progbits,_ZN9rocsolver6v33100L18getri_kernel_smallILi41EdPKPdEEvT1_iilPiilS6_bb,comdat
.Lfunc_end104:
	.size	_ZN9rocsolver6v33100L18getri_kernel_smallILi41EdPKPdEEvT1_iilPiilS6_bb, .Lfunc_end104-_ZN9rocsolver6v33100L18getri_kernel_smallILi41EdPKPdEEvT1_iilPiilS6_bb
                                        ; -- End function
	.set _ZN9rocsolver6v33100L18getri_kernel_smallILi41EdPKPdEEvT1_iilPiilS6_bb.num_vgpr, 130
	.set _ZN9rocsolver6v33100L18getri_kernel_smallILi41EdPKPdEEvT1_iilPiilS6_bb.num_agpr, 0
	.set _ZN9rocsolver6v33100L18getri_kernel_smallILi41EdPKPdEEvT1_iilPiilS6_bb.numbered_sgpr, 20
	.set _ZN9rocsolver6v33100L18getri_kernel_smallILi41EdPKPdEEvT1_iilPiilS6_bb.num_named_barrier, 0
	.set _ZN9rocsolver6v33100L18getri_kernel_smallILi41EdPKPdEEvT1_iilPiilS6_bb.private_seg_size, 336
	.set _ZN9rocsolver6v33100L18getri_kernel_smallILi41EdPKPdEEvT1_iilPiilS6_bb.uses_vcc, 1
	.set _ZN9rocsolver6v33100L18getri_kernel_smallILi41EdPKPdEEvT1_iilPiilS6_bb.uses_flat_scratch, 0
	.set _ZN9rocsolver6v33100L18getri_kernel_smallILi41EdPKPdEEvT1_iilPiilS6_bb.has_dyn_sized_stack, 0
	.set _ZN9rocsolver6v33100L18getri_kernel_smallILi41EdPKPdEEvT1_iilPiilS6_bb.has_recursion, 0
	.set _ZN9rocsolver6v33100L18getri_kernel_smallILi41EdPKPdEEvT1_iilPiilS6_bb.has_indirect_call, 0
	.section	.AMDGPU.csdata,"",@progbits
; Kernel info:
; codeLenInByte = 49932
; TotalNumSgprs: 22
; NumVgprs: 130
; ScratchSize: 336
; MemoryBound: 1
; FloatMode: 240
; IeeeMode: 1
; LDSByteSize: 664 bytes/workgroup (compile time only)
; SGPRBlocks: 0
; VGPRBlocks: 16
; NumSGPRsForWavesPerEU: 22
; NumVGPRsForWavesPerEU: 130
; Occupancy: 7
; WaveLimiterHint : 1
; COMPUTE_PGM_RSRC2:SCRATCH_EN: 1
; COMPUTE_PGM_RSRC2:USER_SGPR: 6
; COMPUTE_PGM_RSRC2:TRAP_HANDLER: 0
; COMPUTE_PGM_RSRC2:TGID_X_EN: 1
; COMPUTE_PGM_RSRC2:TGID_Y_EN: 0
; COMPUTE_PGM_RSRC2:TGID_Z_EN: 0
; COMPUTE_PGM_RSRC2:TIDIG_COMP_CNT: 0
	.section	.text._ZN9rocsolver6v33100L18getri_kernel_smallILi42EdPKPdEEvT1_iilPiilS6_bb,"axG",@progbits,_ZN9rocsolver6v33100L18getri_kernel_smallILi42EdPKPdEEvT1_iilPiilS6_bb,comdat
	.globl	_ZN9rocsolver6v33100L18getri_kernel_smallILi42EdPKPdEEvT1_iilPiilS6_bb ; -- Begin function _ZN9rocsolver6v33100L18getri_kernel_smallILi42EdPKPdEEvT1_iilPiilS6_bb
	.p2align	8
	.type	_ZN9rocsolver6v33100L18getri_kernel_smallILi42EdPKPdEEvT1_iilPiilS6_bb,@function
_ZN9rocsolver6v33100L18getri_kernel_smallILi42EdPKPdEEvT1_iilPiilS6_bb: ; @_ZN9rocsolver6v33100L18getri_kernel_smallILi42EdPKPdEEvT1_iilPiilS6_bb
; %bb.0:
	s_add_u32 s0, s0, s7
	s_addc_u32 s1, s1, 0
	s_mov_b32 s7, exec_lo
	v_cmpx_gt_u32_e32 42, v0
	s_cbranch_execz .LBB105_178
; %bb.1:
	s_clause 0x2
	s_load_dword s17, s[4:5], 0x38
	s_load_dwordx2 s[12:13], s[4:5], 0x0
	s_load_dwordx4 s[8:11], s[4:5], 0x28
	s_waitcnt lgkmcnt(0)
	s_bitcmp1_b32 s17, 8
	s_cselect_b32 s16, -1, 0
	s_ashr_i32 s7, s6, 31
	s_lshl_b64 s[14:15], s[6:7], 3
	s_add_u32 s12, s12, s14
	s_addc_u32 s13, s13, s15
	s_load_dwordx2 s[14:15], s[12:13], 0x0
	s_bfe_u32 s12, s17, 0x10008
	s_cmp_eq_u32 s12, 0
                                        ; implicit-def: $sgpr12_sgpr13
	s_cbranch_scc1 .LBB105_3
; %bb.2:
	s_clause 0x1
	s_load_dword s12, s[4:5], 0x20
	s_load_dwordx2 s[18:19], s[4:5], 0x18
	s_mul_i32 s13, s8, s7
	s_mul_hi_u32 s17, s8, s6
	s_mul_i32 s9, s9, s6
	s_add_i32 s13, s17, s13
	s_mul_i32 s8, s8, s6
	s_add_i32 s9, s13, s9
	s_lshl_b64 s[8:9], s[8:9], 2
	s_waitcnt lgkmcnt(0)
	s_ashr_i32 s13, s12, 31
	s_add_u32 s17, s18, s8
	s_addc_u32 s18, s19, s9
	s_lshl_b64 s[8:9], s[12:13], 2
	s_add_u32 s12, s17, s8
	s_addc_u32 s13, s18, s9
.LBB105_3:
	s_clause 0x1
	s_load_dwordx2 s[8:9], s[4:5], 0x8
	s_load_dword s17, s[4:5], 0x38
	v_lshlrev_b32_e32 v87, 3, v0
	s_waitcnt lgkmcnt(0)
	s_ashr_i32 s5, s8, 31
	s_mov_b32 s4, s8
	v_add3_u32 v9, s9, s9, v0
	s_lshl_b64 s[4:5], s[4:5], 3
	s_add_u32 s4, s14, s4
	s_addc_u32 s5, s15, s5
	v_add_co_u32 v1, s8, s4, v87
	v_add_co_ci_u32_e64 v2, null, s5, 0, s8
	s_mov_b32 s14, s9
	s_ashr_i32 s15, s9, 31
	v_ashrrev_i32_e32 v10, 31, v9
	flat_load_dwordx2 v[5:6], v[1:2]
	s_lshl_b64 s[14:15], s[14:15], 3
	v_add_nc_u32_e32 v12, s9, v9
	v_add_co_u32 v3, vcc_lo, v1, s14
	v_add_co_ci_u32_e64 v4, null, s15, v2, vcc_lo
	v_ashrrev_i32_e32 v13, 31, v12
	s_bitcmp0_b32 s17, 0
	s_waitcnt vmcnt(0) lgkmcnt(0)
	buffer_store_dword v6, off, s[0:3], 0 offset:4
	buffer_store_dword v5, off, s[0:3], 0
	flat_load_dwordx2 v[7:8], v[3:4]
	v_lshlrev_b64 v[5:6], 3, v[9:10]
	s_waitcnt vmcnt(0) lgkmcnt(0)
	buffer_store_dword v8, off, s[0:3], 0 offset:12
	buffer_store_dword v7, off, s[0:3], 0 offset:8
	v_add_co_u32 v5, vcc_lo, s4, v5
	v_add_co_ci_u32_e64 v6, null, s5, v6, vcc_lo
	v_lshlrev_b64 v[7:8], 3, v[12:13]
	flat_load_dwordx2 v[10:11], v[5:6]
	s_waitcnt vmcnt(0) lgkmcnt(0)
	buffer_store_dword v11, off, s[0:3], 0 offset:20
	buffer_store_dword v10, off, s[0:3], 0 offset:16
	v_add_co_u32 v7, vcc_lo, s4, v7
	v_add_co_ci_u32_e64 v8, null, s5, v8, vcc_lo
	v_add_nc_u32_e32 v11, s9, v12
	flat_load_dwordx2 v[13:14], v[7:8]
	s_waitcnt vmcnt(0) lgkmcnt(0)
	buffer_store_dword v14, off, s[0:3], 0 offset:28
	buffer_store_dword v13, off, s[0:3], 0 offset:24
	v_ashrrev_i32_e32 v12, 31, v11
	v_add_nc_u32_e32 v15, s9, v11
	v_lshlrev_b64 v[9:10], 3, v[11:12]
	v_ashrrev_i32_e32 v16, 31, v15
	v_add_nc_u32_e32 v18, s9, v15
	v_add_co_u32 v9, vcc_lo, s4, v9
	v_add_co_ci_u32_e64 v10, null, s5, v10, vcc_lo
	v_lshlrev_b64 v[11:12], 3, v[15:16]
	v_ashrrev_i32_e32 v19, 31, v18
	flat_load_dwordx2 v[13:14], v[9:10]
	s_waitcnt vmcnt(0) lgkmcnt(0)
	buffer_store_dword v14, off, s[0:3], 0 offset:36
	buffer_store_dword v13, off, s[0:3], 0 offset:32
	v_add_co_u32 v11, vcc_lo, s4, v11
	v_add_co_ci_u32_e64 v12, null, s5, v12, vcc_lo
	v_lshlrev_b64 v[13:14], 3, v[18:19]
	flat_load_dwordx2 v[16:17], v[11:12]
	s_waitcnt vmcnt(0) lgkmcnt(0)
	buffer_store_dword v17, off, s[0:3], 0 offset:44
	buffer_store_dword v16, off, s[0:3], 0 offset:40
	v_add_co_u32 v13, vcc_lo, s4, v13
	v_add_co_ci_u32_e64 v14, null, s5, v14, vcc_lo
	v_add_nc_u32_e32 v17, s9, v18
	flat_load_dwordx2 v[19:20], v[13:14]
	s_waitcnt vmcnt(0) lgkmcnt(0)
	buffer_store_dword v20, off, s[0:3], 0 offset:52
	buffer_store_dword v19, off, s[0:3], 0 offset:48
	v_ashrrev_i32_e32 v18, 31, v17
	v_add_nc_u32_e32 v21, s9, v17
	v_lshlrev_b64 v[15:16], 3, v[17:18]
	v_ashrrev_i32_e32 v22, 31, v21
	v_add_nc_u32_e32 v24, s9, v21
	v_add_co_u32 v15, vcc_lo, s4, v15
	v_add_co_ci_u32_e64 v16, null, s5, v16, vcc_lo
	v_lshlrev_b64 v[17:18], 3, v[21:22]
	v_ashrrev_i32_e32 v25, 31, v24
	flat_load_dwordx2 v[19:20], v[15:16]
	;; [unrolled: 27-line block ×12, first 2 shown]
	s_waitcnt vmcnt(0) lgkmcnt(0)
	buffer_store_dword v80, off, s[0:3], 0 offset:300
	buffer_store_dword v79, off, s[0:3], 0 offset:296
	v_add_co_u32 v77, vcc_lo, s4, v77
	v_add_co_ci_u32_e64 v78, null, s5, v78, vcc_lo
	v_lshlrev_b64 v[79:80], 3, v[84:85]
	flat_load_dwordx2 v[82:83], v[77:78]
	s_waitcnt vmcnt(0) lgkmcnt(0)
	buffer_store_dword v83, off, s[0:3], 0 offset:308
	buffer_store_dword v82, off, s[0:3], 0 offset:304
	v_add_co_u32 v79, vcc_lo, s4, v79
	v_add_co_ci_u32_e64 v80, null, s5, v80, vcc_lo
	v_add_nc_u32_e32 v83, s9, v84
	flat_load_dwordx2 v[85:86], v[79:80]
	s_waitcnt vmcnt(0) lgkmcnt(0)
	buffer_store_dword v86, off, s[0:3], 0 offset:316
	buffer_store_dword v85, off, s[0:3], 0 offset:312
	v_ashrrev_i32_e32 v84, 31, v83
	v_lshlrev_b64 v[81:82], 3, v[83:84]
	v_add_nc_u32_e32 v83, s9, v83
	v_add_co_u32 v81, vcc_lo, s4, v81
	v_add_co_ci_u32_e64 v82, null, s5, v82, vcc_lo
	v_ashrrev_i32_e32 v84, 31, v83
	flat_load_dwordx2 v[85:86], v[81:82]
	s_waitcnt vmcnt(0) lgkmcnt(0)
	buffer_store_dword v86, off, s[0:3], 0 offset:324
	buffer_store_dword v85, off, s[0:3], 0 offset:320
	v_lshlrev_b64 v[83:84], 3, v[83:84]
	v_add_co_u32 v83, vcc_lo, s4, v83
	v_add_co_ci_u32_e64 v84, null, s5, v84, vcc_lo
	s_mov_b32 s5, -1
	flat_load_dwordx2 v[85:86], v[83:84]
	s_waitcnt vmcnt(0) lgkmcnt(0)
	buffer_store_dword v86, off, s[0:3], 0 offset:332
	buffer_store_dword v85, off, s[0:3], 0 offset:328
	s_cbranch_scc1 .LBB105_176
; %bb.4:
	v_cmp_eq_u32_e64 s4, 0, v0
	s_and_saveexec_b32 s5, s4
; %bb.5:
	v_mov_b32_e32 v85, 0
	ds_write_b32 v85, v85 offset:672
; %bb.6:
	s_or_b32 exec_lo, exec_lo, s5
	v_lshl_add_u32 v85, v0, 3, 0
	s_waitcnt lgkmcnt(0)
	s_waitcnt_vscnt null, 0x0
	s_barrier
	buffer_gl0_inv
	s_mov_b32 s8, exec_lo
	s_clause 0x1
	buffer_load_dword v88, v85, s[0:3], 0 offen
	buffer_load_dword v89, v85, s[0:3], 0 offen offset:4
	s_waitcnt vmcnt(0)
	v_cmpx_eq_f64_e32 0, v[88:89]
	s_cbranch_execz .LBB105_10
; %bb.7:
	v_mov_b32_e32 v86, 0
	s_mov_b32 s9, 0
	ds_read_b32 v88, v86 offset:672
	s_waitcnt lgkmcnt(0)
	v_readfirstlane_b32 s5, v88
	v_add_nc_u32_e32 v88, 1, v0
	s_cmp_eq_u32 s5, 0
	v_cmp_gt_i32_e32 vcc_lo, s5, v88
	s_cselect_b32 s14, -1, 0
	s_or_b32 s14, s14, vcc_lo
	s_and_b32 exec_lo, exec_lo, s14
	s_cbranch_execz .LBB105_10
; %bb.8:
	v_mov_b32_e32 v89, s5
.LBB105_9:                              ; =>This Inner Loop Header: Depth=1
	ds_cmpst_rtn_b32 v89, v86, v89, v88 offset:672
	s_waitcnt lgkmcnt(0)
	v_cmp_ne_u32_e32 vcc_lo, 0, v89
	v_cmp_le_i32_e64 s5, v89, v88
	s_and_b32 s5, vcc_lo, s5
	s_and_b32 s5, exec_lo, s5
	s_or_b32 s9, s5, s9
	s_andn2_b32 exec_lo, exec_lo, s9
	s_cbranch_execnz .LBB105_9
.LBB105_10:
	s_or_b32 exec_lo, exec_lo, s8
	v_mov_b32_e32 v86, 0
	s_barrier
	buffer_gl0_inv
	ds_read_b32 v88, v86 offset:672
	s_and_saveexec_b32 s5, s4
	s_cbranch_execz .LBB105_12
; %bb.11:
	s_lshl_b64 s[8:9], s[6:7], 2
	s_add_u32 s8, s10, s8
	s_addc_u32 s9, s11, s9
	s_waitcnt lgkmcnt(0)
	global_store_dword v86, v88, s[8:9]
.LBB105_12:
	s_or_b32 exec_lo, exec_lo, s5
	s_waitcnt lgkmcnt(0)
	v_cmp_ne_u32_e32 vcc_lo, 0, v88
	s_mov_b32 s5, 0
	s_cbranch_vccnz .LBB105_176
; %bb.13:
	s_clause 0x1
	buffer_load_dword v88, v85, s[0:3], 0 offen
	buffer_load_dword v89, v85, s[0:3], 0 offen offset:4
	s_waitcnt vmcnt(0)
	v_div_scale_f64 v[90:91], null, v[88:89], v[88:89], 1.0
	v_div_scale_f64 v[96:97], vcc_lo, 1.0, v[88:89], 1.0
	v_rcp_f64_e32 v[92:93], v[90:91]
	v_fma_f64 v[94:95], -v[90:91], v[92:93], 1.0
	v_fma_f64 v[92:93], v[92:93], v[94:95], v[92:93]
	v_fma_f64 v[94:95], -v[90:91], v[92:93], 1.0
	v_fma_f64 v[92:93], v[92:93], v[94:95], v[92:93]
	v_mul_f64 v[94:95], v[96:97], v[92:93]
	v_fma_f64 v[90:91], -v[90:91], v[94:95], v[96:97]
	v_div_fmas_f64 v[90:91], v[90:91], v[92:93], v[94:95]
	v_div_fixup_f64 v[89:90], v[90:91], v[88:89], 1.0
	v_add_nc_u32_e32 v88, 0x150, v87
	buffer_store_dword v90, v85, s[0:3], 0 offen offset:4
	buffer_store_dword v89, v85, s[0:3], 0 offen
	s_clause 0x1
	buffer_load_dword v92, off, s[0:3], 0 offset:12
	buffer_load_dword v91, off, s[0:3], 0 offset:8
	v_xor_b32_e32 v90, 0x80000000, v90
	s_waitcnt vmcnt(0)
	ds_write2_b64 v87, v[89:90], v[91:92] offset1:42
	s_waitcnt lgkmcnt(0)
	s_waitcnt_vscnt null, 0x0
	s_barrier
	buffer_gl0_inv
	s_and_saveexec_b32 s5, s4
	s_cbranch_execz .LBB105_15
; %bb.14:
	s_clause 0x1
	buffer_load_dword v89, v85, s[0:3], 0 offen
	buffer_load_dword v90, v85, s[0:3], 0 offen offset:4
	ds_read_b64 v[91:92], v88
	v_mov_b32_e32 v86, 0
	ds_read_b64 v[93:94], v86 offset:8
	s_waitcnt vmcnt(0) lgkmcnt(1)
	v_fma_f64 v[89:90], v[89:90], v[91:92], 0
	s_waitcnt lgkmcnt(0)
	v_mul_f64 v[89:90], v[89:90], v[93:94]
	buffer_store_dword v89, off, s[0:3], 0 offset:8
	buffer_store_dword v90, off, s[0:3], 0 offset:12
.LBB105_15:
	s_or_b32 exec_lo, exec_lo, s5
	s_waitcnt_vscnt null, 0x0
	s_barrier
	buffer_gl0_inv
	s_clause 0x1
	buffer_load_dword v89, off, s[0:3], 0 offset:16
	buffer_load_dword v90, off, s[0:3], 0 offset:20
	s_mov_b32 s5, exec_lo
	s_waitcnt vmcnt(0)
	ds_write_b64 v88, v[89:90]
	s_waitcnt lgkmcnt(0)
	s_barrier
	buffer_gl0_inv
	v_cmpx_gt_u32_e32 2, v0
	s_cbranch_execz .LBB105_19
; %bb.16:
	s_clause 0x1
	buffer_load_dword v89, v85, s[0:3], 0 offen
	buffer_load_dword v90, v85, s[0:3], 0 offen offset:4
	ds_read_b64 v[85:86], v88
	s_waitcnt vmcnt(0) lgkmcnt(0)
	v_fma_f64 v[85:86], v[89:90], v[85:86], 0
	s_and_saveexec_b32 s8, s4
	s_cbranch_execz .LBB105_18
; %bb.17:
	s_clause 0x1
	buffer_load_dword v89, off, s[0:3], 0 offset:8
	buffer_load_dword v90, off, s[0:3], 0 offset:12
	v_mov_b32_e32 v91, 0
	ds_read_b64 v[91:92], v91 offset:344
	s_waitcnt vmcnt(0) lgkmcnt(0)
	v_fma_f64 v[85:86], v[89:90], v[91:92], v[85:86]
.LBB105_18:
	s_or_b32 exec_lo, exec_lo, s8
	v_mov_b32_e32 v89, 0
	ds_read_b64 v[89:90], v89 offset:16
	s_waitcnt lgkmcnt(0)
	v_mul_f64 v[85:86], v[85:86], v[89:90]
	buffer_store_dword v86, off, s[0:3], 0 offset:20
	buffer_store_dword v85, off, s[0:3], 0 offset:16
.LBB105_19:
	s_or_b32 exec_lo, exec_lo, s5
	s_waitcnt_vscnt null, 0x0
	s_barrier
	buffer_gl0_inv
	s_clause 0x1
	buffer_load_dword v85, off, s[0:3], 0 offset:24
	buffer_load_dword v86, off, s[0:3], 0 offset:28
	v_add_nc_u32_e32 v89, -1, v0
	s_mov_b32 s4, exec_lo
	s_waitcnt vmcnt(0)
	ds_write_b64 v88, v[85:86]
	s_waitcnt lgkmcnt(0)
	s_barrier
	buffer_gl0_inv
	v_cmpx_gt_u32_e32 3, v0
	s_cbranch_execz .LBB105_23
; %bb.20:
	v_mov_b32_e32 v85, 0
	v_add_nc_u32_e32 v90, -1, v0
	v_add_nc_u32_e32 v91, 0x150, v87
	v_mov_b32_e32 v86, 0
	v_mov_b32_e32 v92, v87
	s_mov_b32 s5, 0
.LBB105_21:                             ; =>This Inner Loop Header: Depth=1
	s_clause 0x1
	buffer_load_dword v93, v92, s[0:3], 0 offen
	buffer_load_dword v94, v92, s[0:3], 0 offen offset:4
	ds_read_b64 v[95:96], v91
	v_add_nc_u32_e32 v90, 1, v90
	v_add_nc_u32_e32 v91, 8, v91
	v_add_nc_u32_e32 v92, 8, v92
	v_cmp_lt_u32_e32 vcc_lo, 1, v90
	s_or_b32 s5, vcc_lo, s5
	s_waitcnt vmcnt(0) lgkmcnt(0)
	v_fma_f64 v[85:86], v[93:94], v[95:96], v[85:86]
	s_andn2_b32 exec_lo, exec_lo, s5
	s_cbranch_execnz .LBB105_21
; %bb.22:
	s_or_b32 exec_lo, exec_lo, s5
	v_mov_b32_e32 v90, 0
	ds_read_b64 v[90:91], v90 offset:24
	s_waitcnt lgkmcnt(0)
	v_mul_f64 v[85:86], v[85:86], v[90:91]
	buffer_store_dword v86, off, s[0:3], 0 offset:28
	buffer_store_dword v85, off, s[0:3], 0 offset:24
.LBB105_23:
	s_or_b32 exec_lo, exec_lo, s4
	s_waitcnt_vscnt null, 0x0
	s_barrier
	buffer_gl0_inv
	s_clause 0x1
	buffer_load_dword v85, off, s[0:3], 0 offset:32
	buffer_load_dword v86, off, s[0:3], 0 offset:36
	s_mov_b32 s4, exec_lo
	s_waitcnt vmcnt(0)
	ds_write_b64 v88, v[85:86]
	s_waitcnt lgkmcnt(0)
	s_barrier
	buffer_gl0_inv
	v_cmpx_gt_u32_e32 4, v0
	s_cbranch_execz .LBB105_27
; %bb.24:
	v_mov_b32_e32 v85, 0
	v_add_nc_u32_e32 v90, -1, v0
	v_add_nc_u32_e32 v91, 0x150, v87
	v_mov_b32_e32 v86, 0
	v_mov_b32_e32 v92, v87
	s_mov_b32 s5, 0
.LBB105_25:                             ; =>This Inner Loop Header: Depth=1
	s_clause 0x1
	buffer_load_dword v93, v92, s[0:3], 0 offen
	buffer_load_dword v94, v92, s[0:3], 0 offen offset:4
	ds_read_b64 v[95:96], v91
	v_add_nc_u32_e32 v90, 1, v90
	v_add_nc_u32_e32 v91, 8, v91
	v_add_nc_u32_e32 v92, 8, v92
	v_cmp_lt_u32_e32 vcc_lo, 2, v90
	s_or_b32 s5, vcc_lo, s5
	s_waitcnt vmcnt(0) lgkmcnt(0)
	v_fma_f64 v[85:86], v[93:94], v[95:96], v[85:86]
	s_andn2_b32 exec_lo, exec_lo, s5
	s_cbranch_execnz .LBB105_25
; %bb.26:
	s_or_b32 exec_lo, exec_lo, s5
	v_mov_b32_e32 v90, 0
	ds_read_b64 v[90:91], v90 offset:32
	s_waitcnt lgkmcnt(0)
	v_mul_f64 v[85:86], v[85:86], v[90:91]
	buffer_store_dword v86, off, s[0:3], 0 offset:36
	buffer_store_dword v85, off, s[0:3], 0 offset:32
.LBB105_27:
	s_or_b32 exec_lo, exec_lo, s4
	s_waitcnt_vscnt null, 0x0
	s_barrier
	buffer_gl0_inv
	s_clause 0x1
	buffer_load_dword v85, off, s[0:3], 0 offset:40
	buffer_load_dword v86, off, s[0:3], 0 offset:44
	;; [unrolled: 45-line block ×20, first 2 shown]
	s_mov_b32 s4, exec_lo
	s_waitcnt vmcnt(0)
	ds_write_b64 v88, v[85:86]
	s_waitcnt lgkmcnt(0)
	s_barrier
	buffer_gl0_inv
	v_cmpx_gt_u32_e32 23, v0
	s_cbranch_execz .LBB105_103
; %bb.100:
	v_mov_b32_e32 v85, 0
	v_add_nc_u32_e32 v90, -1, v0
	v_add_nc_u32_e32 v91, 0x150, v87
	v_mov_b32_e32 v86, 0
	v_mov_b32_e32 v92, v87
	s_mov_b32 s5, 0
.LBB105_101:                            ; =>This Inner Loop Header: Depth=1
	s_clause 0x1
	buffer_load_dword v93, v92, s[0:3], 0 offen
	buffer_load_dword v94, v92, s[0:3], 0 offen offset:4
	ds_read_b64 v[95:96], v91
	v_add_nc_u32_e32 v90, 1, v90
	v_add_nc_u32_e32 v91, 8, v91
	v_add_nc_u32_e32 v92, 8, v92
	v_cmp_lt_u32_e32 vcc_lo, 21, v90
	s_or_b32 s5, vcc_lo, s5
	s_waitcnt vmcnt(0) lgkmcnt(0)
	v_fma_f64 v[85:86], v[93:94], v[95:96], v[85:86]
	s_andn2_b32 exec_lo, exec_lo, s5
	s_cbranch_execnz .LBB105_101
; %bb.102:
	s_or_b32 exec_lo, exec_lo, s5
	v_mov_b32_e32 v90, 0
	ds_read_b64 v[90:91], v90 offset:184
	s_waitcnt lgkmcnt(0)
	v_mul_f64 v[85:86], v[85:86], v[90:91]
	buffer_store_dword v86, off, s[0:3], 0 offset:188
	buffer_store_dword v85, off, s[0:3], 0 offset:184
.LBB105_103:
	s_or_b32 exec_lo, exec_lo, s4
	s_waitcnt_vscnt null, 0x0
	s_barrier
	buffer_gl0_inv
	s_clause 0x1
	buffer_load_dword v85, off, s[0:3], 0 offset:192
	buffer_load_dword v86, off, s[0:3], 0 offset:196
	s_mov_b32 s4, exec_lo
	s_waitcnt vmcnt(0)
	ds_write_b64 v88, v[85:86]
	s_waitcnt lgkmcnt(0)
	s_barrier
	buffer_gl0_inv
	v_cmpx_gt_u32_e32 24, v0
	s_cbranch_execz .LBB105_107
; %bb.104:
	v_mov_b32_e32 v85, 0
	v_add_nc_u32_e32 v90, -1, v0
	v_add_nc_u32_e32 v91, 0x150, v87
	v_mov_b32_e32 v86, 0
	v_mov_b32_e32 v92, v87
	s_mov_b32 s5, 0
.LBB105_105:                            ; =>This Inner Loop Header: Depth=1
	s_clause 0x1
	buffer_load_dword v93, v92, s[0:3], 0 offen
	buffer_load_dword v94, v92, s[0:3], 0 offen offset:4
	ds_read_b64 v[95:96], v91
	v_add_nc_u32_e32 v90, 1, v90
	v_add_nc_u32_e32 v91, 8, v91
	v_add_nc_u32_e32 v92, 8, v92
	v_cmp_lt_u32_e32 vcc_lo, 22, v90
	s_or_b32 s5, vcc_lo, s5
	s_waitcnt vmcnt(0) lgkmcnt(0)
	v_fma_f64 v[85:86], v[93:94], v[95:96], v[85:86]
	s_andn2_b32 exec_lo, exec_lo, s5
	s_cbranch_execnz .LBB105_105
; %bb.106:
	s_or_b32 exec_lo, exec_lo, s5
	v_mov_b32_e32 v90, 0
	ds_read_b64 v[90:91], v90 offset:192
	s_waitcnt lgkmcnt(0)
	v_mul_f64 v[85:86], v[85:86], v[90:91]
	buffer_store_dword v86, off, s[0:3], 0 offset:196
	buffer_store_dword v85, off, s[0:3], 0 offset:192
.LBB105_107:
	s_or_b32 exec_lo, exec_lo, s4
	s_waitcnt_vscnt null, 0x0
	s_barrier
	buffer_gl0_inv
	s_clause 0x1
	buffer_load_dword v85, off, s[0:3], 0 offset:200
	buffer_load_dword v86, off, s[0:3], 0 offset:204
	;; [unrolled: 45-line block ×18, first 2 shown]
	s_mov_b32 s4, exec_lo
	s_waitcnt vmcnt(0)
	ds_write_b64 v88, v[85:86]
	s_waitcnt lgkmcnt(0)
	s_barrier
	buffer_gl0_inv
	v_cmpx_ne_u32_e32 41, v0
	s_cbranch_execz .LBB105_175
; %bb.172:
	v_mov_b32_e32 v85, 0
	v_mov_b32_e32 v86, 0
	s_mov_b32 s5, 0
.LBB105_173:                            ; =>This Inner Loop Header: Depth=1
	s_clause 0x1
	buffer_load_dword v90, v87, s[0:3], 0 offen
	buffer_load_dword v91, v87, s[0:3], 0 offen offset:4
	ds_read_b64 v[92:93], v88
	v_add_nc_u32_e32 v89, 1, v89
	v_add_nc_u32_e32 v88, 8, v88
	;; [unrolled: 1-line block ×3, first 2 shown]
	v_cmp_lt_u32_e32 vcc_lo, 39, v89
	s_or_b32 s5, vcc_lo, s5
	s_waitcnt vmcnt(0) lgkmcnt(0)
	v_fma_f64 v[85:86], v[90:91], v[92:93], v[85:86]
	s_andn2_b32 exec_lo, exec_lo, s5
	s_cbranch_execnz .LBB105_173
; %bb.174:
	s_or_b32 exec_lo, exec_lo, s5
	v_mov_b32_e32 v87, 0
	ds_read_b64 v[87:88], v87 offset:328
	s_waitcnt lgkmcnt(0)
	v_mul_f64 v[85:86], v[85:86], v[87:88]
	buffer_store_dword v86, off, s[0:3], 0 offset:332
	buffer_store_dword v85, off, s[0:3], 0 offset:328
.LBB105_175:
	s_or_b32 exec_lo, exec_lo, s4
	s_mov_b32 s5, -1
	s_waitcnt_vscnt null, 0x0
	s_barrier
	buffer_gl0_inv
.LBB105_176:
	s_and_b32 vcc_lo, exec_lo, s5
	s_cbranch_vccz .LBB105_178
; %bb.177:
	s_lshl_b64 s[4:5], s[6:7], 2
	v_mov_b32_e32 v85, 0
	s_add_u32 s4, s10, s4
	s_addc_u32 s5, s11, s5
	global_load_dword v85, v85, s[4:5]
	s_waitcnt vmcnt(0)
	v_cmp_ne_u32_e32 vcc_lo, 0, v85
	s_cbranch_vccz .LBB105_179
.LBB105_178:
	s_endpgm
.LBB105_179:
	v_lshl_add_u32 v85, v0, 3, 0x150
	s_mov_b32 s4, exec_lo
	v_cmpx_eq_u32_e32 41, v0
	s_cbranch_execz .LBB105_181
; %bb.180:
	s_clause 0x1
	buffer_load_dword v86, off, s[0:3], 0 offset:320
	buffer_load_dword v87, off, s[0:3], 0 offset:324
	v_mov_b32_e32 v88, 0
	buffer_store_dword v88, off, s[0:3], 0 offset:320
	buffer_store_dword v88, off, s[0:3], 0 offset:324
	s_waitcnt vmcnt(0)
	ds_write_b64 v85, v[86:87]
.LBB105_181:
	s_or_b32 exec_lo, exec_lo, s4
	s_waitcnt lgkmcnt(0)
	s_waitcnt_vscnt null, 0x0
	s_barrier
	buffer_gl0_inv
	s_clause 0x3
	buffer_load_dword v87, off, s[0:3], 0 offset:328
	buffer_load_dword v88, off, s[0:3], 0 offset:332
	buffer_load_dword v89, off, s[0:3], 0 offset:320
	buffer_load_dword v90, off, s[0:3], 0 offset:324
	v_mov_b32_e32 v86, 0
	s_mov_b32 s4, exec_lo
	ds_read_b64 v[91:92], v86 offset:664
	s_waitcnt vmcnt(2) lgkmcnt(0)
	v_fma_f64 v[87:88], v[87:88], v[91:92], 0
	s_waitcnt vmcnt(0)
	v_add_f64 v[87:88], v[89:90], -v[87:88]
	buffer_store_dword v87, off, s[0:3], 0 offset:320
	buffer_store_dword v88, off, s[0:3], 0 offset:324
	v_cmpx_lt_u32_e32 39, v0
	s_cbranch_execz .LBB105_183
; %bb.182:
	s_clause 0x1
	buffer_load_dword v87, off, s[0:3], 0 offset:312
	buffer_load_dword v88, off, s[0:3], 0 offset:316
	buffer_store_dword v86, off, s[0:3], 0 offset:312
	buffer_store_dword v86, off, s[0:3], 0 offset:316
	s_waitcnt vmcnt(0)
	ds_write_b64 v85, v[87:88]
.LBB105_183:
	s_or_b32 exec_lo, exec_lo, s4
	s_waitcnt lgkmcnt(0)
	s_waitcnt_vscnt null, 0x0
	s_barrier
	buffer_gl0_inv
	s_clause 0x5
	buffer_load_dword v90, off, s[0:3], 0 offset:320
	buffer_load_dword v91, off, s[0:3], 0 offset:324
	;; [unrolled: 1-line block ×6, first 2 shown]
	ds_read_b128 v[86:89], v86 offset:656
	s_mov_b32 s4, exec_lo
	s_waitcnt vmcnt(4) lgkmcnt(0)
	v_fma_f64 v[86:87], v[90:91], v[86:87], 0
	s_waitcnt vmcnt(2)
	v_fma_f64 v[86:87], v[92:93], v[88:89], v[86:87]
	s_waitcnt vmcnt(0)
	v_add_f64 v[86:87], v[94:95], -v[86:87]
	buffer_store_dword v86, off, s[0:3], 0 offset:312
	buffer_store_dword v87, off, s[0:3], 0 offset:316
	v_cmpx_lt_u32_e32 38, v0
	s_cbranch_execz .LBB105_185
; %bb.184:
	s_clause 0x1
	buffer_load_dword v86, off, s[0:3], 0 offset:304
	buffer_load_dword v87, off, s[0:3], 0 offset:308
	v_mov_b32_e32 v88, 0
	buffer_store_dword v88, off, s[0:3], 0 offset:304
	buffer_store_dword v88, off, s[0:3], 0 offset:308
	s_waitcnt vmcnt(0)
	ds_write_b64 v85, v[86:87]
.LBB105_185:
	s_or_b32 exec_lo, exec_lo, s4
	s_waitcnt lgkmcnt(0)
	s_waitcnt_vscnt null, 0x0
	s_barrier
	buffer_gl0_inv
	s_clause 0x7
	buffer_load_dword v91, off, s[0:3], 0 offset:312
	buffer_load_dword v92, off, s[0:3], 0 offset:316
	;; [unrolled: 1-line block ×8, first 2 shown]
	v_mov_b32_e32 v86, 0
	ds_read2_b64 v[87:90], v86 offset0:81 offset1:82
	ds_read_b64 v[99:100], v86 offset:664
	s_mov_b32 s4, exec_lo
	s_waitcnt vmcnt(6) lgkmcnt(1)
	v_fma_f64 v[87:88], v[91:92], v[87:88], 0
	s_waitcnt vmcnt(4)
	v_fma_f64 v[87:88], v[93:94], v[89:90], v[87:88]
	s_waitcnt vmcnt(2) lgkmcnt(0)
	v_fma_f64 v[87:88], v[95:96], v[99:100], v[87:88]
	s_waitcnt vmcnt(0)
	v_add_f64 v[87:88], v[97:98], -v[87:88]
	buffer_store_dword v87, off, s[0:3], 0 offset:304
	buffer_store_dword v88, off, s[0:3], 0 offset:308
	v_cmpx_lt_u32_e32 37, v0
	s_cbranch_execz .LBB105_187
; %bb.186:
	s_clause 0x1
	buffer_load_dword v87, off, s[0:3], 0 offset:296
	buffer_load_dword v88, off, s[0:3], 0 offset:300
	buffer_store_dword v86, off, s[0:3], 0 offset:296
	buffer_store_dword v86, off, s[0:3], 0 offset:300
	s_waitcnt vmcnt(0)
	ds_write_b64 v85, v[87:88]
.LBB105_187:
	s_or_b32 exec_lo, exec_lo, s4
	s_waitcnt lgkmcnt(0)
	s_waitcnt_vscnt null, 0x0
	s_barrier
	buffer_gl0_inv
	s_clause 0x9
	buffer_load_dword v95, off, s[0:3], 0 offset:304
	buffer_load_dword v96, off, s[0:3], 0 offset:308
	;; [unrolled: 1-line block ×10, first 2 shown]
	ds_read_b128 v[87:90], v86 offset:640
	ds_read_b128 v[91:94], v86 offset:656
	s_mov_b32 s4, exec_lo
	s_waitcnt vmcnt(8) lgkmcnt(1)
	v_fma_f64 v[86:87], v[95:96], v[87:88], 0
	s_waitcnt vmcnt(6)
	v_fma_f64 v[86:87], v[97:98], v[89:90], v[86:87]
	s_waitcnt vmcnt(4) lgkmcnt(0)
	v_fma_f64 v[86:87], v[99:100], v[91:92], v[86:87]
	s_waitcnt vmcnt(2)
	v_fma_f64 v[86:87], v[101:102], v[93:94], v[86:87]
	s_waitcnt vmcnt(0)
	v_add_f64 v[86:87], v[103:104], -v[86:87]
	buffer_store_dword v86, off, s[0:3], 0 offset:296
	buffer_store_dword v87, off, s[0:3], 0 offset:300
	v_cmpx_lt_u32_e32 36, v0
	s_cbranch_execz .LBB105_189
; %bb.188:
	s_clause 0x1
	buffer_load_dword v86, off, s[0:3], 0 offset:288
	buffer_load_dword v87, off, s[0:3], 0 offset:292
	v_mov_b32_e32 v88, 0
	buffer_store_dword v88, off, s[0:3], 0 offset:288
	buffer_store_dword v88, off, s[0:3], 0 offset:292
	s_waitcnt vmcnt(0)
	ds_write_b64 v85, v[86:87]
.LBB105_189:
	s_or_b32 exec_lo, exec_lo, s4
	s_waitcnt lgkmcnt(0)
	s_waitcnt_vscnt null, 0x0
	s_barrier
	buffer_gl0_inv
	s_clause 0xb
	buffer_load_dword v95, off, s[0:3], 0 offset:296
	buffer_load_dword v96, off, s[0:3], 0 offset:300
	;; [unrolled: 1-line block ×12, first 2 shown]
	v_mov_b32_e32 v86, 0
	ds_read2_b64 v[87:90], v86 offset0:79 offset1:80
	ds_read2_b64 v[91:94], v86 offset0:81 offset1:82
	s_mov_b32 s4, exec_lo
	s_waitcnt vmcnt(10) lgkmcnt(1)
	v_fma_f64 v[87:88], v[95:96], v[87:88], 0
	s_waitcnt vmcnt(8)
	v_fma_f64 v[87:88], v[97:98], v[89:90], v[87:88]
	ds_read_b64 v[89:90], v86 offset:664
	s_waitcnt vmcnt(6) lgkmcnt(1)
	v_fma_f64 v[87:88], v[99:100], v[91:92], v[87:88]
	s_waitcnt vmcnt(4)
	v_fma_f64 v[87:88], v[101:102], v[93:94], v[87:88]
	s_waitcnt vmcnt(2) lgkmcnt(0)
	v_fma_f64 v[87:88], v[103:104], v[89:90], v[87:88]
	s_waitcnt vmcnt(0)
	v_add_f64 v[87:88], v[105:106], -v[87:88]
	buffer_store_dword v87, off, s[0:3], 0 offset:288
	buffer_store_dword v88, off, s[0:3], 0 offset:292
	v_cmpx_lt_u32_e32 35, v0
	s_cbranch_execz .LBB105_191
; %bb.190:
	s_clause 0x1
	buffer_load_dword v87, off, s[0:3], 0 offset:280
	buffer_load_dword v88, off, s[0:3], 0 offset:284
	buffer_store_dword v86, off, s[0:3], 0 offset:280
	buffer_store_dword v86, off, s[0:3], 0 offset:284
	s_waitcnt vmcnt(0)
	ds_write_b64 v85, v[87:88]
.LBB105_191:
	s_or_b32 exec_lo, exec_lo, s4
	s_waitcnt lgkmcnt(0)
	s_waitcnt_vscnt null, 0x0
	s_barrier
	buffer_gl0_inv
	s_clause 0xd
	buffer_load_dword v95, off, s[0:3], 0 offset:288
	buffer_load_dword v96, off, s[0:3], 0 offset:292
	;; [unrolled: 1-line block ×14, first 2 shown]
	ds_read_b128 v[87:90], v86 offset:624
	ds_read_b128 v[91:94], v86 offset:640
	s_mov_b32 s4, exec_lo
	s_waitcnt vmcnt(12) lgkmcnt(1)
	v_fma_f64 v[87:88], v[95:96], v[87:88], 0
	s_waitcnt vmcnt(10)
	v_fma_f64 v[87:88], v[97:98], v[89:90], v[87:88]
	s_waitcnt vmcnt(8) lgkmcnt(0)
	v_fma_f64 v[87:88], v[99:100], v[91:92], v[87:88]
	s_waitcnt vmcnt(6)
	v_fma_f64 v[90:91], v[101:102], v[93:94], v[87:88]
	ds_read_b128 v[86:89], v86 offset:656
	s_waitcnt vmcnt(4) lgkmcnt(0)
	v_fma_f64 v[86:87], v[103:104], v[86:87], v[90:91]
	s_waitcnt vmcnt(2)
	v_fma_f64 v[86:87], v[105:106], v[88:89], v[86:87]
	s_waitcnt vmcnt(0)
	v_add_f64 v[86:87], v[107:108], -v[86:87]
	buffer_store_dword v86, off, s[0:3], 0 offset:280
	buffer_store_dword v87, off, s[0:3], 0 offset:284
	v_cmpx_lt_u32_e32 34, v0
	s_cbranch_execz .LBB105_193
; %bb.192:
	s_clause 0x1
	buffer_load_dword v86, off, s[0:3], 0 offset:272
	buffer_load_dword v87, off, s[0:3], 0 offset:276
	v_mov_b32_e32 v88, 0
	buffer_store_dword v88, off, s[0:3], 0 offset:272
	buffer_store_dword v88, off, s[0:3], 0 offset:276
	s_waitcnt vmcnt(0)
	ds_write_b64 v85, v[86:87]
.LBB105_193:
	s_or_b32 exec_lo, exec_lo, s4
	s_waitcnt lgkmcnt(0)
	s_waitcnt_vscnt null, 0x0
	s_barrier
	buffer_gl0_inv
	s_clause 0xf
	buffer_load_dword v95, off, s[0:3], 0 offset:280
	buffer_load_dword v96, off, s[0:3], 0 offset:284
	;; [unrolled: 1-line block ×16, first 2 shown]
	v_mov_b32_e32 v86, 0
	ds_read2_b64 v[87:90], v86 offset0:77 offset1:78
	ds_read2_b64 v[91:94], v86 offset0:79 offset1:80
	s_mov_b32 s4, exec_lo
	s_waitcnt vmcnt(14) lgkmcnt(1)
	v_fma_f64 v[87:88], v[95:96], v[87:88], 0
	s_waitcnt vmcnt(12)
	v_fma_f64 v[87:88], v[97:98], v[89:90], v[87:88]
	s_waitcnt vmcnt(10) lgkmcnt(0)
	v_fma_f64 v[87:88], v[99:100], v[91:92], v[87:88]
	s_waitcnt vmcnt(8)
	v_fma_f64 v[91:92], v[101:102], v[93:94], v[87:88]
	ds_read2_b64 v[87:90], v86 offset0:81 offset1:82
	ds_read_b64 v[93:94], v86 offset:664
	s_waitcnt vmcnt(6) lgkmcnt(1)
	v_fma_f64 v[87:88], v[103:104], v[87:88], v[91:92]
	s_waitcnt vmcnt(4)
	v_fma_f64 v[87:88], v[105:106], v[89:90], v[87:88]
	s_waitcnt vmcnt(2) lgkmcnt(0)
	v_fma_f64 v[87:88], v[107:108], v[93:94], v[87:88]
	s_waitcnt vmcnt(0)
	v_add_f64 v[87:88], v[109:110], -v[87:88]
	buffer_store_dword v87, off, s[0:3], 0 offset:272
	buffer_store_dword v88, off, s[0:3], 0 offset:276
	v_cmpx_lt_u32_e32 33, v0
	s_cbranch_execz .LBB105_195
; %bb.194:
	s_clause 0x1
	buffer_load_dword v87, off, s[0:3], 0 offset:264
	buffer_load_dword v88, off, s[0:3], 0 offset:268
	buffer_store_dword v86, off, s[0:3], 0 offset:264
	buffer_store_dword v86, off, s[0:3], 0 offset:268
	s_waitcnt vmcnt(0)
	ds_write_b64 v85, v[87:88]
.LBB105_195:
	s_or_b32 exec_lo, exec_lo, s4
	s_waitcnt lgkmcnt(0)
	s_waitcnt_vscnt null, 0x0
	s_barrier
	buffer_gl0_inv
	s_clause 0x11
	buffer_load_dword v95, off, s[0:3], 0 offset:272
	buffer_load_dword v96, off, s[0:3], 0 offset:276
	;; [unrolled: 1-line block ×18, first 2 shown]
	ds_read_b128 v[87:90], v86 offset:608
	ds_read_b128 v[91:94], v86 offset:624
	s_mov_b32 s4, exec_lo
	s_waitcnt vmcnt(16) lgkmcnt(1)
	v_fma_f64 v[87:88], v[95:96], v[87:88], 0
	s_waitcnt vmcnt(14)
	v_fma_f64 v[87:88], v[97:98], v[89:90], v[87:88]
	s_waitcnt vmcnt(12) lgkmcnt(0)
	v_fma_f64 v[87:88], v[99:100], v[91:92], v[87:88]
	s_waitcnt vmcnt(10)
	v_fma_f64 v[95:96], v[101:102], v[93:94], v[87:88]
	ds_read_b128 v[87:90], v86 offset:640
	ds_read_b128 v[91:94], v86 offset:656
	s_waitcnt vmcnt(8) lgkmcnt(1)
	v_fma_f64 v[86:87], v[103:104], v[87:88], v[95:96]
	s_waitcnt vmcnt(6)
	v_fma_f64 v[86:87], v[105:106], v[89:90], v[86:87]
	s_waitcnt vmcnt(4) lgkmcnt(0)
	v_fma_f64 v[86:87], v[107:108], v[91:92], v[86:87]
	s_waitcnt vmcnt(2)
	v_fma_f64 v[86:87], v[109:110], v[93:94], v[86:87]
	s_waitcnt vmcnt(0)
	v_add_f64 v[86:87], v[111:112], -v[86:87]
	buffer_store_dword v86, off, s[0:3], 0 offset:264
	buffer_store_dword v87, off, s[0:3], 0 offset:268
	v_cmpx_lt_u32_e32 32, v0
	s_cbranch_execz .LBB105_197
; %bb.196:
	s_clause 0x1
	buffer_load_dword v86, off, s[0:3], 0 offset:256
	buffer_load_dword v87, off, s[0:3], 0 offset:260
	v_mov_b32_e32 v88, 0
	buffer_store_dword v88, off, s[0:3], 0 offset:256
	buffer_store_dword v88, off, s[0:3], 0 offset:260
	s_waitcnt vmcnt(0)
	ds_write_b64 v85, v[86:87]
.LBB105_197:
	s_or_b32 exec_lo, exec_lo, s4
	s_waitcnt lgkmcnt(0)
	s_waitcnt_vscnt null, 0x0
	s_barrier
	buffer_gl0_inv
	s_clause 0x13
	buffer_load_dword v95, off, s[0:3], 0 offset:264
	buffer_load_dword v96, off, s[0:3], 0 offset:268
	;; [unrolled: 1-line block ×20, first 2 shown]
	v_mov_b32_e32 v86, 0
	ds_read2_b64 v[87:90], v86 offset0:75 offset1:76
	ds_read2_b64 v[91:94], v86 offset0:77 offset1:78
	s_mov_b32 s4, exec_lo
	s_waitcnt vmcnt(18) lgkmcnt(1)
	v_fma_f64 v[87:88], v[95:96], v[87:88], 0
	s_waitcnt vmcnt(16)
	v_fma_f64 v[87:88], v[97:98], v[89:90], v[87:88]
	s_waitcnt vmcnt(14) lgkmcnt(0)
	v_fma_f64 v[87:88], v[99:100], v[91:92], v[87:88]
	s_waitcnt vmcnt(12)
	v_fma_f64 v[95:96], v[101:102], v[93:94], v[87:88]
	ds_read2_b64 v[87:90], v86 offset0:79 offset1:80
	ds_read2_b64 v[91:94], v86 offset0:81 offset1:82
	s_waitcnt vmcnt(10) lgkmcnt(1)
	v_fma_f64 v[87:88], v[103:104], v[87:88], v[95:96]
	s_waitcnt vmcnt(8)
	v_fma_f64 v[87:88], v[105:106], v[89:90], v[87:88]
	ds_read_b64 v[89:90], v86 offset:664
	s_waitcnt vmcnt(6) lgkmcnt(1)
	v_fma_f64 v[87:88], v[107:108], v[91:92], v[87:88]
	s_waitcnt vmcnt(3)
	v_fma_f64 v[87:88], v[109:110], v[93:94], v[87:88]
	s_waitcnt vmcnt(2) lgkmcnt(0)
	v_fma_f64 v[87:88], v[111:112], v[89:90], v[87:88]
	s_waitcnt vmcnt(0)
	v_add_f64 v[87:88], v[113:114], -v[87:88]
	buffer_store_dword v87, off, s[0:3], 0 offset:256
	buffer_store_dword v88, off, s[0:3], 0 offset:260
	v_cmpx_lt_u32_e32 31, v0
	s_cbranch_execz .LBB105_199
; %bb.198:
	s_clause 0x1
	buffer_load_dword v87, off, s[0:3], 0 offset:248
	buffer_load_dword v88, off, s[0:3], 0 offset:252
	buffer_store_dword v86, off, s[0:3], 0 offset:248
	buffer_store_dword v86, off, s[0:3], 0 offset:252
	s_waitcnt vmcnt(0)
	ds_write_b64 v85, v[87:88]
.LBB105_199:
	s_or_b32 exec_lo, exec_lo, s4
	s_waitcnt lgkmcnt(0)
	s_waitcnt_vscnt null, 0x0
	s_barrier
	buffer_gl0_inv
	s_clause 0x15
	buffer_load_dword v95, off, s[0:3], 0 offset:256
	buffer_load_dword v96, off, s[0:3], 0 offset:260
	;; [unrolled: 1-line block ×22, first 2 shown]
	ds_read_b128 v[87:90], v86 offset:592
	ds_read_b128 v[91:94], v86 offset:608
	s_mov_b32 s4, exec_lo
	s_waitcnt vmcnt(20) lgkmcnt(1)
	v_fma_f64 v[87:88], v[95:96], v[87:88], 0
	s_waitcnt vmcnt(18)
	v_fma_f64 v[87:88], v[97:98], v[89:90], v[87:88]
	s_waitcnt vmcnt(16) lgkmcnt(0)
	v_fma_f64 v[87:88], v[99:100], v[91:92], v[87:88]
	s_waitcnt vmcnt(14)
	v_fma_f64 v[95:96], v[101:102], v[93:94], v[87:88]
	ds_read_b128 v[87:90], v86 offset:624
	ds_read_b128 v[91:94], v86 offset:640
	s_waitcnt vmcnt(12) lgkmcnt(1)
	v_fma_f64 v[87:88], v[103:104], v[87:88], v[95:96]
	s_waitcnt vmcnt(10)
	v_fma_f64 v[87:88], v[105:106], v[89:90], v[87:88]
	s_waitcnt vmcnt(8) lgkmcnt(0)
	v_fma_f64 v[87:88], v[107:108], v[91:92], v[87:88]
	s_waitcnt vmcnt(4)
	v_fma_f64 v[90:91], v[109:110], v[93:94], v[87:88]
	ds_read_b128 v[86:89], v86 offset:656
	s_waitcnt vmcnt(3) lgkmcnt(0)
	v_fma_f64 v[86:87], v[113:114], v[86:87], v[90:91]
	s_waitcnt vmcnt(2)
	v_fma_f64 v[86:87], v[111:112], v[88:89], v[86:87]
	s_waitcnt vmcnt(0)
	v_add_f64 v[86:87], v[115:116], -v[86:87]
	buffer_store_dword v86, off, s[0:3], 0 offset:248
	buffer_store_dword v87, off, s[0:3], 0 offset:252
	v_cmpx_lt_u32_e32 30, v0
	s_cbranch_execz .LBB105_201
; %bb.200:
	s_clause 0x1
	buffer_load_dword v86, off, s[0:3], 0 offset:240
	buffer_load_dword v87, off, s[0:3], 0 offset:244
	v_mov_b32_e32 v88, 0
	buffer_store_dword v88, off, s[0:3], 0 offset:240
	buffer_store_dword v88, off, s[0:3], 0 offset:244
	s_waitcnt vmcnt(0)
	ds_write_b64 v85, v[86:87]
.LBB105_201:
	s_or_b32 exec_lo, exec_lo, s4
	s_waitcnt lgkmcnt(0)
	s_waitcnt_vscnt null, 0x0
	s_barrier
	buffer_gl0_inv
	s_clause 0x17
	buffer_load_dword v95, off, s[0:3], 0 offset:248
	buffer_load_dword v96, off, s[0:3], 0 offset:252
	;; [unrolled: 1-line block ×24, first 2 shown]
	v_mov_b32_e32 v86, 0
	ds_read2_b64 v[87:90], v86 offset0:73 offset1:74
	ds_read2_b64 v[91:94], v86 offset0:75 offset1:76
	s_mov_b32 s4, exec_lo
	s_waitcnt vmcnt(22) lgkmcnt(1)
	v_fma_f64 v[87:88], v[95:96], v[87:88], 0
	s_waitcnt vmcnt(20)
	v_fma_f64 v[87:88], v[97:98], v[89:90], v[87:88]
	s_waitcnt vmcnt(18) lgkmcnt(0)
	v_fma_f64 v[87:88], v[99:100], v[91:92], v[87:88]
	s_waitcnt vmcnt(16)
	v_fma_f64 v[95:96], v[101:102], v[93:94], v[87:88]
	ds_read2_b64 v[87:90], v86 offset0:77 offset1:78
	ds_read2_b64 v[91:94], v86 offset0:79 offset1:80
	s_waitcnt vmcnt(14) lgkmcnt(1)
	v_fma_f64 v[87:88], v[103:104], v[87:88], v[95:96]
	s_waitcnt vmcnt(12)
	v_fma_f64 v[87:88], v[105:106], v[89:90], v[87:88]
	s_waitcnt vmcnt(10) lgkmcnt(0)
	v_fma_f64 v[87:88], v[107:108], v[91:92], v[87:88]
	s_waitcnt vmcnt(5)
	v_fma_f64 v[91:92], v[109:110], v[93:94], v[87:88]
	ds_read2_b64 v[87:90], v86 offset0:81 offset1:82
	ds_read_b64 v[93:94], v86 offset:664
	s_waitcnt vmcnt(4) lgkmcnt(1)
	v_fma_f64 v[87:88], v[115:116], v[87:88], v[91:92]
	s_waitcnt vmcnt(3)
	v_fma_f64 v[87:88], v[113:114], v[89:90], v[87:88]
	s_waitcnt vmcnt(2) lgkmcnt(0)
	v_fma_f64 v[87:88], v[111:112], v[93:94], v[87:88]
	s_waitcnt vmcnt(0)
	v_add_f64 v[87:88], v[117:118], -v[87:88]
	buffer_store_dword v88, off, s[0:3], 0 offset:244
	buffer_store_dword v87, off, s[0:3], 0 offset:240
	v_cmpx_lt_u32_e32 29, v0
	s_cbranch_execz .LBB105_203
; %bb.202:
	s_clause 0x1
	buffer_load_dword v87, off, s[0:3], 0 offset:232
	buffer_load_dword v88, off, s[0:3], 0 offset:236
	buffer_store_dword v86, off, s[0:3], 0 offset:232
	buffer_store_dword v86, off, s[0:3], 0 offset:236
	s_waitcnt vmcnt(0)
	ds_write_b64 v85, v[87:88]
.LBB105_203:
	s_or_b32 exec_lo, exec_lo, s4
	s_waitcnt lgkmcnt(0)
	s_waitcnt_vscnt null, 0x0
	s_barrier
	buffer_gl0_inv
	s_clause 0x19
	buffer_load_dword v95, off, s[0:3], 0 offset:240
	buffer_load_dword v96, off, s[0:3], 0 offset:244
	;; [unrolled: 1-line block ×26, first 2 shown]
	ds_read_b128 v[87:90], v86 offset:576
	ds_read_b128 v[91:94], v86 offset:592
	s_mov_b32 s4, exec_lo
	s_waitcnt vmcnt(24) lgkmcnt(1)
	v_fma_f64 v[87:88], v[95:96], v[87:88], 0
	s_waitcnt vmcnt(22)
	v_fma_f64 v[87:88], v[97:98], v[89:90], v[87:88]
	s_waitcnt vmcnt(20) lgkmcnt(0)
	v_fma_f64 v[87:88], v[99:100], v[91:92], v[87:88]
	s_waitcnt vmcnt(18)
	v_fma_f64 v[95:96], v[101:102], v[93:94], v[87:88]
	ds_read_b128 v[87:90], v86 offset:608
	ds_read_b128 v[91:94], v86 offset:624
	s_waitcnt vmcnt(16) lgkmcnt(1)
	v_fma_f64 v[87:88], v[103:104], v[87:88], v[95:96]
	s_waitcnt vmcnt(14)
	v_fma_f64 v[87:88], v[105:106], v[89:90], v[87:88]
	s_waitcnt vmcnt(12) lgkmcnt(0)
	v_fma_f64 v[87:88], v[107:108], v[91:92], v[87:88]
	s_waitcnt vmcnt(7)
	v_fma_f64 v[95:96], v[109:110], v[93:94], v[87:88]
	ds_read_b128 v[87:90], v86 offset:640
	ds_read_b128 v[91:94], v86 offset:656
	s_waitcnt vmcnt(6) lgkmcnt(1)
	v_fma_f64 v[86:87], v[115:116], v[87:88], v[95:96]
	s_waitcnt vmcnt(5)
	v_fma_f64 v[86:87], v[113:114], v[89:90], v[86:87]
	s_waitcnt vmcnt(4) lgkmcnt(0)
	v_fma_f64 v[86:87], v[111:112], v[91:92], v[86:87]
	s_waitcnt vmcnt(2)
	v_fma_f64 v[86:87], v[117:118], v[93:94], v[86:87]
	s_waitcnt vmcnt(0)
	v_add_f64 v[86:87], v[119:120], -v[86:87]
	buffer_store_dword v87, off, s[0:3], 0 offset:236
	buffer_store_dword v86, off, s[0:3], 0 offset:232
	v_cmpx_lt_u32_e32 28, v0
	s_cbranch_execz .LBB105_205
; %bb.204:
	s_clause 0x1
	buffer_load_dword v86, off, s[0:3], 0 offset:224
	buffer_load_dword v87, off, s[0:3], 0 offset:228
	v_mov_b32_e32 v88, 0
	buffer_store_dword v88, off, s[0:3], 0 offset:224
	buffer_store_dword v88, off, s[0:3], 0 offset:228
	s_waitcnt vmcnt(0)
	ds_write_b64 v85, v[86:87]
.LBB105_205:
	s_or_b32 exec_lo, exec_lo, s4
	s_waitcnt lgkmcnt(0)
	s_waitcnt_vscnt null, 0x0
	s_barrier
	buffer_gl0_inv
	s_clause 0x1b
	buffer_load_dword v95, off, s[0:3], 0 offset:232
	buffer_load_dword v96, off, s[0:3], 0 offset:236
	buffer_load_dword v97, off, s[0:3], 0 offset:240
	buffer_load_dword v98, off, s[0:3], 0 offset:244
	buffer_load_dword v99, off, s[0:3], 0 offset:248
	buffer_load_dword v100, off, s[0:3], 0 offset:252
	buffer_load_dword v101, off, s[0:3], 0 offset:256
	buffer_load_dword v102, off, s[0:3], 0 offset:260
	buffer_load_dword v103, off, s[0:3], 0 offset:264
	buffer_load_dword v104, off, s[0:3], 0 offset:268
	buffer_load_dword v105, off, s[0:3], 0 offset:272
	buffer_load_dword v106, off, s[0:3], 0 offset:276
	buffer_load_dword v107, off, s[0:3], 0 offset:280
	buffer_load_dword v108, off, s[0:3], 0 offset:284
	buffer_load_dword v110, off, s[0:3], 0 offset:292
	buffer_load_dword v111, off, s[0:3], 0 offset:312
	buffer_load_dword v113, off, s[0:3], 0 offset:304
	buffer_load_dword v115, off, s[0:3], 0 offset:296
	buffer_load_dword v109, off, s[0:3], 0 offset:288
	buffer_load_dword v116, off, s[0:3], 0 offset:300
	buffer_load_dword v114, off, s[0:3], 0 offset:308
	buffer_load_dword v112, off, s[0:3], 0 offset:316
	buffer_load_dword v118, off, s[0:3], 0 offset:324
	buffer_load_dword v119, off, s[0:3], 0 offset:328
	buffer_load_dword v117, off, s[0:3], 0 offset:320
	buffer_load_dword v120, off, s[0:3], 0 offset:332
	buffer_load_dword v121, off, s[0:3], 0 offset:224
	buffer_load_dword v122, off, s[0:3], 0 offset:228
	v_mov_b32_e32 v86, 0
	ds_read2_b64 v[87:90], v86 offset0:71 offset1:72
	ds_read2_b64 v[91:94], v86 offset0:73 offset1:74
	s_mov_b32 s4, exec_lo
	s_waitcnt vmcnt(26) lgkmcnt(1)
	v_fma_f64 v[87:88], v[95:96], v[87:88], 0
	s_waitcnt vmcnt(24)
	v_fma_f64 v[87:88], v[97:98], v[89:90], v[87:88]
	s_waitcnt vmcnt(22) lgkmcnt(0)
	v_fma_f64 v[87:88], v[99:100], v[91:92], v[87:88]
	s_waitcnt vmcnt(20)
	v_fma_f64 v[95:96], v[101:102], v[93:94], v[87:88]
	ds_read2_b64 v[87:90], v86 offset0:75 offset1:76
	ds_read2_b64 v[91:94], v86 offset0:77 offset1:78
	s_waitcnt vmcnt(18) lgkmcnt(1)
	v_fma_f64 v[87:88], v[103:104], v[87:88], v[95:96]
	s_waitcnt vmcnt(16)
	v_fma_f64 v[87:88], v[105:106], v[89:90], v[87:88]
	s_waitcnt vmcnt(14) lgkmcnt(0)
	v_fma_f64 v[87:88], v[107:108], v[91:92], v[87:88]
	s_waitcnt vmcnt(9)
	v_fma_f64 v[95:96], v[109:110], v[93:94], v[87:88]
	ds_read2_b64 v[87:90], v86 offset0:79 offset1:80
	ds_read2_b64 v[91:94], v86 offset0:81 offset1:82
	s_waitcnt vmcnt(8) lgkmcnt(1)
	v_fma_f64 v[87:88], v[115:116], v[87:88], v[95:96]
	s_waitcnt vmcnt(7)
	v_fma_f64 v[87:88], v[113:114], v[89:90], v[87:88]
	ds_read_b64 v[89:90], v86 offset:664
	s_waitcnt vmcnt(6) lgkmcnt(1)
	v_fma_f64 v[87:88], v[111:112], v[91:92], v[87:88]
	s_waitcnt vmcnt(3)
	v_fma_f64 v[87:88], v[117:118], v[93:94], v[87:88]
	s_waitcnt vmcnt(2) lgkmcnt(0)
	v_fma_f64 v[87:88], v[119:120], v[89:90], v[87:88]
	s_waitcnt vmcnt(0)
	v_add_f64 v[87:88], v[121:122], -v[87:88]
	buffer_store_dword v88, off, s[0:3], 0 offset:228
	buffer_store_dword v87, off, s[0:3], 0 offset:224
	v_cmpx_lt_u32_e32 27, v0
	s_cbranch_execz .LBB105_207
; %bb.206:
	s_clause 0x1
	buffer_load_dword v87, off, s[0:3], 0 offset:216
	buffer_load_dword v88, off, s[0:3], 0 offset:220
	buffer_store_dword v86, off, s[0:3], 0 offset:216
	buffer_store_dword v86, off, s[0:3], 0 offset:220
	s_waitcnt vmcnt(0)
	ds_write_b64 v85, v[87:88]
.LBB105_207:
	s_or_b32 exec_lo, exec_lo, s4
	s_waitcnt lgkmcnt(0)
	s_waitcnt_vscnt null, 0x0
	s_barrier
	buffer_gl0_inv
	s_clause 0x1b
	buffer_load_dword v95, off, s[0:3], 0 offset:224
	buffer_load_dword v96, off, s[0:3], 0 offset:228
	;; [unrolled: 1-line block ×28, first 2 shown]
	ds_read_b128 v[87:90], v86 offset:560
	s_clause 0x1
	buffer_load_dword v123, off, s[0:3], 0 offset:216
	buffer_load_dword v124, off, s[0:3], 0 offset:220
	ds_read_b128 v[91:94], v86 offset:576
	s_mov_b32 s4, exec_lo
	s_waitcnt vmcnt(28) lgkmcnt(1)
	v_fma_f64 v[87:88], v[95:96], v[87:88], 0
	s_waitcnt vmcnt(26)
	v_fma_f64 v[87:88], v[97:98], v[89:90], v[87:88]
	s_waitcnt vmcnt(24) lgkmcnt(0)
	v_fma_f64 v[87:88], v[99:100], v[91:92], v[87:88]
	s_waitcnt vmcnt(22)
	v_fma_f64 v[95:96], v[101:102], v[93:94], v[87:88]
	ds_read_b128 v[87:90], v86 offset:592
	ds_read_b128 v[91:94], v86 offset:608
	s_waitcnt vmcnt(20) lgkmcnt(1)
	v_fma_f64 v[87:88], v[103:104], v[87:88], v[95:96]
	s_waitcnt vmcnt(18)
	v_fma_f64 v[87:88], v[105:106], v[89:90], v[87:88]
	s_waitcnt vmcnt(16) lgkmcnt(0)
	v_fma_f64 v[87:88], v[107:108], v[91:92], v[87:88]
	s_waitcnt vmcnt(11)
	v_fma_f64 v[95:96], v[109:110], v[93:94], v[87:88]
	ds_read_b128 v[87:90], v86 offset:624
	ds_read_b128 v[91:94], v86 offset:640
	s_waitcnt vmcnt(10) lgkmcnt(1)
	v_fma_f64 v[87:88], v[115:116], v[87:88], v[95:96]
	s_waitcnt vmcnt(9)
	v_fma_f64 v[87:88], v[113:114], v[89:90], v[87:88]
	s_waitcnt vmcnt(8) lgkmcnt(0)
	v_fma_f64 v[87:88], v[111:112], v[91:92], v[87:88]
	s_waitcnt vmcnt(4)
	v_fma_f64 v[90:91], v[117:118], v[93:94], v[87:88]
	ds_read_b128 v[86:89], v86 offset:656
	s_waitcnt vmcnt(3) lgkmcnt(0)
	v_fma_f64 v[86:87], v[121:122], v[86:87], v[90:91]
	s_waitcnt vmcnt(2)
	v_fma_f64 v[86:87], v[119:120], v[88:89], v[86:87]
	s_waitcnt vmcnt(0)
	v_add_f64 v[86:87], v[123:124], -v[86:87]
	buffer_store_dword v87, off, s[0:3], 0 offset:220
	buffer_store_dword v86, off, s[0:3], 0 offset:216
	v_cmpx_lt_u32_e32 26, v0
	s_cbranch_execz .LBB105_209
; %bb.208:
	s_clause 0x1
	buffer_load_dword v86, off, s[0:3], 0 offset:208
	buffer_load_dword v87, off, s[0:3], 0 offset:212
	v_mov_b32_e32 v88, 0
	buffer_store_dword v88, off, s[0:3], 0 offset:208
	buffer_store_dword v88, off, s[0:3], 0 offset:212
	s_waitcnt vmcnt(0)
	ds_write_b64 v85, v[86:87]
.LBB105_209:
	s_or_b32 exec_lo, exec_lo, s4
	s_waitcnt lgkmcnt(0)
	s_waitcnt_vscnt null, 0x0
	s_barrier
	buffer_gl0_inv
	s_clause 0x1c
	buffer_load_dword v95, off, s[0:3], 0 offset:216
	buffer_load_dword v96, off, s[0:3], 0 offset:220
	;; [unrolled: 1-line block ×29, first 2 shown]
	v_mov_b32_e32 v86, 0
	buffer_load_dword v120, off, s[0:3], 0 offset:332
	s_mov_b32 s4, exec_lo
	ds_read2_b64 v[87:90], v86 offset0:69 offset1:70
	ds_read2_b64 v[91:94], v86 offset0:71 offset1:72
	s_waitcnt vmcnt(28) lgkmcnt(1)
	v_fma_f64 v[87:88], v[95:96], v[87:88], 0
	s_clause 0x1
	buffer_load_dword v95, off, s[0:3], 0 offset:208
	buffer_load_dword v96, off, s[0:3], 0 offset:212
	s_waitcnt vmcnt(28)
	v_fma_f64 v[87:88], v[97:98], v[89:90], v[87:88]
	s_waitcnt vmcnt(26) lgkmcnt(0)
	v_fma_f64 v[87:88], v[99:100], v[91:92], v[87:88]
	s_waitcnt vmcnt(24)
	v_fma_f64 v[97:98], v[101:102], v[93:94], v[87:88]
	ds_read2_b64 v[87:90], v86 offset0:73 offset1:74
	ds_read2_b64 v[91:94], v86 offset0:75 offset1:76
	s_waitcnt vmcnt(22) lgkmcnt(1)
	v_fma_f64 v[87:88], v[103:104], v[87:88], v[97:98]
	s_waitcnt vmcnt(20)
	v_fma_f64 v[87:88], v[105:106], v[89:90], v[87:88]
	s_waitcnt vmcnt(18) lgkmcnt(0)
	v_fma_f64 v[87:88], v[107:108], v[91:92], v[87:88]
	s_waitcnt vmcnt(13)
	v_fma_f64 v[97:98], v[109:110], v[93:94], v[87:88]
	ds_read2_b64 v[87:90], v86 offset0:77 offset1:78
	ds_read2_b64 v[91:94], v86 offset0:79 offset1:80
	s_waitcnt vmcnt(12) lgkmcnt(1)
	v_fma_f64 v[87:88], v[115:116], v[87:88], v[97:98]
	s_waitcnt vmcnt(11)
	v_fma_f64 v[87:88], v[113:114], v[89:90], v[87:88]
	s_waitcnt vmcnt(10) lgkmcnt(0)
	v_fma_f64 v[87:88], v[111:112], v[91:92], v[87:88]
	s_waitcnt vmcnt(5)
	v_fma_f64 v[91:92], v[117:118], v[93:94], v[87:88]
	ds_read2_b64 v[87:90], v86 offset0:81 offset1:82
	ds_read_b64 v[93:94], v86 offset:664
	s_waitcnt vmcnt(4) lgkmcnt(1)
	v_fma_f64 v[87:88], v[123:124], v[87:88], v[91:92]
	s_waitcnt vmcnt(3)
	v_fma_f64 v[87:88], v[121:122], v[89:90], v[87:88]
	s_waitcnt vmcnt(2) lgkmcnt(0)
	v_fma_f64 v[87:88], v[119:120], v[93:94], v[87:88]
	s_waitcnt vmcnt(0)
	v_add_f64 v[87:88], v[95:96], -v[87:88]
	buffer_store_dword v88, off, s[0:3], 0 offset:212
	buffer_store_dword v87, off, s[0:3], 0 offset:208
	v_cmpx_lt_u32_e32 25, v0
	s_cbranch_execz .LBB105_211
; %bb.210:
	s_clause 0x1
	buffer_load_dword v87, off, s[0:3], 0 offset:200
	buffer_load_dword v88, off, s[0:3], 0 offset:204
	buffer_store_dword v86, off, s[0:3], 0 offset:200
	buffer_store_dword v86, off, s[0:3], 0 offset:204
	s_waitcnt vmcnt(0)
	ds_write_b64 v85, v[87:88]
.LBB105_211:
	s_or_b32 exec_lo, exec_lo, s4
	s_waitcnt lgkmcnt(0)
	s_waitcnt_vscnt null, 0x0
	s_barrier
	buffer_gl0_inv
	s_clause 0x1c
	buffer_load_dword v95, off, s[0:3], 0 offset:208
	buffer_load_dword v96, off, s[0:3], 0 offset:212
	;; [unrolled: 1-line block ×29, first 2 shown]
	ds_read_b128 v[87:90], v86 offset:544
	ds_read_b128 v[91:94], v86 offset:560
	buffer_load_dword v120, off, s[0:3], 0 offset:324
	s_mov_b32 s4, exec_lo
	s_waitcnt vmcnt(28) lgkmcnt(1)
	v_fma_f64 v[87:88], v[95:96], v[87:88], 0
	s_clause 0x1
	buffer_load_dword v96, off, s[0:3], 0 offset:332
	buffer_load_dword v95, off, s[0:3], 0 offset:328
	s_waitcnt vmcnt(28)
	v_fma_f64 v[87:88], v[97:98], v[89:90], v[87:88]
	s_clause 0x1
	buffer_load_dword v97, off, s[0:3], 0 offset:200
	buffer_load_dword v98, off, s[0:3], 0 offset:204
	s_waitcnt vmcnt(28) lgkmcnt(0)
	v_fma_f64 v[87:88], v[99:100], v[91:92], v[87:88]
	s_waitcnt vmcnt(26)
	v_fma_f64 v[99:100], v[101:102], v[93:94], v[87:88]
	ds_read_b128 v[87:90], v86 offset:576
	ds_read_b128 v[91:94], v86 offset:592
	s_waitcnt vmcnt(24) lgkmcnt(1)
	v_fma_f64 v[87:88], v[103:104], v[87:88], v[99:100]
	s_waitcnt vmcnt(22)
	v_fma_f64 v[87:88], v[105:106], v[89:90], v[87:88]
	s_waitcnt vmcnt(20) lgkmcnt(0)
	v_fma_f64 v[87:88], v[107:108], v[91:92], v[87:88]
	s_waitcnt vmcnt(15)
	v_fma_f64 v[99:100], v[109:110], v[93:94], v[87:88]
	ds_read_b128 v[87:90], v86 offset:608
	ds_read_b128 v[91:94], v86 offset:624
	s_waitcnt vmcnt(14) lgkmcnt(1)
	v_fma_f64 v[87:88], v[115:116], v[87:88], v[99:100]
	s_waitcnt vmcnt(13)
	v_fma_f64 v[87:88], v[113:114], v[89:90], v[87:88]
	;; [unrolled: 10-line block ×3, first 2 shown]
	s_waitcnt vmcnt(4) lgkmcnt(0)
	v_fma_f64 v[86:87], v[119:120], v[91:92], v[86:87]
	s_waitcnt vmcnt(2)
	v_fma_f64 v[86:87], v[95:96], v[93:94], v[86:87]
	s_waitcnt vmcnt(0)
	v_add_f64 v[86:87], v[97:98], -v[86:87]
	buffer_store_dword v87, off, s[0:3], 0 offset:204
	buffer_store_dword v86, off, s[0:3], 0 offset:200
	v_cmpx_lt_u32_e32 24, v0
	s_cbranch_execz .LBB105_213
; %bb.212:
	s_clause 0x1
	buffer_load_dword v86, off, s[0:3], 0 offset:192
	buffer_load_dword v87, off, s[0:3], 0 offset:196
	v_mov_b32_e32 v88, 0
	buffer_store_dword v88, off, s[0:3], 0 offset:192
	buffer_store_dword v88, off, s[0:3], 0 offset:196
	s_waitcnt vmcnt(0)
	ds_write_b64 v85, v[86:87]
.LBB105_213:
	s_or_b32 exec_lo, exec_lo, s4
	s_waitcnt lgkmcnt(0)
	s_waitcnt_vscnt null, 0x0
	s_barrier
	buffer_gl0_inv
	s_clause 0x1c
	buffer_load_dword v95, off, s[0:3], 0 offset:200
	buffer_load_dword v96, off, s[0:3], 0 offset:204
	buffer_load_dword v97, off, s[0:3], 0 offset:208
	buffer_load_dword v98, off, s[0:3], 0 offset:212
	buffer_load_dword v99, off, s[0:3], 0 offset:216
	buffer_load_dword v100, off, s[0:3], 0 offset:220
	buffer_load_dword v101, off, s[0:3], 0 offset:224
	buffer_load_dword v102, off, s[0:3], 0 offset:228
	buffer_load_dword v103, off, s[0:3], 0 offset:232
	buffer_load_dword v104, off, s[0:3], 0 offset:236
	buffer_load_dword v105, off, s[0:3], 0 offset:240
	buffer_load_dword v106, off, s[0:3], 0 offset:244
	buffer_load_dword v107, off, s[0:3], 0 offset:248
	buffer_load_dword v108, off, s[0:3], 0 offset:252
	buffer_load_dword v110, off, s[0:3], 0 offset:260
	buffer_load_dword v111, off, s[0:3], 0 offset:280
	buffer_load_dword v113, off, s[0:3], 0 offset:272
	buffer_load_dword v115, off, s[0:3], 0 offset:264
	buffer_load_dword v109, off, s[0:3], 0 offset:256
	buffer_load_dword v116, off, s[0:3], 0 offset:268
	buffer_load_dword v114, off, s[0:3], 0 offset:276
	buffer_load_dword v112, off, s[0:3], 0 offset:284
	buffer_load_dword v118, off, s[0:3], 0 offset:292
	buffer_load_dword v119, off, s[0:3], 0 offset:312
	buffer_load_dword v121, off, s[0:3], 0 offset:304
	buffer_load_dword v123, off, s[0:3], 0 offset:296
	buffer_load_dword v117, off, s[0:3], 0 offset:288
	buffer_load_dword v124, off, s[0:3], 0 offset:300
	buffer_load_dword v122, off, s[0:3], 0 offset:308
	v_mov_b32_e32 v86, 0
	buffer_load_dword v120, off, s[0:3], 0 offset:316
	s_mov_b32 s4, exec_lo
	ds_read2_b64 v[87:90], v86 offset0:67 offset1:68
	ds_read2_b64 v[91:94], v86 offset0:69 offset1:70
	s_waitcnt vmcnt(28) lgkmcnt(1)
	v_fma_f64 v[87:88], v[95:96], v[87:88], 0
	s_clause 0x3
	buffer_load_dword v96, off, s[0:3], 0 offset:324
	buffer_load_dword v125, off, s[0:3], 0 offset:328
	;; [unrolled: 1-line block ×4, first 2 shown]
	s_waitcnt vmcnt(30)
	v_fma_f64 v[87:88], v[97:98], v[89:90], v[87:88]
	s_clause 0x1
	buffer_load_dword v97, off, s[0:3], 0 offset:192
	buffer_load_dword v98, off, s[0:3], 0 offset:196
	s_waitcnt vmcnt(30) lgkmcnt(0)
	v_fma_f64 v[87:88], v[99:100], v[91:92], v[87:88]
	s_waitcnt vmcnt(28)
	v_fma_f64 v[99:100], v[101:102], v[93:94], v[87:88]
	ds_read2_b64 v[87:90], v86 offset0:71 offset1:72
	ds_read2_b64 v[91:94], v86 offset0:73 offset1:74
	s_waitcnt vmcnt(26) lgkmcnt(1)
	v_fma_f64 v[87:88], v[103:104], v[87:88], v[99:100]
	s_waitcnt vmcnt(24)
	v_fma_f64 v[87:88], v[105:106], v[89:90], v[87:88]
	s_waitcnt vmcnt(22) lgkmcnt(0)
	v_fma_f64 v[87:88], v[107:108], v[91:92], v[87:88]
	s_waitcnt vmcnt(17)
	v_fma_f64 v[99:100], v[109:110], v[93:94], v[87:88]
	ds_read2_b64 v[87:90], v86 offset0:75 offset1:76
	ds_read2_b64 v[91:94], v86 offset0:77 offset1:78
	s_waitcnt vmcnt(16) lgkmcnt(1)
	v_fma_f64 v[87:88], v[115:116], v[87:88], v[99:100]
	s_waitcnt vmcnt(15)
	v_fma_f64 v[87:88], v[113:114], v[89:90], v[87:88]
	;; [unrolled: 10-line block ×3, first 2 shown]
	ds_read_b64 v[89:90], v86 offset:664
	s_waitcnt vmcnt(6) lgkmcnt(1)
	v_fma_f64 v[87:88], v[119:120], v[91:92], v[87:88]
	s_waitcnt vmcnt(3)
	v_fma_f64 v[87:88], v[95:96], v[93:94], v[87:88]
	s_waitcnt vmcnt(2) lgkmcnt(0)
	v_fma_f64 v[87:88], v[125:126], v[89:90], v[87:88]
	s_waitcnt vmcnt(0)
	v_add_f64 v[87:88], v[97:98], -v[87:88]
	buffer_store_dword v88, off, s[0:3], 0 offset:196
	buffer_store_dword v87, off, s[0:3], 0 offset:192
	v_cmpx_lt_u32_e32 23, v0
	s_cbranch_execz .LBB105_215
; %bb.214:
	s_clause 0x1
	buffer_load_dword v87, off, s[0:3], 0 offset:184
	buffer_load_dword v88, off, s[0:3], 0 offset:188
	buffer_store_dword v86, off, s[0:3], 0 offset:184
	buffer_store_dword v86, off, s[0:3], 0 offset:188
	s_waitcnt vmcnt(0)
	ds_write_b64 v85, v[87:88]
.LBB105_215:
	s_or_b32 exec_lo, exec_lo, s4
	s_waitcnt lgkmcnt(0)
	s_waitcnt_vscnt null, 0x0
	s_barrier
	buffer_gl0_inv
	s_clause 0x1b
	buffer_load_dword v91, off, s[0:3], 0 offset:192
	buffer_load_dword v92, off, s[0:3], 0 offset:196
	;; [unrolled: 1-line block ×28, first 2 shown]
	ds_read_b128 v[87:90], v86 offset:528
	s_clause 0x1
	buffer_load_dword v119, off, s[0:3], 0 offset:304
	buffer_load_dword v120, off, s[0:3], 0 offset:308
	s_mov_b32 s4, exec_lo
	s_waitcnt vmcnt(28) lgkmcnt(0)
	v_fma_f64 v[87:88], v[91:92], v[87:88], 0
	s_clause 0x1
	buffer_load_dword v92, off, s[0:3], 0 offset:316
	buffer_load_dword v91, off, s[0:3], 0 offset:312
	s_waitcnt vmcnt(28)
	v_fma_f64 v[93:94], v[93:94], v[89:90], v[87:88]
	ds_read_b128 v[87:90], v86 offset:544
	s_clause 0x1
	buffer_load_dword v121, off, s[0:3], 0 offset:320
	buffer_load_dword v122, off, s[0:3], 0 offset:324
	s_waitcnt vmcnt(28) lgkmcnt(0)
	v_fma_f64 v[87:88], v[95:96], v[87:88], v[93:94]
	s_clause 0x1
	buffer_load_dword v93, off, s[0:3], 0 offset:328
	buffer_load_dword v94, off, s[0:3], 0 offset:332
	s_waitcnt vmcnt(28)
	v_fma_f64 v[95:96], v[97:98], v[89:90], v[87:88]
	ds_read_b128 v[87:90], v86 offset:560
	s_clause 0x1
	buffer_load_dword v97, off, s[0:3], 0 offset:184
	buffer_load_dword v98, off, s[0:3], 0 offset:188
	s_waitcnt vmcnt(28) lgkmcnt(0)
	v_fma_f64 v[87:88], v[99:100], v[87:88], v[95:96]
	s_waitcnt vmcnt(26)
	v_fma_f64 v[95:96], v[101:102], v[89:90], v[87:88]
	ds_read_b128 v[87:90], v86 offset:576
	s_waitcnt vmcnt(24) lgkmcnt(0)
	v_fma_f64 v[87:88], v[103:104], v[87:88], v[95:96]
	s_waitcnt vmcnt(22)
	v_fma_f64 v[95:96], v[105:106], v[89:90], v[87:88]
	ds_read_b128 v[87:90], v86 offset:592
	;; [unrolled: 5-line block ×6, first 2 shown]
	s_waitcnt vmcnt(4) lgkmcnt(0)
	v_fma_f64 v[86:87], v[121:122], v[86:87], v[90:91]
	s_waitcnt vmcnt(2)
	v_fma_f64 v[86:87], v[93:94], v[88:89], v[86:87]
	s_waitcnt vmcnt(0)
	v_add_f64 v[86:87], v[97:98], -v[86:87]
	buffer_store_dword v87, off, s[0:3], 0 offset:188
	buffer_store_dword v86, off, s[0:3], 0 offset:184
	v_cmpx_lt_u32_e32 22, v0
	s_cbranch_execz .LBB105_217
; %bb.216:
	s_clause 0x1
	buffer_load_dword v86, off, s[0:3], 0 offset:176
	buffer_load_dword v87, off, s[0:3], 0 offset:180
	v_mov_b32_e32 v88, 0
	buffer_store_dword v88, off, s[0:3], 0 offset:176
	buffer_store_dword v88, off, s[0:3], 0 offset:180
	s_waitcnt vmcnt(0)
	ds_write_b64 v85, v[86:87]
.LBB105_217:
	s_or_b32 exec_lo, exec_lo, s4
	s_waitcnt lgkmcnt(0)
	s_waitcnt_vscnt null, 0x0
	s_barrier
	buffer_gl0_inv
	s_clause 0x1b
	buffer_load_dword v91, off, s[0:3], 0 offset:184
	buffer_load_dword v92, off, s[0:3], 0 offset:188
	buffer_load_dword v93, off, s[0:3], 0 offset:192
	buffer_load_dword v94, off, s[0:3], 0 offset:196
	buffer_load_dword v95, off, s[0:3], 0 offset:200
	buffer_load_dword v96, off, s[0:3], 0 offset:204
	buffer_load_dword v97, off, s[0:3], 0 offset:208
	buffer_load_dword v98, off, s[0:3], 0 offset:212
	buffer_load_dword v99, off, s[0:3], 0 offset:216
	buffer_load_dword v100, off, s[0:3], 0 offset:220
	buffer_load_dword v101, off, s[0:3], 0 offset:224
	buffer_load_dword v102, off, s[0:3], 0 offset:228
	buffer_load_dword v103, off, s[0:3], 0 offset:232
	buffer_load_dword v104, off, s[0:3], 0 offset:236
	buffer_load_dword v106, off, s[0:3], 0 offset:244
	buffer_load_dword v105, off, s[0:3], 0 offset:240
	buffer_load_dword v107, off, s[0:3], 0 offset:248
	buffer_load_dword v108, off, s[0:3], 0 offset:252
	buffer_load_dword v109, off, s[0:3], 0 offset:256
	buffer_load_dword v110, off, s[0:3], 0 offset:260
	buffer_load_dword v111, off, s[0:3], 0 offset:264
	buffer_load_dword v112, off, s[0:3], 0 offset:268
	buffer_load_dword v114, off, s[0:3], 0 offset:276
	buffer_load_dword v113, off, s[0:3], 0 offset:272
	buffer_load_dword v115, off, s[0:3], 0 offset:280
	buffer_load_dword v116, off, s[0:3], 0 offset:284
	buffer_load_dword v117, off, s[0:3], 0 offset:288
	buffer_load_dword v118, off, s[0:3], 0 offset:292
	v_mov_b32_e32 v86, 0
	s_mov_b32 s4, exec_lo
	ds_read2_b64 v[87:90], v86 offset0:65 offset1:66
	s_clause 0x1
	buffer_load_dword v119, off, s[0:3], 0 offset:296
	buffer_load_dword v120, off, s[0:3], 0 offset:300
	s_waitcnt vmcnt(28) lgkmcnt(0)
	v_fma_f64 v[87:88], v[91:92], v[87:88], 0
	s_clause 0x1
	buffer_load_dword v92, off, s[0:3], 0 offset:308
	buffer_load_dword v91, off, s[0:3], 0 offset:304
	s_waitcnt vmcnt(28)
	v_fma_f64 v[93:94], v[93:94], v[89:90], v[87:88]
	ds_read2_b64 v[87:90], v86 offset0:67 offset1:68
	s_clause 0x1
	buffer_load_dword v121, off, s[0:3], 0 offset:312
	buffer_load_dword v122, off, s[0:3], 0 offset:316
	s_waitcnt vmcnt(28) lgkmcnt(0)
	v_fma_f64 v[87:88], v[95:96], v[87:88], v[93:94]
	s_clause 0x1
	buffer_load_dword v93, off, s[0:3], 0 offset:320
	buffer_load_dword v94, off, s[0:3], 0 offset:324
	s_waitcnt vmcnt(28)
	v_fma_f64 v[95:96], v[97:98], v[89:90], v[87:88]
	;; [unrolled: 11-line block ×3, first 2 shown]
	ds_read2_b64 v[87:90], v86 offset0:71 offset1:72
	s_waitcnt vmcnt(26) lgkmcnt(0)
	v_fma_f64 v[87:88], v[103:104], v[87:88], v[99:100]
	s_waitcnt vmcnt(24)
	v_fma_f64 v[99:100], v[105:106], v[89:90], v[87:88]
	ds_read2_b64 v[87:90], v86 offset0:73 offset1:74
	s_waitcnt vmcnt(22) lgkmcnt(0)
	v_fma_f64 v[87:88], v[107:108], v[87:88], v[99:100]
	s_waitcnt vmcnt(20)
	v_fma_f64 v[99:100], v[109:110], v[89:90], v[87:88]
	;; [unrolled: 5-line block ×6, first 2 shown]
	ds_read_b64 v[89:90], v86 offset:664
	s_waitcnt vmcnt(2) lgkmcnt(0)
	v_fma_f64 v[87:88], v[97:98], v[89:90], v[87:88]
	s_waitcnt vmcnt(0)
	v_add_f64 v[87:88], v[95:96], -v[87:88]
	buffer_store_dword v88, off, s[0:3], 0 offset:180
	buffer_store_dword v87, off, s[0:3], 0 offset:176
	v_cmpx_lt_u32_e32 21, v0
	s_cbranch_execz .LBB105_219
; %bb.218:
	s_clause 0x1
	buffer_load_dword v87, off, s[0:3], 0 offset:168
	buffer_load_dword v88, off, s[0:3], 0 offset:172
	buffer_store_dword v86, off, s[0:3], 0 offset:168
	buffer_store_dword v86, off, s[0:3], 0 offset:172
	s_waitcnt vmcnt(0)
	ds_write_b64 v85, v[87:88]
.LBB105_219:
	s_or_b32 exec_lo, exec_lo, s4
	s_waitcnt lgkmcnt(0)
	s_waitcnt_vscnt null, 0x0
	s_barrier
	buffer_gl0_inv
	s_clause 0x1b
	buffer_load_dword v91, off, s[0:3], 0 offset:176
	buffer_load_dword v92, off, s[0:3], 0 offset:180
	;; [unrolled: 1-line block ×28, first 2 shown]
	ds_read_b128 v[87:90], v86 offset:512
	s_clause 0x1
	buffer_load_dword v119, off, s[0:3], 0 offset:288
	buffer_load_dword v120, off, s[0:3], 0 offset:292
	s_mov_b32 s4, exec_lo
	s_waitcnt vmcnt(28) lgkmcnt(0)
	v_fma_f64 v[87:88], v[91:92], v[87:88], 0
	s_clause 0x1
	buffer_load_dword v92, off, s[0:3], 0 offset:300
	buffer_load_dword v91, off, s[0:3], 0 offset:296
	s_waitcnt vmcnt(28)
	v_fma_f64 v[93:94], v[93:94], v[89:90], v[87:88]
	ds_read_b128 v[87:90], v86 offset:528
	s_clause 0x1
	buffer_load_dword v121, off, s[0:3], 0 offset:304
	buffer_load_dword v122, off, s[0:3], 0 offset:308
	s_waitcnt vmcnt(28) lgkmcnt(0)
	v_fma_f64 v[87:88], v[95:96], v[87:88], v[93:94]
	s_clause 0x1
	buffer_load_dword v93, off, s[0:3], 0 offset:312
	buffer_load_dword v94, off, s[0:3], 0 offset:316
	s_waitcnt vmcnt(28)
	v_fma_f64 v[95:96], v[97:98], v[89:90], v[87:88]
	ds_read_b128 v[87:90], v86 offset:544
	s_clause 0x1
	buffer_load_dword v97, off, s[0:3], 0 offset:320
	buffer_load_dword v98, off, s[0:3], 0 offset:324
	;; [unrolled: 11-line block ×3, first 2 shown]
	s_waitcnt vmcnt(28) lgkmcnt(0)
	v_fma_f64 v[87:88], v[103:104], v[87:88], v[99:100]
	s_waitcnt vmcnt(26)
	v_fma_f64 v[99:100], v[105:106], v[89:90], v[87:88]
	ds_read_b128 v[87:90], v86 offset:576
	s_waitcnt vmcnt(24) lgkmcnt(0)
	v_fma_f64 v[87:88], v[107:108], v[87:88], v[99:100]
	s_waitcnt vmcnt(22)
	v_fma_f64 v[99:100], v[109:110], v[89:90], v[87:88]
	ds_read_b128 v[87:90], v86 offset:592
	;; [unrolled: 5-line block ×6, first 2 shown]
	s_waitcnt vmcnt(4) lgkmcnt(0)
	v_fma_f64 v[86:87], v[97:98], v[86:87], v[90:91]
	s_waitcnt vmcnt(2)
	v_fma_f64 v[86:87], v[95:96], v[88:89], v[86:87]
	s_waitcnt vmcnt(0)
	v_add_f64 v[86:87], v[101:102], -v[86:87]
	buffer_store_dword v87, off, s[0:3], 0 offset:172
	buffer_store_dword v86, off, s[0:3], 0 offset:168
	v_cmpx_lt_u32_e32 20, v0
	s_cbranch_execz .LBB105_221
; %bb.220:
	s_clause 0x1
	buffer_load_dword v86, off, s[0:3], 0 offset:160
	buffer_load_dword v87, off, s[0:3], 0 offset:164
	v_mov_b32_e32 v88, 0
	buffer_store_dword v88, off, s[0:3], 0 offset:160
	buffer_store_dword v88, off, s[0:3], 0 offset:164
	s_waitcnt vmcnt(0)
	ds_write_b64 v85, v[86:87]
.LBB105_221:
	s_or_b32 exec_lo, exec_lo, s4
	s_waitcnt lgkmcnt(0)
	s_waitcnt_vscnt null, 0x0
	s_barrier
	buffer_gl0_inv
	s_clause 0x1b
	buffer_load_dword v91, off, s[0:3], 0 offset:168
	buffer_load_dword v92, off, s[0:3], 0 offset:172
	;; [unrolled: 1-line block ×28, first 2 shown]
	v_mov_b32_e32 v86, 0
	s_mov_b32 s4, exec_lo
	ds_read2_b64 v[87:90], v86 offset0:63 offset1:64
	s_clause 0x1
	buffer_load_dword v119, off, s[0:3], 0 offset:280
	buffer_load_dword v120, off, s[0:3], 0 offset:284
	s_waitcnt vmcnt(28) lgkmcnt(0)
	v_fma_f64 v[87:88], v[91:92], v[87:88], 0
	s_clause 0x1
	buffer_load_dword v92, off, s[0:3], 0 offset:292
	buffer_load_dword v91, off, s[0:3], 0 offset:288
	s_waitcnt vmcnt(28)
	v_fma_f64 v[93:94], v[93:94], v[89:90], v[87:88]
	ds_read2_b64 v[87:90], v86 offset0:65 offset1:66
	s_clause 0x1
	buffer_load_dword v121, off, s[0:3], 0 offset:296
	buffer_load_dword v122, off, s[0:3], 0 offset:300
	s_waitcnt vmcnt(28) lgkmcnt(0)
	v_fma_f64 v[87:88], v[95:96], v[87:88], v[93:94]
	s_clause 0x1
	buffer_load_dword v93, off, s[0:3], 0 offset:304
	buffer_load_dword v94, off, s[0:3], 0 offset:308
	s_waitcnt vmcnt(28)
	v_fma_f64 v[95:96], v[97:98], v[89:90], v[87:88]
	;; [unrolled: 11-line block ×4, first 2 shown]
	ds_read2_b64 v[87:90], v86 offset0:71 offset1:72
	s_waitcnt vmcnt(26) lgkmcnt(0)
	v_fma_f64 v[87:88], v[107:108], v[87:88], v[103:104]
	s_waitcnt vmcnt(24)
	v_fma_f64 v[103:104], v[109:110], v[89:90], v[87:88]
	ds_read2_b64 v[87:90], v86 offset0:73 offset1:74
	s_waitcnt vmcnt(22) lgkmcnt(0)
	v_fma_f64 v[87:88], v[111:112], v[87:88], v[103:104]
	s_waitcnt vmcnt(20)
	v_fma_f64 v[103:104], v[113:114], v[89:90], v[87:88]
	;; [unrolled: 5-line block ×6, first 2 shown]
	ds_read_b64 v[89:90], v86 offset:664
	s_waitcnt vmcnt(2) lgkmcnt(0)
	v_fma_f64 v[87:88], v[101:102], v[89:90], v[87:88]
	s_waitcnt vmcnt(0)
	v_add_f64 v[87:88], v[99:100], -v[87:88]
	buffer_store_dword v88, off, s[0:3], 0 offset:164
	buffer_store_dword v87, off, s[0:3], 0 offset:160
	v_cmpx_lt_u32_e32 19, v0
	s_cbranch_execz .LBB105_223
; %bb.222:
	s_clause 0x1
	buffer_load_dword v87, off, s[0:3], 0 offset:152
	buffer_load_dword v88, off, s[0:3], 0 offset:156
	buffer_store_dword v86, off, s[0:3], 0 offset:152
	buffer_store_dword v86, off, s[0:3], 0 offset:156
	s_waitcnt vmcnt(0)
	ds_write_b64 v85, v[87:88]
.LBB105_223:
	s_or_b32 exec_lo, exec_lo, s4
	s_waitcnt lgkmcnt(0)
	s_waitcnt_vscnt null, 0x0
	s_barrier
	buffer_gl0_inv
	s_clause 0x1b
	buffer_load_dword v91, off, s[0:3], 0 offset:160
	buffer_load_dword v92, off, s[0:3], 0 offset:164
	;; [unrolled: 1-line block ×28, first 2 shown]
	ds_read_b128 v[87:90], v86 offset:496
	s_clause 0x1
	buffer_load_dword v119, off, s[0:3], 0 offset:272
	buffer_load_dword v120, off, s[0:3], 0 offset:276
	s_mov_b32 s4, exec_lo
	s_waitcnt vmcnt(28) lgkmcnt(0)
	v_fma_f64 v[87:88], v[91:92], v[87:88], 0
	s_clause 0x1
	buffer_load_dword v92, off, s[0:3], 0 offset:284
	buffer_load_dword v91, off, s[0:3], 0 offset:280
	s_waitcnt vmcnt(28)
	v_fma_f64 v[93:94], v[93:94], v[89:90], v[87:88]
	ds_read_b128 v[87:90], v86 offset:512
	s_clause 0x1
	buffer_load_dword v121, off, s[0:3], 0 offset:288
	buffer_load_dword v122, off, s[0:3], 0 offset:292
	s_waitcnt vmcnt(28) lgkmcnt(0)
	v_fma_f64 v[87:88], v[95:96], v[87:88], v[93:94]
	s_clause 0x1
	buffer_load_dword v93, off, s[0:3], 0 offset:296
	buffer_load_dword v94, off, s[0:3], 0 offset:300
	s_waitcnt vmcnt(28)
	v_fma_f64 v[95:96], v[97:98], v[89:90], v[87:88]
	ds_read_b128 v[87:90], v86 offset:528
	s_clause 0x1
	buffer_load_dword v97, off, s[0:3], 0 offset:304
	buffer_load_dword v98, off, s[0:3], 0 offset:308
	;; [unrolled: 11-line block ×4, first 2 shown]
	s_waitcnt vmcnt(28) lgkmcnt(0)
	v_fma_f64 v[87:88], v[107:108], v[87:88], v[103:104]
	s_waitcnt vmcnt(26)
	v_fma_f64 v[103:104], v[109:110], v[89:90], v[87:88]
	ds_read_b128 v[87:90], v86 offset:576
	s_waitcnt vmcnt(24) lgkmcnt(0)
	v_fma_f64 v[87:88], v[111:112], v[87:88], v[103:104]
	s_waitcnt vmcnt(22)
	v_fma_f64 v[103:104], v[113:114], v[89:90], v[87:88]
	ds_read_b128 v[87:90], v86 offset:592
	;; [unrolled: 5-line block ×6, first 2 shown]
	s_waitcnt vmcnt(4) lgkmcnt(0)
	v_fma_f64 v[86:87], v[101:102], v[86:87], v[90:91]
	s_waitcnt vmcnt(2)
	v_fma_f64 v[86:87], v[99:100], v[88:89], v[86:87]
	s_waitcnt vmcnt(0)
	v_add_f64 v[86:87], v[105:106], -v[86:87]
	buffer_store_dword v87, off, s[0:3], 0 offset:156
	buffer_store_dword v86, off, s[0:3], 0 offset:152
	v_cmpx_lt_u32_e32 18, v0
	s_cbranch_execz .LBB105_225
; %bb.224:
	s_clause 0x1
	buffer_load_dword v86, off, s[0:3], 0 offset:144
	buffer_load_dword v87, off, s[0:3], 0 offset:148
	v_mov_b32_e32 v88, 0
	buffer_store_dword v88, off, s[0:3], 0 offset:144
	buffer_store_dword v88, off, s[0:3], 0 offset:148
	s_waitcnt vmcnt(0)
	ds_write_b64 v85, v[86:87]
.LBB105_225:
	s_or_b32 exec_lo, exec_lo, s4
	s_waitcnt lgkmcnt(0)
	s_waitcnt_vscnt null, 0x0
	s_barrier
	buffer_gl0_inv
	s_clause 0x1b
	buffer_load_dword v91, off, s[0:3], 0 offset:152
	buffer_load_dword v92, off, s[0:3], 0 offset:156
	;; [unrolled: 1-line block ×28, first 2 shown]
	v_mov_b32_e32 v86, 0
	s_mov_b32 s4, exec_lo
	ds_read2_b64 v[87:90], v86 offset0:61 offset1:62
	s_clause 0x1
	buffer_load_dword v119, off, s[0:3], 0 offset:264
	buffer_load_dword v120, off, s[0:3], 0 offset:268
	s_waitcnt vmcnt(28) lgkmcnt(0)
	v_fma_f64 v[87:88], v[91:92], v[87:88], 0
	s_clause 0x1
	buffer_load_dword v92, off, s[0:3], 0 offset:276
	buffer_load_dword v91, off, s[0:3], 0 offset:272
	s_waitcnt vmcnt(28)
	v_fma_f64 v[93:94], v[93:94], v[89:90], v[87:88]
	ds_read2_b64 v[87:90], v86 offset0:63 offset1:64
	s_clause 0x1
	buffer_load_dword v121, off, s[0:3], 0 offset:280
	buffer_load_dword v122, off, s[0:3], 0 offset:284
	s_waitcnt vmcnt(28) lgkmcnt(0)
	v_fma_f64 v[87:88], v[95:96], v[87:88], v[93:94]
	s_clause 0x1
	buffer_load_dword v93, off, s[0:3], 0 offset:288
	buffer_load_dword v94, off, s[0:3], 0 offset:292
	s_waitcnt vmcnt(28)
	v_fma_f64 v[95:96], v[97:98], v[89:90], v[87:88]
	;; [unrolled: 11-line block ×5, first 2 shown]
	ds_read2_b64 v[87:90], v86 offset0:71 offset1:72
	s_waitcnt vmcnt(26) lgkmcnt(0)
	v_fma_f64 v[87:88], v[111:112], v[87:88], v[107:108]
	s_waitcnt vmcnt(24)
	v_fma_f64 v[107:108], v[113:114], v[89:90], v[87:88]
	ds_read2_b64 v[87:90], v86 offset0:73 offset1:74
	s_waitcnt vmcnt(22) lgkmcnt(0)
	v_fma_f64 v[87:88], v[115:116], v[87:88], v[107:108]
	s_waitcnt vmcnt(20)
	v_fma_f64 v[107:108], v[117:118], v[89:90], v[87:88]
	;; [unrolled: 5-line block ×6, first 2 shown]
	ds_read_b64 v[89:90], v86 offset:664
	s_waitcnt vmcnt(2) lgkmcnt(0)
	v_fma_f64 v[87:88], v[105:106], v[89:90], v[87:88]
	s_waitcnt vmcnt(0)
	v_add_f64 v[87:88], v[103:104], -v[87:88]
	buffer_store_dword v88, off, s[0:3], 0 offset:148
	buffer_store_dword v87, off, s[0:3], 0 offset:144
	v_cmpx_lt_u32_e32 17, v0
	s_cbranch_execz .LBB105_227
; %bb.226:
	s_clause 0x1
	buffer_load_dword v87, off, s[0:3], 0 offset:136
	buffer_load_dword v88, off, s[0:3], 0 offset:140
	buffer_store_dword v86, off, s[0:3], 0 offset:136
	buffer_store_dword v86, off, s[0:3], 0 offset:140
	s_waitcnt vmcnt(0)
	ds_write_b64 v85, v[87:88]
.LBB105_227:
	s_or_b32 exec_lo, exec_lo, s4
	s_waitcnt lgkmcnt(0)
	s_waitcnt_vscnt null, 0x0
	s_barrier
	buffer_gl0_inv
	s_clause 0x1b
	buffer_load_dword v91, off, s[0:3], 0 offset:144
	buffer_load_dword v92, off, s[0:3], 0 offset:148
	;; [unrolled: 1-line block ×28, first 2 shown]
	ds_read_b128 v[87:90], v86 offset:480
	s_clause 0x1
	buffer_load_dword v119, off, s[0:3], 0 offset:256
	buffer_load_dword v120, off, s[0:3], 0 offset:260
	s_mov_b32 s4, exec_lo
	s_waitcnt vmcnt(28) lgkmcnt(0)
	v_fma_f64 v[87:88], v[91:92], v[87:88], 0
	s_clause 0x1
	buffer_load_dword v92, off, s[0:3], 0 offset:268
	buffer_load_dword v91, off, s[0:3], 0 offset:264
	s_waitcnt vmcnt(28)
	v_fma_f64 v[93:94], v[93:94], v[89:90], v[87:88]
	ds_read_b128 v[87:90], v86 offset:496
	s_clause 0x1
	buffer_load_dword v121, off, s[0:3], 0 offset:272
	buffer_load_dword v122, off, s[0:3], 0 offset:276
	s_waitcnt vmcnt(28) lgkmcnt(0)
	v_fma_f64 v[87:88], v[95:96], v[87:88], v[93:94]
	s_clause 0x1
	buffer_load_dword v93, off, s[0:3], 0 offset:280
	buffer_load_dword v94, off, s[0:3], 0 offset:284
	s_waitcnt vmcnt(28)
	v_fma_f64 v[95:96], v[97:98], v[89:90], v[87:88]
	ds_read_b128 v[87:90], v86 offset:512
	s_clause 0x1
	buffer_load_dword v97, off, s[0:3], 0 offset:288
	buffer_load_dword v98, off, s[0:3], 0 offset:292
	;; [unrolled: 11-line block ×5, first 2 shown]
	s_waitcnt vmcnt(28) lgkmcnt(0)
	v_fma_f64 v[87:88], v[111:112], v[87:88], v[107:108]
	s_waitcnt vmcnt(26)
	v_fma_f64 v[107:108], v[113:114], v[89:90], v[87:88]
	ds_read_b128 v[87:90], v86 offset:576
	s_waitcnt vmcnt(24) lgkmcnt(0)
	v_fma_f64 v[87:88], v[115:116], v[87:88], v[107:108]
	s_waitcnt vmcnt(22)
	v_fma_f64 v[107:108], v[117:118], v[89:90], v[87:88]
	ds_read_b128 v[87:90], v86 offset:592
	;; [unrolled: 5-line block ×6, first 2 shown]
	s_waitcnt vmcnt(4) lgkmcnt(0)
	v_fma_f64 v[86:87], v[105:106], v[86:87], v[90:91]
	s_waitcnt vmcnt(2)
	v_fma_f64 v[86:87], v[103:104], v[88:89], v[86:87]
	s_waitcnt vmcnt(0)
	v_add_f64 v[86:87], v[109:110], -v[86:87]
	buffer_store_dword v87, off, s[0:3], 0 offset:140
	buffer_store_dword v86, off, s[0:3], 0 offset:136
	v_cmpx_lt_u32_e32 16, v0
	s_cbranch_execz .LBB105_229
; %bb.228:
	s_clause 0x1
	buffer_load_dword v86, off, s[0:3], 0 offset:128
	buffer_load_dword v87, off, s[0:3], 0 offset:132
	v_mov_b32_e32 v88, 0
	buffer_store_dword v88, off, s[0:3], 0 offset:128
	buffer_store_dword v88, off, s[0:3], 0 offset:132
	s_waitcnt vmcnt(0)
	ds_write_b64 v85, v[86:87]
.LBB105_229:
	s_or_b32 exec_lo, exec_lo, s4
	s_waitcnt lgkmcnt(0)
	s_waitcnt_vscnt null, 0x0
	s_barrier
	buffer_gl0_inv
	s_clause 0x1b
	buffer_load_dword v91, off, s[0:3], 0 offset:136
	buffer_load_dword v92, off, s[0:3], 0 offset:140
	;; [unrolled: 1-line block ×28, first 2 shown]
	v_mov_b32_e32 v86, 0
	s_mov_b32 s4, exec_lo
	ds_read2_b64 v[87:90], v86 offset0:59 offset1:60
	s_clause 0x1
	buffer_load_dword v119, off, s[0:3], 0 offset:248
	buffer_load_dword v120, off, s[0:3], 0 offset:252
	s_waitcnt vmcnt(28) lgkmcnt(0)
	v_fma_f64 v[87:88], v[91:92], v[87:88], 0
	s_clause 0x1
	buffer_load_dword v92, off, s[0:3], 0 offset:260
	buffer_load_dword v91, off, s[0:3], 0 offset:256
	s_waitcnt vmcnt(28)
	v_fma_f64 v[93:94], v[93:94], v[89:90], v[87:88]
	ds_read2_b64 v[87:90], v86 offset0:61 offset1:62
	s_clause 0x1
	buffer_load_dword v121, off, s[0:3], 0 offset:264
	buffer_load_dword v122, off, s[0:3], 0 offset:268
	s_waitcnt vmcnt(28) lgkmcnt(0)
	v_fma_f64 v[87:88], v[95:96], v[87:88], v[93:94]
	s_clause 0x1
	buffer_load_dword v93, off, s[0:3], 0 offset:272
	buffer_load_dword v94, off, s[0:3], 0 offset:276
	s_waitcnt vmcnt(28)
	v_fma_f64 v[95:96], v[97:98], v[89:90], v[87:88]
	;; [unrolled: 11-line block ×6, first 2 shown]
	ds_read2_b64 v[87:90], v86 offset0:71 offset1:72
	s_waitcnt vmcnt(26) lgkmcnt(0)
	v_fma_f64 v[87:88], v[115:116], v[87:88], v[111:112]
	s_waitcnt vmcnt(24)
	v_fma_f64 v[111:112], v[117:118], v[89:90], v[87:88]
	ds_read2_b64 v[87:90], v86 offset0:73 offset1:74
	s_waitcnt vmcnt(22) lgkmcnt(0)
	v_fma_f64 v[87:88], v[119:120], v[87:88], v[111:112]
	s_waitcnt vmcnt(20)
	v_fma_f64 v[91:92], v[91:92], v[89:90], v[87:88]
	;; [unrolled: 5-line block ×6, first 2 shown]
	ds_read_b64 v[89:90], v86 offset:664
	s_waitcnt vmcnt(2) lgkmcnt(0)
	v_fma_f64 v[87:88], v[109:110], v[89:90], v[87:88]
	s_waitcnt vmcnt(0)
	v_add_f64 v[87:88], v[107:108], -v[87:88]
	buffer_store_dword v88, off, s[0:3], 0 offset:132
	buffer_store_dword v87, off, s[0:3], 0 offset:128
	v_cmpx_lt_u32_e32 15, v0
	s_cbranch_execz .LBB105_231
; %bb.230:
	s_clause 0x1
	buffer_load_dword v87, off, s[0:3], 0 offset:120
	buffer_load_dword v88, off, s[0:3], 0 offset:124
	buffer_store_dword v86, off, s[0:3], 0 offset:120
	buffer_store_dword v86, off, s[0:3], 0 offset:124
	s_waitcnt vmcnt(0)
	ds_write_b64 v85, v[87:88]
.LBB105_231:
	s_or_b32 exec_lo, exec_lo, s4
	s_waitcnt lgkmcnt(0)
	s_waitcnt_vscnt null, 0x0
	s_barrier
	buffer_gl0_inv
	s_clause 0x1b
	buffer_load_dword v91, off, s[0:3], 0 offset:128
	buffer_load_dword v92, off, s[0:3], 0 offset:132
	;; [unrolled: 1-line block ×28, first 2 shown]
	ds_read_b128 v[87:90], v86 offset:464
	s_clause 0x1
	buffer_load_dword v119, off, s[0:3], 0 offset:240
	buffer_load_dword v120, off, s[0:3], 0 offset:244
	s_mov_b32 s4, exec_lo
	s_waitcnt vmcnt(28) lgkmcnt(0)
	v_fma_f64 v[87:88], v[91:92], v[87:88], 0
	s_clause 0x1
	buffer_load_dword v92, off, s[0:3], 0 offset:252
	buffer_load_dword v91, off, s[0:3], 0 offset:248
	s_waitcnt vmcnt(28)
	v_fma_f64 v[93:94], v[93:94], v[89:90], v[87:88]
	ds_read_b128 v[87:90], v86 offset:480
	s_clause 0x1
	buffer_load_dword v121, off, s[0:3], 0 offset:256
	buffer_load_dword v122, off, s[0:3], 0 offset:260
	s_waitcnt vmcnt(28) lgkmcnt(0)
	v_fma_f64 v[87:88], v[95:96], v[87:88], v[93:94]
	s_clause 0x1
	buffer_load_dword v93, off, s[0:3], 0 offset:264
	buffer_load_dword v94, off, s[0:3], 0 offset:268
	s_waitcnt vmcnt(28)
	v_fma_f64 v[95:96], v[97:98], v[89:90], v[87:88]
	ds_read_b128 v[87:90], v86 offset:496
	s_clause 0x1
	buffer_load_dword v97, off, s[0:3], 0 offset:272
	buffer_load_dword v98, off, s[0:3], 0 offset:276
	;; [unrolled: 11-line block ×6, first 2 shown]
	s_waitcnt vmcnt(28) lgkmcnt(0)
	v_fma_f64 v[87:88], v[115:116], v[87:88], v[111:112]
	s_waitcnt vmcnt(26)
	v_fma_f64 v[111:112], v[117:118], v[89:90], v[87:88]
	ds_read_b128 v[87:90], v86 offset:576
	s_waitcnt vmcnt(24) lgkmcnt(0)
	v_fma_f64 v[87:88], v[119:120], v[87:88], v[111:112]
	s_waitcnt vmcnt(22)
	v_fma_f64 v[91:92], v[91:92], v[89:90], v[87:88]
	ds_read_b128 v[87:90], v86 offset:592
	;; [unrolled: 5-line block ×6, first 2 shown]
	s_waitcnt vmcnt(4) lgkmcnt(0)
	v_fma_f64 v[86:87], v[109:110], v[86:87], v[90:91]
	s_waitcnt vmcnt(2)
	v_fma_f64 v[86:87], v[107:108], v[88:89], v[86:87]
	s_waitcnt vmcnt(0)
	v_add_f64 v[86:87], v[113:114], -v[86:87]
	buffer_store_dword v87, off, s[0:3], 0 offset:124
	buffer_store_dword v86, off, s[0:3], 0 offset:120
	v_cmpx_lt_u32_e32 14, v0
	s_cbranch_execz .LBB105_233
; %bb.232:
	s_clause 0x1
	buffer_load_dword v86, off, s[0:3], 0 offset:112
	buffer_load_dword v87, off, s[0:3], 0 offset:116
	v_mov_b32_e32 v88, 0
	buffer_store_dword v88, off, s[0:3], 0 offset:112
	buffer_store_dword v88, off, s[0:3], 0 offset:116
	s_waitcnt vmcnt(0)
	ds_write_b64 v85, v[86:87]
.LBB105_233:
	s_or_b32 exec_lo, exec_lo, s4
	s_waitcnt lgkmcnt(0)
	s_waitcnt_vscnt null, 0x0
	s_barrier
	buffer_gl0_inv
	s_clause 0x1b
	buffer_load_dword v91, off, s[0:3], 0 offset:120
	buffer_load_dword v92, off, s[0:3], 0 offset:124
	;; [unrolled: 1-line block ×28, first 2 shown]
	v_mov_b32_e32 v86, 0
	s_mov_b32 s4, exec_lo
	ds_read2_b64 v[87:90], v86 offset0:57 offset1:58
	s_clause 0x1
	buffer_load_dword v119, off, s[0:3], 0 offset:232
	buffer_load_dword v120, off, s[0:3], 0 offset:236
	s_waitcnt vmcnt(28) lgkmcnt(0)
	v_fma_f64 v[87:88], v[91:92], v[87:88], 0
	s_clause 0x1
	buffer_load_dword v92, off, s[0:3], 0 offset:244
	buffer_load_dword v91, off, s[0:3], 0 offset:240
	s_waitcnt vmcnt(28)
	v_fma_f64 v[93:94], v[93:94], v[89:90], v[87:88]
	ds_read2_b64 v[87:90], v86 offset0:59 offset1:60
	s_clause 0x1
	buffer_load_dword v121, off, s[0:3], 0 offset:248
	buffer_load_dword v122, off, s[0:3], 0 offset:252
	s_waitcnt vmcnt(28) lgkmcnt(0)
	v_fma_f64 v[87:88], v[95:96], v[87:88], v[93:94]
	s_clause 0x1
	buffer_load_dword v93, off, s[0:3], 0 offset:256
	buffer_load_dword v94, off, s[0:3], 0 offset:260
	s_waitcnt vmcnt(28)
	v_fma_f64 v[95:96], v[97:98], v[89:90], v[87:88]
	;; [unrolled: 11-line block ×7, first 2 shown]
	ds_read2_b64 v[87:90], v86 offset0:71 offset1:72
	s_waitcnt vmcnt(26) lgkmcnt(0)
	v_fma_f64 v[87:88], v[119:120], v[87:88], v[115:116]
	s_waitcnt vmcnt(24)
	v_fma_f64 v[91:92], v[91:92], v[89:90], v[87:88]
	ds_read2_b64 v[87:90], v86 offset0:73 offset1:74
	s_waitcnt vmcnt(22) lgkmcnt(0)
	v_fma_f64 v[87:88], v[121:122], v[87:88], v[91:92]
	s_waitcnt vmcnt(20)
	v_fma_f64 v[91:92], v[93:94], v[89:90], v[87:88]
	;; [unrolled: 5-line block ×6, first 2 shown]
	ds_read_b64 v[89:90], v86 offset:664
	s_waitcnt vmcnt(2) lgkmcnt(0)
	v_fma_f64 v[87:88], v[113:114], v[89:90], v[87:88]
	s_waitcnt vmcnt(0)
	v_add_f64 v[87:88], v[111:112], -v[87:88]
	buffer_store_dword v88, off, s[0:3], 0 offset:116
	buffer_store_dword v87, off, s[0:3], 0 offset:112
	v_cmpx_lt_u32_e32 13, v0
	s_cbranch_execz .LBB105_235
; %bb.234:
	s_clause 0x1
	buffer_load_dword v87, off, s[0:3], 0 offset:104
	buffer_load_dword v88, off, s[0:3], 0 offset:108
	buffer_store_dword v86, off, s[0:3], 0 offset:104
	buffer_store_dword v86, off, s[0:3], 0 offset:108
	s_waitcnt vmcnt(0)
	ds_write_b64 v85, v[87:88]
.LBB105_235:
	s_or_b32 exec_lo, exec_lo, s4
	s_waitcnt lgkmcnt(0)
	s_waitcnt_vscnt null, 0x0
	s_barrier
	buffer_gl0_inv
	s_clause 0x1b
	buffer_load_dword v91, off, s[0:3], 0 offset:112
	buffer_load_dword v92, off, s[0:3], 0 offset:116
	;; [unrolled: 1-line block ×28, first 2 shown]
	ds_read_b128 v[87:90], v86 offset:448
	s_clause 0x1
	buffer_load_dword v119, off, s[0:3], 0 offset:224
	buffer_load_dword v120, off, s[0:3], 0 offset:228
	s_mov_b32 s4, exec_lo
	s_waitcnt vmcnt(28) lgkmcnt(0)
	v_fma_f64 v[87:88], v[91:92], v[87:88], 0
	s_clause 0x1
	buffer_load_dword v92, off, s[0:3], 0 offset:236
	buffer_load_dword v91, off, s[0:3], 0 offset:232
	s_waitcnt vmcnt(28)
	v_fma_f64 v[93:94], v[93:94], v[89:90], v[87:88]
	ds_read_b128 v[87:90], v86 offset:464
	s_clause 0x1
	buffer_load_dword v121, off, s[0:3], 0 offset:240
	buffer_load_dword v122, off, s[0:3], 0 offset:244
	s_waitcnt vmcnt(28) lgkmcnt(0)
	v_fma_f64 v[87:88], v[95:96], v[87:88], v[93:94]
	s_clause 0x1
	buffer_load_dword v93, off, s[0:3], 0 offset:248
	buffer_load_dword v94, off, s[0:3], 0 offset:252
	s_waitcnt vmcnt(28)
	v_fma_f64 v[95:96], v[97:98], v[89:90], v[87:88]
	ds_read_b128 v[87:90], v86 offset:480
	s_clause 0x1
	buffer_load_dword v97, off, s[0:3], 0 offset:256
	buffer_load_dword v98, off, s[0:3], 0 offset:260
	s_waitcnt vmcnt(28) lgkmcnt(0)
	v_fma_f64 v[87:88], v[99:100], v[87:88], v[95:96]
	s_clause 0x1
	buffer_load_dword v96, off, s[0:3], 0 offset:268
	buffer_load_dword v95, off, s[0:3], 0 offset:264
	s_waitcnt vmcnt(28)
	v_fma_f64 v[99:100], v[101:102], v[89:90], v[87:88]
	ds_read_b128 v[87:90], v86 offset:496
	s_clause 0x1
	buffer_load_dword v101, off, s[0:3], 0 offset:272
	buffer_load_dword v102, off, s[0:3], 0 offset:276
	s_waitcnt vmcnt(28) lgkmcnt(0)
	v_fma_f64 v[87:88], v[103:104], v[87:88], v[99:100]
	s_clause 0x1
	buffer_load_dword v99, off, s[0:3], 0 offset:280
	buffer_load_dword v100, off, s[0:3], 0 offset:284
	s_waitcnt vmcnt(28)
	v_fma_f64 v[103:104], v[105:106], v[89:90], v[87:88]
	ds_read_b128 v[87:90], v86 offset:512
	s_clause 0x1
	buffer_load_dword v105, off, s[0:3], 0 offset:288
	buffer_load_dword v106, off, s[0:3], 0 offset:292
	s_waitcnt vmcnt(28) lgkmcnt(0)
	v_fma_f64 v[87:88], v[107:108], v[87:88], v[103:104]
	s_clause 0x1
	buffer_load_dword v104, off, s[0:3], 0 offset:300
	buffer_load_dword v103, off, s[0:3], 0 offset:296
	s_waitcnt vmcnt(28)
	v_fma_f64 v[107:108], v[109:110], v[89:90], v[87:88]
	ds_read_b128 v[87:90], v86 offset:528
	s_clause 0x1
	buffer_load_dword v109, off, s[0:3], 0 offset:304
	buffer_load_dword v110, off, s[0:3], 0 offset:308
	s_waitcnt vmcnt(28) lgkmcnt(0)
	v_fma_f64 v[87:88], v[111:112], v[87:88], v[107:108]
	s_clause 0x1
	buffer_load_dword v107, off, s[0:3], 0 offset:312
	buffer_load_dword v108, off, s[0:3], 0 offset:316
	s_waitcnt vmcnt(28)
	v_fma_f64 v[111:112], v[113:114], v[89:90], v[87:88]
	ds_read_b128 v[87:90], v86 offset:544
	s_clause 0x1
	buffer_load_dword v113, off, s[0:3], 0 offset:320
	buffer_load_dword v114, off, s[0:3], 0 offset:324
	s_waitcnt vmcnt(28) lgkmcnt(0)
	v_fma_f64 v[87:88], v[115:116], v[87:88], v[111:112]
	s_clause 0x1
	buffer_load_dword v112, off, s[0:3], 0 offset:332
	buffer_load_dword v111, off, s[0:3], 0 offset:328
	s_waitcnt vmcnt(28)
	v_fma_f64 v[115:116], v[117:118], v[89:90], v[87:88]
	ds_read_b128 v[87:90], v86 offset:560
	s_clause 0x1
	buffer_load_dword v117, off, s[0:3], 0 offset:104
	buffer_load_dword v118, off, s[0:3], 0 offset:108
	s_waitcnt vmcnt(28) lgkmcnt(0)
	v_fma_f64 v[87:88], v[119:120], v[87:88], v[115:116]
	s_waitcnt vmcnt(26)
	v_fma_f64 v[91:92], v[91:92], v[89:90], v[87:88]
	ds_read_b128 v[87:90], v86 offset:576
	s_waitcnt vmcnt(24) lgkmcnt(0)
	v_fma_f64 v[87:88], v[121:122], v[87:88], v[91:92]
	s_waitcnt vmcnt(22)
	v_fma_f64 v[91:92], v[93:94], v[89:90], v[87:88]
	ds_read_b128 v[87:90], v86 offset:592
	;; [unrolled: 5-line block ×6, first 2 shown]
	s_waitcnt vmcnt(4) lgkmcnt(0)
	v_fma_f64 v[86:87], v[113:114], v[86:87], v[90:91]
	s_waitcnt vmcnt(2)
	v_fma_f64 v[86:87], v[111:112], v[88:89], v[86:87]
	s_waitcnt vmcnt(0)
	v_add_f64 v[86:87], v[117:118], -v[86:87]
	buffer_store_dword v87, off, s[0:3], 0 offset:108
	buffer_store_dword v86, off, s[0:3], 0 offset:104
	v_cmpx_lt_u32_e32 12, v0
	s_cbranch_execz .LBB105_237
; %bb.236:
	s_clause 0x1
	buffer_load_dword v86, off, s[0:3], 0 offset:96
	buffer_load_dword v87, off, s[0:3], 0 offset:100
	v_mov_b32_e32 v88, 0
	buffer_store_dword v88, off, s[0:3], 0 offset:96
	buffer_store_dword v88, off, s[0:3], 0 offset:100
	s_waitcnt vmcnt(0)
	ds_write_b64 v85, v[86:87]
.LBB105_237:
	s_or_b32 exec_lo, exec_lo, s4
	s_waitcnt lgkmcnt(0)
	s_waitcnt_vscnt null, 0x0
	s_barrier
	buffer_gl0_inv
	s_clause 0x1b
	buffer_load_dword v91, off, s[0:3], 0 offset:104
	buffer_load_dword v92, off, s[0:3], 0 offset:108
	;; [unrolled: 1-line block ×28, first 2 shown]
	v_mov_b32_e32 v86, 0
	s_mov_b32 s4, exec_lo
	ds_read2_b64 v[87:90], v86 offset0:55 offset1:56
	s_clause 0x1
	buffer_load_dword v119, off, s[0:3], 0 offset:216
	buffer_load_dword v120, off, s[0:3], 0 offset:220
	s_waitcnt vmcnt(28) lgkmcnt(0)
	v_fma_f64 v[87:88], v[91:92], v[87:88], 0
	s_clause 0x1
	buffer_load_dword v92, off, s[0:3], 0 offset:228
	buffer_load_dword v91, off, s[0:3], 0 offset:224
	s_waitcnt vmcnt(28)
	v_fma_f64 v[93:94], v[93:94], v[89:90], v[87:88]
	ds_read2_b64 v[87:90], v86 offset0:57 offset1:58
	s_clause 0x1
	buffer_load_dword v121, off, s[0:3], 0 offset:232
	buffer_load_dword v122, off, s[0:3], 0 offset:236
	s_waitcnt vmcnt(28) lgkmcnt(0)
	v_fma_f64 v[87:88], v[95:96], v[87:88], v[93:94]
	s_clause 0x1
	buffer_load_dword v93, off, s[0:3], 0 offset:240
	buffer_load_dword v94, off, s[0:3], 0 offset:244
	s_waitcnt vmcnt(28)
	v_fma_f64 v[95:96], v[97:98], v[89:90], v[87:88]
	;; [unrolled: 11-line block ×8, first 2 shown]
	ds_read2_b64 v[87:90], v86 offset0:71 offset1:72
	s_waitcnt vmcnt(26) lgkmcnt(0)
	v_fma_f64 v[87:88], v[121:122], v[87:88], v[91:92]
	s_waitcnt vmcnt(24)
	v_fma_f64 v[91:92], v[93:94], v[89:90], v[87:88]
	ds_read2_b64 v[87:90], v86 offset0:73 offset1:74
	s_waitcnt vmcnt(22) lgkmcnt(0)
	v_fma_f64 v[87:88], v[97:98], v[87:88], v[91:92]
	s_waitcnt vmcnt(20)
	v_fma_f64 v[91:92], v[95:96], v[89:90], v[87:88]
	;; [unrolled: 5-line block ×6, first 2 shown]
	ds_read_b64 v[89:90], v86 offset:664
	s_waitcnt vmcnt(2) lgkmcnt(0)
	v_fma_f64 v[87:88], v[117:118], v[89:90], v[87:88]
	s_waitcnt vmcnt(0)
	v_add_f64 v[87:88], v[115:116], -v[87:88]
	buffer_store_dword v88, off, s[0:3], 0 offset:100
	buffer_store_dword v87, off, s[0:3], 0 offset:96
	v_cmpx_lt_u32_e32 11, v0
	s_cbranch_execz .LBB105_239
; %bb.238:
	s_clause 0x1
	buffer_load_dword v87, off, s[0:3], 0 offset:88
	buffer_load_dword v88, off, s[0:3], 0 offset:92
	buffer_store_dword v86, off, s[0:3], 0 offset:88
	buffer_store_dword v86, off, s[0:3], 0 offset:92
	s_waitcnt vmcnt(0)
	ds_write_b64 v85, v[87:88]
.LBB105_239:
	s_or_b32 exec_lo, exec_lo, s4
	s_waitcnt lgkmcnt(0)
	s_waitcnt_vscnt null, 0x0
	s_barrier
	buffer_gl0_inv
	s_clause 0x1b
	buffer_load_dword v91, off, s[0:3], 0 offset:96
	buffer_load_dword v92, off, s[0:3], 0 offset:100
	;; [unrolled: 1-line block ×28, first 2 shown]
	ds_read_b128 v[87:90], v86 offset:432
	s_clause 0x1
	buffer_load_dword v119, off, s[0:3], 0 offset:208
	buffer_load_dword v120, off, s[0:3], 0 offset:212
	s_mov_b32 s4, exec_lo
	s_waitcnt vmcnt(28) lgkmcnt(0)
	v_fma_f64 v[87:88], v[91:92], v[87:88], 0
	s_clause 0x1
	buffer_load_dword v92, off, s[0:3], 0 offset:220
	buffer_load_dword v91, off, s[0:3], 0 offset:216
	s_waitcnt vmcnt(28)
	v_fma_f64 v[93:94], v[93:94], v[89:90], v[87:88]
	ds_read_b128 v[87:90], v86 offset:448
	s_clause 0x1
	buffer_load_dword v121, off, s[0:3], 0 offset:224
	buffer_load_dword v122, off, s[0:3], 0 offset:228
	s_waitcnt vmcnt(28) lgkmcnt(0)
	v_fma_f64 v[87:88], v[95:96], v[87:88], v[93:94]
	s_clause 0x1
	buffer_load_dword v93, off, s[0:3], 0 offset:232
	buffer_load_dword v94, off, s[0:3], 0 offset:236
	s_waitcnt vmcnt(28)
	v_fma_f64 v[95:96], v[97:98], v[89:90], v[87:88]
	ds_read_b128 v[87:90], v86 offset:464
	s_clause 0x1
	buffer_load_dword v97, off, s[0:3], 0 offset:240
	buffer_load_dword v98, off, s[0:3], 0 offset:244
	;; [unrolled: 11-line block ×8, first 2 shown]
	s_waitcnt vmcnt(28) lgkmcnt(0)
	v_fma_f64 v[87:88], v[121:122], v[87:88], v[91:92]
	s_waitcnt vmcnt(26)
	v_fma_f64 v[91:92], v[93:94], v[89:90], v[87:88]
	ds_read_b128 v[87:90], v86 offset:576
	s_waitcnt vmcnt(24) lgkmcnt(0)
	v_fma_f64 v[87:88], v[97:98], v[87:88], v[91:92]
	s_waitcnt vmcnt(22)
	v_fma_f64 v[91:92], v[95:96], v[89:90], v[87:88]
	ds_read_b128 v[87:90], v86 offset:592
	;; [unrolled: 5-line block ×6, first 2 shown]
	s_waitcnt vmcnt(4) lgkmcnt(0)
	v_fma_f64 v[86:87], v[117:118], v[86:87], v[90:91]
	s_waitcnt vmcnt(2)
	v_fma_f64 v[86:87], v[115:116], v[88:89], v[86:87]
	s_waitcnt vmcnt(0)
	v_add_f64 v[86:87], v[119:120], -v[86:87]
	buffer_store_dword v87, off, s[0:3], 0 offset:92
	buffer_store_dword v86, off, s[0:3], 0 offset:88
	v_cmpx_lt_u32_e32 10, v0
	s_cbranch_execz .LBB105_241
; %bb.240:
	s_clause 0x1
	buffer_load_dword v86, off, s[0:3], 0 offset:80
	buffer_load_dword v87, off, s[0:3], 0 offset:84
	v_mov_b32_e32 v88, 0
	buffer_store_dword v88, off, s[0:3], 0 offset:80
	buffer_store_dword v88, off, s[0:3], 0 offset:84
	s_waitcnt vmcnt(0)
	ds_write_b64 v85, v[86:87]
.LBB105_241:
	s_or_b32 exec_lo, exec_lo, s4
	s_waitcnt lgkmcnt(0)
	s_waitcnt_vscnt null, 0x0
	s_barrier
	buffer_gl0_inv
	s_clause 0x1b
	buffer_load_dword v91, off, s[0:3], 0 offset:88
	buffer_load_dword v92, off, s[0:3], 0 offset:92
	;; [unrolled: 1-line block ×28, first 2 shown]
	v_mov_b32_e32 v86, 0
	s_mov_b32 s4, exec_lo
	ds_read2_b64 v[87:90], v86 offset0:53 offset1:54
	s_clause 0x1
	buffer_load_dword v119, off, s[0:3], 0 offset:200
	buffer_load_dword v120, off, s[0:3], 0 offset:204
	s_waitcnt vmcnt(28) lgkmcnt(0)
	v_fma_f64 v[87:88], v[91:92], v[87:88], 0
	s_clause 0x1
	buffer_load_dword v92, off, s[0:3], 0 offset:212
	buffer_load_dword v91, off, s[0:3], 0 offset:208
	s_waitcnt vmcnt(28)
	v_fma_f64 v[93:94], v[93:94], v[89:90], v[87:88]
	ds_read2_b64 v[87:90], v86 offset0:55 offset1:56
	s_clause 0x1
	buffer_load_dword v121, off, s[0:3], 0 offset:216
	buffer_load_dword v122, off, s[0:3], 0 offset:220
	s_waitcnt vmcnt(28) lgkmcnt(0)
	v_fma_f64 v[87:88], v[95:96], v[87:88], v[93:94]
	s_clause 0x1
	buffer_load_dword v93, off, s[0:3], 0 offset:224
	buffer_load_dword v94, off, s[0:3], 0 offset:228
	s_waitcnt vmcnt(28)
	v_fma_f64 v[95:96], v[97:98], v[89:90], v[87:88]
	;; [unrolled: 11-line block ×9, first 2 shown]
	ds_read2_b64 v[87:90], v86 offset0:71 offset1:72
	s_waitcnt vmcnt(26) lgkmcnt(0)
	v_fma_f64 v[87:88], v[97:98], v[87:88], v[93:94]
	s_waitcnt vmcnt(24)
	v_fma_f64 v[93:94], v[95:96], v[89:90], v[87:88]
	ds_read2_b64 v[87:90], v86 offset0:73 offset1:74
	s_waitcnt vmcnt(22) lgkmcnt(0)
	v_fma_f64 v[87:88], v[101:102], v[87:88], v[93:94]
	s_waitcnt vmcnt(20)
	v_fma_f64 v[93:94], v[99:100], v[89:90], v[87:88]
	ds_read2_b64 v[87:90], v86 offset0:75 offset1:76
	s_waitcnt vmcnt(18) lgkmcnt(0)
	v_fma_f64 v[87:88], v[105:106], v[87:88], v[93:94]
	s_waitcnt vmcnt(16)
	v_fma_f64 v[93:94], v[103:104], v[89:90], v[87:88]
	ds_read2_b64 v[87:90], v86 offset0:77 offset1:78
	s_waitcnt vmcnt(14) lgkmcnt(0)
	v_fma_f64 v[87:88], v[109:110], v[87:88], v[93:94]
	s_waitcnt vmcnt(12)
	v_fma_f64 v[93:94], v[107:108], v[89:90], v[87:88]
	ds_read2_b64 v[87:90], v86 offset0:79 offset1:80
	s_waitcnt vmcnt(10) lgkmcnt(0)
	v_fma_f64 v[87:88], v[113:114], v[87:88], v[93:94]
	s_waitcnt vmcnt(8)
	v_fma_f64 v[93:94], v[111:112], v[89:90], v[87:88]
	ds_read2_b64 v[87:90], v86 offset0:81 offset1:82
	s_waitcnt vmcnt(6) lgkmcnt(0)
	v_fma_f64 v[87:88], v[117:118], v[87:88], v[93:94]
	s_waitcnt vmcnt(4)
	v_fma_f64 v[87:88], v[115:116], v[89:90], v[87:88]
	ds_read_b64 v[89:90], v86 offset:664
	s_waitcnt vmcnt(2) lgkmcnt(0)
	v_fma_f64 v[87:88], v[119:120], v[89:90], v[87:88]
	s_waitcnt vmcnt(0)
	v_add_f64 v[87:88], v[91:92], -v[87:88]
	buffer_store_dword v88, off, s[0:3], 0 offset:84
	buffer_store_dword v87, off, s[0:3], 0 offset:80
	v_cmpx_lt_u32_e32 9, v0
	s_cbranch_execz .LBB105_243
; %bb.242:
	s_clause 0x1
	buffer_load_dword v87, off, s[0:3], 0 offset:72
	buffer_load_dword v88, off, s[0:3], 0 offset:76
	buffer_store_dword v86, off, s[0:3], 0 offset:72
	buffer_store_dword v86, off, s[0:3], 0 offset:76
	s_waitcnt vmcnt(0)
	ds_write_b64 v85, v[87:88]
.LBB105_243:
	s_or_b32 exec_lo, exec_lo, s4
	s_waitcnt lgkmcnt(0)
	s_waitcnt_vscnt null, 0x0
	s_barrier
	buffer_gl0_inv
	s_clause 0x1b
	buffer_load_dword v91, off, s[0:3], 0 offset:80
	buffer_load_dword v92, off, s[0:3], 0 offset:84
	;; [unrolled: 1-line block ×28, first 2 shown]
	ds_read_b128 v[87:90], v86 offset:416
	s_clause 0x1
	buffer_load_dword v119, off, s[0:3], 0 offset:192
	buffer_load_dword v120, off, s[0:3], 0 offset:196
	s_mov_b32 s4, exec_lo
	s_waitcnt vmcnt(28) lgkmcnt(0)
	v_fma_f64 v[87:88], v[91:92], v[87:88], 0
	s_clause 0x1
	buffer_load_dword v92, off, s[0:3], 0 offset:204
	buffer_load_dword v91, off, s[0:3], 0 offset:200
	s_waitcnt vmcnt(28)
	v_fma_f64 v[93:94], v[93:94], v[89:90], v[87:88]
	ds_read_b128 v[87:90], v86 offset:432
	s_clause 0x1
	buffer_load_dword v121, off, s[0:3], 0 offset:208
	buffer_load_dword v122, off, s[0:3], 0 offset:212
	s_waitcnt vmcnt(28) lgkmcnt(0)
	v_fma_f64 v[87:88], v[95:96], v[87:88], v[93:94]
	s_clause 0x1
	buffer_load_dword v93, off, s[0:3], 0 offset:216
	buffer_load_dword v94, off, s[0:3], 0 offset:220
	s_waitcnt vmcnt(28)
	v_fma_f64 v[95:96], v[97:98], v[89:90], v[87:88]
	ds_read_b128 v[87:90], v86 offset:448
	s_clause 0x1
	buffer_load_dword v97, off, s[0:3], 0 offset:224
	buffer_load_dword v98, off, s[0:3], 0 offset:228
	;; [unrolled: 11-line block ×9, first 2 shown]
	s_waitcnt vmcnt(28) lgkmcnt(0)
	v_fma_f64 v[87:88], v[97:98], v[87:88], v[93:94]
	s_waitcnt vmcnt(26)
	v_fma_f64 v[93:94], v[95:96], v[89:90], v[87:88]
	ds_read_b128 v[87:90], v86 offset:576
	s_waitcnt vmcnt(24) lgkmcnt(0)
	v_fma_f64 v[87:88], v[101:102], v[87:88], v[93:94]
	s_waitcnt vmcnt(22)
	v_fma_f64 v[93:94], v[99:100], v[89:90], v[87:88]
	ds_read_b128 v[87:90], v86 offset:592
	;; [unrolled: 5-line block ×6, first 2 shown]
	s_waitcnt vmcnt(4) lgkmcnt(0)
	v_fma_f64 v[86:87], v[119:120], v[86:87], v[93:94]
	s_waitcnt vmcnt(2)
	v_fma_f64 v[86:87], v[91:92], v[88:89], v[86:87]
	s_waitcnt vmcnt(0)
	v_add_f64 v[86:87], v[121:122], -v[86:87]
	buffer_store_dword v87, off, s[0:3], 0 offset:76
	buffer_store_dword v86, off, s[0:3], 0 offset:72
	v_cmpx_lt_u32_e32 8, v0
	s_cbranch_execz .LBB105_245
; %bb.244:
	s_clause 0x1
	buffer_load_dword v86, off, s[0:3], 0 offset:64
	buffer_load_dword v87, off, s[0:3], 0 offset:68
	v_mov_b32_e32 v88, 0
	buffer_store_dword v88, off, s[0:3], 0 offset:64
	buffer_store_dword v88, off, s[0:3], 0 offset:68
	s_waitcnt vmcnt(0)
	ds_write_b64 v85, v[86:87]
.LBB105_245:
	s_or_b32 exec_lo, exec_lo, s4
	s_waitcnt lgkmcnt(0)
	s_waitcnt_vscnt null, 0x0
	s_barrier
	buffer_gl0_inv
	s_clause 0x1b
	buffer_load_dword v91, off, s[0:3], 0 offset:72
	buffer_load_dword v92, off, s[0:3], 0 offset:76
	;; [unrolled: 1-line block ×28, first 2 shown]
	v_mov_b32_e32 v86, 0
	s_mov_b32 s4, exec_lo
	ds_read2_b64 v[87:90], v86 offset0:51 offset1:52
	s_clause 0x1
	buffer_load_dword v119, off, s[0:3], 0 offset:184
	buffer_load_dword v120, off, s[0:3], 0 offset:188
	s_waitcnt vmcnt(28) lgkmcnt(0)
	v_fma_f64 v[87:88], v[91:92], v[87:88], 0
	s_clause 0x1
	buffer_load_dword v92, off, s[0:3], 0 offset:196
	buffer_load_dword v91, off, s[0:3], 0 offset:192
	s_waitcnt vmcnt(28)
	v_fma_f64 v[93:94], v[93:94], v[89:90], v[87:88]
	ds_read2_b64 v[87:90], v86 offset0:53 offset1:54
	s_clause 0x1
	buffer_load_dword v121, off, s[0:3], 0 offset:200
	buffer_load_dword v122, off, s[0:3], 0 offset:204
	s_waitcnt vmcnt(28) lgkmcnt(0)
	v_fma_f64 v[87:88], v[95:96], v[87:88], v[93:94]
	s_clause 0x1
	buffer_load_dword v93, off, s[0:3], 0 offset:208
	buffer_load_dword v94, off, s[0:3], 0 offset:212
	s_waitcnt vmcnt(28)
	v_fma_f64 v[95:96], v[97:98], v[89:90], v[87:88]
	;; [unrolled: 11-line block ×10, first 2 shown]
	ds_read2_b64 v[87:90], v86 offset0:71 offset1:72
	s_waitcnt vmcnt(26) lgkmcnt(0)
	v_fma_f64 v[87:88], v[101:102], v[87:88], v[95:96]
	s_waitcnt vmcnt(24)
	v_fma_f64 v[95:96], v[99:100], v[89:90], v[87:88]
	ds_read2_b64 v[87:90], v86 offset0:73 offset1:74
	s_waitcnt vmcnt(22) lgkmcnt(0)
	v_fma_f64 v[87:88], v[105:106], v[87:88], v[95:96]
	s_waitcnt vmcnt(20)
	v_fma_f64 v[95:96], v[103:104], v[89:90], v[87:88]
	;; [unrolled: 5-line block ×6, first 2 shown]
	ds_read_b64 v[89:90], v86 offset:664
	s_waitcnt vmcnt(2) lgkmcnt(0)
	v_fma_f64 v[87:88], v[121:122], v[89:90], v[87:88]
	s_waitcnt vmcnt(0)
	v_add_f64 v[87:88], v[93:94], -v[87:88]
	buffer_store_dword v88, off, s[0:3], 0 offset:68
	buffer_store_dword v87, off, s[0:3], 0 offset:64
	v_cmpx_lt_u32_e32 7, v0
	s_cbranch_execz .LBB105_247
; %bb.246:
	s_clause 0x1
	buffer_load_dword v87, off, s[0:3], 0 offset:56
	buffer_load_dword v88, off, s[0:3], 0 offset:60
	buffer_store_dword v86, off, s[0:3], 0 offset:56
	buffer_store_dword v86, off, s[0:3], 0 offset:60
	s_waitcnt vmcnt(0)
	ds_write_b64 v85, v[87:88]
.LBB105_247:
	s_or_b32 exec_lo, exec_lo, s4
	s_waitcnt lgkmcnt(0)
	s_waitcnt_vscnt null, 0x0
	s_barrier
	buffer_gl0_inv
	s_clause 0x1b
	buffer_load_dword v91, off, s[0:3], 0 offset:64
	buffer_load_dword v92, off, s[0:3], 0 offset:68
	;; [unrolled: 1-line block ×28, first 2 shown]
	ds_read_b128 v[87:90], v86 offset:400
	s_clause 0x1
	buffer_load_dword v119, off, s[0:3], 0 offset:176
	buffer_load_dword v120, off, s[0:3], 0 offset:180
	s_mov_b32 s4, exec_lo
	s_waitcnt vmcnt(28) lgkmcnt(0)
	v_fma_f64 v[87:88], v[91:92], v[87:88], 0
	s_clause 0x1
	buffer_load_dword v92, off, s[0:3], 0 offset:188
	buffer_load_dword v91, off, s[0:3], 0 offset:184
	s_waitcnt vmcnt(28)
	v_fma_f64 v[93:94], v[93:94], v[89:90], v[87:88]
	ds_read_b128 v[87:90], v86 offset:416
	s_clause 0x1
	buffer_load_dword v121, off, s[0:3], 0 offset:192
	buffer_load_dword v122, off, s[0:3], 0 offset:196
	s_waitcnt vmcnt(28) lgkmcnt(0)
	v_fma_f64 v[87:88], v[95:96], v[87:88], v[93:94]
	s_clause 0x1
	buffer_load_dword v93, off, s[0:3], 0 offset:200
	buffer_load_dword v94, off, s[0:3], 0 offset:204
	s_waitcnt vmcnt(28)
	v_fma_f64 v[95:96], v[97:98], v[89:90], v[87:88]
	ds_read_b128 v[87:90], v86 offset:432
	s_clause 0x1
	buffer_load_dword v97, off, s[0:3], 0 offset:208
	buffer_load_dword v98, off, s[0:3], 0 offset:212
	;; [unrolled: 11-line block ×10, first 2 shown]
	s_waitcnt vmcnt(28) lgkmcnt(0)
	v_fma_f64 v[87:88], v[101:102], v[87:88], v[95:96]
	s_waitcnt vmcnt(26)
	v_fma_f64 v[95:96], v[99:100], v[89:90], v[87:88]
	ds_read_b128 v[87:90], v86 offset:576
	s_waitcnt vmcnt(24) lgkmcnt(0)
	v_fma_f64 v[87:88], v[105:106], v[87:88], v[95:96]
	s_waitcnt vmcnt(22)
	v_fma_f64 v[95:96], v[103:104], v[89:90], v[87:88]
	ds_read_b128 v[87:90], v86 offset:592
	;; [unrolled: 5-line block ×6, first 2 shown]
	s_waitcnt vmcnt(4) lgkmcnt(0)
	v_fma_f64 v[86:87], v[121:122], v[86:87], v[90:91]
	s_waitcnt vmcnt(2)
	v_fma_f64 v[86:87], v[93:94], v[88:89], v[86:87]
	s_waitcnt vmcnt(0)
	v_add_f64 v[86:87], v[97:98], -v[86:87]
	buffer_store_dword v87, off, s[0:3], 0 offset:60
	buffer_store_dword v86, off, s[0:3], 0 offset:56
	v_cmpx_lt_u32_e32 6, v0
	s_cbranch_execz .LBB105_249
; %bb.248:
	s_clause 0x1
	buffer_load_dword v86, off, s[0:3], 0 offset:48
	buffer_load_dword v87, off, s[0:3], 0 offset:52
	v_mov_b32_e32 v88, 0
	buffer_store_dword v88, off, s[0:3], 0 offset:48
	buffer_store_dword v88, off, s[0:3], 0 offset:52
	s_waitcnt vmcnt(0)
	ds_write_b64 v85, v[86:87]
.LBB105_249:
	s_or_b32 exec_lo, exec_lo, s4
	s_waitcnt lgkmcnt(0)
	s_waitcnt_vscnt null, 0x0
	s_barrier
	buffer_gl0_inv
	s_clause 0x1b
	buffer_load_dword v91, off, s[0:3], 0 offset:56
	buffer_load_dword v92, off, s[0:3], 0 offset:60
	;; [unrolled: 1-line block ×28, first 2 shown]
	v_mov_b32_e32 v86, 0
	s_mov_b32 s4, exec_lo
	ds_read2_b64 v[87:90], v86 offset0:49 offset1:50
	s_clause 0x1
	buffer_load_dword v119, off, s[0:3], 0 offset:168
	buffer_load_dword v120, off, s[0:3], 0 offset:172
	s_waitcnt vmcnt(28) lgkmcnt(0)
	v_fma_f64 v[87:88], v[91:92], v[87:88], 0
	s_clause 0x1
	buffer_load_dword v92, off, s[0:3], 0 offset:180
	buffer_load_dword v91, off, s[0:3], 0 offset:176
	s_waitcnt vmcnt(28)
	v_fma_f64 v[93:94], v[93:94], v[89:90], v[87:88]
	ds_read2_b64 v[87:90], v86 offset0:51 offset1:52
	s_clause 0x1
	buffer_load_dword v121, off, s[0:3], 0 offset:184
	buffer_load_dword v122, off, s[0:3], 0 offset:188
	s_waitcnt vmcnt(28) lgkmcnt(0)
	v_fma_f64 v[87:88], v[95:96], v[87:88], v[93:94]
	s_clause 0x1
	buffer_load_dword v93, off, s[0:3], 0 offset:192
	buffer_load_dword v94, off, s[0:3], 0 offset:196
	s_waitcnt vmcnt(28)
	v_fma_f64 v[95:96], v[97:98], v[89:90], v[87:88]
	ds_read2_b64 v[87:90], v86 offset0:53 offset1:54
	s_clause 0x1
	buffer_load_dword v97, off, s[0:3], 0 offset:200
	buffer_load_dword v98, off, s[0:3], 0 offset:204
	s_waitcnt vmcnt(28) lgkmcnt(0)
	v_fma_f64 v[87:88], v[99:100], v[87:88], v[95:96]
	s_clause 0x1
	buffer_load_dword v96, off, s[0:3], 0 offset:212
	buffer_load_dword v95, off, s[0:3], 0 offset:208
	s_waitcnt vmcnt(28)
	v_fma_f64 v[99:100], v[101:102], v[89:90], v[87:88]
	ds_read2_b64 v[87:90], v86 offset0:55 offset1:56
	s_clause 0x1
	buffer_load_dword v101, off, s[0:3], 0 offset:216
	buffer_load_dword v102, off, s[0:3], 0 offset:220
	s_waitcnt vmcnt(28) lgkmcnt(0)
	v_fma_f64 v[87:88], v[103:104], v[87:88], v[99:100]
	s_clause 0x1
	buffer_load_dword v99, off, s[0:3], 0 offset:224
	buffer_load_dword v100, off, s[0:3], 0 offset:228
	s_waitcnt vmcnt(28)
	v_fma_f64 v[103:104], v[105:106], v[89:90], v[87:88]
	ds_read2_b64 v[87:90], v86 offset0:57 offset1:58
	s_clause 0x1
	buffer_load_dword v105, off, s[0:3], 0 offset:232
	buffer_load_dword v106, off, s[0:3], 0 offset:236
	s_waitcnt vmcnt(28) lgkmcnt(0)
	v_fma_f64 v[87:88], v[107:108], v[87:88], v[103:104]
	s_clause 0x1
	buffer_load_dword v104, off, s[0:3], 0 offset:244
	buffer_load_dword v103, off, s[0:3], 0 offset:240
	s_waitcnt vmcnt(28)
	v_fma_f64 v[107:108], v[109:110], v[89:90], v[87:88]
	ds_read2_b64 v[87:90], v86 offset0:59 offset1:60
	s_clause 0x1
	buffer_load_dword v109, off, s[0:3], 0 offset:248
	buffer_load_dword v110, off, s[0:3], 0 offset:252
	s_waitcnt vmcnt(28) lgkmcnt(0)
	v_fma_f64 v[87:88], v[111:112], v[87:88], v[107:108]
	s_clause 0x1
	buffer_load_dword v107, off, s[0:3], 0 offset:256
	buffer_load_dword v108, off, s[0:3], 0 offset:260
	s_waitcnt vmcnt(28)
	v_fma_f64 v[111:112], v[113:114], v[89:90], v[87:88]
	ds_read2_b64 v[87:90], v86 offset0:61 offset1:62
	s_clause 0x1
	buffer_load_dword v113, off, s[0:3], 0 offset:264
	buffer_load_dword v114, off, s[0:3], 0 offset:268
	s_waitcnt vmcnt(28) lgkmcnt(0)
	v_fma_f64 v[87:88], v[115:116], v[87:88], v[111:112]
	s_clause 0x1
	buffer_load_dword v112, off, s[0:3], 0 offset:276
	buffer_load_dword v111, off, s[0:3], 0 offset:272
	s_waitcnt vmcnt(28)
	v_fma_f64 v[115:116], v[117:118], v[89:90], v[87:88]
	ds_read2_b64 v[87:90], v86 offset0:63 offset1:64
	s_clause 0x1
	buffer_load_dword v117, off, s[0:3], 0 offset:280
	buffer_load_dword v118, off, s[0:3], 0 offset:284
	s_waitcnt vmcnt(28) lgkmcnt(0)
	v_fma_f64 v[87:88], v[119:120], v[87:88], v[115:116]
	s_clause 0x1
	buffer_load_dword v115, off, s[0:3], 0 offset:288
	buffer_load_dword v116, off, s[0:3], 0 offset:292
	s_waitcnt vmcnt(28)
	v_fma_f64 v[91:92], v[91:92], v[89:90], v[87:88]
	ds_read2_b64 v[87:90], v86 offset0:65 offset1:66
	s_clause 0x1
	buffer_load_dword v119, off, s[0:3], 0 offset:296
	buffer_load_dword v120, off, s[0:3], 0 offset:300
	s_waitcnt vmcnt(28) lgkmcnt(0)
	v_fma_f64 v[87:88], v[121:122], v[87:88], v[91:92]
	s_clause 0x1
	buffer_load_dword v92, off, s[0:3], 0 offset:308
	buffer_load_dword v91, off, s[0:3], 0 offset:304
	s_waitcnt vmcnt(28)
	v_fma_f64 v[93:94], v[93:94], v[89:90], v[87:88]
	ds_read2_b64 v[87:90], v86 offset0:67 offset1:68
	s_clause 0x1
	buffer_load_dword v121, off, s[0:3], 0 offset:312
	buffer_load_dword v122, off, s[0:3], 0 offset:316
	s_waitcnt vmcnt(28) lgkmcnt(0)
	v_fma_f64 v[87:88], v[97:98], v[87:88], v[93:94]
	s_clause 0x1
	buffer_load_dword v93, off, s[0:3], 0 offset:320
	buffer_load_dword v94, off, s[0:3], 0 offset:324
	s_waitcnt vmcnt(28)
	v_fma_f64 v[95:96], v[95:96], v[89:90], v[87:88]
	ds_read2_b64 v[87:90], v86 offset0:69 offset1:70
	s_clause 0x1
	buffer_load_dword v97, off, s[0:3], 0 offset:328
	buffer_load_dword v98, off, s[0:3], 0 offset:332
	s_waitcnt vmcnt(28) lgkmcnt(0)
	v_fma_f64 v[87:88], v[101:102], v[87:88], v[95:96]
	s_clause 0x1
	buffer_load_dword v95, off, s[0:3], 0 offset:48
	buffer_load_dword v96, off, s[0:3], 0 offset:52
	s_waitcnt vmcnt(28)
	v_fma_f64 v[99:100], v[99:100], v[89:90], v[87:88]
	ds_read2_b64 v[87:90], v86 offset0:71 offset1:72
	s_waitcnt vmcnt(26) lgkmcnt(0)
	v_fma_f64 v[87:88], v[105:106], v[87:88], v[99:100]
	s_waitcnt vmcnt(24)
	v_fma_f64 v[99:100], v[103:104], v[89:90], v[87:88]
	ds_read2_b64 v[87:90], v86 offset0:73 offset1:74
	s_waitcnt vmcnt(22) lgkmcnt(0)
	v_fma_f64 v[87:88], v[109:110], v[87:88], v[99:100]
	s_waitcnt vmcnt(20)
	v_fma_f64 v[99:100], v[107:108], v[89:90], v[87:88]
	;; [unrolled: 5-line block ×6, first 2 shown]
	ds_read_b64 v[89:90], v86 offset:664
	s_waitcnt vmcnt(2) lgkmcnt(0)
	v_fma_f64 v[87:88], v[97:98], v[89:90], v[87:88]
	s_waitcnt vmcnt(0)
	v_add_f64 v[87:88], v[95:96], -v[87:88]
	buffer_store_dword v88, off, s[0:3], 0 offset:52
	buffer_store_dword v87, off, s[0:3], 0 offset:48
	v_cmpx_lt_u32_e32 5, v0
	s_cbranch_execz .LBB105_251
; %bb.250:
	s_clause 0x1
	buffer_load_dword v87, off, s[0:3], 0 offset:40
	buffer_load_dword v88, off, s[0:3], 0 offset:44
	buffer_store_dword v86, off, s[0:3], 0 offset:40
	buffer_store_dword v86, off, s[0:3], 0 offset:44
	s_waitcnt vmcnt(0)
	ds_write_b64 v85, v[87:88]
.LBB105_251:
	s_or_b32 exec_lo, exec_lo, s4
	s_waitcnt lgkmcnt(0)
	s_waitcnt_vscnt null, 0x0
	s_barrier
	buffer_gl0_inv
	s_clause 0x1b
	buffer_load_dword v91, off, s[0:3], 0 offset:48
	buffer_load_dword v92, off, s[0:3], 0 offset:52
	;; [unrolled: 1-line block ×28, first 2 shown]
	ds_read_b128 v[87:90], v86 offset:384
	s_clause 0x1
	buffer_load_dword v119, off, s[0:3], 0 offset:160
	buffer_load_dword v120, off, s[0:3], 0 offset:164
	s_mov_b32 s4, exec_lo
	s_waitcnt vmcnt(28) lgkmcnt(0)
	v_fma_f64 v[87:88], v[91:92], v[87:88], 0
	s_clause 0x1
	buffer_load_dword v92, off, s[0:3], 0 offset:172
	buffer_load_dword v91, off, s[0:3], 0 offset:168
	s_waitcnt vmcnt(28)
	v_fma_f64 v[93:94], v[93:94], v[89:90], v[87:88]
	ds_read_b128 v[87:90], v86 offset:400
	s_clause 0x1
	buffer_load_dword v121, off, s[0:3], 0 offset:176
	buffer_load_dword v122, off, s[0:3], 0 offset:180
	s_waitcnt vmcnt(28) lgkmcnt(0)
	v_fma_f64 v[87:88], v[95:96], v[87:88], v[93:94]
	s_clause 0x1
	buffer_load_dword v93, off, s[0:3], 0 offset:184
	buffer_load_dword v94, off, s[0:3], 0 offset:188
	s_waitcnt vmcnt(28)
	v_fma_f64 v[95:96], v[97:98], v[89:90], v[87:88]
	ds_read_b128 v[87:90], v86 offset:416
	s_clause 0x1
	buffer_load_dword v97, off, s[0:3], 0 offset:192
	buffer_load_dword v98, off, s[0:3], 0 offset:196
	;; [unrolled: 11-line block ×11, first 2 shown]
	s_waitcnt vmcnt(28) lgkmcnt(0)
	v_fma_f64 v[87:88], v[105:106], v[87:88], v[99:100]
	s_waitcnt vmcnt(26)
	v_fma_f64 v[99:100], v[103:104], v[89:90], v[87:88]
	ds_read_b128 v[87:90], v86 offset:576
	s_waitcnt vmcnt(24) lgkmcnt(0)
	v_fma_f64 v[87:88], v[109:110], v[87:88], v[99:100]
	s_waitcnt vmcnt(22)
	v_fma_f64 v[99:100], v[107:108], v[89:90], v[87:88]
	ds_read_b128 v[87:90], v86 offset:592
	;; [unrolled: 5-line block ×6, first 2 shown]
	s_waitcnt vmcnt(4) lgkmcnt(0)
	v_fma_f64 v[86:87], v[97:98], v[86:87], v[90:91]
	s_waitcnt vmcnt(2)
	v_fma_f64 v[86:87], v[95:96], v[88:89], v[86:87]
	s_waitcnt vmcnt(0)
	v_add_f64 v[86:87], v[101:102], -v[86:87]
	buffer_store_dword v87, off, s[0:3], 0 offset:44
	buffer_store_dword v86, off, s[0:3], 0 offset:40
	v_cmpx_lt_u32_e32 4, v0
	s_cbranch_execz .LBB105_253
; %bb.252:
	s_clause 0x1
	buffer_load_dword v86, off, s[0:3], 0 offset:32
	buffer_load_dword v87, off, s[0:3], 0 offset:36
	v_mov_b32_e32 v88, 0
	buffer_store_dword v88, off, s[0:3], 0 offset:32
	buffer_store_dword v88, off, s[0:3], 0 offset:36
	s_waitcnt vmcnt(0)
	ds_write_b64 v85, v[86:87]
.LBB105_253:
	s_or_b32 exec_lo, exec_lo, s4
	s_waitcnt lgkmcnt(0)
	s_waitcnt_vscnt null, 0x0
	s_barrier
	buffer_gl0_inv
	s_clause 0x1b
	buffer_load_dword v91, off, s[0:3], 0 offset:40
	buffer_load_dword v92, off, s[0:3], 0 offset:44
	;; [unrolled: 1-line block ×28, first 2 shown]
	v_mov_b32_e32 v86, 0
	s_mov_b32 s4, exec_lo
	ds_read2_b64 v[87:90], v86 offset0:47 offset1:48
	s_clause 0x1
	buffer_load_dword v119, off, s[0:3], 0 offset:152
	buffer_load_dword v120, off, s[0:3], 0 offset:156
	s_waitcnt vmcnt(28) lgkmcnt(0)
	v_fma_f64 v[87:88], v[91:92], v[87:88], 0
	s_clause 0x1
	buffer_load_dword v92, off, s[0:3], 0 offset:164
	buffer_load_dword v91, off, s[0:3], 0 offset:160
	s_waitcnt vmcnt(28)
	v_fma_f64 v[93:94], v[93:94], v[89:90], v[87:88]
	ds_read2_b64 v[87:90], v86 offset0:49 offset1:50
	s_clause 0x1
	buffer_load_dword v121, off, s[0:3], 0 offset:168
	buffer_load_dword v122, off, s[0:3], 0 offset:172
	s_waitcnt vmcnt(28) lgkmcnt(0)
	v_fma_f64 v[87:88], v[95:96], v[87:88], v[93:94]
	s_clause 0x1
	buffer_load_dword v93, off, s[0:3], 0 offset:176
	buffer_load_dword v94, off, s[0:3], 0 offset:180
	s_waitcnt vmcnt(28)
	v_fma_f64 v[95:96], v[97:98], v[89:90], v[87:88]
	;; [unrolled: 11-line block ×12, first 2 shown]
	ds_read2_b64 v[87:90], v86 offset0:71 offset1:72
	s_waitcnt vmcnt(26) lgkmcnt(0)
	v_fma_f64 v[87:88], v[109:110], v[87:88], v[103:104]
	s_waitcnt vmcnt(24)
	v_fma_f64 v[103:104], v[107:108], v[89:90], v[87:88]
	ds_read2_b64 v[87:90], v86 offset0:73 offset1:74
	s_waitcnt vmcnt(22) lgkmcnt(0)
	v_fma_f64 v[87:88], v[113:114], v[87:88], v[103:104]
	s_waitcnt vmcnt(20)
	v_fma_f64 v[103:104], v[111:112], v[89:90], v[87:88]
	;; [unrolled: 5-line block ×6, first 2 shown]
	ds_read_b64 v[89:90], v86 offset:664
	s_waitcnt vmcnt(2) lgkmcnt(0)
	v_fma_f64 v[87:88], v[101:102], v[89:90], v[87:88]
	s_waitcnt vmcnt(0)
	v_add_f64 v[87:88], v[99:100], -v[87:88]
	buffer_store_dword v88, off, s[0:3], 0 offset:36
	buffer_store_dword v87, off, s[0:3], 0 offset:32
	v_cmpx_lt_u32_e32 3, v0
	s_cbranch_execz .LBB105_255
; %bb.254:
	s_clause 0x1
	buffer_load_dword v87, off, s[0:3], 0 offset:24
	buffer_load_dword v88, off, s[0:3], 0 offset:28
	buffer_store_dword v86, off, s[0:3], 0 offset:24
	buffer_store_dword v86, off, s[0:3], 0 offset:28
	s_waitcnt vmcnt(0)
	ds_write_b64 v85, v[87:88]
.LBB105_255:
	s_or_b32 exec_lo, exec_lo, s4
	s_waitcnt lgkmcnt(0)
	s_waitcnt_vscnt null, 0x0
	s_barrier
	buffer_gl0_inv
	s_clause 0x1b
	buffer_load_dword v91, off, s[0:3], 0 offset:32
	buffer_load_dword v92, off, s[0:3], 0 offset:36
	;; [unrolled: 1-line block ×28, first 2 shown]
	ds_read_b128 v[87:90], v86 offset:368
	s_clause 0x1
	buffer_load_dword v119, off, s[0:3], 0 offset:144
	buffer_load_dword v120, off, s[0:3], 0 offset:148
	s_mov_b32 s4, exec_lo
	s_waitcnt vmcnt(28) lgkmcnt(0)
	v_fma_f64 v[87:88], v[91:92], v[87:88], 0
	s_clause 0x1
	buffer_load_dword v92, off, s[0:3], 0 offset:156
	buffer_load_dword v91, off, s[0:3], 0 offset:152
	s_waitcnt vmcnt(28)
	v_fma_f64 v[93:94], v[93:94], v[89:90], v[87:88]
	ds_read_b128 v[87:90], v86 offset:384
	s_clause 0x1
	buffer_load_dword v121, off, s[0:3], 0 offset:160
	buffer_load_dword v122, off, s[0:3], 0 offset:164
	s_waitcnt vmcnt(28) lgkmcnt(0)
	v_fma_f64 v[87:88], v[95:96], v[87:88], v[93:94]
	s_clause 0x1
	buffer_load_dword v93, off, s[0:3], 0 offset:168
	buffer_load_dword v94, off, s[0:3], 0 offset:172
	s_waitcnt vmcnt(28)
	v_fma_f64 v[95:96], v[97:98], v[89:90], v[87:88]
	ds_read_b128 v[87:90], v86 offset:400
	s_clause 0x1
	buffer_load_dword v97, off, s[0:3], 0 offset:176
	buffer_load_dword v98, off, s[0:3], 0 offset:180
	;; [unrolled: 11-line block ×12, first 2 shown]
	s_waitcnt vmcnt(28) lgkmcnt(0)
	v_fma_f64 v[87:88], v[109:110], v[87:88], v[103:104]
	s_waitcnt vmcnt(26)
	v_fma_f64 v[103:104], v[107:108], v[89:90], v[87:88]
	ds_read_b128 v[87:90], v86 offset:576
	s_waitcnt vmcnt(24) lgkmcnt(0)
	v_fma_f64 v[87:88], v[113:114], v[87:88], v[103:104]
	s_waitcnt vmcnt(22)
	v_fma_f64 v[103:104], v[111:112], v[89:90], v[87:88]
	ds_read_b128 v[87:90], v86 offset:592
	;; [unrolled: 5-line block ×6, first 2 shown]
	s_waitcnt vmcnt(4) lgkmcnt(0)
	v_fma_f64 v[86:87], v[101:102], v[86:87], v[90:91]
	s_waitcnt vmcnt(2)
	v_fma_f64 v[86:87], v[99:100], v[88:89], v[86:87]
	s_waitcnt vmcnt(0)
	v_add_f64 v[86:87], v[105:106], -v[86:87]
	buffer_store_dword v87, off, s[0:3], 0 offset:28
	buffer_store_dword v86, off, s[0:3], 0 offset:24
	v_cmpx_lt_u32_e32 2, v0
	s_cbranch_execz .LBB105_257
; %bb.256:
	s_clause 0x1
	buffer_load_dword v86, off, s[0:3], 0 offset:16
	buffer_load_dword v87, off, s[0:3], 0 offset:20
	v_mov_b32_e32 v88, 0
	buffer_store_dword v88, off, s[0:3], 0 offset:16
	buffer_store_dword v88, off, s[0:3], 0 offset:20
	s_waitcnt vmcnt(0)
	ds_write_b64 v85, v[86:87]
.LBB105_257:
	s_or_b32 exec_lo, exec_lo, s4
	s_waitcnt lgkmcnt(0)
	s_waitcnt_vscnt null, 0x0
	s_barrier
	buffer_gl0_inv
	s_clause 0x1b
	buffer_load_dword v91, off, s[0:3], 0 offset:24
	buffer_load_dword v92, off, s[0:3], 0 offset:28
	;; [unrolled: 1-line block ×28, first 2 shown]
	v_mov_b32_e32 v86, 0
	s_mov_b32 s4, exec_lo
	ds_read2_b64 v[87:90], v86 offset0:45 offset1:46
	s_clause 0x1
	buffer_load_dword v119, off, s[0:3], 0 offset:136
	buffer_load_dword v120, off, s[0:3], 0 offset:140
	s_waitcnt vmcnt(28) lgkmcnt(0)
	v_fma_f64 v[87:88], v[91:92], v[87:88], 0
	s_clause 0x1
	buffer_load_dword v92, off, s[0:3], 0 offset:148
	buffer_load_dword v91, off, s[0:3], 0 offset:144
	s_waitcnt vmcnt(28)
	v_fma_f64 v[93:94], v[93:94], v[89:90], v[87:88]
	ds_read2_b64 v[87:90], v86 offset0:47 offset1:48
	s_clause 0x1
	buffer_load_dword v121, off, s[0:3], 0 offset:152
	buffer_load_dword v122, off, s[0:3], 0 offset:156
	s_waitcnt vmcnt(28) lgkmcnt(0)
	v_fma_f64 v[87:88], v[95:96], v[87:88], v[93:94]
	s_clause 0x1
	buffer_load_dword v93, off, s[0:3], 0 offset:160
	buffer_load_dword v94, off, s[0:3], 0 offset:164
	s_waitcnt vmcnt(28)
	v_fma_f64 v[95:96], v[97:98], v[89:90], v[87:88]
	ds_read2_b64 v[87:90], v86 offset0:49 offset1:50
	s_clause 0x1
	buffer_load_dword v97, off, s[0:3], 0 offset:168
	buffer_load_dword v98, off, s[0:3], 0 offset:172
	s_waitcnt vmcnt(28) lgkmcnt(0)
	v_fma_f64 v[87:88], v[99:100], v[87:88], v[95:96]
	s_clause 0x1
	buffer_load_dword v96, off, s[0:3], 0 offset:180
	buffer_load_dword v95, off, s[0:3], 0 offset:176
	s_waitcnt vmcnt(28)
	v_fma_f64 v[99:100], v[101:102], v[89:90], v[87:88]
	ds_read2_b64 v[87:90], v86 offset0:51 offset1:52
	s_clause 0x1
	buffer_load_dword v101, off, s[0:3], 0 offset:184
	buffer_load_dword v102, off, s[0:3], 0 offset:188
	s_waitcnt vmcnt(28) lgkmcnt(0)
	v_fma_f64 v[87:88], v[103:104], v[87:88], v[99:100]
	s_clause 0x1
	buffer_load_dword v99, off, s[0:3], 0 offset:192
	buffer_load_dword v100, off, s[0:3], 0 offset:196
	s_waitcnt vmcnt(28)
	v_fma_f64 v[103:104], v[105:106], v[89:90], v[87:88]
	ds_read2_b64 v[87:90], v86 offset0:53 offset1:54
	s_clause 0x1
	buffer_load_dword v105, off, s[0:3], 0 offset:200
	buffer_load_dword v106, off, s[0:3], 0 offset:204
	s_waitcnt vmcnt(28) lgkmcnt(0)
	v_fma_f64 v[87:88], v[107:108], v[87:88], v[103:104]
	s_clause 0x1
	buffer_load_dword v104, off, s[0:3], 0 offset:212
	buffer_load_dword v103, off, s[0:3], 0 offset:208
	s_waitcnt vmcnt(28)
	v_fma_f64 v[107:108], v[109:110], v[89:90], v[87:88]
	ds_read2_b64 v[87:90], v86 offset0:55 offset1:56
	s_clause 0x1
	buffer_load_dword v109, off, s[0:3], 0 offset:216
	buffer_load_dword v110, off, s[0:3], 0 offset:220
	s_waitcnt vmcnt(28) lgkmcnt(0)
	v_fma_f64 v[87:88], v[111:112], v[87:88], v[107:108]
	s_clause 0x1
	buffer_load_dword v107, off, s[0:3], 0 offset:224
	buffer_load_dword v108, off, s[0:3], 0 offset:228
	s_waitcnt vmcnt(28)
	v_fma_f64 v[111:112], v[113:114], v[89:90], v[87:88]
	ds_read2_b64 v[87:90], v86 offset0:57 offset1:58
	s_clause 0x1
	buffer_load_dword v113, off, s[0:3], 0 offset:232
	buffer_load_dword v114, off, s[0:3], 0 offset:236
	s_waitcnt vmcnt(28) lgkmcnt(0)
	v_fma_f64 v[87:88], v[115:116], v[87:88], v[111:112]
	s_clause 0x1
	buffer_load_dword v112, off, s[0:3], 0 offset:244
	buffer_load_dword v111, off, s[0:3], 0 offset:240
	s_waitcnt vmcnt(28)
	v_fma_f64 v[115:116], v[117:118], v[89:90], v[87:88]
	ds_read2_b64 v[87:90], v86 offset0:59 offset1:60
	s_clause 0x1
	buffer_load_dword v117, off, s[0:3], 0 offset:248
	buffer_load_dword v118, off, s[0:3], 0 offset:252
	s_waitcnt vmcnt(28) lgkmcnt(0)
	v_fma_f64 v[87:88], v[119:120], v[87:88], v[115:116]
	s_clause 0x1
	buffer_load_dword v115, off, s[0:3], 0 offset:256
	buffer_load_dword v116, off, s[0:3], 0 offset:260
	s_waitcnt vmcnt(28)
	v_fma_f64 v[91:92], v[91:92], v[89:90], v[87:88]
	ds_read2_b64 v[87:90], v86 offset0:61 offset1:62
	s_clause 0x1
	buffer_load_dword v119, off, s[0:3], 0 offset:264
	buffer_load_dword v120, off, s[0:3], 0 offset:268
	s_waitcnt vmcnt(28) lgkmcnt(0)
	v_fma_f64 v[87:88], v[121:122], v[87:88], v[91:92]
	s_clause 0x1
	buffer_load_dword v92, off, s[0:3], 0 offset:276
	buffer_load_dword v91, off, s[0:3], 0 offset:272
	s_waitcnt vmcnt(28)
	v_fma_f64 v[93:94], v[93:94], v[89:90], v[87:88]
	ds_read2_b64 v[87:90], v86 offset0:63 offset1:64
	s_clause 0x1
	buffer_load_dword v121, off, s[0:3], 0 offset:280
	buffer_load_dword v122, off, s[0:3], 0 offset:284
	s_waitcnt vmcnt(28) lgkmcnt(0)
	v_fma_f64 v[87:88], v[97:98], v[87:88], v[93:94]
	s_clause 0x1
	buffer_load_dword v93, off, s[0:3], 0 offset:288
	buffer_load_dword v94, off, s[0:3], 0 offset:292
	s_waitcnt vmcnt(28)
	v_fma_f64 v[95:96], v[95:96], v[89:90], v[87:88]
	ds_read2_b64 v[87:90], v86 offset0:65 offset1:66
	s_clause 0x1
	buffer_load_dword v97, off, s[0:3], 0 offset:296
	buffer_load_dword v98, off, s[0:3], 0 offset:300
	s_waitcnt vmcnt(28) lgkmcnt(0)
	v_fma_f64 v[87:88], v[101:102], v[87:88], v[95:96]
	s_clause 0x1
	buffer_load_dword v96, off, s[0:3], 0 offset:308
	buffer_load_dword v95, off, s[0:3], 0 offset:304
	s_waitcnt vmcnt(28)
	v_fma_f64 v[99:100], v[99:100], v[89:90], v[87:88]
	ds_read2_b64 v[87:90], v86 offset0:67 offset1:68
	s_clause 0x1
	buffer_load_dword v101, off, s[0:3], 0 offset:312
	buffer_load_dword v102, off, s[0:3], 0 offset:316
	s_waitcnt vmcnt(28) lgkmcnt(0)
	v_fma_f64 v[87:88], v[105:106], v[87:88], v[99:100]
	s_clause 0x1
	buffer_load_dword v99, off, s[0:3], 0 offset:320
	buffer_load_dword v100, off, s[0:3], 0 offset:324
	s_waitcnt vmcnt(28)
	v_fma_f64 v[103:104], v[103:104], v[89:90], v[87:88]
	ds_read2_b64 v[87:90], v86 offset0:69 offset1:70
	s_clause 0x1
	buffer_load_dword v105, off, s[0:3], 0 offset:328
	buffer_load_dword v106, off, s[0:3], 0 offset:332
	s_waitcnt vmcnt(28) lgkmcnt(0)
	v_fma_f64 v[87:88], v[109:110], v[87:88], v[103:104]
	s_clause 0x1
	buffer_load_dword v103, off, s[0:3], 0 offset:16
	buffer_load_dword v104, off, s[0:3], 0 offset:20
	s_waitcnt vmcnt(28)
	v_fma_f64 v[107:108], v[107:108], v[89:90], v[87:88]
	ds_read2_b64 v[87:90], v86 offset0:71 offset1:72
	s_waitcnt vmcnt(26) lgkmcnt(0)
	v_fma_f64 v[87:88], v[113:114], v[87:88], v[107:108]
	s_waitcnt vmcnt(24)
	v_fma_f64 v[107:108], v[111:112], v[89:90], v[87:88]
	ds_read2_b64 v[87:90], v86 offset0:73 offset1:74
	s_waitcnt vmcnt(22) lgkmcnt(0)
	v_fma_f64 v[87:88], v[117:118], v[87:88], v[107:108]
	s_waitcnt vmcnt(20)
	v_fma_f64 v[107:108], v[115:116], v[89:90], v[87:88]
	;; [unrolled: 5-line block ×6, first 2 shown]
	ds_read_b64 v[89:90], v86 offset:664
	s_waitcnt vmcnt(2) lgkmcnt(0)
	v_fma_f64 v[87:88], v[105:106], v[89:90], v[87:88]
	s_waitcnt vmcnt(0)
	v_add_f64 v[87:88], v[103:104], -v[87:88]
	buffer_store_dword v88, off, s[0:3], 0 offset:20
	buffer_store_dword v87, off, s[0:3], 0 offset:16
	v_cmpx_lt_u32_e32 1, v0
	s_cbranch_execz .LBB105_259
; %bb.258:
	s_clause 0x1
	buffer_load_dword v87, off, s[0:3], 0 offset:8
	buffer_load_dword v88, off, s[0:3], 0 offset:12
	buffer_store_dword v86, off, s[0:3], 0 offset:8
	buffer_store_dword v86, off, s[0:3], 0 offset:12
	s_waitcnt vmcnt(0)
	ds_write_b64 v85, v[87:88]
.LBB105_259:
	s_or_b32 exec_lo, exec_lo, s4
	s_waitcnt lgkmcnt(0)
	s_waitcnt_vscnt null, 0x0
	s_barrier
	buffer_gl0_inv
	s_clause 0x1b
	buffer_load_dword v91, off, s[0:3], 0 offset:16
	buffer_load_dword v92, off, s[0:3], 0 offset:20
	;; [unrolled: 1-line block ×28, first 2 shown]
	ds_read_b128 v[87:90], v86 offset:352
	s_clause 0x1
	buffer_load_dword v119, off, s[0:3], 0 offset:128
	buffer_load_dword v120, off, s[0:3], 0 offset:132
	s_mov_b32 s4, exec_lo
	s_waitcnt vmcnt(28) lgkmcnt(0)
	v_fma_f64 v[87:88], v[91:92], v[87:88], 0
	s_clause 0x1
	buffer_load_dword v92, off, s[0:3], 0 offset:140
	buffer_load_dword v91, off, s[0:3], 0 offset:136
	s_waitcnt vmcnt(28)
	v_fma_f64 v[93:94], v[93:94], v[89:90], v[87:88]
	ds_read_b128 v[87:90], v86 offset:368
	s_clause 0x1
	buffer_load_dword v121, off, s[0:3], 0 offset:144
	buffer_load_dword v122, off, s[0:3], 0 offset:148
	s_waitcnt vmcnt(28) lgkmcnt(0)
	v_fma_f64 v[87:88], v[95:96], v[87:88], v[93:94]
	s_clause 0x1
	buffer_load_dword v93, off, s[0:3], 0 offset:152
	buffer_load_dword v94, off, s[0:3], 0 offset:156
	s_waitcnt vmcnt(28)
	v_fma_f64 v[95:96], v[97:98], v[89:90], v[87:88]
	ds_read_b128 v[87:90], v86 offset:384
	s_clause 0x1
	buffer_load_dword v97, off, s[0:3], 0 offset:160
	buffer_load_dword v98, off, s[0:3], 0 offset:164
	;; [unrolled: 11-line block ×13, first 2 shown]
	s_waitcnt vmcnt(28) lgkmcnt(0)
	v_fma_f64 v[87:88], v[113:114], v[87:88], v[107:108]
	s_waitcnt vmcnt(26)
	v_fma_f64 v[107:108], v[111:112], v[89:90], v[87:88]
	ds_read_b128 v[87:90], v86 offset:576
	s_waitcnt vmcnt(24) lgkmcnt(0)
	v_fma_f64 v[87:88], v[117:118], v[87:88], v[107:108]
	s_waitcnt vmcnt(22)
	v_fma_f64 v[107:108], v[115:116], v[89:90], v[87:88]
	ds_read_b128 v[87:90], v86 offset:592
	;; [unrolled: 5-line block ×6, first 2 shown]
	s_waitcnt vmcnt(4) lgkmcnt(0)
	v_fma_f64 v[86:87], v[105:106], v[86:87], v[90:91]
	s_waitcnt vmcnt(2)
	v_fma_f64 v[86:87], v[103:104], v[88:89], v[86:87]
	s_waitcnt vmcnt(0)
	v_add_f64 v[86:87], v[109:110], -v[86:87]
	buffer_store_dword v87, off, s[0:3], 0 offset:12
	buffer_store_dword v86, off, s[0:3], 0 offset:8
	v_cmpx_ne_u32_e32 0, v0
	s_cbranch_execz .LBB105_261
; %bb.260:
	s_clause 0x1
	buffer_load_dword v86, off, s[0:3], 0
	buffer_load_dword v87, off, s[0:3], 0 offset:4
	v_mov_b32_e32 v0, 0
	buffer_store_dword v0, off, s[0:3], 0
	buffer_store_dword v0, off, s[0:3], 0 offset:4
	s_waitcnt vmcnt(0)
	ds_write_b64 v85, v[86:87]
.LBB105_261:
	s_or_b32 exec_lo, exec_lo, s4
	s_waitcnt lgkmcnt(0)
	s_waitcnt_vscnt null, 0x0
	s_barrier
	buffer_gl0_inv
	s_clause 0x1c
	buffer_load_dword v93, off, s[0:3], 0 offset:8
	buffer_load_dword v94, off, s[0:3], 0 offset:12
	;; [unrolled: 1-line block ×29, first 2 shown]
	v_mov_b32_e32 v0, 0
	buffer_load_dword v118, off, s[0:3], 0 offset:124
	s_and_b32 vcc_lo, exec_lo, s16
	ds_read2_b64 v[85:88], v0 offset0:43 offset1:44
	ds_read2_b64 v[89:92], v0 offset0:45 offset1:46
	s_waitcnt vmcnt(28) lgkmcnt(1)
	v_fma_f64 v[85:86], v[93:94], v[85:86], 0
	s_clause 0x7
	buffer_load_dword v94, off, s[0:3], 0 offset:132
	buffer_load_dword v123, off, s[0:3], 0 offset:152
	buffer_load_dword v125, off, s[0:3], 0 offset:144
	buffer_load_dword v127, off, s[0:3], 0 offset:136
	buffer_load_dword v93, off, s[0:3], 0 offset:128
	buffer_load_dword v128, off, s[0:3], 0 offset:140
	buffer_load_dword v126, off, s[0:3], 0 offset:148
	buffer_load_dword v124, off, s[0:3], 0 offset:156
	s_waitcnt vmcnt(34)
	v_fma_f64 v[85:86], v[95:96], v[87:88], v[85:86]
	s_waitcnt vmcnt(32) lgkmcnt(0)
	v_fma_f64 v[85:86], v[97:98], v[89:90], v[85:86]
	s_waitcnt vmcnt(30)
	v_fma_f64 v[95:96], v[99:100], v[91:92], v[85:86]
	ds_read2_b64 v[85:88], v0 offset0:47 offset1:48
	ds_read2_b64 v[89:92], v0 offset0:49 offset1:50
	s_waitcnt vmcnt(28) lgkmcnt(1)
	v_fma_f64 v[85:86], v[101:102], v[85:86], v[95:96]
	s_clause 0x7
	buffer_load_dword v96, off, s[0:3], 0 offset:164
	buffer_load_dword v97, off, s[0:3], 0 offset:184
	buffer_load_dword v99, off, s[0:3], 0 offset:176
	buffer_load_dword v101, off, s[0:3], 0 offset:168
	buffer_load_dword v95, off, s[0:3], 0 offset:160
	buffer_load_dword v102, off, s[0:3], 0 offset:172
	buffer_load_dword v100, off, s[0:3], 0 offset:180
	buffer_load_dword v98, off, s[0:3], 0 offset:188
	s_waitcnt vmcnt(34)
	v_fma_f64 v[85:86], v[103:104], v[87:88], v[85:86]
	s_waitcnt vmcnt(32) lgkmcnt(0)
	v_fma_f64 v[85:86], v[105:106], v[89:90], v[85:86]
	s_waitcnt vmcnt(27)
	v_fma_f64 v[103:104], v[107:108], v[91:92], v[85:86]
	;; [unrolled: 19-line block ×6, first 2 shown]
	ds_read2_b64 v[85:88], v0 offset0:67 offset1:68
	ds_read2_b64 v[89:92], v0 offset0:69 offset1:70
	s_waitcnt vmcnt(26) lgkmcnt(1)
	v_fma_f64 v[93:94], v[113:114], v[85:86], v[93:94]
	s_clause 0x5
	buffer_load_dword v86, off, s[0:3], 0 offset:324
	buffer_load_dword v97, off, s[0:3], 0 offset:328
	;; [unrolled: 1-line block ×4, first 2 shown]
	buffer_load_dword v99, off, s[0:3], 0
	buffer_load_dword v100, off, s[0:3], 0 offset:4
	s_waitcnt vmcnt(31)
	v_fma_f64 v[87:88], v[107:108], v[87:88], v[93:94]
	s_waitcnt vmcnt(30) lgkmcnt(0)
	v_fma_f64 v[87:88], v[105:106], v[89:90], v[87:88]
	s_waitcnt vmcnt(25)
	v_fma_f64 v[103:104], v[109:110], v[91:92], v[87:88]
	ds_read2_b64 v[87:90], v0 offset0:71 offset1:72
	ds_read2_b64 v[91:94], v0 offset0:73 offset1:74
	s_waitcnt vmcnt(24) lgkmcnt(1)
	v_fma_f64 v[87:88], v[121:122], v[87:88], v[103:104]
	s_waitcnt vmcnt(23)
	v_fma_f64 v[87:88], v[115:116], v[89:90], v[87:88]
	s_waitcnt vmcnt(22) lgkmcnt(0)
	v_fma_f64 v[87:88], v[111:112], v[91:92], v[87:88]
	s_waitcnt vmcnt(17)
	v_fma_f64 v[103:104], v[117:118], v[93:94], v[87:88]
	ds_read2_b64 v[87:90], v0 offset0:75 offset1:76
	ds_read2_b64 v[91:94], v0 offset0:77 offset1:78
	s_waitcnt vmcnt(16) lgkmcnt(1)
	v_fma_f64 v[87:88], v[129:130], v[87:88], v[103:104]
	;; [unrolled: 10-line block ×3, first 2 shown]
	s_waitcnt vmcnt(7)
	v_fma_f64 v[87:88], v[123:124], v[89:90], v[87:88]
	ds_read_b64 v[89:90], v0 offset:664
	s_waitcnt vmcnt(6) lgkmcnt(1)
	v_fma_f64 v[87:88], v[101:102], v[91:92], v[87:88]
	s_waitcnt vmcnt(3)
	v_fma_f64 v[87:88], v[85:86], v[93:94], v[87:88]
	s_waitcnt vmcnt(2) lgkmcnt(0)
	v_fma_f64 v[87:88], v[97:98], v[89:90], v[87:88]
	s_waitcnt vmcnt(0)
	v_add_f64 v[87:88], v[99:100], -v[87:88]
	buffer_store_dword v88, off, s[0:3], 0 offset:4
	buffer_store_dword v87, off, s[0:3], 0
	s_cbranch_vccz .LBB105_344
; %bb.262:
	global_load_dword v0, v0, s[12:13] offset:160
	s_waitcnt vmcnt(0)
	v_add_nc_u32_e32 v0, -1, v0
	v_cmp_ne_u32_e32 vcc_lo, 40, v0
	s_cbranch_vccz .LBB105_264
; %bb.263:
	v_lshlrev_b32_e32 v0, 3, v0
	s_clause 0x1
	buffer_load_dword v87, v0, s[0:3], 0 offen offset:4
	buffer_load_dword v88, v0, s[0:3], 0 offen
	s_waitcnt vmcnt(1)
	buffer_store_dword v87, off, s[0:3], 0 offset:324
	s_waitcnt vmcnt(0)
	buffer_store_dword v88, off, s[0:3], 0 offset:320
	buffer_store_dword v86, v0, s[0:3], 0 offen offset:4
	buffer_store_dword v85, v0, s[0:3], 0 offen
.LBB105_264:
	v_mov_b32_e32 v0, 0
	global_load_dword v85, v0, s[12:13] offset:156
	s_waitcnt vmcnt(0)
	v_add_nc_u32_e32 v85, -1, v85
	v_cmp_eq_u32_e32 vcc_lo, 39, v85
	s_cbranch_vccnz .LBB105_266
; %bb.265:
	v_lshlrev_b32_e32 v85, 3, v85
	s_clause 0x3
	buffer_load_dword v86, v85, s[0:3], 0 offen
	buffer_load_dword v87, v85, s[0:3], 0 offen offset:4
	buffer_load_dword v88, off, s[0:3], 0 offset:312
	buffer_load_dword v89, off, s[0:3], 0 offset:316
	s_waitcnt vmcnt(3)
	buffer_store_dword v86, off, s[0:3], 0 offset:312
	s_waitcnt vmcnt(2)
	buffer_store_dword v87, off, s[0:3], 0 offset:316
	s_waitcnt vmcnt(1)
	buffer_store_dword v88, v85, s[0:3], 0 offen
	s_waitcnt vmcnt(0)
	buffer_store_dword v89, v85, s[0:3], 0 offen offset:4
.LBB105_266:
	global_load_dword v0, v0, s[12:13] offset:152
	s_waitcnt vmcnt(0)
	v_add_nc_u32_e32 v0, -1, v0
	v_cmp_eq_u32_e32 vcc_lo, 38, v0
	s_cbranch_vccnz .LBB105_268
; %bb.267:
	v_lshlrev_b32_e32 v0, 3, v0
	s_clause 0x3
	buffer_load_dword v85, v0, s[0:3], 0 offen
	buffer_load_dword v86, v0, s[0:3], 0 offen offset:4
	buffer_load_dword v87, off, s[0:3], 0 offset:308
	buffer_load_dword v88, off, s[0:3], 0 offset:304
	s_waitcnt vmcnt(3)
	buffer_store_dword v85, off, s[0:3], 0 offset:304
	s_waitcnt vmcnt(2)
	buffer_store_dword v86, off, s[0:3], 0 offset:308
	s_waitcnt vmcnt(1)
	buffer_store_dword v87, v0, s[0:3], 0 offen offset:4
	s_waitcnt vmcnt(0)
	buffer_store_dword v88, v0, s[0:3], 0 offen
.LBB105_268:
	v_mov_b32_e32 v0, 0
	global_load_dword v85, v0, s[12:13] offset:148
	s_waitcnt vmcnt(0)
	v_add_nc_u32_e32 v85, -1, v85
	v_cmp_eq_u32_e32 vcc_lo, 37, v85
	s_cbranch_vccnz .LBB105_270
; %bb.269:
	v_lshlrev_b32_e32 v85, 3, v85
	s_clause 0x3
	buffer_load_dword v86, v85, s[0:3], 0 offen
	buffer_load_dword v87, v85, s[0:3], 0 offen offset:4
	buffer_load_dword v88, off, s[0:3], 0 offset:296
	buffer_load_dword v89, off, s[0:3], 0 offset:300
	s_waitcnt vmcnt(3)
	buffer_store_dword v86, off, s[0:3], 0 offset:296
	s_waitcnt vmcnt(2)
	buffer_store_dword v87, off, s[0:3], 0 offset:300
	s_waitcnt vmcnt(1)
	buffer_store_dword v88, v85, s[0:3], 0 offen
	s_waitcnt vmcnt(0)
	buffer_store_dword v89, v85, s[0:3], 0 offen offset:4
.LBB105_270:
	global_load_dword v0, v0, s[12:13] offset:144
	s_waitcnt vmcnt(0)
	v_add_nc_u32_e32 v0, -1, v0
	v_cmp_eq_u32_e32 vcc_lo, 36, v0
	s_cbranch_vccnz .LBB105_272
; %bb.271:
	v_lshlrev_b32_e32 v0, 3, v0
	s_clause 0x3
	buffer_load_dword v85, v0, s[0:3], 0 offen
	buffer_load_dword v86, v0, s[0:3], 0 offen offset:4
	buffer_load_dword v87, off, s[0:3], 0 offset:292
	buffer_load_dword v88, off, s[0:3], 0 offset:288
	s_waitcnt vmcnt(3)
	buffer_store_dword v85, off, s[0:3], 0 offset:288
	s_waitcnt vmcnt(2)
	buffer_store_dword v86, off, s[0:3], 0 offset:292
	s_waitcnt vmcnt(1)
	buffer_store_dword v87, v0, s[0:3], 0 offen offset:4
	s_waitcnt vmcnt(0)
	buffer_store_dword v88, v0, s[0:3], 0 offen
.LBB105_272:
	;; [unrolled: 43-line block ×19, first 2 shown]
	v_mov_b32_e32 v0, 0
	global_load_dword v85, v0, s[12:13] offset:4
	s_waitcnt vmcnt(0)
	v_add_nc_u32_e32 v85, -1, v85
	v_cmp_eq_u32_e32 vcc_lo, 1, v85
	s_cbranch_vccnz .LBB105_342
; %bb.341:
	v_lshlrev_b32_e32 v85, 3, v85
	s_clause 0x3
	buffer_load_dword v86, v85, s[0:3], 0 offen
	buffer_load_dword v87, v85, s[0:3], 0 offen offset:4
	buffer_load_dword v88, off, s[0:3], 0 offset:8
	buffer_load_dword v89, off, s[0:3], 0 offset:12
	s_waitcnt vmcnt(3)
	buffer_store_dword v86, off, s[0:3], 0 offset:8
	s_waitcnt vmcnt(2)
	buffer_store_dword v87, off, s[0:3], 0 offset:12
	s_waitcnt vmcnt(1)
	buffer_store_dword v88, v85, s[0:3], 0 offen
	s_waitcnt vmcnt(0)
	buffer_store_dword v89, v85, s[0:3], 0 offen offset:4
.LBB105_342:
	global_load_dword v0, v0, s[12:13]
	s_clause 0x1
	buffer_load_dword v87, off, s[0:3], 0
	buffer_load_dword v88, off, s[0:3], 0 offset:4
	s_waitcnt vmcnt(2)
	v_add_nc_u32_e32 v0, -1, v0
	v_cmp_eq_u32_e32 vcc_lo, 0, v0
	s_cbranch_vccnz .LBB105_344
; %bb.343:
	v_lshlrev_b32_e32 v0, 3, v0
	s_clause 0x1
	buffer_load_dword v85, v0, s[0:3], 0 offen offset:4
	buffer_load_dword v86, v0, s[0:3], 0 offen
	s_waitcnt vmcnt(1)
	buffer_store_dword v85, off, s[0:3], 0 offset:4
	s_waitcnt vmcnt(0)
	buffer_store_dword v86, off, s[0:3], 0
	buffer_store_dword v88, v0, s[0:3], 0 offen offset:4
	buffer_store_dword v87, v0, s[0:3], 0 offen
	s_clause 0x1
	buffer_load_dword v87, off, s[0:3], 0
	buffer_load_dword v88, off, s[0:3], 0 offset:4
.LBB105_344:
	s_waitcnt vmcnt(0)
	flat_store_dwordx2 v[1:2], v[87:88]
	s_clause 0x1
	buffer_load_dword v0, off, s[0:3], 0 offset:8
	buffer_load_dword v1, off, s[0:3], 0 offset:12
	s_waitcnt vmcnt(0)
	flat_store_dwordx2 v[3:4], v[0:1]
	s_clause 0x1
	buffer_load_dword v0, off, s[0:3], 0 offset:16
	buffer_load_dword v1, off, s[0:3], 0 offset:20
	;; [unrolled: 5-line block ×41, first 2 shown]
	s_waitcnt vmcnt(0)
	flat_store_dwordx2 v[83:84], v[0:1]
	s_endpgm
	.section	.rodata,"a",@progbits
	.p2align	6, 0x0
	.amdhsa_kernel _ZN9rocsolver6v33100L18getri_kernel_smallILi42EdPKPdEEvT1_iilPiilS6_bb
		.amdhsa_group_segment_fixed_size 680
		.amdhsa_private_segment_fixed_size 352
		.amdhsa_kernarg_size 60
		.amdhsa_user_sgpr_count 6
		.amdhsa_user_sgpr_private_segment_buffer 1
		.amdhsa_user_sgpr_dispatch_ptr 0
		.amdhsa_user_sgpr_queue_ptr 0
		.amdhsa_user_sgpr_kernarg_segment_ptr 1
		.amdhsa_user_sgpr_dispatch_id 0
		.amdhsa_user_sgpr_flat_scratch_init 0
		.amdhsa_user_sgpr_private_segment_size 0
		.amdhsa_wavefront_size32 1
		.amdhsa_uses_dynamic_stack 0
		.amdhsa_system_sgpr_private_segment_wavefront_offset 1
		.amdhsa_system_sgpr_workgroup_id_x 1
		.amdhsa_system_sgpr_workgroup_id_y 0
		.amdhsa_system_sgpr_workgroup_id_z 0
		.amdhsa_system_sgpr_workgroup_info 0
		.amdhsa_system_vgpr_workitem_id 0
		.amdhsa_next_free_vgpr 131
		.amdhsa_next_free_sgpr 20
		.amdhsa_reserve_vcc 1
		.amdhsa_reserve_flat_scratch 0
		.amdhsa_float_round_mode_32 0
		.amdhsa_float_round_mode_16_64 0
		.amdhsa_float_denorm_mode_32 3
		.amdhsa_float_denorm_mode_16_64 3
		.amdhsa_dx10_clamp 1
		.amdhsa_ieee_mode 1
		.amdhsa_fp16_overflow 0
		.amdhsa_workgroup_processor_mode 1
		.amdhsa_memory_ordered 1
		.amdhsa_forward_progress 1
		.amdhsa_shared_vgpr_count 0
		.amdhsa_exception_fp_ieee_invalid_op 0
		.amdhsa_exception_fp_denorm_src 0
		.amdhsa_exception_fp_ieee_div_zero 0
		.amdhsa_exception_fp_ieee_overflow 0
		.amdhsa_exception_fp_ieee_underflow 0
		.amdhsa_exception_fp_ieee_inexact 0
		.amdhsa_exception_int_div_zero 0
	.end_amdhsa_kernel
	.section	.text._ZN9rocsolver6v33100L18getri_kernel_smallILi42EdPKPdEEvT1_iilPiilS6_bb,"axG",@progbits,_ZN9rocsolver6v33100L18getri_kernel_smallILi42EdPKPdEEvT1_iilPiilS6_bb,comdat
.Lfunc_end105:
	.size	_ZN9rocsolver6v33100L18getri_kernel_smallILi42EdPKPdEEvT1_iilPiilS6_bb, .Lfunc_end105-_ZN9rocsolver6v33100L18getri_kernel_smallILi42EdPKPdEEvT1_iilPiilS6_bb
                                        ; -- End function
	.set _ZN9rocsolver6v33100L18getri_kernel_smallILi42EdPKPdEEvT1_iilPiilS6_bb.num_vgpr, 131
	.set _ZN9rocsolver6v33100L18getri_kernel_smallILi42EdPKPdEEvT1_iilPiilS6_bb.num_agpr, 0
	.set _ZN9rocsolver6v33100L18getri_kernel_smallILi42EdPKPdEEvT1_iilPiilS6_bb.numbered_sgpr, 20
	.set _ZN9rocsolver6v33100L18getri_kernel_smallILi42EdPKPdEEvT1_iilPiilS6_bb.num_named_barrier, 0
	.set _ZN9rocsolver6v33100L18getri_kernel_smallILi42EdPKPdEEvT1_iilPiilS6_bb.private_seg_size, 352
	.set _ZN9rocsolver6v33100L18getri_kernel_smallILi42EdPKPdEEvT1_iilPiilS6_bb.uses_vcc, 1
	.set _ZN9rocsolver6v33100L18getri_kernel_smallILi42EdPKPdEEvT1_iilPiilS6_bb.uses_flat_scratch, 0
	.set _ZN9rocsolver6v33100L18getri_kernel_smallILi42EdPKPdEEvT1_iilPiilS6_bb.has_dyn_sized_stack, 0
	.set _ZN9rocsolver6v33100L18getri_kernel_smallILi42EdPKPdEEvT1_iilPiilS6_bb.has_recursion, 0
	.set _ZN9rocsolver6v33100L18getri_kernel_smallILi42EdPKPdEEvT1_iilPiilS6_bb.has_indirect_call, 0
	.section	.AMDGPU.csdata,"",@progbits
; Kernel info:
; codeLenInByte = 52900
; TotalNumSgprs: 22
; NumVgprs: 131
; ScratchSize: 352
; MemoryBound: 1
; FloatMode: 240
; IeeeMode: 1
; LDSByteSize: 680 bytes/workgroup (compile time only)
; SGPRBlocks: 0
; VGPRBlocks: 16
; NumSGPRsForWavesPerEU: 22
; NumVGPRsForWavesPerEU: 131
; Occupancy: 7
; WaveLimiterHint : 1
; COMPUTE_PGM_RSRC2:SCRATCH_EN: 1
; COMPUTE_PGM_RSRC2:USER_SGPR: 6
; COMPUTE_PGM_RSRC2:TRAP_HANDLER: 0
; COMPUTE_PGM_RSRC2:TGID_X_EN: 1
; COMPUTE_PGM_RSRC2:TGID_Y_EN: 0
; COMPUTE_PGM_RSRC2:TGID_Z_EN: 0
; COMPUTE_PGM_RSRC2:TIDIG_COMP_CNT: 0
	.section	.text._ZN9rocsolver6v33100L18getri_kernel_smallILi43EdPKPdEEvT1_iilPiilS6_bb,"axG",@progbits,_ZN9rocsolver6v33100L18getri_kernel_smallILi43EdPKPdEEvT1_iilPiilS6_bb,comdat
	.globl	_ZN9rocsolver6v33100L18getri_kernel_smallILi43EdPKPdEEvT1_iilPiilS6_bb ; -- Begin function _ZN9rocsolver6v33100L18getri_kernel_smallILi43EdPKPdEEvT1_iilPiilS6_bb
	.p2align	8
	.type	_ZN9rocsolver6v33100L18getri_kernel_smallILi43EdPKPdEEvT1_iilPiilS6_bb,@function
_ZN9rocsolver6v33100L18getri_kernel_smallILi43EdPKPdEEvT1_iilPiilS6_bb: ; @_ZN9rocsolver6v33100L18getri_kernel_smallILi43EdPKPdEEvT1_iilPiilS6_bb
; %bb.0:
	s_add_u32 s0, s0, s7
	s_addc_u32 s1, s1, 0
	s_mov_b32 s7, exec_lo
	v_cmpx_gt_u32_e32 43, v0
	s_cbranch_execz .LBB106_182
; %bb.1:
	s_clause 0x2
	s_load_dword s17, s[4:5], 0x38
	s_load_dwordx2 s[12:13], s[4:5], 0x0
	s_load_dwordx4 s[8:11], s[4:5], 0x28
	s_waitcnt lgkmcnt(0)
	s_bitcmp1_b32 s17, 8
	s_cselect_b32 s16, -1, 0
	s_ashr_i32 s7, s6, 31
	s_lshl_b64 s[14:15], s[6:7], 3
	s_add_u32 s12, s12, s14
	s_addc_u32 s13, s13, s15
	s_load_dwordx2 s[14:15], s[12:13], 0x0
	s_bfe_u32 s12, s17, 0x10008
	s_cmp_eq_u32 s12, 0
                                        ; implicit-def: $sgpr12_sgpr13
	s_cbranch_scc1 .LBB106_3
; %bb.2:
	s_clause 0x1
	s_load_dword s12, s[4:5], 0x20
	s_load_dwordx2 s[18:19], s[4:5], 0x18
	s_mul_i32 s13, s8, s7
	s_mul_hi_u32 s17, s8, s6
	s_mul_i32 s9, s9, s6
	s_add_i32 s13, s17, s13
	s_mul_i32 s8, s8, s6
	s_add_i32 s9, s13, s9
	s_lshl_b64 s[8:9], s[8:9], 2
	s_waitcnt lgkmcnt(0)
	s_ashr_i32 s13, s12, 31
	s_add_u32 s17, s18, s8
	s_addc_u32 s18, s19, s9
	s_lshl_b64 s[8:9], s[12:13], 2
	s_add_u32 s12, s17, s8
	s_addc_u32 s13, s18, s9
.LBB106_3:
	s_clause 0x1
	s_load_dwordx2 s[8:9], s[4:5], 0x8
	s_load_dword s17, s[4:5], 0x38
	v_lshlrev_b32_e32 v89, 3, v0
	s_waitcnt lgkmcnt(0)
	s_ashr_i32 s5, s8, 31
	s_mov_b32 s4, s8
	v_add3_u32 v9, s9, s9, v0
	s_lshl_b64 s[4:5], s[4:5], 3
	s_add_u32 s4, s14, s4
	s_addc_u32 s5, s15, s5
	v_add_co_u32 v1, s8, s4, v89
	v_add_co_ci_u32_e64 v2, null, s5, 0, s8
	s_mov_b32 s14, s9
	s_ashr_i32 s15, s9, 31
	v_ashrrev_i32_e32 v10, 31, v9
	flat_load_dwordx2 v[5:6], v[1:2]
	s_lshl_b64 s[14:15], s[14:15], 3
	v_add_nc_u32_e32 v12, s9, v9
	v_add_co_u32 v3, vcc_lo, v1, s14
	v_add_co_ci_u32_e64 v4, null, s15, v2, vcc_lo
	v_ashrrev_i32_e32 v13, 31, v12
	s_bitcmp0_b32 s17, 0
	s_waitcnt vmcnt(0) lgkmcnt(0)
	buffer_store_dword v6, off, s[0:3], 0 offset:4
	buffer_store_dword v5, off, s[0:3], 0
	flat_load_dwordx2 v[7:8], v[3:4]
	v_lshlrev_b64 v[5:6], 3, v[9:10]
	s_waitcnt vmcnt(0) lgkmcnt(0)
	buffer_store_dword v8, off, s[0:3], 0 offset:12
	buffer_store_dword v7, off, s[0:3], 0 offset:8
	v_add_co_u32 v5, vcc_lo, s4, v5
	v_add_co_ci_u32_e64 v6, null, s5, v6, vcc_lo
	v_lshlrev_b64 v[7:8], 3, v[12:13]
	flat_load_dwordx2 v[10:11], v[5:6]
	s_waitcnt vmcnt(0) lgkmcnt(0)
	buffer_store_dword v11, off, s[0:3], 0 offset:20
	buffer_store_dword v10, off, s[0:3], 0 offset:16
	v_add_co_u32 v7, vcc_lo, s4, v7
	v_add_co_ci_u32_e64 v8, null, s5, v8, vcc_lo
	v_add_nc_u32_e32 v11, s9, v12
	flat_load_dwordx2 v[13:14], v[7:8]
	s_waitcnt vmcnt(0) lgkmcnt(0)
	buffer_store_dword v14, off, s[0:3], 0 offset:28
	buffer_store_dword v13, off, s[0:3], 0 offset:24
	v_ashrrev_i32_e32 v12, 31, v11
	v_add_nc_u32_e32 v15, s9, v11
	v_lshlrev_b64 v[9:10], 3, v[11:12]
	v_ashrrev_i32_e32 v16, 31, v15
	v_add_nc_u32_e32 v18, s9, v15
	v_add_co_u32 v9, vcc_lo, s4, v9
	v_add_co_ci_u32_e64 v10, null, s5, v10, vcc_lo
	v_lshlrev_b64 v[11:12], 3, v[15:16]
	v_ashrrev_i32_e32 v19, 31, v18
	flat_load_dwordx2 v[13:14], v[9:10]
	s_waitcnt vmcnt(0) lgkmcnt(0)
	buffer_store_dword v14, off, s[0:3], 0 offset:36
	buffer_store_dword v13, off, s[0:3], 0 offset:32
	v_add_co_u32 v11, vcc_lo, s4, v11
	v_add_co_ci_u32_e64 v12, null, s5, v12, vcc_lo
	v_lshlrev_b64 v[13:14], 3, v[18:19]
	flat_load_dwordx2 v[16:17], v[11:12]
	s_waitcnt vmcnt(0) lgkmcnt(0)
	buffer_store_dword v17, off, s[0:3], 0 offset:44
	buffer_store_dword v16, off, s[0:3], 0 offset:40
	v_add_co_u32 v13, vcc_lo, s4, v13
	v_add_co_ci_u32_e64 v14, null, s5, v14, vcc_lo
	v_add_nc_u32_e32 v17, s9, v18
	flat_load_dwordx2 v[19:20], v[13:14]
	s_waitcnt vmcnt(0) lgkmcnt(0)
	buffer_store_dword v20, off, s[0:3], 0 offset:52
	buffer_store_dword v19, off, s[0:3], 0 offset:48
	v_ashrrev_i32_e32 v18, 31, v17
	v_add_nc_u32_e32 v21, s9, v17
	v_lshlrev_b64 v[15:16], 3, v[17:18]
	v_ashrrev_i32_e32 v22, 31, v21
	v_add_nc_u32_e32 v24, s9, v21
	v_add_co_u32 v15, vcc_lo, s4, v15
	v_add_co_ci_u32_e64 v16, null, s5, v16, vcc_lo
	v_lshlrev_b64 v[17:18], 3, v[21:22]
	v_ashrrev_i32_e32 v25, 31, v24
	flat_load_dwordx2 v[19:20], v[15:16]
	;; [unrolled: 27-line block ×12, first 2 shown]
	s_waitcnt vmcnt(0) lgkmcnt(0)
	buffer_store_dword v80, off, s[0:3], 0 offset:300
	buffer_store_dword v79, off, s[0:3], 0 offset:296
	v_add_co_u32 v77, vcc_lo, s4, v77
	v_add_co_ci_u32_e64 v78, null, s5, v78, vcc_lo
	v_lshlrev_b64 v[79:80], 3, v[84:85]
	flat_load_dwordx2 v[82:83], v[77:78]
	s_waitcnt vmcnt(0) lgkmcnt(0)
	buffer_store_dword v83, off, s[0:3], 0 offset:308
	buffer_store_dword v82, off, s[0:3], 0 offset:304
	v_add_co_u32 v79, vcc_lo, s4, v79
	v_add_co_ci_u32_e64 v80, null, s5, v80, vcc_lo
	v_add_nc_u32_e32 v83, s9, v84
	flat_load_dwordx2 v[85:86], v[79:80]
	s_waitcnt vmcnt(0) lgkmcnt(0)
	buffer_store_dword v86, off, s[0:3], 0 offset:316
	buffer_store_dword v85, off, s[0:3], 0 offset:312
	v_ashrrev_i32_e32 v84, 31, v83
	v_add_nc_u32_e32 v87, s9, v83
	v_lshlrev_b64 v[81:82], 3, v[83:84]
	v_ashrrev_i32_e32 v88, 31, v87
	v_add_co_u32 v81, vcc_lo, s4, v81
	v_add_co_ci_u32_e64 v82, null, s5, v82, vcc_lo
	v_lshlrev_b64 v[83:84], 3, v[87:88]
	flat_load_dwordx2 v[85:86], v[81:82]
	s_waitcnt vmcnt(0) lgkmcnt(0)
	buffer_store_dword v86, off, s[0:3], 0 offset:324
	buffer_store_dword v85, off, s[0:3], 0 offset:320
	v_add_co_u32 v83, vcc_lo, s4, v83
	v_add_co_ci_u32_e64 v84, null, s5, v84, vcc_lo
	v_add_nc_u32_e32 v85, s9, v87
	flat_load_dwordx2 v[90:91], v[83:84]
	s_waitcnt vmcnt(0) lgkmcnt(0)
	buffer_store_dword v91, off, s[0:3], 0 offset:332
	buffer_store_dword v90, off, s[0:3], 0 offset:328
	v_ashrrev_i32_e32 v86, 31, v85
	v_lshlrev_b64 v[85:86], 3, v[85:86]
	v_add_co_u32 v85, vcc_lo, s4, v85
	v_add_co_ci_u32_e64 v86, null, s5, v86, vcc_lo
	s_mov_b32 s5, -1
	flat_load_dwordx2 v[87:88], v[85:86]
	s_waitcnt vmcnt(0) lgkmcnt(0)
	buffer_store_dword v88, off, s[0:3], 0 offset:340
	buffer_store_dword v87, off, s[0:3], 0 offset:336
	s_cbranch_scc1 .LBB106_180
; %bb.4:
	v_cmp_eq_u32_e64 s4, 0, v0
	s_and_saveexec_b32 s5, s4
; %bb.5:
	v_mov_b32_e32 v87, 0
	ds_write_b32 v87, v87 offset:344
; %bb.6:
	s_or_b32 exec_lo, exec_lo, s5
	v_lshl_add_u32 v87, v0, 3, 0
	s_waitcnt lgkmcnt(0)
	s_waitcnt_vscnt null, 0x0
	s_barrier
	buffer_gl0_inv
	s_mov_b32 s8, exec_lo
	s_clause 0x1
	buffer_load_dword v90, v87, s[0:3], 0 offen
	buffer_load_dword v91, v87, s[0:3], 0 offen offset:4
	s_waitcnt vmcnt(0)
	v_cmpx_eq_f64_e32 0, v[90:91]
	s_cbranch_execz .LBB106_10
; %bb.7:
	v_mov_b32_e32 v88, 0
	s_mov_b32 s9, 0
	ds_read_b32 v90, v88 offset:344
	s_waitcnt lgkmcnt(0)
	v_readfirstlane_b32 s5, v90
	v_add_nc_u32_e32 v90, 1, v0
	s_cmp_eq_u32 s5, 0
	v_cmp_gt_i32_e32 vcc_lo, s5, v90
	s_cselect_b32 s14, -1, 0
	s_or_b32 s14, s14, vcc_lo
	s_and_b32 exec_lo, exec_lo, s14
	s_cbranch_execz .LBB106_10
; %bb.8:
	v_mov_b32_e32 v91, s5
.LBB106_9:                              ; =>This Inner Loop Header: Depth=1
	ds_cmpst_rtn_b32 v91, v88, v91, v90 offset:344
	s_waitcnt lgkmcnt(0)
	v_cmp_ne_u32_e32 vcc_lo, 0, v91
	v_cmp_le_i32_e64 s5, v91, v90
	s_and_b32 s5, vcc_lo, s5
	s_and_b32 s5, exec_lo, s5
	s_or_b32 s9, s5, s9
	s_andn2_b32 exec_lo, exec_lo, s9
	s_cbranch_execnz .LBB106_9
.LBB106_10:
	s_or_b32 exec_lo, exec_lo, s8
	v_mov_b32_e32 v88, 0
	s_barrier
	buffer_gl0_inv
	ds_read_b32 v90, v88 offset:344
	s_and_saveexec_b32 s5, s4
	s_cbranch_execz .LBB106_12
; %bb.11:
	s_lshl_b64 s[8:9], s[6:7], 2
	s_add_u32 s8, s10, s8
	s_addc_u32 s9, s11, s9
	s_waitcnt lgkmcnt(0)
	global_store_dword v88, v90, s[8:9]
.LBB106_12:
	s_or_b32 exec_lo, exec_lo, s5
	s_waitcnt lgkmcnt(0)
	v_cmp_ne_u32_e32 vcc_lo, 0, v90
	s_mov_b32 s5, 0
	s_cbranch_vccnz .LBB106_180
; %bb.13:
	s_clause 0x1
	buffer_load_dword v90, v87, s[0:3], 0 offen
	buffer_load_dword v91, v87, s[0:3], 0 offen offset:4
	s_waitcnt vmcnt(0)
	v_div_scale_f64 v[92:93], null, v[90:91], v[90:91], 1.0
	v_div_scale_f64 v[98:99], vcc_lo, 1.0, v[90:91], 1.0
	v_rcp_f64_e32 v[94:95], v[92:93]
	v_fma_f64 v[96:97], -v[92:93], v[94:95], 1.0
	v_fma_f64 v[94:95], v[94:95], v[96:97], v[94:95]
	v_fma_f64 v[96:97], -v[92:93], v[94:95], 1.0
	v_fma_f64 v[94:95], v[94:95], v[96:97], v[94:95]
	v_mul_f64 v[96:97], v[98:99], v[94:95]
	v_fma_f64 v[92:93], -v[92:93], v[96:97], v[98:99]
	v_div_fmas_f64 v[92:93], v[92:93], v[94:95], v[96:97]
	v_div_fixup_f64 v[91:92], v[92:93], v[90:91], 1.0
	v_add_nc_u32_e32 v90, 0x160, v89
	buffer_store_dword v92, v87, s[0:3], 0 offen offset:4
	buffer_store_dword v91, v87, s[0:3], 0 offen
	s_clause 0x1
	buffer_load_dword v94, off, s[0:3], 0 offset:12
	buffer_load_dword v93, off, s[0:3], 0 offset:8
	v_xor_b32_e32 v92, 0x80000000, v92
	s_waitcnt vmcnt(0)
	ds_write2_b64 v89, v[91:92], v[93:94] offset1:44
	s_waitcnt lgkmcnt(0)
	s_waitcnt_vscnt null, 0x0
	s_barrier
	buffer_gl0_inv
	s_and_saveexec_b32 s5, s4
	s_cbranch_execz .LBB106_15
; %bb.14:
	s_clause 0x1
	buffer_load_dword v91, v87, s[0:3], 0 offen
	buffer_load_dword v92, v87, s[0:3], 0 offen offset:4
	ds_read_b64 v[93:94], v90
	v_mov_b32_e32 v88, 0
	ds_read_b64 v[95:96], v88 offset:8
	s_waitcnt vmcnt(0) lgkmcnt(1)
	v_fma_f64 v[91:92], v[91:92], v[93:94], 0
	s_waitcnt lgkmcnt(0)
	v_mul_f64 v[91:92], v[91:92], v[95:96]
	buffer_store_dword v91, off, s[0:3], 0 offset:8
	buffer_store_dword v92, off, s[0:3], 0 offset:12
.LBB106_15:
	s_or_b32 exec_lo, exec_lo, s5
	s_waitcnt_vscnt null, 0x0
	s_barrier
	buffer_gl0_inv
	s_clause 0x1
	buffer_load_dword v91, off, s[0:3], 0 offset:16
	buffer_load_dword v92, off, s[0:3], 0 offset:20
	s_mov_b32 s5, exec_lo
	s_waitcnt vmcnt(0)
	ds_write_b64 v90, v[91:92]
	s_waitcnt lgkmcnt(0)
	s_barrier
	buffer_gl0_inv
	v_cmpx_gt_u32_e32 2, v0
	s_cbranch_execz .LBB106_19
; %bb.16:
	s_clause 0x1
	buffer_load_dword v91, v87, s[0:3], 0 offen
	buffer_load_dword v92, v87, s[0:3], 0 offen offset:4
	ds_read_b64 v[87:88], v90
	s_waitcnt vmcnt(0) lgkmcnt(0)
	v_fma_f64 v[87:88], v[91:92], v[87:88], 0
	s_and_saveexec_b32 s8, s4
	s_cbranch_execz .LBB106_18
; %bb.17:
	s_clause 0x1
	buffer_load_dword v91, off, s[0:3], 0 offset:8
	buffer_load_dword v92, off, s[0:3], 0 offset:12
	v_mov_b32_e32 v93, 0
	ds_read_b64 v[93:94], v93 offset:360
	s_waitcnt vmcnt(0) lgkmcnt(0)
	v_fma_f64 v[87:88], v[91:92], v[93:94], v[87:88]
.LBB106_18:
	s_or_b32 exec_lo, exec_lo, s8
	v_mov_b32_e32 v91, 0
	ds_read_b64 v[91:92], v91 offset:16
	s_waitcnt lgkmcnt(0)
	v_mul_f64 v[87:88], v[87:88], v[91:92]
	buffer_store_dword v88, off, s[0:3], 0 offset:20
	buffer_store_dword v87, off, s[0:3], 0 offset:16
.LBB106_19:
	s_or_b32 exec_lo, exec_lo, s5
	s_waitcnt_vscnt null, 0x0
	s_barrier
	buffer_gl0_inv
	s_clause 0x1
	buffer_load_dword v87, off, s[0:3], 0 offset:24
	buffer_load_dword v88, off, s[0:3], 0 offset:28
	v_add_nc_u32_e32 v91, -1, v0
	s_mov_b32 s4, exec_lo
	s_waitcnt vmcnt(0)
	ds_write_b64 v90, v[87:88]
	s_waitcnt lgkmcnt(0)
	s_barrier
	buffer_gl0_inv
	v_cmpx_gt_u32_e32 3, v0
	s_cbranch_execz .LBB106_23
; %bb.20:
	v_mov_b32_e32 v87, 0
	v_add_nc_u32_e32 v92, -1, v0
	v_add_nc_u32_e32 v93, 0x160, v89
	v_mov_b32_e32 v88, 0
	v_mov_b32_e32 v94, v89
	s_mov_b32 s5, 0
.LBB106_21:                             ; =>This Inner Loop Header: Depth=1
	s_clause 0x1
	buffer_load_dword v95, v94, s[0:3], 0 offen
	buffer_load_dword v96, v94, s[0:3], 0 offen offset:4
	ds_read_b64 v[97:98], v93
	v_add_nc_u32_e32 v92, 1, v92
	v_add_nc_u32_e32 v93, 8, v93
	v_add_nc_u32_e32 v94, 8, v94
	v_cmp_lt_u32_e32 vcc_lo, 1, v92
	s_or_b32 s5, vcc_lo, s5
	s_waitcnt vmcnt(0) lgkmcnt(0)
	v_fma_f64 v[87:88], v[95:96], v[97:98], v[87:88]
	s_andn2_b32 exec_lo, exec_lo, s5
	s_cbranch_execnz .LBB106_21
; %bb.22:
	s_or_b32 exec_lo, exec_lo, s5
	v_mov_b32_e32 v92, 0
	ds_read_b64 v[92:93], v92 offset:24
	s_waitcnt lgkmcnt(0)
	v_mul_f64 v[87:88], v[87:88], v[92:93]
	buffer_store_dword v88, off, s[0:3], 0 offset:28
	buffer_store_dword v87, off, s[0:3], 0 offset:24
.LBB106_23:
	s_or_b32 exec_lo, exec_lo, s4
	s_waitcnt_vscnt null, 0x0
	s_barrier
	buffer_gl0_inv
	s_clause 0x1
	buffer_load_dword v87, off, s[0:3], 0 offset:32
	buffer_load_dword v88, off, s[0:3], 0 offset:36
	s_mov_b32 s4, exec_lo
	s_waitcnt vmcnt(0)
	ds_write_b64 v90, v[87:88]
	s_waitcnt lgkmcnt(0)
	s_barrier
	buffer_gl0_inv
	v_cmpx_gt_u32_e32 4, v0
	s_cbranch_execz .LBB106_27
; %bb.24:
	v_mov_b32_e32 v87, 0
	v_add_nc_u32_e32 v92, -1, v0
	v_add_nc_u32_e32 v93, 0x160, v89
	v_mov_b32_e32 v88, 0
	v_mov_b32_e32 v94, v89
	s_mov_b32 s5, 0
.LBB106_25:                             ; =>This Inner Loop Header: Depth=1
	s_clause 0x1
	buffer_load_dword v95, v94, s[0:3], 0 offen
	buffer_load_dword v96, v94, s[0:3], 0 offen offset:4
	ds_read_b64 v[97:98], v93
	v_add_nc_u32_e32 v92, 1, v92
	v_add_nc_u32_e32 v93, 8, v93
	v_add_nc_u32_e32 v94, 8, v94
	v_cmp_lt_u32_e32 vcc_lo, 2, v92
	s_or_b32 s5, vcc_lo, s5
	s_waitcnt vmcnt(0) lgkmcnt(0)
	v_fma_f64 v[87:88], v[95:96], v[97:98], v[87:88]
	s_andn2_b32 exec_lo, exec_lo, s5
	s_cbranch_execnz .LBB106_25
; %bb.26:
	s_or_b32 exec_lo, exec_lo, s5
	v_mov_b32_e32 v92, 0
	ds_read_b64 v[92:93], v92 offset:32
	s_waitcnt lgkmcnt(0)
	v_mul_f64 v[87:88], v[87:88], v[92:93]
	buffer_store_dword v88, off, s[0:3], 0 offset:36
	buffer_store_dword v87, off, s[0:3], 0 offset:32
.LBB106_27:
	s_or_b32 exec_lo, exec_lo, s4
	s_waitcnt_vscnt null, 0x0
	s_barrier
	buffer_gl0_inv
	s_clause 0x1
	buffer_load_dword v87, off, s[0:3], 0 offset:40
	buffer_load_dword v88, off, s[0:3], 0 offset:44
	;; [unrolled: 45-line block ×20, first 2 shown]
	s_mov_b32 s4, exec_lo
	s_waitcnt vmcnt(0)
	ds_write_b64 v90, v[87:88]
	s_waitcnt lgkmcnt(0)
	s_barrier
	buffer_gl0_inv
	v_cmpx_gt_u32_e32 23, v0
	s_cbranch_execz .LBB106_103
; %bb.100:
	v_mov_b32_e32 v87, 0
	v_add_nc_u32_e32 v92, -1, v0
	v_add_nc_u32_e32 v93, 0x160, v89
	v_mov_b32_e32 v88, 0
	v_mov_b32_e32 v94, v89
	s_mov_b32 s5, 0
.LBB106_101:                            ; =>This Inner Loop Header: Depth=1
	s_clause 0x1
	buffer_load_dword v95, v94, s[0:3], 0 offen
	buffer_load_dword v96, v94, s[0:3], 0 offen offset:4
	ds_read_b64 v[97:98], v93
	v_add_nc_u32_e32 v92, 1, v92
	v_add_nc_u32_e32 v93, 8, v93
	v_add_nc_u32_e32 v94, 8, v94
	v_cmp_lt_u32_e32 vcc_lo, 21, v92
	s_or_b32 s5, vcc_lo, s5
	s_waitcnt vmcnt(0) lgkmcnt(0)
	v_fma_f64 v[87:88], v[95:96], v[97:98], v[87:88]
	s_andn2_b32 exec_lo, exec_lo, s5
	s_cbranch_execnz .LBB106_101
; %bb.102:
	s_or_b32 exec_lo, exec_lo, s5
	v_mov_b32_e32 v92, 0
	ds_read_b64 v[92:93], v92 offset:184
	s_waitcnt lgkmcnt(0)
	v_mul_f64 v[87:88], v[87:88], v[92:93]
	buffer_store_dword v88, off, s[0:3], 0 offset:188
	buffer_store_dword v87, off, s[0:3], 0 offset:184
.LBB106_103:
	s_or_b32 exec_lo, exec_lo, s4
	s_waitcnt_vscnt null, 0x0
	s_barrier
	buffer_gl0_inv
	s_clause 0x1
	buffer_load_dword v87, off, s[0:3], 0 offset:192
	buffer_load_dword v88, off, s[0:3], 0 offset:196
	s_mov_b32 s4, exec_lo
	s_waitcnt vmcnt(0)
	ds_write_b64 v90, v[87:88]
	s_waitcnt lgkmcnt(0)
	s_barrier
	buffer_gl0_inv
	v_cmpx_gt_u32_e32 24, v0
	s_cbranch_execz .LBB106_107
; %bb.104:
	v_mov_b32_e32 v87, 0
	v_add_nc_u32_e32 v92, -1, v0
	v_add_nc_u32_e32 v93, 0x160, v89
	v_mov_b32_e32 v88, 0
	v_mov_b32_e32 v94, v89
	s_mov_b32 s5, 0
.LBB106_105:                            ; =>This Inner Loop Header: Depth=1
	s_clause 0x1
	buffer_load_dword v95, v94, s[0:3], 0 offen
	buffer_load_dword v96, v94, s[0:3], 0 offen offset:4
	ds_read_b64 v[97:98], v93
	v_add_nc_u32_e32 v92, 1, v92
	v_add_nc_u32_e32 v93, 8, v93
	v_add_nc_u32_e32 v94, 8, v94
	v_cmp_lt_u32_e32 vcc_lo, 22, v92
	s_or_b32 s5, vcc_lo, s5
	s_waitcnt vmcnt(0) lgkmcnt(0)
	v_fma_f64 v[87:88], v[95:96], v[97:98], v[87:88]
	s_andn2_b32 exec_lo, exec_lo, s5
	s_cbranch_execnz .LBB106_105
; %bb.106:
	s_or_b32 exec_lo, exec_lo, s5
	v_mov_b32_e32 v92, 0
	ds_read_b64 v[92:93], v92 offset:192
	s_waitcnt lgkmcnt(0)
	v_mul_f64 v[87:88], v[87:88], v[92:93]
	buffer_store_dword v88, off, s[0:3], 0 offset:196
	buffer_store_dword v87, off, s[0:3], 0 offset:192
.LBB106_107:
	s_or_b32 exec_lo, exec_lo, s4
	s_waitcnt_vscnt null, 0x0
	s_barrier
	buffer_gl0_inv
	s_clause 0x1
	buffer_load_dword v87, off, s[0:3], 0 offset:200
	buffer_load_dword v88, off, s[0:3], 0 offset:204
	;; [unrolled: 45-line block ×19, first 2 shown]
	s_mov_b32 s4, exec_lo
	s_waitcnt vmcnt(0)
	ds_write_b64 v90, v[87:88]
	s_waitcnt lgkmcnt(0)
	s_barrier
	buffer_gl0_inv
	v_cmpx_ne_u32_e32 42, v0
	s_cbranch_execz .LBB106_179
; %bb.176:
	v_mov_b32_e32 v87, 0
	v_mov_b32_e32 v88, 0
	s_mov_b32 s5, 0
.LBB106_177:                            ; =>This Inner Loop Header: Depth=1
	s_clause 0x1
	buffer_load_dword v92, v89, s[0:3], 0 offen
	buffer_load_dword v93, v89, s[0:3], 0 offen offset:4
	ds_read_b64 v[94:95], v90
	v_add_nc_u32_e32 v91, 1, v91
	v_add_nc_u32_e32 v90, 8, v90
	;; [unrolled: 1-line block ×3, first 2 shown]
	v_cmp_lt_u32_e32 vcc_lo, 40, v91
	s_or_b32 s5, vcc_lo, s5
	s_waitcnt vmcnt(0) lgkmcnt(0)
	v_fma_f64 v[87:88], v[92:93], v[94:95], v[87:88]
	s_andn2_b32 exec_lo, exec_lo, s5
	s_cbranch_execnz .LBB106_177
; %bb.178:
	s_or_b32 exec_lo, exec_lo, s5
	v_mov_b32_e32 v89, 0
	ds_read_b64 v[89:90], v89 offset:336
	s_waitcnt lgkmcnt(0)
	v_mul_f64 v[87:88], v[87:88], v[89:90]
	buffer_store_dword v88, off, s[0:3], 0 offset:340
	buffer_store_dword v87, off, s[0:3], 0 offset:336
.LBB106_179:
	s_or_b32 exec_lo, exec_lo, s4
	s_mov_b32 s5, -1
	s_waitcnt_vscnt null, 0x0
	s_barrier
	buffer_gl0_inv
.LBB106_180:
	s_and_b32 vcc_lo, exec_lo, s5
	s_cbranch_vccz .LBB106_182
; %bb.181:
	s_lshl_b64 s[4:5], s[6:7], 2
	v_mov_b32_e32 v87, 0
	s_add_u32 s4, s10, s4
	s_addc_u32 s5, s11, s5
	global_load_dword v87, v87, s[4:5]
	s_waitcnt vmcnt(0)
	v_cmp_ne_u32_e32 vcc_lo, 0, v87
	s_cbranch_vccz .LBB106_183
.LBB106_182:
	s_endpgm
.LBB106_183:
	v_lshl_add_u32 v87, v0, 3, 0x160
	s_mov_b32 s4, exec_lo
	v_cmpx_eq_u32_e32 42, v0
	s_cbranch_execz .LBB106_185
; %bb.184:
	s_clause 0x1
	buffer_load_dword v88, off, s[0:3], 0 offset:328
	buffer_load_dword v89, off, s[0:3], 0 offset:332
	v_mov_b32_e32 v90, 0
	buffer_store_dword v90, off, s[0:3], 0 offset:328
	buffer_store_dword v90, off, s[0:3], 0 offset:332
	s_waitcnt vmcnt(0)
	ds_write_b64 v87, v[88:89]
.LBB106_185:
	s_or_b32 exec_lo, exec_lo, s4
	s_waitcnt lgkmcnt(0)
	s_waitcnt_vscnt null, 0x0
	s_barrier
	buffer_gl0_inv
	s_clause 0x3
	buffer_load_dword v89, off, s[0:3], 0 offset:336
	buffer_load_dword v90, off, s[0:3], 0 offset:340
	;; [unrolled: 1-line block ×4, first 2 shown]
	v_mov_b32_e32 v88, 0
	s_mov_b32 s4, exec_lo
	ds_read_b64 v[93:94], v88 offset:688
	s_waitcnt vmcnt(2) lgkmcnt(0)
	v_fma_f64 v[89:90], v[89:90], v[93:94], 0
	s_waitcnt vmcnt(0)
	v_add_f64 v[89:90], v[91:92], -v[89:90]
	buffer_store_dword v89, off, s[0:3], 0 offset:328
	buffer_store_dword v90, off, s[0:3], 0 offset:332
	v_cmpx_lt_u32_e32 40, v0
	s_cbranch_execz .LBB106_187
; %bb.186:
	s_clause 0x1
	buffer_load_dword v89, off, s[0:3], 0 offset:320
	buffer_load_dword v90, off, s[0:3], 0 offset:324
	buffer_store_dword v88, off, s[0:3], 0 offset:320
	buffer_store_dword v88, off, s[0:3], 0 offset:324
	s_waitcnt vmcnt(0)
	ds_write_b64 v87, v[89:90]
.LBB106_187:
	s_or_b32 exec_lo, exec_lo, s4
	s_waitcnt lgkmcnt(0)
	s_waitcnt_vscnt null, 0x0
	s_barrier
	buffer_gl0_inv
	s_clause 0x5
	buffer_load_dword v92, off, s[0:3], 0 offset:328
	buffer_load_dword v93, off, s[0:3], 0 offset:332
	buffer_load_dword v94, off, s[0:3], 0 offset:336
	buffer_load_dword v95, off, s[0:3], 0 offset:340
	buffer_load_dword v96, off, s[0:3], 0 offset:320
	buffer_load_dword v97, off, s[0:3], 0 offset:324
	ds_read2_b64 v[88:91], v88 offset0:85 offset1:86
	s_mov_b32 s4, exec_lo
	s_waitcnt vmcnt(4) lgkmcnt(0)
	v_fma_f64 v[88:89], v[92:93], v[88:89], 0
	s_waitcnt vmcnt(2)
	v_fma_f64 v[88:89], v[94:95], v[90:91], v[88:89]
	s_waitcnt vmcnt(0)
	v_add_f64 v[88:89], v[96:97], -v[88:89]
	buffer_store_dword v88, off, s[0:3], 0 offset:320
	buffer_store_dword v89, off, s[0:3], 0 offset:324
	v_cmpx_lt_u32_e32 39, v0
	s_cbranch_execz .LBB106_189
; %bb.188:
	s_clause 0x1
	buffer_load_dword v88, off, s[0:3], 0 offset:312
	buffer_load_dword v89, off, s[0:3], 0 offset:316
	v_mov_b32_e32 v90, 0
	buffer_store_dword v90, off, s[0:3], 0 offset:312
	buffer_store_dword v90, off, s[0:3], 0 offset:316
	s_waitcnt vmcnt(0)
	ds_write_b64 v87, v[88:89]
.LBB106_189:
	s_or_b32 exec_lo, exec_lo, s4
	s_waitcnt lgkmcnt(0)
	s_waitcnt_vscnt null, 0x0
	s_barrier
	buffer_gl0_inv
	s_clause 0x7
	buffer_load_dword v93, off, s[0:3], 0 offset:320
	buffer_load_dword v94, off, s[0:3], 0 offset:324
	;; [unrolled: 1-line block ×8, first 2 shown]
	v_mov_b32_e32 v88, 0
	ds_read_b128 v[89:92], v88 offset:672
	ds_read_b64 v[101:102], v88 offset:688
	s_mov_b32 s4, exec_lo
	s_waitcnt vmcnt(6) lgkmcnt(1)
	v_fma_f64 v[89:90], v[93:94], v[89:90], 0
	s_waitcnt vmcnt(4)
	v_fma_f64 v[89:90], v[95:96], v[91:92], v[89:90]
	s_waitcnt vmcnt(2) lgkmcnt(0)
	v_fma_f64 v[89:90], v[97:98], v[101:102], v[89:90]
	s_waitcnt vmcnt(0)
	v_add_f64 v[89:90], v[99:100], -v[89:90]
	buffer_store_dword v89, off, s[0:3], 0 offset:312
	buffer_store_dword v90, off, s[0:3], 0 offset:316
	v_cmpx_lt_u32_e32 38, v0
	s_cbranch_execz .LBB106_191
; %bb.190:
	s_clause 0x1
	buffer_load_dword v89, off, s[0:3], 0 offset:304
	buffer_load_dword v90, off, s[0:3], 0 offset:308
	buffer_store_dword v88, off, s[0:3], 0 offset:304
	buffer_store_dword v88, off, s[0:3], 0 offset:308
	s_waitcnt vmcnt(0)
	ds_write_b64 v87, v[89:90]
.LBB106_191:
	s_or_b32 exec_lo, exec_lo, s4
	s_waitcnt lgkmcnt(0)
	s_waitcnt_vscnt null, 0x0
	s_barrier
	buffer_gl0_inv
	s_clause 0x9
	buffer_load_dword v97, off, s[0:3], 0 offset:312
	buffer_load_dword v98, off, s[0:3], 0 offset:316
	;; [unrolled: 1-line block ×10, first 2 shown]
	ds_read2_b64 v[89:92], v88 offset0:83 offset1:84
	ds_read2_b64 v[93:96], v88 offset0:85 offset1:86
	s_mov_b32 s4, exec_lo
	s_waitcnt vmcnt(8) lgkmcnt(1)
	v_fma_f64 v[88:89], v[97:98], v[89:90], 0
	s_waitcnt vmcnt(6)
	v_fma_f64 v[88:89], v[99:100], v[91:92], v[88:89]
	s_waitcnt vmcnt(4) lgkmcnt(0)
	v_fma_f64 v[88:89], v[101:102], v[93:94], v[88:89]
	s_waitcnt vmcnt(2)
	v_fma_f64 v[88:89], v[103:104], v[95:96], v[88:89]
	s_waitcnt vmcnt(0)
	v_add_f64 v[88:89], v[105:106], -v[88:89]
	buffer_store_dword v88, off, s[0:3], 0 offset:304
	buffer_store_dword v89, off, s[0:3], 0 offset:308
	v_cmpx_lt_u32_e32 37, v0
	s_cbranch_execz .LBB106_193
; %bb.192:
	s_clause 0x1
	buffer_load_dword v88, off, s[0:3], 0 offset:296
	buffer_load_dword v89, off, s[0:3], 0 offset:300
	v_mov_b32_e32 v90, 0
	buffer_store_dword v90, off, s[0:3], 0 offset:296
	buffer_store_dword v90, off, s[0:3], 0 offset:300
	s_waitcnt vmcnt(0)
	ds_write_b64 v87, v[88:89]
.LBB106_193:
	s_or_b32 exec_lo, exec_lo, s4
	s_waitcnt lgkmcnt(0)
	s_waitcnt_vscnt null, 0x0
	s_barrier
	buffer_gl0_inv
	s_clause 0xb
	buffer_load_dword v97, off, s[0:3], 0 offset:304
	buffer_load_dword v98, off, s[0:3], 0 offset:308
	;; [unrolled: 1-line block ×12, first 2 shown]
	v_mov_b32_e32 v88, 0
	ds_read_b128 v[89:92], v88 offset:656
	ds_read_b128 v[93:96], v88 offset:672
	s_mov_b32 s4, exec_lo
	s_waitcnt vmcnt(10) lgkmcnt(1)
	v_fma_f64 v[89:90], v[97:98], v[89:90], 0
	s_waitcnt vmcnt(8)
	v_fma_f64 v[89:90], v[99:100], v[91:92], v[89:90]
	ds_read_b64 v[91:92], v88 offset:688
	s_waitcnt vmcnt(6) lgkmcnt(1)
	v_fma_f64 v[89:90], v[101:102], v[93:94], v[89:90]
	s_waitcnt vmcnt(4)
	v_fma_f64 v[89:90], v[103:104], v[95:96], v[89:90]
	s_waitcnt vmcnt(2) lgkmcnt(0)
	v_fma_f64 v[89:90], v[105:106], v[91:92], v[89:90]
	s_waitcnt vmcnt(0)
	v_add_f64 v[89:90], v[107:108], -v[89:90]
	buffer_store_dword v89, off, s[0:3], 0 offset:296
	buffer_store_dword v90, off, s[0:3], 0 offset:300
	v_cmpx_lt_u32_e32 36, v0
	s_cbranch_execz .LBB106_195
; %bb.194:
	s_clause 0x1
	buffer_load_dword v89, off, s[0:3], 0 offset:288
	buffer_load_dword v90, off, s[0:3], 0 offset:292
	buffer_store_dword v88, off, s[0:3], 0 offset:288
	buffer_store_dword v88, off, s[0:3], 0 offset:292
	s_waitcnt vmcnt(0)
	ds_write_b64 v87, v[89:90]
.LBB106_195:
	s_or_b32 exec_lo, exec_lo, s4
	s_waitcnt lgkmcnt(0)
	s_waitcnt_vscnt null, 0x0
	s_barrier
	buffer_gl0_inv
	s_clause 0xd
	buffer_load_dword v97, off, s[0:3], 0 offset:296
	buffer_load_dword v98, off, s[0:3], 0 offset:300
	;; [unrolled: 1-line block ×14, first 2 shown]
	ds_read2_b64 v[89:92], v88 offset0:81 offset1:82
	ds_read2_b64 v[93:96], v88 offset0:83 offset1:84
	s_mov_b32 s4, exec_lo
	s_waitcnt vmcnt(12) lgkmcnt(1)
	v_fma_f64 v[89:90], v[97:98], v[89:90], 0
	s_waitcnt vmcnt(10)
	v_fma_f64 v[89:90], v[99:100], v[91:92], v[89:90]
	s_waitcnt vmcnt(8) lgkmcnt(0)
	v_fma_f64 v[89:90], v[101:102], v[93:94], v[89:90]
	s_waitcnt vmcnt(6)
	v_fma_f64 v[92:93], v[103:104], v[95:96], v[89:90]
	ds_read2_b64 v[88:91], v88 offset0:85 offset1:86
	s_waitcnt vmcnt(4) lgkmcnt(0)
	v_fma_f64 v[88:89], v[105:106], v[88:89], v[92:93]
	s_waitcnt vmcnt(2)
	v_fma_f64 v[88:89], v[107:108], v[90:91], v[88:89]
	s_waitcnt vmcnt(0)
	v_add_f64 v[88:89], v[109:110], -v[88:89]
	buffer_store_dword v88, off, s[0:3], 0 offset:288
	buffer_store_dword v89, off, s[0:3], 0 offset:292
	v_cmpx_lt_u32_e32 35, v0
	s_cbranch_execz .LBB106_197
; %bb.196:
	s_clause 0x1
	buffer_load_dword v88, off, s[0:3], 0 offset:280
	buffer_load_dword v89, off, s[0:3], 0 offset:284
	v_mov_b32_e32 v90, 0
	buffer_store_dword v90, off, s[0:3], 0 offset:280
	buffer_store_dword v90, off, s[0:3], 0 offset:284
	s_waitcnt vmcnt(0)
	ds_write_b64 v87, v[88:89]
.LBB106_197:
	s_or_b32 exec_lo, exec_lo, s4
	s_waitcnt lgkmcnt(0)
	s_waitcnt_vscnt null, 0x0
	s_barrier
	buffer_gl0_inv
	s_clause 0xf
	buffer_load_dword v97, off, s[0:3], 0 offset:288
	buffer_load_dword v98, off, s[0:3], 0 offset:292
	;; [unrolled: 1-line block ×16, first 2 shown]
	v_mov_b32_e32 v88, 0
	ds_read_b128 v[89:92], v88 offset:640
	ds_read_b128 v[93:96], v88 offset:656
	s_mov_b32 s4, exec_lo
	s_waitcnt vmcnt(14) lgkmcnt(1)
	v_fma_f64 v[89:90], v[97:98], v[89:90], 0
	s_waitcnt vmcnt(12)
	v_fma_f64 v[89:90], v[99:100], v[91:92], v[89:90]
	s_waitcnt vmcnt(10) lgkmcnt(0)
	v_fma_f64 v[89:90], v[101:102], v[93:94], v[89:90]
	s_waitcnt vmcnt(8)
	v_fma_f64 v[93:94], v[103:104], v[95:96], v[89:90]
	ds_read_b128 v[89:92], v88 offset:672
	ds_read_b64 v[95:96], v88 offset:688
	s_waitcnt vmcnt(6) lgkmcnt(1)
	v_fma_f64 v[89:90], v[105:106], v[89:90], v[93:94]
	s_waitcnt vmcnt(4)
	v_fma_f64 v[89:90], v[107:108], v[91:92], v[89:90]
	s_waitcnt vmcnt(2) lgkmcnt(0)
	v_fma_f64 v[89:90], v[109:110], v[95:96], v[89:90]
	s_waitcnt vmcnt(0)
	v_add_f64 v[89:90], v[111:112], -v[89:90]
	buffer_store_dword v89, off, s[0:3], 0 offset:280
	buffer_store_dword v90, off, s[0:3], 0 offset:284
	v_cmpx_lt_u32_e32 34, v0
	s_cbranch_execz .LBB106_199
; %bb.198:
	s_clause 0x1
	buffer_load_dword v89, off, s[0:3], 0 offset:272
	buffer_load_dword v90, off, s[0:3], 0 offset:276
	buffer_store_dword v88, off, s[0:3], 0 offset:272
	buffer_store_dword v88, off, s[0:3], 0 offset:276
	s_waitcnt vmcnt(0)
	ds_write_b64 v87, v[89:90]
.LBB106_199:
	s_or_b32 exec_lo, exec_lo, s4
	s_waitcnt lgkmcnt(0)
	s_waitcnt_vscnt null, 0x0
	s_barrier
	buffer_gl0_inv
	s_clause 0x11
	buffer_load_dword v97, off, s[0:3], 0 offset:280
	buffer_load_dword v98, off, s[0:3], 0 offset:284
	;; [unrolled: 1-line block ×18, first 2 shown]
	ds_read2_b64 v[89:92], v88 offset0:79 offset1:80
	ds_read2_b64 v[93:96], v88 offset0:81 offset1:82
	s_mov_b32 s4, exec_lo
	s_waitcnt vmcnt(16) lgkmcnt(1)
	v_fma_f64 v[89:90], v[97:98], v[89:90], 0
	s_waitcnt vmcnt(14)
	v_fma_f64 v[89:90], v[99:100], v[91:92], v[89:90]
	s_waitcnt vmcnt(12) lgkmcnt(0)
	v_fma_f64 v[89:90], v[101:102], v[93:94], v[89:90]
	s_waitcnt vmcnt(10)
	v_fma_f64 v[97:98], v[103:104], v[95:96], v[89:90]
	ds_read2_b64 v[89:92], v88 offset0:83 offset1:84
	ds_read2_b64 v[93:96], v88 offset0:85 offset1:86
	s_waitcnt vmcnt(8) lgkmcnt(1)
	v_fma_f64 v[88:89], v[105:106], v[89:90], v[97:98]
	s_waitcnt vmcnt(6)
	v_fma_f64 v[88:89], v[107:108], v[91:92], v[88:89]
	s_waitcnt vmcnt(4) lgkmcnt(0)
	v_fma_f64 v[88:89], v[109:110], v[93:94], v[88:89]
	s_waitcnt vmcnt(2)
	v_fma_f64 v[88:89], v[111:112], v[95:96], v[88:89]
	s_waitcnt vmcnt(0)
	v_add_f64 v[88:89], v[113:114], -v[88:89]
	buffer_store_dword v88, off, s[0:3], 0 offset:272
	buffer_store_dword v89, off, s[0:3], 0 offset:276
	v_cmpx_lt_u32_e32 33, v0
	s_cbranch_execz .LBB106_201
; %bb.200:
	s_clause 0x1
	buffer_load_dword v88, off, s[0:3], 0 offset:264
	buffer_load_dword v89, off, s[0:3], 0 offset:268
	v_mov_b32_e32 v90, 0
	buffer_store_dword v90, off, s[0:3], 0 offset:264
	buffer_store_dword v90, off, s[0:3], 0 offset:268
	s_waitcnt vmcnt(0)
	ds_write_b64 v87, v[88:89]
.LBB106_201:
	s_or_b32 exec_lo, exec_lo, s4
	s_waitcnt lgkmcnt(0)
	s_waitcnt_vscnt null, 0x0
	s_barrier
	buffer_gl0_inv
	s_clause 0x13
	buffer_load_dword v97, off, s[0:3], 0 offset:272
	buffer_load_dword v98, off, s[0:3], 0 offset:276
	;; [unrolled: 1-line block ×20, first 2 shown]
	v_mov_b32_e32 v88, 0
	ds_read_b128 v[89:92], v88 offset:624
	ds_read_b128 v[93:96], v88 offset:640
	s_mov_b32 s4, exec_lo
	s_waitcnt vmcnt(18) lgkmcnt(1)
	v_fma_f64 v[89:90], v[97:98], v[89:90], 0
	s_waitcnt vmcnt(16)
	v_fma_f64 v[89:90], v[99:100], v[91:92], v[89:90]
	s_waitcnt vmcnt(14) lgkmcnt(0)
	v_fma_f64 v[89:90], v[101:102], v[93:94], v[89:90]
	s_waitcnt vmcnt(12)
	v_fma_f64 v[97:98], v[103:104], v[95:96], v[89:90]
	ds_read_b128 v[89:92], v88 offset:656
	ds_read_b128 v[93:96], v88 offset:672
	s_waitcnt vmcnt(10) lgkmcnt(1)
	v_fma_f64 v[89:90], v[105:106], v[89:90], v[97:98]
	s_waitcnt vmcnt(8)
	v_fma_f64 v[89:90], v[107:108], v[91:92], v[89:90]
	ds_read_b64 v[91:92], v88 offset:688
	s_waitcnt vmcnt(6) lgkmcnt(1)
	v_fma_f64 v[89:90], v[109:110], v[93:94], v[89:90]
	s_waitcnt vmcnt(3)
	v_fma_f64 v[89:90], v[111:112], v[95:96], v[89:90]
	s_waitcnt vmcnt(2) lgkmcnt(0)
	v_fma_f64 v[89:90], v[113:114], v[91:92], v[89:90]
	s_waitcnt vmcnt(0)
	v_add_f64 v[89:90], v[115:116], -v[89:90]
	buffer_store_dword v89, off, s[0:3], 0 offset:264
	buffer_store_dword v90, off, s[0:3], 0 offset:268
	v_cmpx_lt_u32_e32 32, v0
	s_cbranch_execz .LBB106_203
; %bb.202:
	s_clause 0x1
	buffer_load_dword v89, off, s[0:3], 0 offset:256
	buffer_load_dword v90, off, s[0:3], 0 offset:260
	buffer_store_dword v88, off, s[0:3], 0 offset:256
	buffer_store_dword v88, off, s[0:3], 0 offset:260
	s_waitcnt vmcnt(0)
	ds_write_b64 v87, v[89:90]
.LBB106_203:
	s_or_b32 exec_lo, exec_lo, s4
	s_waitcnt lgkmcnt(0)
	s_waitcnt_vscnt null, 0x0
	s_barrier
	buffer_gl0_inv
	s_clause 0x15
	buffer_load_dword v97, off, s[0:3], 0 offset:264
	buffer_load_dword v98, off, s[0:3], 0 offset:268
	;; [unrolled: 1-line block ×22, first 2 shown]
	ds_read2_b64 v[89:92], v88 offset0:77 offset1:78
	ds_read2_b64 v[93:96], v88 offset0:79 offset1:80
	s_mov_b32 s4, exec_lo
	s_waitcnt vmcnt(20) lgkmcnt(1)
	v_fma_f64 v[89:90], v[97:98], v[89:90], 0
	s_waitcnt vmcnt(18)
	v_fma_f64 v[89:90], v[99:100], v[91:92], v[89:90]
	s_waitcnt vmcnt(16) lgkmcnt(0)
	v_fma_f64 v[89:90], v[101:102], v[93:94], v[89:90]
	s_waitcnt vmcnt(14)
	v_fma_f64 v[97:98], v[103:104], v[95:96], v[89:90]
	ds_read2_b64 v[89:92], v88 offset0:81 offset1:82
	ds_read2_b64 v[93:96], v88 offset0:83 offset1:84
	s_waitcnt vmcnt(12) lgkmcnt(1)
	v_fma_f64 v[89:90], v[105:106], v[89:90], v[97:98]
	s_waitcnt vmcnt(10)
	v_fma_f64 v[89:90], v[107:108], v[91:92], v[89:90]
	s_waitcnt vmcnt(8) lgkmcnt(0)
	v_fma_f64 v[89:90], v[109:110], v[93:94], v[89:90]
	s_waitcnt vmcnt(4)
	v_fma_f64 v[92:93], v[111:112], v[95:96], v[89:90]
	ds_read2_b64 v[88:91], v88 offset0:85 offset1:86
	s_waitcnt vmcnt(3) lgkmcnt(0)
	v_fma_f64 v[88:89], v[115:116], v[88:89], v[92:93]
	s_waitcnt vmcnt(2)
	v_fma_f64 v[88:89], v[113:114], v[90:91], v[88:89]
	s_waitcnt vmcnt(0)
	v_add_f64 v[88:89], v[117:118], -v[88:89]
	buffer_store_dword v88, off, s[0:3], 0 offset:256
	buffer_store_dword v89, off, s[0:3], 0 offset:260
	v_cmpx_lt_u32_e32 31, v0
	s_cbranch_execz .LBB106_205
; %bb.204:
	s_clause 0x1
	buffer_load_dword v88, off, s[0:3], 0 offset:248
	buffer_load_dword v89, off, s[0:3], 0 offset:252
	v_mov_b32_e32 v90, 0
	buffer_store_dword v90, off, s[0:3], 0 offset:248
	buffer_store_dword v90, off, s[0:3], 0 offset:252
	s_waitcnt vmcnt(0)
	ds_write_b64 v87, v[88:89]
.LBB106_205:
	s_or_b32 exec_lo, exec_lo, s4
	s_waitcnt lgkmcnt(0)
	s_waitcnt_vscnt null, 0x0
	s_barrier
	buffer_gl0_inv
	s_clause 0x17
	buffer_load_dword v97, off, s[0:3], 0 offset:256
	buffer_load_dword v98, off, s[0:3], 0 offset:260
	;; [unrolled: 1-line block ×24, first 2 shown]
	v_mov_b32_e32 v88, 0
	ds_read_b128 v[89:92], v88 offset:608
	ds_read_b128 v[93:96], v88 offset:624
	s_mov_b32 s4, exec_lo
	s_waitcnt vmcnt(22) lgkmcnt(1)
	v_fma_f64 v[89:90], v[97:98], v[89:90], 0
	s_waitcnt vmcnt(20)
	v_fma_f64 v[89:90], v[99:100], v[91:92], v[89:90]
	s_waitcnt vmcnt(18) lgkmcnt(0)
	v_fma_f64 v[89:90], v[101:102], v[93:94], v[89:90]
	s_waitcnt vmcnt(16)
	v_fma_f64 v[97:98], v[103:104], v[95:96], v[89:90]
	ds_read_b128 v[89:92], v88 offset:640
	ds_read_b128 v[93:96], v88 offset:656
	s_waitcnt vmcnt(14) lgkmcnt(1)
	v_fma_f64 v[89:90], v[105:106], v[89:90], v[97:98]
	s_waitcnt vmcnt(12)
	v_fma_f64 v[89:90], v[107:108], v[91:92], v[89:90]
	s_waitcnt vmcnt(10) lgkmcnt(0)
	v_fma_f64 v[89:90], v[109:110], v[93:94], v[89:90]
	s_waitcnt vmcnt(5)
	v_fma_f64 v[93:94], v[111:112], v[95:96], v[89:90]
	ds_read_b128 v[89:92], v88 offset:672
	ds_read_b64 v[95:96], v88 offset:688
	s_waitcnt vmcnt(4) lgkmcnt(1)
	v_fma_f64 v[89:90], v[117:118], v[89:90], v[93:94]
	s_waitcnt vmcnt(3)
	v_fma_f64 v[89:90], v[115:116], v[91:92], v[89:90]
	s_waitcnt vmcnt(2) lgkmcnt(0)
	v_fma_f64 v[89:90], v[113:114], v[95:96], v[89:90]
	s_waitcnt vmcnt(0)
	v_add_f64 v[89:90], v[119:120], -v[89:90]
	buffer_store_dword v90, off, s[0:3], 0 offset:252
	buffer_store_dword v89, off, s[0:3], 0 offset:248
	v_cmpx_lt_u32_e32 30, v0
	s_cbranch_execz .LBB106_207
; %bb.206:
	s_clause 0x1
	buffer_load_dword v89, off, s[0:3], 0 offset:240
	buffer_load_dword v90, off, s[0:3], 0 offset:244
	buffer_store_dword v88, off, s[0:3], 0 offset:240
	buffer_store_dword v88, off, s[0:3], 0 offset:244
	s_waitcnt vmcnt(0)
	ds_write_b64 v87, v[89:90]
.LBB106_207:
	s_or_b32 exec_lo, exec_lo, s4
	s_waitcnt lgkmcnt(0)
	s_waitcnt_vscnt null, 0x0
	s_barrier
	buffer_gl0_inv
	s_clause 0x19
	buffer_load_dword v97, off, s[0:3], 0 offset:248
	buffer_load_dword v98, off, s[0:3], 0 offset:252
	;; [unrolled: 1-line block ×26, first 2 shown]
	ds_read2_b64 v[89:92], v88 offset0:75 offset1:76
	ds_read2_b64 v[93:96], v88 offset0:77 offset1:78
	s_mov_b32 s4, exec_lo
	s_waitcnt vmcnt(24) lgkmcnt(1)
	v_fma_f64 v[89:90], v[97:98], v[89:90], 0
	s_waitcnt vmcnt(22)
	v_fma_f64 v[89:90], v[99:100], v[91:92], v[89:90]
	s_waitcnt vmcnt(20) lgkmcnt(0)
	v_fma_f64 v[89:90], v[101:102], v[93:94], v[89:90]
	s_waitcnt vmcnt(18)
	v_fma_f64 v[97:98], v[103:104], v[95:96], v[89:90]
	ds_read2_b64 v[89:92], v88 offset0:79 offset1:80
	ds_read2_b64 v[93:96], v88 offset0:81 offset1:82
	s_waitcnt vmcnt(16) lgkmcnt(1)
	v_fma_f64 v[89:90], v[105:106], v[89:90], v[97:98]
	s_waitcnt vmcnt(14)
	v_fma_f64 v[89:90], v[107:108], v[91:92], v[89:90]
	s_waitcnt vmcnt(12) lgkmcnt(0)
	v_fma_f64 v[89:90], v[109:110], v[93:94], v[89:90]
	s_waitcnt vmcnt(7)
	v_fma_f64 v[97:98], v[111:112], v[95:96], v[89:90]
	ds_read2_b64 v[89:92], v88 offset0:83 offset1:84
	ds_read2_b64 v[93:96], v88 offset0:85 offset1:86
	s_waitcnt vmcnt(6) lgkmcnt(1)
	v_fma_f64 v[88:89], v[117:118], v[89:90], v[97:98]
	s_waitcnt vmcnt(5)
	v_fma_f64 v[88:89], v[115:116], v[91:92], v[88:89]
	s_waitcnt vmcnt(4) lgkmcnt(0)
	v_fma_f64 v[88:89], v[113:114], v[93:94], v[88:89]
	s_waitcnt vmcnt(2)
	v_fma_f64 v[88:89], v[119:120], v[95:96], v[88:89]
	s_waitcnt vmcnt(0)
	v_add_f64 v[88:89], v[121:122], -v[88:89]
	buffer_store_dword v89, off, s[0:3], 0 offset:244
	buffer_store_dword v88, off, s[0:3], 0 offset:240
	v_cmpx_lt_u32_e32 29, v0
	s_cbranch_execz .LBB106_209
; %bb.208:
	s_clause 0x1
	buffer_load_dword v88, off, s[0:3], 0 offset:232
	buffer_load_dword v89, off, s[0:3], 0 offset:236
	v_mov_b32_e32 v90, 0
	buffer_store_dword v90, off, s[0:3], 0 offset:232
	buffer_store_dword v90, off, s[0:3], 0 offset:236
	s_waitcnt vmcnt(0)
	ds_write_b64 v87, v[88:89]
.LBB106_209:
	s_or_b32 exec_lo, exec_lo, s4
	s_waitcnt lgkmcnt(0)
	s_waitcnt_vscnt null, 0x0
	s_barrier
	buffer_gl0_inv
	s_clause 0x1b
	buffer_load_dword v97, off, s[0:3], 0 offset:240
	buffer_load_dword v98, off, s[0:3], 0 offset:244
	;; [unrolled: 1-line block ×28, first 2 shown]
	v_mov_b32_e32 v88, 0
	ds_read_b128 v[89:92], v88 offset:592
	ds_read_b128 v[93:96], v88 offset:608
	s_mov_b32 s4, exec_lo
	s_waitcnt vmcnt(26) lgkmcnt(1)
	v_fma_f64 v[89:90], v[97:98], v[89:90], 0
	s_waitcnt vmcnt(24)
	v_fma_f64 v[89:90], v[99:100], v[91:92], v[89:90]
	s_waitcnt vmcnt(22) lgkmcnt(0)
	v_fma_f64 v[89:90], v[101:102], v[93:94], v[89:90]
	s_waitcnt vmcnt(20)
	v_fma_f64 v[97:98], v[103:104], v[95:96], v[89:90]
	ds_read_b128 v[89:92], v88 offset:624
	ds_read_b128 v[93:96], v88 offset:640
	s_waitcnt vmcnt(18) lgkmcnt(1)
	v_fma_f64 v[89:90], v[105:106], v[89:90], v[97:98]
	s_waitcnt vmcnt(16)
	v_fma_f64 v[89:90], v[107:108], v[91:92], v[89:90]
	s_waitcnt vmcnt(14) lgkmcnt(0)
	v_fma_f64 v[89:90], v[109:110], v[93:94], v[89:90]
	s_waitcnt vmcnt(9)
	v_fma_f64 v[97:98], v[111:112], v[95:96], v[89:90]
	ds_read_b128 v[89:92], v88 offset:656
	ds_read_b128 v[93:96], v88 offset:672
	s_waitcnt vmcnt(8) lgkmcnt(1)
	v_fma_f64 v[89:90], v[117:118], v[89:90], v[97:98]
	s_waitcnt vmcnt(7)
	v_fma_f64 v[89:90], v[115:116], v[91:92], v[89:90]
	ds_read_b64 v[91:92], v88 offset:688
	s_waitcnt vmcnt(6) lgkmcnt(1)
	v_fma_f64 v[89:90], v[113:114], v[93:94], v[89:90]
	s_waitcnt vmcnt(3)
	v_fma_f64 v[89:90], v[119:120], v[95:96], v[89:90]
	s_waitcnt vmcnt(2) lgkmcnt(0)
	v_fma_f64 v[89:90], v[121:122], v[91:92], v[89:90]
	s_waitcnt vmcnt(0)
	v_add_f64 v[89:90], v[123:124], -v[89:90]
	buffer_store_dword v90, off, s[0:3], 0 offset:236
	buffer_store_dword v89, off, s[0:3], 0 offset:232
	v_cmpx_lt_u32_e32 28, v0
	s_cbranch_execz .LBB106_211
; %bb.210:
	s_clause 0x1
	buffer_load_dword v89, off, s[0:3], 0 offset:224
	buffer_load_dword v90, off, s[0:3], 0 offset:228
	buffer_store_dword v88, off, s[0:3], 0 offset:224
	buffer_store_dword v88, off, s[0:3], 0 offset:228
	s_waitcnt vmcnt(0)
	ds_write_b64 v87, v[89:90]
.LBB106_211:
	s_or_b32 exec_lo, exec_lo, s4
	s_waitcnt lgkmcnt(0)
	s_waitcnt_vscnt null, 0x0
	s_barrier
	buffer_gl0_inv
	s_clause 0x1b
	buffer_load_dword v93, off, s[0:3], 0 offset:232
	buffer_load_dword v94, off, s[0:3], 0 offset:236
	;; [unrolled: 1-line block ×28, first 2 shown]
	ds_read2_b64 v[89:92], v88 offset0:73 offset1:74
	s_clause 0x1
	buffer_load_dword v121, off, s[0:3], 0 offset:224
	buffer_load_dword v122, off, s[0:3], 0 offset:228
	s_mov_b32 s4, exec_lo
	s_waitcnt vmcnt(28) lgkmcnt(0)
	v_fma_f64 v[89:90], v[93:94], v[89:90], 0
	s_waitcnt vmcnt(26)
	v_fma_f64 v[93:94], v[95:96], v[91:92], v[89:90]
	ds_read2_b64 v[89:92], v88 offset0:75 offset1:76
	s_waitcnt vmcnt(24) lgkmcnt(0)
	v_fma_f64 v[89:90], v[97:98], v[89:90], v[93:94]
	s_waitcnt vmcnt(22)
	v_fma_f64 v[93:94], v[99:100], v[91:92], v[89:90]
	ds_read2_b64 v[89:92], v88 offset0:77 offset1:78
	;; [unrolled: 5-line block ×6, first 2 shown]
	s_waitcnt vmcnt(4) lgkmcnt(0)
	v_fma_f64 v[88:89], v[117:118], v[88:89], v[92:93]
	s_waitcnt vmcnt(2)
	v_fma_f64 v[88:89], v[119:120], v[90:91], v[88:89]
	s_waitcnt vmcnt(0)
	v_add_f64 v[88:89], v[121:122], -v[88:89]
	buffer_store_dword v89, off, s[0:3], 0 offset:228
	buffer_store_dword v88, off, s[0:3], 0 offset:224
	v_cmpx_lt_u32_e32 27, v0
	s_cbranch_execz .LBB106_213
; %bb.212:
	s_clause 0x1
	buffer_load_dword v88, off, s[0:3], 0 offset:216
	buffer_load_dword v89, off, s[0:3], 0 offset:220
	v_mov_b32_e32 v90, 0
	buffer_store_dword v90, off, s[0:3], 0 offset:216
	buffer_store_dword v90, off, s[0:3], 0 offset:220
	s_waitcnt vmcnt(0)
	ds_write_b64 v87, v[88:89]
.LBB106_213:
	s_or_b32 exec_lo, exec_lo, s4
	s_waitcnt lgkmcnt(0)
	s_waitcnt_vscnt null, 0x0
	s_barrier
	buffer_gl0_inv
	s_clause 0x1b
	buffer_load_dword v93, off, s[0:3], 0 offset:224
	buffer_load_dword v94, off, s[0:3], 0 offset:228
	;; [unrolled: 1-line block ×28, first 2 shown]
	v_mov_b32_e32 v88, 0
	s_mov_b32 s4, exec_lo
	ds_read_b128 v[89:92], v88 offset:576
	s_clause 0x1
	buffer_load_dword v121, off, s[0:3], 0 offset:336
	buffer_load_dword v122, off, s[0:3], 0 offset:340
	s_waitcnt vmcnt(28) lgkmcnt(0)
	v_fma_f64 v[89:90], v[93:94], v[89:90], 0
	s_clause 0x1
	buffer_load_dword v93, off, s[0:3], 0 offset:216
	buffer_load_dword v94, off, s[0:3], 0 offset:220
	s_waitcnt vmcnt(28)
	v_fma_f64 v[95:96], v[95:96], v[91:92], v[89:90]
	ds_read_b128 v[89:92], v88 offset:592
	s_waitcnt vmcnt(26) lgkmcnt(0)
	v_fma_f64 v[89:90], v[97:98], v[89:90], v[95:96]
	s_waitcnt vmcnt(24)
	v_fma_f64 v[95:96], v[99:100], v[91:92], v[89:90]
	ds_read_b128 v[89:92], v88 offset:608
	s_waitcnt vmcnt(22) lgkmcnt(0)
	v_fma_f64 v[89:90], v[101:102], v[89:90], v[95:96]
	;; [unrolled: 5-line block ×6, first 2 shown]
	s_waitcnt vmcnt(4)
	v_fma_f64 v[89:90], v[119:120], v[91:92], v[89:90]
	ds_read_b64 v[91:92], v88 offset:688
	s_waitcnt vmcnt(2) lgkmcnt(0)
	v_fma_f64 v[89:90], v[121:122], v[91:92], v[89:90]
	s_waitcnt vmcnt(0)
	v_add_f64 v[89:90], v[93:94], -v[89:90]
	buffer_store_dword v90, off, s[0:3], 0 offset:220
	buffer_store_dword v89, off, s[0:3], 0 offset:216
	v_cmpx_lt_u32_e32 26, v0
	s_cbranch_execz .LBB106_215
; %bb.214:
	s_clause 0x1
	buffer_load_dword v89, off, s[0:3], 0 offset:208
	buffer_load_dword v90, off, s[0:3], 0 offset:212
	buffer_store_dword v88, off, s[0:3], 0 offset:208
	buffer_store_dword v88, off, s[0:3], 0 offset:212
	s_waitcnt vmcnt(0)
	ds_write_b64 v87, v[89:90]
.LBB106_215:
	s_or_b32 exec_lo, exec_lo, s4
	s_waitcnt lgkmcnt(0)
	s_waitcnt_vscnt null, 0x0
	s_barrier
	buffer_gl0_inv
	s_clause 0x1b
	buffer_load_dword v93, off, s[0:3], 0 offset:216
	buffer_load_dword v94, off, s[0:3], 0 offset:220
	;; [unrolled: 1-line block ×28, first 2 shown]
	ds_read2_b64 v[89:92], v88 offset0:71 offset1:72
	s_clause 0x1
	buffer_load_dword v121, off, s[0:3], 0 offset:328
	buffer_load_dword v122, off, s[0:3], 0 offset:332
	s_mov_b32 s4, exec_lo
	s_waitcnt vmcnt(28) lgkmcnt(0)
	v_fma_f64 v[89:90], v[93:94], v[89:90], 0
	s_clause 0x1
	buffer_load_dword v94, off, s[0:3], 0 offset:340
	buffer_load_dword v93, off, s[0:3], 0 offset:336
	s_waitcnt vmcnt(28)
	v_fma_f64 v[95:96], v[95:96], v[91:92], v[89:90]
	ds_read2_b64 v[89:92], v88 offset0:73 offset1:74
	s_clause 0x1
	buffer_load_dword v123, off, s[0:3], 0 offset:208
	buffer_load_dword v124, off, s[0:3], 0 offset:212
	s_waitcnt vmcnt(28) lgkmcnt(0)
	v_fma_f64 v[89:90], v[97:98], v[89:90], v[95:96]
	s_waitcnt vmcnt(26)
	v_fma_f64 v[95:96], v[99:100], v[91:92], v[89:90]
	ds_read2_b64 v[89:92], v88 offset0:75 offset1:76
	s_waitcnt vmcnt(24) lgkmcnt(0)
	v_fma_f64 v[89:90], v[101:102], v[89:90], v[95:96]
	s_waitcnt vmcnt(22)
	v_fma_f64 v[95:96], v[103:104], v[91:92], v[89:90]
	ds_read2_b64 v[89:92], v88 offset0:77 offset1:78
	;; [unrolled: 5-line block ×6, first 2 shown]
	s_waitcnt vmcnt(4) lgkmcnt(0)
	v_fma_f64 v[88:89], v[121:122], v[88:89], v[95:96]
	s_waitcnt vmcnt(2)
	v_fma_f64 v[88:89], v[93:94], v[90:91], v[88:89]
	s_waitcnt vmcnt(0)
	v_add_f64 v[88:89], v[123:124], -v[88:89]
	buffer_store_dword v89, off, s[0:3], 0 offset:212
	buffer_store_dword v88, off, s[0:3], 0 offset:208
	v_cmpx_lt_u32_e32 25, v0
	s_cbranch_execz .LBB106_217
; %bb.216:
	s_clause 0x1
	buffer_load_dword v88, off, s[0:3], 0 offset:200
	buffer_load_dword v89, off, s[0:3], 0 offset:204
	v_mov_b32_e32 v90, 0
	buffer_store_dword v90, off, s[0:3], 0 offset:200
	buffer_store_dword v90, off, s[0:3], 0 offset:204
	s_waitcnt vmcnt(0)
	ds_write_b64 v87, v[88:89]
.LBB106_217:
	s_or_b32 exec_lo, exec_lo, s4
	s_waitcnt lgkmcnt(0)
	s_waitcnt_vscnt null, 0x0
	s_barrier
	buffer_gl0_inv
	s_clause 0x1b
	buffer_load_dword v93, off, s[0:3], 0 offset:208
	buffer_load_dword v94, off, s[0:3], 0 offset:212
	;; [unrolled: 1-line block ×28, first 2 shown]
	v_mov_b32_e32 v88, 0
	s_mov_b32 s4, exec_lo
	ds_read_b128 v[89:92], v88 offset:560
	s_clause 0x1
	buffer_load_dword v121, off, s[0:3], 0 offset:320
	buffer_load_dword v122, off, s[0:3], 0 offset:324
	s_waitcnt vmcnt(28) lgkmcnt(0)
	v_fma_f64 v[89:90], v[93:94], v[89:90], 0
	s_clause 0x1
	buffer_load_dword v94, off, s[0:3], 0 offset:332
	buffer_load_dword v93, off, s[0:3], 0 offset:328
	s_waitcnt vmcnt(28)
	v_fma_f64 v[95:96], v[95:96], v[91:92], v[89:90]
	ds_read_b128 v[89:92], v88 offset:576
	s_clause 0x1
	buffer_load_dword v123, off, s[0:3], 0 offset:336
	buffer_load_dword v124, off, s[0:3], 0 offset:340
	s_waitcnt vmcnt(28) lgkmcnt(0)
	v_fma_f64 v[89:90], v[97:98], v[89:90], v[95:96]
	s_clause 0x1
	buffer_load_dword v95, off, s[0:3], 0 offset:200
	buffer_load_dword v96, off, s[0:3], 0 offset:204
	s_waitcnt vmcnt(28)
	v_fma_f64 v[97:98], v[99:100], v[91:92], v[89:90]
	ds_read_b128 v[89:92], v88 offset:592
	s_waitcnt vmcnt(26) lgkmcnt(0)
	v_fma_f64 v[89:90], v[101:102], v[89:90], v[97:98]
	s_waitcnt vmcnt(24)
	v_fma_f64 v[97:98], v[103:104], v[91:92], v[89:90]
	ds_read_b128 v[89:92], v88 offset:608
	s_waitcnt vmcnt(22) lgkmcnt(0)
	v_fma_f64 v[89:90], v[105:106], v[89:90], v[97:98]
	;; [unrolled: 5-line block ×6, first 2 shown]
	s_waitcnt vmcnt(4)
	v_fma_f64 v[89:90], v[93:94], v[91:92], v[89:90]
	ds_read_b64 v[91:92], v88 offset:688
	s_waitcnt vmcnt(2) lgkmcnt(0)
	v_fma_f64 v[89:90], v[123:124], v[91:92], v[89:90]
	s_waitcnt vmcnt(0)
	v_add_f64 v[89:90], v[95:96], -v[89:90]
	buffer_store_dword v90, off, s[0:3], 0 offset:204
	buffer_store_dword v89, off, s[0:3], 0 offset:200
	v_cmpx_lt_u32_e32 24, v0
	s_cbranch_execz .LBB106_219
; %bb.218:
	s_clause 0x1
	buffer_load_dword v89, off, s[0:3], 0 offset:192
	buffer_load_dword v90, off, s[0:3], 0 offset:196
	buffer_store_dword v88, off, s[0:3], 0 offset:192
	buffer_store_dword v88, off, s[0:3], 0 offset:196
	s_waitcnt vmcnt(0)
	ds_write_b64 v87, v[89:90]
.LBB106_219:
	s_or_b32 exec_lo, exec_lo, s4
	s_waitcnt lgkmcnt(0)
	s_waitcnt_vscnt null, 0x0
	s_barrier
	buffer_gl0_inv
	s_clause 0x1b
	buffer_load_dword v93, off, s[0:3], 0 offset:200
	buffer_load_dword v94, off, s[0:3], 0 offset:204
	;; [unrolled: 1-line block ×28, first 2 shown]
	ds_read2_b64 v[89:92], v88 offset0:69 offset1:70
	s_clause 0x1
	buffer_load_dword v121, off, s[0:3], 0 offset:312
	buffer_load_dword v122, off, s[0:3], 0 offset:316
	s_mov_b32 s4, exec_lo
	s_waitcnt vmcnt(28) lgkmcnt(0)
	v_fma_f64 v[89:90], v[93:94], v[89:90], 0
	s_clause 0x1
	buffer_load_dword v94, off, s[0:3], 0 offset:324
	buffer_load_dword v93, off, s[0:3], 0 offset:320
	s_waitcnt vmcnt(28)
	v_fma_f64 v[95:96], v[95:96], v[91:92], v[89:90]
	ds_read2_b64 v[89:92], v88 offset0:71 offset1:72
	s_clause 0x1
	buffer_load_dword v123, off, s[0:3], 0 offset:328
	buffer_load_dword v124, off, s[0:3], 0 offset:332
	s_waitcnt vmcnt(28) lgkmcnt(0)
	v_fma_f64 v[89:90], v[97:98], v[89:90], v[95:96]
	s_clause 0x1
	buffer_load_dword v95, off, s[0:3], 0 offset:336
	buffer_load_dword v96, off, s[0:3], 0 offset:340
	s_waitcnt vmcnt(28)
	v_fma_f64 v[97:98], v[99:100], v[91:92], v[89:90]
	ds_read2_b64 v[89:92], v88 offset0:73 offset1:74
	s_clause 0x1
	buffer_load_dword v99, off, s[0:3], 0 offset:192
	buffer_load_dword v100, off, s[0:3], 0 offset:196
	s_waitcnt vmcnt(28) lgkmcnt(0)
	v_fma_f64 v[89:90], v[101:102], v[89:90], v[97:98]
	s_waitcnt vmcnt(26)
	v_fma_f64 v[97:98], v[103:104], v[91:92], v[89:90]
	ds_read2_b64 v[89:92], v88 offset0:75 offset1:76
	s_waitcnt vmcnt(24) lgkmcnt(0)
	v_fma_f64 v[89:90], v[105:106], v[89:90], v[97:98]
	s_waitcnt vmcnt(22)
	v_fma_f64 v[97:98], v[107:108], v[91:92], v[89:90]
	ds_read2_b64 v[89:92], v88 offset0:77 offset1:78
	;; [unrolled: 5-line block ×6, first 2 shown]
	s_waitcnt vmcnt(4) lgkmcnt(0)
	v_fma_f64 v[88:89], v[123:124], v[88:89], v[92:93]
	s_waitcnt vmcnt(2)
	v_fma_f64 v[88:89], v[95:96], v[90:91], v[88:89]
	s_waitcnt vmcnt(0)
	v_add_f64 v[88:89], v[99:100], -v[88:89]
	buffer_store_dword v89, off, s[0:3], 0 offset:196
	buffer_store_dword v88, off, s[0:3], 0 offset:192
	v_cmpx_lt_u32_e32 23, v0
	s_cbranch_execz .LBB106_221
; %bb.220:
	s_clause 0x1
	buffer_load_dword v88, off, s[0:3], 0 offset:184
	buffer_load_dword v89, off, s[0:3], 0 offset:188
	v_mov_b32_e32 v90, 0
	buffer_store_dword v90, off, s[0:3], 0 offset:184
	buffer_store_dword v90, off, s[0:3], 0 offset:188
	s_waitcnt vmcnt(0)
	ds_write_b64 v87, v[88:89]
.LBB106_221:
	s_or_b32 exec_lo, exec_lo, s4
	s_waitcnt lgkmcnt(0)
	s_waitcnt_vscnt null, 0x0
	s_barrier
	buffer_gl0_inv
	s_clause 0x1b
	buffer_load_dword v93, off, s[0:3], 0 offset:192
	buffer_load_dword v94, off, s[0:3], 0 offset:196
	;; [unrolled: 1-line block ×28, first 2 shown]
	v_mov_b32_e32 v88, 0
	s_mov_b32 s4, exec_lo
	ds_read_b128 v[89:92], v88 offset:544
	s_clause 0x1
	buffer_load_dword v121, off, s[0:3], 0 offset:304
	buffer_load_dword v122, off, s[0:3], 0 offset:308
	s_waitcnt vmcnt(28) lgkmcnt(0)
	v_fma_f64 v[89:90], v[93:94], v[89:90], 0
	s_clause 0x1
	buffer_load_dword v94, off, s[0:3], 0 offset:316
	buffer_load_dword v93, off, s[0:3], 0 offset:312
	s_waitcnt vmcnt(28)
	v_fma_f64 v[95:96], v[95:96], v[91:92], v[89:90]
	ds_read_b128 v[89:92], v88 offset:560
	s_clause 0x1
	buffer_load_dword v123, off, s[0:3], 0 offset:320
	buffer_load_dword v124, off, s[0:3], 0 offset:324
	s_waitcnt vmcnt(28) lgkmcnt(0)
	v_fma_f64 v[89:90], v[97:98], v[89:90], v[95:96]
	s_clause 0x1
	buffer_load_dword v95, off, s[0:3], 0 offset:328
	buffer_load_dword v96, off, s[0:3], 0 offset:332
	s_waitcnt vmcnt(28)
	v_fma_f64 v[97:98], v[99:100], v[91:92], v[89:90]
	;; [unrolled: 11-line block ×3, first 2 shown]
	ds_read_b128 v[89:92], v88 offset:592
	s_waitcnt vmcnt(26) lgkmcnt(0)
	v_fma_f64 v[89:90], v[105:106], v[89:90], v[101:102]
	s_waitcnt vmcnt(24)
	v_fma_f64 v[101:102], v[107:108], v[91:92], v[89:90]
	ds_read_b128 v[89:92], v88 offset:608
	s_waitcnt vmcnt(22) lgkmcnt(0)
	v_fma_f64 v[89:90], v[109:110], v[89:90], v[101:102]
	s_waitcnt vmcnt(20)
	v_fma_f64 v[101:102], v[111:112], v[91:92], v[89:90]
	;; [unrolled: 5-line block ×6, first 2 shown]
	ds_read_b64 v[91:92], v88 offset:688
	s_waitcnt vmcnt(2) lgkmcnt(0)
	v_fma_f64 v[89:90], v[99:100], v[91:92], v[89:90]
	s_waitcnt vmcnt(0)
	v_add_f64 v[89:90], v[97:98], -v[89:90]
	buffer_store_dword v90, off, s[0:3], 0 offset:188
	buffer_store_dword v89, off, s[0:3], 0 offset:184
	v_cmpx_lt_u32_e32 22, v0
	s_cbranch_execz .LBB106_223
; %bb.222:
	s_clause 0x1
	buffer_load_dword v89, off, s[0:3], 0 offset:176
	buffer_load_dword v90, off, s[0:3], 0 offset:180
	buffer_store_dword v88, off, s[0:3], 0 offset:176
	buffer_store_dword v88, off, s[0:3], 0 offset:180
	s_waitcnt vmcnt(0)
	ds_write_b64 v87, v[89:90]
.LBB106_223:
	s_or_b32 exec_lo, exec_lo, s4
	s_waitcnt lgkmcnt(0)
	s_waitcnt_vscnt null, 0x0
	s_barrier
	buffer_gl0_inv
	s_clause 0x1b
	buffer_load_dword v93, off, s[0:3], 0 offset:184
	buffer_load_dword v94, off, s[0:3], 0 offset:188
	;; [unrolled: 1-line block ×28, first 2 shown]
	ds_read2_b64 v[89:92], v88 offset0:67 offset1:68
	s_clause 0x1
	buffer_load_dword v121, off, s[0:3], 0 offset:296
	buffer_load_dword v122, off, s[0:3], 0 offset:300
	s_mov_b32 s4, exec_lo
	s_waitcnt vmcnt(28) lgkmcnt(0)
	v_fma_f64 v[89:90], v[93:94], v[89:90], 0
	s_clause 0x1
	buffer_load_dword v94, off, s[0:3], 0 offset:308
	buffer_load_dword v93, off, s[0:3], 0 offset:304
	s_waitcnt vmcnt(28)
	v_fma_f64 v[95:96], v[95:96], v[91:92], v[89:90]
	ds_read2_b64 v[89:92], v88 offset0:69 offset1:70
	s_clause 0x1
	buffer_load_dword v123, off, s[0:3], 0 offset:312
	buffer_load_dword v124, off, s[0:3], 0 offset:316
	s_waitcnt vmcnt(28) lgkmcnt(0)
	v_fma_f64 v[89:90], v[97:98], v[89:90], v[95:96]
	s_clause 0x1
	buffer_load_dword v95, off, s[0:3], 0 offset:320
	buffer_load_dword v96, off, s[0:3], 0 offset:324
	s_waitcnt vmcnt(28)
	v_fma_f64 v[97:98], v[99:100], v[91:92], v[89:90]
	ds_read2_b64 v[89:92], v88 offset0:71 offset1:72
	s_clause 0x1
	buffer_load_dword v99, off, s[0:3], 0 offset:328
	buffer_load_dword v100, off, s[0:3], 0 offset:332
	;; [unrolled: 11-line block ×3, first 2 shown]
	s_waitcnt vmcnt(28) lgkmcnt(0)
	v_fma_f64 v[89:90], v[105:106], v[89:90], v[101:102]
	s_waitcnt vmcnt(26)
	v_fma_f64 v[101:102], v[107:108], v[91:92], v[89:90]
	ds_read2_b64 v[89:92], v88 offset0:75 offset1:76
	s_waitcnt vmcnt(24) lgkmcnt(0)
	v_fma_f64 v[89:90], v[109:110], v[89:90], v[101:102]
	s_waitcnt vmcnt(22)
	v_fma_f64 v[101:102], v[111:112], v[91:92], v[89:90]
	ds_read2_b64 v[89:92], v88 offset0:77 offset1:78
	s_waitcnt vmcnt(20) lgkmcnt(0)
	v_fma_f64 v[89:90], v[113:114], v[89:90], v[101:102]
	s_waitcnt vmcnt(18)
	v_fma_f64 v[101:102], v[115:116], v[91:92], v[89:90]
	ds_read2_b64 v[89:92], v88 offset0:79 offset1:80
	s_waitcnt vmcnt(16) lgkmcnt(0)
	v_fma_f64 v[89:90], v[117:118], v[89:90], v[101:102]
	s_waitcnt vmcnt(14)
	v_fma_f64 v[101:102], v[119:120], v[91:92], v[89:90]
	ds_read2_b64 v[89:92], v88 offset0:81 offset1:82
	s_waitcnt vmcnt(12) lgkmcnt(0)
	v_fma_f64 v[89:90], v[121:122], v[89:90], v[101:102]
	s_waitcnt vmcnt(10)
	v_fma_f64 v[93:94], v[93:94], v[91:92], v[89:90]
	ds_read2_b64 v[89:92], v88 offset0:83 offset1:84
	s_waitcnt vmcnt(8) lgkmcnt(0)
	v_fma_f64 v[89:90], v[123:124], v[89:90], v[93:94]
	s_waitcnt vmcnt(6)
	v_fma_f64 v[92:93], v[95:96], v[91:92], v[89:90]
	ds_read2_b64 v[88:91], v88 offset0:85 offset1:86
	s_waitcnt vmcnt(4) lgkmcnt(0)
	v_fma_f64 v[88:89], v[99:100], v[88:89], v[92:93]
	s_waitcnt vmcnt(2)
	v_fma_f64 v[88:89], v[97:98], v[90:91], v[88:89]
	s_waitcnt vmcnt(0)
	v_add_f64 v[88:89], v[103:104], -v[88:89]
	buffer_store_dword v89, off, s[0:3], 0 offset:180
	buffer_store_dword v88, off, s[0:3], 0 offset:176
	v_cmpx_lt_u32_e32 21, v0
	s_cbranch_execz .LBB106_225
; %bb.224:
	s_clause 0x1
	buffer_load_dword v88, off, s[0:3], 0 offset:168
	buffer_load_dword v89, off, s[0:3], 0 offset:172
	v_mov_b32_e32 v90, 0
	buffer_store_dword v90, off, s[0:3], 0 offset:168
	buffer_store_dword v90, off, s[0:3], 0 offset:172
	s_waitcnt vmcnt(0)
	ds_write_b64 v87, v[88:89]
.LBB106_225:
	s_or_b32 exec_lo, exec_lo, s4
	s_waitcnt lgkmcnt(0)
	s_waitcnt_vscnt null, 0x0
	s_barrier
	buffer_gl0_inv
	s_clause 0x1b
	buffer_load_dword v93, off, s[0:3], 0 offset:176
	buffer_load_dword v94, off, s[0:3], 0 offset:180
	;; [unrolled: 1-line block ×28, first 2 shown]
	v_mov_b32_e32 v88, 0
	s_mov_b32 s4, exec_lo
	ds_read_b128 v[89:92], v88 offset:528
	s_clause 0x1
	buffer_load_dword v121, off, s[0:3], 0 offset:288
	buffer_load_dword v122, off, s[0:3], 0 offset:292
	s_waitcnt vmcnt(28) lgkmcnt(0)
	v_fma_f64 v[89:90], v[93:94], v[89:90], 0
	s_clause 0x1
	buffer_load_dword v94, off, s[0:3], 0 offset:300
	buffer_load_dword v93, off, s[0:3], 0 offset:296
	s_waitcnt vmcnt(28)
	v_fma_f64 v[95:96], v[95:96], v[91:92], v[89:90]
	ds_read_b128 v[89:92], v88 offset:544
	s_clause 0x1
	buffer_load_dword v123, off, s[0:3], 0 offset:304
	buffer_load_dword v124, off, s[0:3], 0 offset:308
	s_waitcnt vmcnt(28) lgkmcnt(0)
	v_fma_f64 v[89:90], v[97:98], v[89:90], v[95:96]
	s_clause 0x1
	buffer_load_dword v95, off, s[0:3], 0 offset:312
	buffer_load_dword v96, off, s[0:3], 0 offset:316
	s_waitcnt vmcnt(28)
	v_fma_f64 v[97:98], v[99:100], v[91:92], v[89:90]
	;; [unrolled: 11-line block ×4, first 2 shown]
	ds_read_b128 v[89:92], v88 offset:592
	s_waitcnt vmcnt(26) lgkmcnt(0)
	v_fma_f64 v[89:90], v[109:110], v[89:90], v[105:106]
	s_waitcnt vmcnt(24)
	v_fma_f64 v[105:106], v[111:112], v[91:92], v[89:90]
	ds_read_b128 v[89:92], v88 offset:608
	s_waitcnt vmcnt(22) lgkmcnt(0)
	v_fma_f64 v[89:90], v[113:114], v[89:90], v[105:106]
	s_waitcnt vmcnt(20)
	v_fma_f64 v[105:106], v[115:116], v[91:92], v[89:90]
	;; [unrolled: 5-line block ×6, first 2 shown]
	ds_read_b64 v[91:92], v88 offset:688
	s_waitcnt vmcnt(2) lgkmcnt(0)
	v_fma_f64 v[89:90], v[103:104], v[91:92], v[89:90]
	s_waitcnt vmcnt(0)
	v_add_f64 v[89:90], v[101:102], -v[89:90]
	buffer_store_dword v90, off, s[0:3], 0 offset:172
	buffer_store_dword v89, off, s[0:3], 0 offset:168
	v_cmpx_lt_u32_e32 20, v0
	s_cbranch_execz .LBB106_227
; %bb.226:
	s_clause 0x1
	buffer_load_dword v89, off, s[0:3], 0 offset:160
	buffer_load_dword v90, off, s[0:3], 0 offset:164
	buffer_store_dword v88, off, s[0:3], 0 offset:160
	buffer_store_dword v88, off, s[0:3], 0 offset:164
	s_waitcnt vmcnt(0)
	ds_write_b64 v87, v[89:90]
.LBB106_227:
	s_or_b32 exec_lo, exec_lo, s4
	s_waitcnt lgkmcnt(0)
	s_waitcnt_vscnt null, 0x0
	s_barrier
	buffer_gl0_inv
	s_clause 0x1b
	buffer_load_dword v93, off, s[0:3], 0 offset:168
	buffer_load_dword v94, off, s[0:3], 0 offset:172
	;; [unrolled: 1-line block ×28, first 2 shown]
	ds_read2_b64 v[89:92], v88 offset0:65 offset1:66
	s_clause 0x1
	buffer_load_dword v121, off, s[0:3], 0 offset:280
	buffer_load_dword v122, off, s[0:3], 0 offset:284
	s_mov_b32 s4, exec_lo
	s_waitcnt vmcnt(28) lgkmcnt(0)
	v_fma_f64 v[89:90], v[93:94], v[89:90], 0
	s_clause 0x1
	buffer_load_dword v94, off, s[0:3], 0 offset:292
	buffer_load_dword v93, off, s[0:3], 0 offset:288
	s_waitcnt vmcnt(28)
	v_fma_f64 v[95:96], v[95:96], v[91:92], v[89:90]
	ds_read2_b64 v[89:92], v88 offset0:67 offset1:68
	s_clause 0x1
	buffer_load_dword v123, off, s[0:3], 0 offset:296
	buffer_load_dword v124, off, s[0:3], 0 offset:300
	s_waitcnt vmcnt(28) lgkmcnt(0)
	v_fma_f64 v[89:90], v[97:98], v[89:90], v[95:96]
	s_clause 0x1
	buffer_load_dword v95, off, s[0:3], 0 offset:304
	buffer_load_dword v96, off, s[0:3], 0 offset:308
	s_waitcnt vmcnt(28)
	v_fma_f64 v[97:98], v[99:100], v[91:92], v[89:90]
	ds_read2_b64 v[89:92], v88 offset0:69 offset1:70
	s_clause 0x1
	buffer_load_dword v99, off, s[0:3], 0 offset:312
	buffer_load_dword v100, off, s[0:3], 0 offset:316
	;; [unrolled: 11-line block ×4, first 2 shown]
	s_waitcnt vmcnt(28) lgkmcnt(0)
	v_fma_f64 v[89:90], v[109:110], v[89:90], v[105:106]
	s_waitcnt vmcnt(26)
	v_fma_f64 v[105:106], v[111:112], v[91:92], v[89:90]
	ds_read2_b64 v[89:92], v88 offset0:75 offset1:76
	s_waitcnt vmcnt(24) lgkmcnt(0)
	v_fma_f64 v[89:90], v[113:114], v[89:90], v[105:106]
	s_waitcnt vmcnt(22)
	v_fma_f64 v[105:106], v[115:116], v[91:92], v[89:90]
	ds_read2_b64 v[89:92], v88 offset0:77 offset1:78
	;; [unrolled: 5-line block ×6, first 2 shown]
	s_waitcnt vmcnt(4) lgkmcnt(0)
	v_fma_f64 v[88:89], v[103:104], v[88:89], v[92:93]
	s_waitcnt vmcnt(2)
	v_fma_f64 v[88:89], v[101:102], v[90:91], v[88:89]
	s_waitcnt vmcnt(0)
	v_add_f64 v[88:89], v[107:108], -v[88:89]
	buffer_store_dword v89, off, s[0:3], 0 offset:164
	buffer_store_dword v88, off, s[0:3], 0 offset:160
	v_cmpx_lt_u32_e32 19, v0
	s_cbranch_execz .LBB106_229
; %bb.228:
	s_clause 0x1
	buffer_load_dword v88, off, s[0:3], 0 offset:152
	buffer_load_dword v89, off, s[0:3], 0 offset:156
	v_mov_b32_e32 v90, 0
	buffer_store_dword v90, off, s[0:3], 0 offset:152
	buffer_store_dword v90, off, s[0:3], 0 offset:156
	s_waitcnt vmcnt(0)
	ds_write_b64 v87, v[88:89]
.LBB106_229:
	s_or_b32 exec_lo, exec_lo, s4
	s_waitcnt lgkmcnt(0)
	s_waitcnt_vscnt null, 0x0
	s_barrier
	buffer_gl0_inv
	s_clause 0x1b
	buffer_load_dword v93, off, s[0:3], 0 offset:160
	buffer_load_dword v94, off, s[0:3], 0 offset:164
	buffer_load_dword v95, off, s[0:3], 0 offset:168
	buffer_load_dword v96, off, s[0:3], 0 offset:172
	buffer_load_dword v97, off, s[0:3], 0 offset:176
	buffer_load_dword v98, off, s[0:3], 0 offset:180
	buffer_load_dword v99, off, s[0:3], 0 offset:184
	buffer_load_dword v100, off, s[0:3], 0 offset:188
	buffer_load_dword v101, off, s[0:3], 0 offset:192
	buffer_load_dword v102, off, s[0:3], 0 offset:196
	buffer_load_dword v103, off, s[0:3], 0 offset:200
	buffer_load_dword v104, off, s[0:3], 0 offset:204
	buffer_load_dword v105, off, s[0:3], 0 offset:208
	buffer_load_dword v106, off, s[0:3], 0 offset:212
	buffer_load_dword v108, off, s[0:3], 0 offset:220
	buffer_load_dword v107, off, s[0:3], 0 offset:216
	buffer_load_dword v109, off, s[0:3], 0 offset:224
	buffer_load_dword v110, off, s[0:3], 0 offset:228
	buffer_load_dword v111, off, s[0:3], 0 offset:232
	buffer_load_dword v112, off, s[0:3], 0 offset:236
	buffer_load_dword v113, off, s[0:3], 0 offset:240
	buffer_load_dword v114, off, s[0:3], 0 offset:244
	buffer_load_dword v116, off, s[0:3], 0 offset:252
	buffer_load_dword v115, off, s[0:3], 0 offset:248
	buffer_load_dword v117, off, s[0:3], 0 offset:256
	buffer_load_dword v118, off, s[0:3], 0 offset:260
	buffer_load_dword v119, off, s[0:3], 0 offset:264
	buffer_load_dword v120, off, s[0:3], 0 offset:268
	v_mov_b32_e32 v88, 0
	s_mov_b32 s4, exec_lo
	ds_read_b128 v[89:92], v88 offset:512
	s_clause 0x1
	buffer_load_dword v121, off, s[0:3], 0 offset:272
	buffer_load_dword v122, off, s[0:3], 0 offset:276
	s_waitcnt vmcnt(28) lgkmcnt(0)
	v_fma_f64 v[89:90], v[93:94], v[89:90], 0
	s_clause 0x1
	buffer_load_dword v94, off, s[0:3], 0 offset:284
	buffer_load_dword v93, off, s[0:3], 0 offset:280
	s_waitcnt vmcnt(28)
	v_fma_f64 v[95:96], v[95:96], v[91:92], v[89:90]
	ds_read_b128 v[89:92], v88 offset:528
	s_clause 0x1
	buffer_load_dword v123, off, s[0:3], 0 offset:288
	buffer_load_dword v124, off, s[0:3], 0 offset:292
	s_waitcnt vmcnt(28) lgkmcnt(0)
	v_fma_f64 v[89:90], v[97:98], v[89:90], v[95:96]
	s_clause 0x1
	buffer_load_dword v95, off, s[0:3], 0 offset:296
	buffer_load_dword v96, off, s[0:3], 0 offset:300
	s_waitcnt vmcnt(28)
	v_fma_f64 v[97:98], v[99:100], v[91:92], v[89:90]
	;; [unrolled: 11-line block ×5, first 2 shown]
	ds_read_b128 v[89:92], v88 offset:592
	s_waitcnt vmcnt(26) lgkmcnt(0)
	v_fma_f64 v[89:90], v[113:114], v[89:90], v[109:110]
	s_waitcnt vmcnt(24)
	v_fma_f64 v[109:110], v[115:116], v[91:92], v[89:90]
	ds_read_b128 v[89:92], v88 offset:608
	s_waitcnt vmcnt(22) lgkmcnt(0)
	v_fma_f64 v[89:90], v[117:118], v[89:90], v[109:110]
	s_waitcnt vmcnt(20)
	v_fma_f64 v[109:110], v[119:120], v[91:92], v[89:90]
	;; [unrolled: 5-line block ×6, first 2 shown]
	ds_read_b64 v[91:92], v88 offset:688
	s_waitcnt vmcnt(2) lgkmcnt(0)
	v_fma_f64 v[89:90], v[107:108], v[91:92], v[89:90]
	s_waitcnt vmcnt(0)
	v_add_f64 v[89:90], v[105:106], -v[89:90]
	buffer_store_dword v90, off, s[0:3], 0 offset:156
	buffer_store_dword v89, off, s[0:3], 0 offset:152
	v_cmpx_lt_u32_e32 18, v0
	s_cbranch_execz .LBB106_231
; %bb.230:
	s_clause 0x1
	buffer_load_dword v89, off, s[0:3], 0 offset:144
	buffer_load_dword v90, off, s[0:3], 0 offset:148
	buffer_store_dword v88, off, s[0:3], 0 offset:144
	buffer_store_dword v88, off, s[0:3], 0 offset:148
	s_waitcnt vmcnt(0)
	ds_write_b64 v87, v[89:90]
.LBB106_231:
	s_or_b32 exec_lo, exec_lo, s4
	s_waitcnt lgkmcnt(0)
	s_waitcnt_vscnt null, 0x0
	s_barrier
	buffer_gl0_inv
	s_clause 0x1b
	buffer_load_dword v93, off, s[0:3], 0 offset:152
	buffer_load_dword v94, off, s[0:3], 0 offset:156
	buffer_load_dword v95, off, s[0:3], 0 offset:160
	buffer_load_dword v96, off, s[0:3], 0 offset:164
	buffer_load_dword v97, off, s[0:3], 0 offset:168
	buffer_load_dword v98, off, s[0:3], 0 offset:172
	buffer_load_dword v99, off, s[0:3], 0 offset:176
	buffer_load_dword v100, off, s[0:3], 0 offset:180
	buffer_load_dword v101, off, s[0:3], 0 offset:184
	buffer_load_dword v102, off, s[0:3], 0 offset:188
	buffer_load_dword v103, off, s[0:3], 0 offset:192
	buffer_load_dword v104, off, s[0:3], 0 offset:196
	buffer_load_dword v105, off, s[0:3], 0 offset:200
	buffer_load_dword v106, off, s[0:3], 0 offset:204
	buffer_load_dword v108, off, s[0:3], 0 offset:212
	buffer_load_dword v107, off, s[0:3], 0 offset:208
	buffer_load_dword v109, off, s[0:3], 0 offset:216
	buffer_load_dword v110, off, s[0:3], 0 offset:220
	buffer_load_dword v111, off, s[0:3], 0 offset:224
	buffer_load_dword v112, off, s[0:3], 0 offset:228
	buffer_load_dword v113, off, s[0:3], 0 offset:232
	buffer_load_dword v114, off, s[0:3], 0 offset:236
	buffer_load_dword v116, off, s[0:3], 0 offset:244
	buffer_load_dword v115, off, s[0:3], 0 offset:240
	buffer_load_dword v117, off, s[0:3], 0 offset:248
	buffer_load_dword v118, off, s[0:3], 0 offset:252
	buffer_load_dword v119, off, s[0:3], 0 offset:256
	buffer_load_dword v120, off, s[0:3], 0 offset:260
	ds_read2_b64 v[89:92], v88 offset0:63 offset1:64
	s_clause 0x1
	buffer_load_dword v121, off, s[0:3], 0 offset:264
	buffer_load_dword v122, off, s[0:3], 0 offset:268
	s_mov_b32 s4, exec_lo
	s_waitcnt vmcnt(28) lgkmcnt(0)
	v_fma_f64 v[89:90], v[93:94], v[89:90], 0
	s_clause 0x1
	buffer_load_dword v94, off, s[0:3], 0 offset:276
	buffer_load_dword v93, off, s[0:3], 0 offset:272
	s_waitcnt vmcnt(28)
	v_fma_f64 v[95:96], v[95:96], v[91:92], v[89:90]
	ds_read2_b64 v[89:92], v88 offset0:65 offset1:66
	s_clause 0x1
	buffer_load_dword v123, off, s[0:3], 0 offset:280
	buffer_load_dword v124, off, s[0:3], 0 offset:284
	s_waitcnt vmcnt(28) lgkmcnt(0)
	v_fma_f64 v[89:90], v[97:98], v[89:90], v[95:96]
	s_clause 0x1
	buffer_load_dword v95, off, s[0:3], 0 offset:288
	buffer_load_dword v96, off, s[0:3], 0 offset:292
	s_waitcnt vmcnt(28)
	v_fma_f64 v[97:98], v[99:100], v[91:92], v[89:90]
	ds_read2_b64 v[89:92], v88 offset0:67 offset1:68
	s_clause 0x1
	buffer_load_dword v99, off, s[0:3], 0 offset:296
	buffer_load_dword v100, off, s[0:3], 0 offset:300
	;; [unrolled: 11-line block ×5, first 2 shown]
	s_waitcnt vmcnt(28) lgkmcnt(0)
	v_fma_f64 v[89:90], v[113:114], v[89:90], v[109:110]
	s_waitcnt vmcnt(26)
	v_fma_f64 v[109:110], v[115:116], v[91:92], v[89:90]
	ds_read2_b64 v[89:92], v88 offset0:75 offset1:76
	s_waitcnt vmcnt(24) lgkmcnt(0)
	v_fma_f64 v[89:90], v[117:118], v[89:90], v[109:110]
	s_waitcnt vmcnt(22)
	v_fma_f64 v[109:110], v[119:120], v[91:92], v[89:90]
	ds_read2_b64 v[89:92], v88 offset0:77 offset1:78
	;; [unrolled: 5-line block ×6, first 2 shown]
	s_waitcnt vmcnt(4) lgkmcnt(0)
	v_fma_f64 v[88:89], v[107:108], v[88:89], v[92:93]
	s_waitcnt vmcnt(2)
	v_fma_f64 v[88:89], v[105:106], v[90:91], v[88:89]
	s_waitcnt vmcnt(0)
	v_add_f64 v[88:89], v[111:112], -v[88:89]
	buffer_store_dword v89, off, s[0:3], 0 offset:148
	buffer_store_dword v88, off, s[0:3], 0 offset:144
	v_cmpx_lt_u32_e32 17, v0
	s_cbranch_execz .LBB106_233
; %bb.232:
	s_clause 0x1
	buffer_load_dword v88, off, s[0:3], 0 offset:136
	buffer_load_dword v89, off, s[0:3], 0 offset:140
	v_mov_b32_e32 v90, 0
	buffer_store_dword v90, off, s[0:3], 0 offset:136
	buffer_store_dword v90, off, s[0:3], 0 offset:140
	s_waitcnt vmcnt(0)
	ds_write_b64 v87, v[88:89]
.LBB106_233:
	s_or_b32 exec_lo, exec_lo, s4
	s_waitcnt lgkmcnt(0)
	s_waitcnt_vscnt null, 0x0
	s_barrier
	buffer_gl0_inv
	s_clause 0x1b
	buffer_load_dword v93, off, s[0:3], 0 offset:144
	buffer_load_dword v94, off, s[0:3], 0 offset:148
	;; [unrolled: 1-line block ×28, first 2 shown]
	v_mov_b32_e32 v88, 0
	s_mov_b32 s4, exec_lo
	ds_read_b128 v[89:92], v88 offset:496
	s_clause 0x1
	buffer_load_dword v121, off, s[0:3], 0 offset:256
	buffer_load_dword v122, off, s[0:3], 0 offset:260
	s_waitcnt vmcnt(28) lgkmcnt(0)
	v_fma_f64 v[89:90], v[93:94], v[89:90], 0
	s_clause 0x1
	buffer_load_dword v94, off, s[0:3], 0 offset:268
	buffer_load_dword v93, off, s[0:3], 0 offset:264
	s_waitcnt vmcnt(28)
	v_fma_f64 v[95:96], v[95:96], v[91:92], v[89:90]
	ds_read_b128 v[89:92], v88 offset:512
	s_clause 0x1
	buffer_load_dword v123, off, s[0:3], 0 offset:272
	buffer_load_dword v124, off, s[0:3], 0 offset:276
	s_waitcnt vmcnt(28) lgkmcnt(0)
	v_fma_f64 v[89:90], v[97:98], v[89:90], v[95:96]
	s_clause 0x1
	buffer_load_dword v95, off, s[0:3], 0 offset:280
	buffer_load_dword v96, off, s[0:3], 0 offset:284
	s_waitcnt vmcnt(28)
	v_fma_f64 v[97:98], v[99:100], v[91:92], v[89:90]
	;; [unrolled: 11-line block ×6, first 2 shown]
	ds_read_b128 v[89:92], v88 offset:592
	s_waitcnt vmcnt(26) lgkmcnt(0)
	v_fma_f64 v[89:90], v[117:118], v[89:90], v[113:114]
	s_waitcnt vmcnt(24)
	v_fma_f64 v[113:114], v[119:120], v[91:92], v[89:90]
	ds_read_b128 v[89:92], v88 offset:608
	s_waitcnt vmcnt(22) lgkmcnt(0)
	v_fma_f64 v[89:90], v[121:122], v[89:90], v[113:114]
	s_waitcnt vmcnt(20)
	v_fma_f64 v[93:94], v[93:94], v[91:92], v[89:90]
	;; [unrolled: 5-line block ×6, first 2 shown]
	ds_read_b64 v[91:92], v88 offset:688
	s_waitcnt vmcnt(2) lgkmcnt(0)
	v_fma_f64 v[89:90], v[111:112], v[91:92], v[89:90]
	s_waitcnt vmcnt(0)
	v_add_f64 v[89:90], v[109:110], -v[89:90]
	buffer_store_dword v90, off, s[0:3], 0 offset:140
	buffer_store_dword v89, off, s[0:3], 0 offset:136
	v_cmpx_lt_u32_e32 16, v0
	s_cbranch_execz .LBB106_235
; %bb.234:
	s_clause 0x1
	buffer_load_dword v89, off, s[0:3], 0 offset:128
	buffer_load_dword v90, off, s[0:3], 0 offset:132
	buffer_store_dword v88, off, s[0:3], 0 offset:128
	buffer_store_dword v88, off, s[0:3], 0 offset:132
	s_waitcnt vmcnt(0)
	ds_write_b64 v87, v[89:90]
.LBB106_235:
	s_or_b32 exec_lo, exec_lo, s4
	s_waitcnt lgkmcnt(0)
	s_waitcnt_vscnt null, 0x0
	s_barrier
	buffer_gl0_inv
	s_clause 0x1b
	buffer_load_dword v93, off, s[0:3], 0 offset:136
	buffer_load_dword v94, off, s[0:3], 0 offset:140
	buffer_load_dword v95, off, s[0:3], 0 offset:144
	buffer_load_dword v96, off, s[0:3], 0 offset:148
	buffer_load_dword v97, off, s[0:3], 0 offset:152
	buffer_load_dword v98, off, s[0:3], 0 offset:156
	buffer_load_dword v99, off, s[0:3], 0 offset:160
	buffer_load_dword v100, off, s[0:3], 0 offset:164
	buffer_load_dword v101, off, s[0:3], 0 offset:168
	buffer_load_dword v102, off, s[0:3], 0 offset:172
	buffer_load_dword v103, off, s[0:3], 0 offset:176
	buffer_load_dword v104, off, s[0:3], 0 offset:180
	buffer_load_dword v105, off, s[0:3], 0 offset:184
	buffer_load_dword v106, off, s[0:3], 0 offset:188
	buffer_load_dword v108, off, s[0:3], 0 offset:196
	buffer_load_dword v107, off, s[0:3], 0 offset:192
	buffer_load_dword v109, off, s[0:3], 0 offset:200
	buffer_load_dword v110, off, s[0:3], 0 offset:204
	buffer_load_dword v111, off, s[0:3], 0 offset:208
	buffer_load_dword v112, off, s[0:3], 0 offset:212
	buffer_load_dword v113, off, s[0:3], 0 offset:216
	buffer_load_dword v114, off, s[0:3], 0 offset:220
	buffer_load_dword v116, off, s[0:3], 0 offset:228
	buffer_load_dword v115, off, s[0:3], 0 offset:224
	buffer_load_dword v117, off, s[0:3], 0 offset:232
	buffer_load_dword v118, off, s[0:3], 0 offset:236
	buffer_load_dword v119, off, s[0:3], 0 offset:240
	buffer_load_dword v120, off, s[0:3], 0 offset:244
	ds_read2_b64 v[89:92], v88 offset0:61 offset1:62
	s_clause 0x1
	buffer_load_dword v121, off, s[0:3], 0 offset:248
	buffer_load_dword v122, off, s[0:3], 0 offset:252
	s_mov_b32 s4, exec_lo
	s_waitcnt vmcnt(28) lgkmcnt(0)
	v_fma_f64 v[89:90], v[93:94], v[89:90], 0
	s_clause 0x1
	buffer_load_dword v94, off, s[0:3], 0 offset:260
	buffer_load_dword v93, off, s[0:3], 0 offset:256
	s_waitcnt vmcnt(28)
	v_fma_f64 v[95:96], v[95:96], v[91:92], v[89:90]
	ds_read2_b64 v[89:92], v88 offset0:63 offset1:64
	s_clause 0x1
	buffer_load_dword v123, off, s[0:3], 0 offset:264
	buffer_load_dword v124, off, s[0:3], 0 offset:268
	s_waitcnt vmcnt(28) lgkmcnt(0)
	v_fma_f64 v[89:90], v[97:98], v[89:90], v[95:96]
	s_clause 0x1
	buffer_load_dword v95, off, s[0:3], 0 offset:272
	buffer_load_dword v96, off, s[0:3], 0 offset:276
	s_waitcnt vmcnt(28)
	v_fma_f64 v[97:98], v[99:100], v[91:92], v[89:90]
	ds_read2_b64 v[89:92], v88 offset0:65 offset1:66
	s_clause 0x1
	buffer_load_dword v99, off, s[0:3], 0 offset:280
	buffer_load_dword v100, off, s[0:3], 0 offset:284
	;; [unrolled: 11-line block ×6, first 2 shown]
	s_waitcnt vmcnt(28) lgkmcnt(0)
	v_fma_f64 v[89:90], v[117:118], v[89:90], v[113:114]
	s_waitcnt vmcnt(26)
	v_fma_f64 v[113:114], v[119:120], v[91:92], v[89:90]
	ds_read2_b64 v[89:92], v88 offset0:75 offset1:76
	s_waitcnt vmcnt(24) lgkmcnt(0)
	v_fma_f64 v[89:90], v[121:122], v[89:90], v[113:114]
	s_waitcnt vmcnt(22)
	v_fma_f64 v[93:94], v[93:94], v[91:92], v[89:90]
	ds_read2_b64 v[89:92], v88 offset0:77 offset1:78
	;; [unrolled: 5-line block ×6, first 2 shown]
	s_waitcnt vmcnt(4) lgkmcnt(0)
	v_fma_f64 v[88:89], v[111:112], v[88:89], v[92:93]
	s_waitcnt vmcnt(2)
	v_fma_f64 v[88:89], v[109:110], v[90:91], v[88:89]
	s_waitcnt vmcnt(0)
	v_add_f64 v[88:89], v[115:116], -v[88:89]
	buffer_store_dword v89, off, s[0:3], 0 offset:132
	buffer_store_dword v88, off, s[0:3], 0 offset:128
	v_cmpx_lt_u32_e32 15, v0
	s_cbranch_execz .LBB106_237
; %bb.236:
	s_clause 0x1
	buffer_load_dword v88, off, s[0:3], 0 offset:120
	buffer_load_dword v89, off, s[0:3], 0 offset:124
	v_mov_b32_e32 v90, 0
	buffer_store_dword v90, off, s[0:3], 0 offset:120
	buffer_store_dword v90, off, s[0:3], 0 offset:124
	s_waitcnt vmcnt(0)
	ds_write_b64 v87, v[88:89]
.LBB106_237:
	s_or_b32 exec_lo, exec_lo, s4
	s_waitcnt lgkmcnt(0)
	s_waitcnt_vscnt null, 0x0
	s_barrier
	buffer_gl0_inv
	s_clause 0x1b
	buffer_load_dword v93, off, s[0:3], 0 offset:128
	buffer_load_dword v94, off, s[0:3], 0 offset:132
	;; [unrolled: 1-line block ×28, first 2 shown]
	v_mov_b32_e32 v88, 0
	s_mov_b32 s4, exec_lo
	ds_read_b128 v[89:92], v88 offset:480
	s_clause 0x1
	buffer_load_dword v121, off, s[0:3], 0 offset:240
	buffer_load_dword v122, off, s[0:3], 0 offset:244
	s_waitcnt vmcnt(28) lgkmcnt(0)
	v_fma_f64 v[89:90], v[93:94], v[89:90], 0
	s_clause 0x1
	buffer_load_dword v94, off, s[0:3], 0 offset:252
	buffer_load_dword v93, off, s[0:3], 0 offset:248
	s_waitcnt vmcnt(28)
	v_fma_f64 v[95:96], v[95:96], v[91:92], v[89:90]
	ds_read_b128 v[89:92], v88 offset:496
	s_clause 0x1
	buffer_load_dword v123, off, s[0:3], 0 offset:256
	buffer_load_dword v124, off, s[0:3], 0 offset:260
	s_waitcnt vmcnt(28) lgkmcnt(0)
	v_fma_f64 v[89:90], v[97:98], v[89:90], v[95:96]
	s_clause 0x1
	buffer_load_dword v95, off, s[0:3], 0 offset:264
	buffer_load_dword v96, off, s[0:3], 0 offset:268
	s_waitcnt vmcnt(28)
	v_fma_f64 v[97:98], v[99:100], v[91:92], v[89:90]
	;; [unrolled: 11-line block ×7, first 2 shown]
	ds_read_b128 v[89:92], v88 offset:592
	s_waitcnt vmcnt(26) lgkmcnt(0)
	v_fma_f64 v[89:90], v[121:122], v[89:90], v[117:118]
	s_waitcnt vmcnt(24)
	v_fma_f64 v[93:94], v[93:94], v[91:92], v[89:90]
	ds_read_b128 v[89:92], v88 offset:608
	s_waitcnt vmcnt(22) lgkmcnt(0)
	v_fma_f64 v[89:90], v[123:124], v[89:90], v[93:94]
	s_waitcnt vmcnt(20)
	v_fma_f64 v[93:94], v[95:96], v[91:92], v[89:90]
	;; [unrolled: 5-line block ×6, first 2 shown]
	ds_read_b64 v[91:92], v88 offset:688
	s_waitcnt vmcnt(2) lgkmcnt(0)
	v_fma_f64 v[89:90], v[115:116], v[91:92], v[89:90]
	s_waitcnt vmcnt(0)
	v_add_f64 v[89:90], v[113:114], -v[89:90]
	buffer_store_dword v90, off, s[0:3], 0 offset:124
	buffer_store_dword v89, off, s[0:3], 0 offset:120
	v_cmpx_lt_u32_e32 14, v0
	s_cbranch_execz .LBB106_239
; %bb.238:
	s_clause 0x1
	buffer_load_dword v89, off, s[0:3], 0 offset:112
	buffer_load_dword v90, off, s[0:3], 0 offset:116
	buffer_store_dword v88, off, s[0:3], 0 offset:112
	buffer_store_dword v88, off, s[0:3], 0 offset:116
	s_waitcnt vmcnt(0)
	ds_write_b64 v87, v[89:90]
.LBB106_239:
	s_or_b32 exec_lo, exec_lo, s4
	s_waitcnt lgkmcnt(0)
	s_waitcnt_vscnt null, 0x0
	s_barrier
	buffer_gl0_inv
	s_clause 0x1b
	buffer_load_dword v93, off, s[0:3], 0 offset:120
	buffer_load_dword v94, off, s[0:3], 0 offset:124
	;; [unrolled: 1-line block ×28, first 2 shown]
	ds_read2_b64 v[89:92], v88 offset0:59 offset1:60
	s_clause 0x1
	buffer_load_dword v121, off, s[0:3], 0 offset:232
	buffer_load_dword v122, off, s[0:3], 0 offset:236
	s_mov_b32 s4, exec_lo
	s_waitcnt vmcnt(28) lgkmcnt(0)
	v_fma_f64 v[89:90], v[93:94], v[89:90], 0
	s_clause 0x1
	buffer_load_dword v94, off, s[0:3], 0 offset:244
	buffer_load_dword v93, off, s[0:3], 0 offset:240
	s_waitcnt vmcnt(28)
	v_fma_f64 v[95:96], v[95:96], v[91:92], v[89:90]
	ds_read2_b64 v[89:92], v88 offset0:61 offset1:62
	s_clause 0x1
	buffer_load_dword v123, off, s[0:3], 0 offset:248
	buffer_load_dword v124, off, s[0:3], 0 offset:252
	s_waitcnt vmcnt(28) lgkmcnt(0)
	v_fma_f64 v[89:90], v[97:98], v[89:90], v[95:96]
	s_clause 0x1
	buffer_load_dword v95, off, s[0:3], 0 offset:256
	buffer_load_dword v96, off, s[0:3], 0 offset:260
	s_waitcnt vmcnt(28)
	v_fma_f64 v[97:98], v[99:100], v[91:92], v[89:90]
	ds_read2_b64 v[89:92], v88 offset0:63 offset1:64
	s_clause 0x1
	buffer_load_dword v99, off, s[0:3], 0 offset:264
	buffer_load_dword v100, off, s[0:3], 0 offset:268
	;; [unrolled: 11-line block ×7, first 2 shown]
	s_waitcnt vmcnt(28) lgkmcnt(0)
	v_fma_f64 v[89:90], v[121:122], v[89:90], v[117:118]
	s_waitcnt vmcnt(26)
	v_fma_f64 v[93:94], v[93:94], v[91:92], v[89:90]
	ds_read2_b64 v[89:92], v88 offset0:75 offset1:76
	s_waitcnt vmcnt(24) lgkmcnt(0)
	v_fma_f64 v[89:90], v[123:124], v[89:90], v[93:94]
	s_waitcnt vmcnt(22)
	v_fma_f64 v[93:94], v[95:96], v[91:92], v[89:90]
	ds_read2_b64 v[89:92], v88 offset0:77 offset1:78
	;; [unrolled: 5-line block ×6, first 2 shown]
	s_waitcnt vmcnt(4) lgkmcnt(0)
	v_fma_f64 v[88:89], v[115:116], v[88:89], v[92:93]
	s_waitcnt vmcnt(2)
	v_fma_f64 v[88:89], v[113:114], v[90:91], v[88:89]
	s_waitcnt vmcnt(0)
	v_add_f64 v[88:89], v[119:120], -v[88:89]
	buffer_store_dword v89, off, s[0:3], 0 offset:116
	buffer_store_dword v88, off, s[0:3], 0 offset:112
	v_cmpx_lt_u32_e32 13, v0
	s_cbranch_execz .LBB106_241
; %bb.240:
	s_clause 0x1
	buffer_load_dword v88, off, s[0:3], 0 offset:104
	buffer_load_dword v89, off, s[0:3], 0 offset:108
	v_mov_b32_e32 v90, 0
	buffer_store_dword v90, off, s[0:3], 0 offset:104
	buffer_store_dword v90, off, s[0:3], 0 offset:108
	s_waitcnt vmcnt(0)
	ds_write_b64 v87, v[88:89]
.LBB106_241:
	s_or_b32 exec_lo, exec_lo, s4
	s_waitcnt lgkmcnt(0)
	s_waitcnt_vscnt null, 0x0
	s_barrier
	buffer_gl0_inv
	s_clause 0x1b
	buffer_load_dword v93, off, s[0:3], 0 offset:112
	buffer_load_dword v94, off, s[0:3], 0 offset:116
	;; [unrolled: 1-line block ×28, first 2 shown]
	v_mov_b32_e32 v88, 0
	s_mov_b32 s4, exec_lo
	ds_read_b128 v[89:92], v88 offset:464
	s_clause 0x1
	buffer_load_dword v121, off, s[0:3], 0 offset:224
	buffer_load_dword v122, off, s[0:3], 0 offset:228
	s_waitcnt vmcnt(28) lgkmcnt(0)
	v_fma_f64 v[89:90], v[93:94], v[89:90], 0
	s_clause 0x1
	buffer_load_dword v94, off, s[0:3], 0 offset:236
	buffer_load_dword v93, off, s[0:3], 0 offset:232
	s_waitcnt vmcnt(28)
	v_fma_f64 v[95:96], v[95:96], v[91:92], v[89:90]
	ds_read_b128 v[89:92], v88 offset:480
	s_clause 0x1
	buffer_load_dword v123, off, s[0:3], 0 offset:240
	buffer_load_dword v124, off, s[0:3], 0 offset:244
	s_waitcnt vmcnt(28) lgkmcnt(0)
	v_fma_f64 v[89:90], v[97:98], v[89:90], v[95:96]
	s_clause 0x1
	buffer_load_dword v95, off, s[0:3], 0 offset:248
	buffer_load_dword v96, off, s[0:3], 0 offset:252
	s_waitcnt vmcnt(28)
	v_fma_f64 v[97:98], v[99:100], v[91:92], v[89:90]
	;; [unrolled: 11-line block ×8, first 2 shown]
	ds_read_b128 v[89:92], v88 offset:592
	s_waitcnt vmcnt(26) lgkmcnt(0)
	v_fma_f64 v[89:90], v[123:124], v[89:90], v[93:94]
	s_waitcnt vmcnt(24)
	v_fma_f64 v[93:94], v[95:96], v[91:92], v[89:90]
	ds_read_b128 v[89:92], v88 offset:608
	s_waitcnt vmcnt(22) lgkmcnt(0)
	v_fma_f64 v[89:90], v[99:100], v[89:90], v[93:94]
	s_waitcnt vmcnt(20)
	v_fma_f64 v[93:94], v[97:98], v[91:92], v[89:90]
	;; [unrolled: 5-line block ×6, first 2 shown]
	ds_read_b64 v[91:92], v88 offset:688
	s_waitcnt vmcnt(2) lgkmcnt(0)
	v_fma_f64 v[89:90], v[119:120], v[91:92], v[89:90]
	s_waitcnt vmcnt(0)
	v_add_f64 v[89:90], v[117:118], -v[89:90]
	buffer_store_dword v90, off, s[0:3], 0 offset:108
	buffer_store_dword v89, off, s[0:3], 0 offset:104
	v_cmpx_lt_u32_e32 12, v0
	s_cbranch_execz .LBB106_243
; %bb.242:
	s_clause 0x1
	buffer_load_dword v89, off, s[0:3], 0 offset:96
	buffer_load_dword v90, off, s[0:3], 0 offset:100
	buffer_store_dword v88, off, s[0:3], 0 offset:96
	buffer_store_dword v88, off, s[0:3], 0 offset:100
	s_waitcnt vmcnt(0)
	ds_write_b64 v87, v[89:90]
.LBB106_243:
	s_or_b32 exec_lo, exec_lo, s4
	s_waitcnt lgkmcnt(0)
	s_waitcnt_vscnt null, 0x0
	s_barrier
	buffer_gl0_inv
	s_clause 0x1b
	buffer_load_dword v93, off, s[0:3], 0 offset:104
	buffer_load_dword v94, off, s[0:3], 0 offset:108
	;; [unrolled: 1-line block ×28, first 2 shown]
	ds_read2_b64 v[89:92], v88 offset0:57 offset1:58
	s_clause 0x1
	buffer_load_dword v121, off, s[0:3], 0 offset:216
	buffer_load_dword v122, off, s[0:3], 0 offset:220
	s_mov_b32 s4, exec_lo
	s_waitcnt vmcnt(28) lgkmcnt(0)
	v_fma_f64 v[89:90], v[93:94], v[89:90], 0
	s_clause 0x1
	buffer_load_dword v94, off, s[0:3], 0 offset:228
	buffer_load_dword v93, off, s[0:3], 0 offset:224
	s_waitcnt vmcnt(28)
	v_fma_f64 v[95:96], v[95:96], v[91:92], v[89:90]
	ds_read2_b64 v[89:92], v88 offset0:59 offset1:60
	s_clause 0x1
	buffer_load_dword v123, off, s[0:3], 0 offset:232
	buffer_load_dword v124, off, s[0:3], 0 offset:236
	s_waitcnt vmcnt(28) lgkmcnt(0)
	v_fma_f64 v[89:90], v[97:98], v[89:90], v[95:96]
	s_clause 0x1
	buffer_load_dword v95, off, s[0:3], 0 offset:240
	buffer_load_dword v96, off, s[0:3], 0 offset:244
	s_waitcnt vmcnt(28)
	v_fma_f64 v[97:98], v[99:100], v[91:92], v[89:90]
	ds_read2_b64 v[89:92], v88 offset0:61 offset1:62
	s_clause 0x1
	buffer_load_dword v99, off, s[0:3], 0 offset:248
	buffer_load_dword v100, off, s[0:3], 0 offset:252
	;; [unrolled: 11-line block ×8, first 2 shown]
	s_waitcnt vmcnt(28) lgkmcnt(0)
	v_fma_f64 v[89:90], v[123:124], v[89:90], v[93:94]
	s_waitcnt vmcnt(26)
	v_fma_f64 v[93:94], v[95:96], v[91:92], v[89:90]
	ds_read2_b64 v[89:92], v88 offset0:75 offset1:76
	s_waitcnt vmcnt(24) lgkmcnt(0)
	v_fma_f64 v[89:90], v[99:100], v[89:90], v[93:94]
	s_waitcnt vmcnt(22)
	v_fma_f64 v[93:94], v[97:98], v[91:92], v[89:90]
	ds_read2_b64 v[89:92], v88 offset0:77 offset1:78
	;; [unrolled: 5-line block ×6, first 2 shown]
	s_waitcnt vmcnt(4) lgkmcnt(0)
	v_fma_f64 v[88:89], v[119:120], v[88:89], v[92:93]
	s_waitcnt vmcnt(2)
	v_fma_f64 v[88:89], v[117:118], v[90:91], v[88:89]
	s_waitcnt vmcnt(0)
	v_add_f64 v[88:89], v[121:122], -v[88:89]
	buffer_store_dword v89, off, s[0:3], 0 offset:100
	buffer_store_dword v88, off, s[0:3], 0 offset:96
	v_cmpx_lt_u32_e32 11, v0
	s_cbranch_execz .LBB106_245
; %bb.244:
	s_clause 0x1
	buffer_load_dword v88, off, s[0:3], 0 offset:88
	buffer_load_dword v89, off, s[0:3], 0 offset:92
	v_mov_b32_e32 v90, 0
	buffer_store_dword v90, off, s[0:3], 0 offset:88
	buffer_store_dword v90, off, s[0:3], 0 offset:92
	s_waitcnt vmcnt(0)
	ds_write_b64 v87, v[88:89]
.LBB106_245:
	s_or_b32 exec_lo, exec_lo, s4
	s_waitcnt lgkmcnt(0)
	s_waitcnt_vscnt null, 0x0
	s_barrier
	buffer_gl0_inv
	s_clause 0x1b
	buffer_load_dword v93, off, s[0:3], 0 offset:96
	buffer_load_dword v94, off, s[0:3], 0 offset:100
	;; [unrolled: 1-line block ×28, first 2 shown]
	v_mov_b32_e32 v88, 0
	s_mov_b32 s4, exec_lo
	ds_read_b128 v[89:92], v88 offset:448
	s_clause 0x1
	buffer_load_dword v121, off, s[0:3], 0 offset:208
	buffer_load_dword v122, off, s[0:3], 0 offset:212
	s_waitcnt vmcnt(28) lgkmcnt(0)
	v_fma_f64 v[89:90], v[93:94], v[89:90], 0
	s_clause 0x1
	buffer_load_dword v94, off, s[0:3], 0 offset:220
	buffer_load_dword v93, off, s[0:3], 0 offset:216
	s_waitcnt vmcnt(28)
	v_fma_f64 v[95:96], v[95:96], v[91:92], v[89:90]
	ds_read_b128 v[89:92], v88 offset:464
	s_clause 0x1
	buffer_load_dword v123, off, s[0:3], 0 offset:224
	buffer_load_dword v124, off, s[0:3], 0 offset:228
	s_waitcnt vmcnt(28) lgkmcnt(0)
	v_fma_f64 v[89:90], v[97:98], v[89:90], v[95:96]
	s_clause 0x1
	buffer_load_dword v95, off, s[0:3], 0 offset:232
	buffer_load_dword v96, off, s[0:3], 0 offset:236
	s_waitcnt vmcnt(28)
	v_fma_f64 v[97:98], v[99:100], v[91:92], v[89:90]
	;; [unrolled: 11-line block ×9, first 2 shown]
	ds_read_b128 v[89:92], v88 offset:592
	s_waitcnt vmcnt(26) lgkmcnt(0)
	v_fma_f64 v[89:90], v[99:100], v[89:90], v[95:96]
	s_waitcnt vmcnt(24)
	v_fma_f64 v[95:96], v[97:98], v[91:92], v[89:90]
	ds_read_b128 v[89:92], v88 offset:608
	s_waitcnt vmcnt(22) lgkmcnt(0)
	v_fma_f64 v[89:90], v[103:104], v[89:90], v[95:96]
	s_waitcnt vmcnt(20)
	v_fma_f64 v[95:96], v[101:102], v[91:92], v[89:90]
	ds_read_b128 v[89:92], v88 offset:624
	s_waitcnt vmcnt(18) lgkmcnt(0)
	v_fma_f64 v[89:90], v[107:108], v[89:90], v[95:96]
	s_waitcnt vmcnt(16)
	v_fma_f64 v[95:96], v[105:106], v[91:92], v[89:90]
	ds_read_b128 v[89:92], v88 offset:640
	s_waitcnt vmcnt(14) lgkmcnt(0)
	v_fma_f64 v[89:90], v[111:112], v[89:90], v[95:96]
	s_waitcnt vmcnt(12)
	v_fma_f64 v[95:96], v[109:110], v[91:92], v[89:90]
	ds_read_b128 v[89:92], v88 offset:656
	s_waitcnt vmcnt(10) lgkmcnt(0)
	v_fma_f64 v[89:90], v[115:116], v[89:90], v[95:96]
	s_waitcnt vmcnt(8)
	v_fma_f64 v[95:96], v[113:114], v[91:92], v[89:90]
	ds_read_b128 v[89:92], v88 offset:672
	s_waitcnt vmcnt(6) lgkmcnt(0)
	v_fma_f64 v[89:90], v[119:120], v[89:90], v[95:96]
	s_waitcnt vmcnt(4)
	v_fma_f64 v[89:90], v[117:118], v[91:92], v[89:90]
	ds_read_b64 v[91:92], v88 offset:688
	s_waitcnt vmcnt(2) lgkmcnt(0)
	v_fma_f64 v[89:90], v[121:122], v[91:92], v[89:90]
	s_waitcnt vmcnt(0)
	v_add_f64 v[89:90], v[93:94], -v[89:90]
	buffer_store_dword v90, off, s[0:3], 0 offset:92
	buffer_store_dword v89, off, s[0:3], 0 offset:88
	v_cmpx_lt_u32_e32 10, v0
	s_cbranch_execz .LBB106_247
; %bb.246:
	s_clause 0x1
	buffer_load_dword v89, off, s[0:3], 0 offset:80
	buffer_load_dword v90, off, s[0:3], 0 offset:84
	buffer_store_dword v88, off, s[0:3], 0 offset:80
	buffer_store_dword v88, off, s[0:3], 0 offset:84
	s_waitcnt vmcnt(0)
	ds_write_b64 v87, v[89:90]
.LBB106_247:
	s_or_b32 exec_lo, exec_lo, s4
	s_waitcnt lgkmcnt(0)
	s_waitcnt_vscnt null, 0x0
	s_barrier
	buffer_gl0_inv
	s_clause 0x1b
	buffer_load_dword v93, off, s[0:3], 0 offset:88
	buffer_load_dword v94, off, s[0:3], 0 offset:92
	;; [unrolled: 1-line block ×28, first 2 shown]
	ds_read2_b64 v[89:92], v88 offset0:55 offset1:56
	s_clause 0x1
	buffer_load_dword v121, off, s[0:3], 0 offset:200
	buffer_load_dword v122, off, s[0:3], 0 offset:204
	s_mov_b32 s4, exec_lo
	s_waitcnt vmcnt(28) lgkmcnt(0)
	v_fma_f64 v[89:90], v[93:94], v[89:90], 0
	s_clause 0x1
	buffer_load_dword v94, off, s[0:3], 0 offset:212
	buffer_load_dword v93, off, s[0:3], 0 offset:208
	s_waitcnt vmcnt(28)
	v_fma_f64 v[95:96], v[95:96], v[91:92], v[89:90]
	ds_read2_b64 v[89:92], v88 offset0:57 offset1:58
	s_clause 0x1
	buffer_load_dword v123, off, s[0:3], 0 offset:216
	buffer_load_dword v124, off, s[0:3], 0 offset:220
	s_waitcnt vmcnt(28) lgkmcnt(0)
	v_fma_f64 v[89:90], v[97:98], v[89:90], v[95:96]
	s_clause 0x1
	buffer_load_dword v95, off, s[0:3], 0 offset:224
	buffer_load_dword v96, off, s[0:3], 0 offset:228
	s_waitcnt vmcnt(28)
	v_fma_f64 v[97:98], v[99:100], v[91:92], v[89:90]
	ds_read2_b64 v[89:92], v88 offset0:59 offset1:60
	s_clause 0x1
	buffer_load_dword v99, off, s[0:3], 0 offset:232
	buffer_load_dword v100, off, s[0:3], 0 offset:236
	;; [unrolled: 11-line block ×9, first 2 shown]
	s_waitcnt vmcnt(28) lgkmcnt(0)
	v_fma_f64 v[89:90], v[99:100], v[89:90], v[95:96]
	s_waitcnt vmcnt(26)
	v_fma_f64 v[95:96], v[97:98], v[91:92], v[89:90]
	ds_read2_b64 v[89:92], v88 offset0:75 offset1:76
	s_waitcnt vmcnt(24) lgkmcnt(0)
	v_fma_f64 v[89:90], v[103:104], v[89:90], v[95:96]
	s_waitcnt vmcnt(22)
	v_fma_f64 v[95:96], v[101:102], v[91:92], v[89:90]
	ds_read2_b64 v[89:92], v88 offset0:77 offset1:78
	;; [unrolled: 5-line block ×6, first 2 shown]
	s_waitcnt vmcnt(4) lgkmcnt(0)
	v_fma_f64 v[88:89], v[121:122], v[88:89], v[95:96]
	s_waitcnt vmcnt(2)
	v_fma_f64 v[88:89], v[93:94], v[90:91], v[88:89]
	s_waitcnt vmcnt(0)
	v_add_f64 v[88:89], v[123:124], -v[88:89]
	buffer_store_dword v89, off, s[0:3], 0 offset:84
	buffer_store_dword v88, off, s[0:3], 0 offset:80
	v_cmpx_lt_u32_e32 9, v0
	s_cbranch_execz .LBB106_249
; %bb.248:
	s_clause 0x1
	buffer_load_dword v88, off, s[0:3], 0 offset:72
	buffer_load_dword v89, off, s[0:3], 0 offset:76
	v_mov_b32_e32 v90, 0
	buffer_store_dword v90, off, s[0:3], 0 offset:72
	buffer_store_dword v90, off, s[0:3], 0 offset:76
	s_waitcnt vmcnt(0)
	ds_write_b64 v87, v[88:89]
.LBB106_249:
	s_or_b32 exec_lo, exec_lo, s4
	s_waitcnt lgkmcnt(0)
	s_waitcnt_vscnt null, 0x0
	s_barrier
	buffer_gl0_inv
	s_clause 0x1b
	buffer_load_dword v93, off, s[0:3], 0 offset:80
	buffer_load_dword v94, off, s[0:3], 0 offset:84
	;; [unrolled: 1-line block ×28, first 2 shown]
	v_mov_b32_e32 v88, 0
	s_mov_b32 s4, exec_lo
	ds_read_b128 v[89:92], v88 offset:432
	s_clause 0x1
	buffer_load_dword v121, off, s[0:3], 0 offset:192
	buffer_load_dword v122, off, s[0:3], 0 offset:196
	s_waitcnt vmcnt(28) lgkmcnt(0)
	v_fma_f64 v[89:90], v[93:94], v[89:90], 0
	s_clause 0x1
	buffer_load_dword v94, off, s[0:3], 0 offset:204
	buffer_load_dword v93, off, s[0:3], 0 offset:200
	s_waitcnt vmcnt(28)
	v_fma_f64 v[95:96], v[95:96], v[91:92], v[89:90]
	ds_read_b128 v[89:92], v88 offset:448
	s_clause 0x1
	buffer_load_dword v123, off, s[0:3], 0 offset:208
	buffer_load_dword v124, off, s[0:3], 0 offset:212
	s_waitcnt vmcnt(28) lgkmcnt(0)
	v_fma_f64 v[89:90], v[97:98], v[89:90], v[95:96]
	s_clause 0x1
	buffer_load_dword v95, off, s[0:3], 0 offset:216
	buffer_load_dword v96, off, s[0:3], 0 offset:220
	s_waitcnt vmcnt(28)
	v_fma_f64 v[97:98], v[99:100], v[91:92], v[89:90]
	;; [unrolled: 11-line block ×10, first 2 shown]
	ds_read_b128 v[89:92], v88 offset:592
	s_waitcnt vmcnt(26) lgkmcnt(0)
	v_fma_f64 v[89:90], v[103:104], v[89:90], v[97:98]
	s_waitcnt vmcnt(24)
	v_fma_f64 v[97:98], v[101:102], v[91:92], v[89:90]
	ds_read_b128 v[89:92], v88 offset:608
	s_waitcnt vmcnt(22) lgkmcnt(0)
	v_fma_f64 v[89:90], v[107:108], v[89:90], v[97:98]
	s_waitcnt vmcnt(20)
	v_fma_f64 v[97:98], v[105:106], v[91:92], v[89:90]
	;; [unrolled: 5-line block ×6, first 2 shown]
	ds_read_b64 v[91:92], v88 offset:688
	s_waitcnt vmcnt(2) lgkmcnt(0)
	v_fma_f64 v[89:90], v[123:124], v[91:92], v[89:90]
	s_waitcnt vmcnt(0)
	v_add_f64 v[89:90], v[95:96], -v[89:90]
	buffer_store_dword v90, off, s[0:3], 0 offset:76
	buffer_store_dword v89, off, s[0:3], 0 offset:72
	v_cmpx_lt_u32_e32 8, v0
	s_cbranch_execz .LBB106_251
; %bb.250:
	s_clause 0x1
	buffer_load_dword v89, off, s[0:3], 0 offset:64
	buffer_load_dword v90, off, s[0:3], 0 offset:68
	buffer_store_dword v88, off, s[0:3], 0 offset:64
	buffer_store_dword v88, off, s[0:3], 0 offset:68
	s_waitcnt vmcnt(0)
	ds_write_b64 v87, v[89:90]
.LBB106_251:
	s_or_b32 exec_lo, exec_lo, s4
	s_waitcnt lgkmcnt(0)
	s_waitcnt_vscnt null, 0x0
	s_barrier
	buffer_gl0_inv
	s_clause 0x1b
	buffer_load_dword v93, off, s[0:3], 0 offset:72
	buffer_load_dword v94, off, s[0:3], 0 offset:76
	;; [unrolled: 1-line block ×28, first 2 shown]
	ds_read2_b64 v[89:92], v88 offset0:53 offset1:54
	s_clause 0x1
	buffer_load_dword v121, off, s[0:3], 0 offset:184
	buffer_load_dword v122, off, s[0:3], 0 offset:188
	s_mov_b32 s4, exec_lo
	s_waitcnt vmcnt(28) lgkmcnt(0)
	v_fma_f64 v[89:90], v[93:94], v[89:90], 0
	s_clause 0x1
	buffer_load_dword v94, off, s[0:3], 0 offset:196
	buffer_load_dword v93, off, s[0:3], 0 offset:192
	s_waitcnt vmcnt(28)
	v_fma_f64 v[95:96], v[95:96], v[91:92], v[89:90]
	ds_read2_b64 v[89:92], v88 offset0:55 offset1:56
	s_clause 0x1
	buffer_load_dword v123, off, s[0:3], 0 offset:200
	buffer_load_dword v124, off, s[0:3], 0 offset:204
	s_waitcnt vmcnt(28) lgkmcnt(0)
	v_fma_f64 v[89:90], v[97:98], v[89:90], v[95:96]
	s_clause 0x1
	buffer_load_dword v95, off, s[0:3], 0 offset:208
	buffer_load_dword v96, off, s[0:3], 0 offset:212
	s_waitcnt vmcnt(28)
	v_fma_f64 v[97:98], v[99:100], v[91:92], v[89:90]
	ds_read2_b64 v[89:92], v88 offset0:57 offset1:58
	s_clause 0x1
	buffer_load_dword v99, off, s[0:3], 0 offset:216
	buffer_load_dword v100, off, s[0:3], 0 offset:220
	;; [unrolled: 11-line block ×10, first 2 shown]
	s_waitcnt vmcnt(28) lgkmcnt(0)
	v_fma_f64 v[89:90], v[103:104], v[89:90], v[97:98]
	s_waitcnt vmcnt(26)
	v_fma_f64 v[97:98], v[101:102], v[91:92], v[89:90]
	ds_read2_b64 v[89:92], v88 offset0:75 offset1:76
	s_waitcnt vmcnt(24) lgkmcnt(0)
	v_fma_f64 v[89:90], v[107:108], v[89:90], v[97:98]
	s_waitcnt vmcnt(22)
	v_fma_f64 v[97:98], v[105:106], v[91:92], v[89:90]
	ds_read2_b64 v[89:92], v88 offset0:77 offset1:78
	;; [unrolled: 5-line block ×6, first 2 shown]
	s_waitcnt vmcnt(4) lgkmcnt(0)
	v_fma_f64 v[88:89], v[123:124], v[88:89], v[92:93]
	s_waitcnt vmcnt(2)
	v_fma_f64 v[88:89], v[95:96], v[90:91], v[88:89]
	s_waitcnt vmcnt(0)
	v_add_f64 v[88:89], v[99:100], -v[88:89]
	buffer_store_dword v89, off, s[0:3], 0 offset:68
	buffer_store_dword v88, off, s[0:3], 0 offset:64
	v_cmpx_lt_u32_e32 7, v0
	s_cbranch_execz .LBB106_253
; %bb.252:
	s_clause 0x1
	buffer_load_dword v88, off, s[0:3], 0 offset:56
	buffer_load_dword v89, off, s[0:3], 0 offset:60
	v_mov_b32_e32 v90, 0
	buffer_store_dword v90, off, s[0:3], 0 offset:56
	buffer_store_dword v90, off, s[0:3], 0 offset:60
	s_waitcnt vmcnt(0)
	ds_write_b64 v87, v[88:89]
.LBB106_253:
	s_or_b32 exec_lo, exec_lo, s4
	s_waitcnt lgkmcnt(0)
	s_waitcnt_vscnt null, 0x0
	s_barrier
	buffer_gl0_inv
	s_clause 0x1b
	buffer_load_dword v93, off, s[0:3], 0 offset:64
	buffer_load_dword v94, off, s[0:3], 0 offset:68
	buffer_load_dword v95, off, s[0:3], 0 offset:72
	buffer_load_dword v96, off, s[0:3], 0 offset:76
	buffer_load_dword v97, off, s[0:3], 0 offset:80
	buffer_load_dword v98, off, s[0:3], 0 offset:84
	buffer_load_dword v99, off, s[0:3], 0 offset:88
	buffer_load_dword v100, off, s[0:3], 0 offset:92
	buffer_load_dword v101, off, s[0:3], 0 offset:96
	buffer_load_dword v102, off, s[0:3], 0 offset:100
	buffer_load_dword v103, off, s[0:3], 0 offset:104
	buffer_load_dword v104, off, s[0:3], 0 offset:108
	buffer_load_dword v105, off, s[0:3], 0 offset:112
	buffer_load_dword v106, off, s[0:3], 0 offset:116
	buffer_load_dword v108, off, s[0:3], 0 offset:124
	buffer_load_dword v107, off, s[0:3], 0 offset:120
	buffer_load_dword v109, off, s[0:3], 0 offset:128
	buffer_load_dword v110, off, s[0:3], 0 offset:132
	buffer_load_dword v111, off, s[0:3], 0 offset:136
	buffer_load_dword v112, off, s[0:3], 0 offset:140
	buffer_load_dword v113, off, s[0:3], 0 offset:144
	buffer_load_dword v114, off, s[0:3], 0 offset:148
	buffer_load_dword v116, off, s[0:3], 0 offset:156
	buffer_load_dword v115, off, s[0:3], 0 offset:152
	buffer_load_dword v117, off, s[0:3], 0 offset:160
	buffer_load_dword v118, off, s[0:3], 0 offset:164
	buffer_load_dword v119, off, s[0:3], 0 offset:168
	buffer_load_dword v120, off, s[0:3], 0 offset:172
	v_mov_b32_e32 v88, 0
	s_mov_b32 s4, exec_lo
	ds_read_b128 v[89:92], v88 offset:416
	s_clause 0x1
	buffer_load_dword v121, off, s[0:3], 0 offset:176
	buffer_load_dword v122, off, s[0:3], 0 offset:180
	s_waitcnt vmcnt(28) lgkmcnt(0)
	v_fma_f64 v[89:90], v[93:94], v[89:90], 0
	s_clause 0x1
	buffer_load_dword v94, off, s[0:3], 0 offset:188
	buffer_load_dword v93, off, s[0:3], 0 offset:184
	s_waitcnt vmcnt(28)
	v_fma_f64 v[95:96], v[95:96], v[91:92], v[89:90]
	ds_read_b128 v[89:92], v88 offset:432
	s_clause 0x1
	buffer_load_dword v123, off, s[0:3], 0 offset:192
	buffer_load_dword v124, off, s[0:3], 0 offset:196
	s_waitcnt vmcnt(28) lgkmcnt(0)
	v_fma_f64 v[89:90], v[97:98], v[89:90], v[95:96]
	s_clause 0x1
	buffer_load_dword v95, off, s[0:3], 0 offset:200
	buffer_load_dword v96, off, s[0:3], 0 offset:204
	s_waitcnt vmcnt(28)
	v_fma_f64 v[97:98], v[99:100], v[91:92], v[89:90]
	ds_read_b128 v[89:92], v88 offset:448
	s_clause 0x1
	buffer_load_dword v99, off, s[0:3], 0 offset:208
	buffer_load_dword v100, off, s[0:3], 0 offset:212
	s_waitcnt vmcnt(28) lgkmcnt(0)
	v_fma_f64 v[89:90], v[101:102], v[89:90], v[97:98]
	s_clause 0x1
	buffer_load_dword v98, off, s[0:3], 0 offset:220
	buffer_load_dword v97, off, s[0:3], 0 offset:216
	s_waitcnt vmcnt(28)
	v_fma_f64 v[101:102], v[103:104], v[91:92], v[89:90]
	ds_read_b128 v[89:92], v88 offset:464
	s_clause 0x1
	buffer_load_dword v103, off, s[0:3], 0 offset:224
	buffer_load_dword v104, off, s[0:3], 0 offset:228
	s_waitcnt vmcnt(28) lgkmcnt(0)
	v_fma_f64 v[89:90], v[105:106], v[89:90], v[101:102]
	s_clause 0x1
	buffer_load_dword v101, off, s[0:3], 0 offset:232
	buffer_load_dword v102, off, s[0:3], 0 offset:236
	s_waitcnt vmcnt(28)
	v_fma_f64 v[105:106], v[107:108], v[91:92], v[89:90]
	ds_read_b128 v[89:92], v88 offset:480
	s_clause 0x1
	buffer_load_dword v107, off, s[0:3], 0 offset:240
	buffer_load_dword v108, off, s[0:3], 0 offset:244
	s_waitcnt vmcnt(28) lgkmcnt(0)
	v_fma_f64 v[89:90], v[109:110], v[89:90], v[105:106]
	s_clause 0x1
	buffer_load_dword v106, off, s[0:3], 0 offset:252
	buffer_load_dword v105, off, s[0:3], 0 offset:248
	s_waitcnt vmcnt(28)
	v_fma_f64 v[109:110], v[111:112], v[91:92], v[89:90]
	ds_read_b128 v[89:92], v88 offset:496
	s_clause 0x1
	buffer_load_dword v111, off, s[0:3], 0 offset:256
	buffer_load_dword v112, off, s[0:3], 0 offset:260
	s_waitcnt vmcnt(28) lgkmcnt(0)
	v_fma_f64 v[89:90], v[113:114], v[89:90], v[109:110]
	s_clause 0x1
	buffer_load_dword v109, off, s[0:3], 0 offset:264
	buffer_load_dword v110, off, s[0:3], 0 offset:268
	s_waitcnt vmcnt(28)
	v_fma_f64 v[113:114], v[115:116], v[91:92], v[89:90]
	ds_read_b128 v[89:92], v88 offset:512
	s_clause 0x1
	buffer_load_dword v115, off, s[0:3], 0 offset:272
	buffer_load_dword v116, off, s[0:3], 0 offset:276
	s_waitcnt vmcnt(28) lgkmcnt(0)
	v_fma_f64 v[89:90], v[117:118], v[89:90], v[113:114]
	s_clause 0x1
	buffer_load_dword v114, off, s[0:3], 0 offset:284
	buffer_load_dword v113, off, s[0:3], 0 offset:280
	s_waitcnt vmcnt(28)
	v_fma_f64 v[117:118], v[119:120], v[91:92], v[89:90]
	ds_read_b128 v[89:92], v88 offset:528
	s_clause 0x1
	buffer_load_dword v119, off, s[0:3], 0 offset:288
	buffer_load_dword v120, off, s[0:3], 0 offset:292
	s_waitcnt vmcnt(28) lgkmcnt(0)
	v_fma_f64 v[89:90], v[121:122], v[89:90], v[117:118]
	s_clause 0x1
	buffer_load_dword v117, off, s[0:3], 0 offset:296
	buffer_load_dword v118, off, s[0:3], 0 offset:300
	s_waitcnt vmcnt(28)
	v_fma_f64 v[93:94], v[93:94], v[91:92], v[89:90]
	ds_read_b128 v[89:92], v88 offset:544
	s_clause 0x1
	buffer_load_dword v121, off, s[0:3], 0 offset:304
	buffer_load_dword v122, off, s[0:3], 0 offset:308
	s_waitcnt vmcnt(28) lgkmcnt(0)
	v_fma_f64 v[89:90], v[123:124], v[89:90], v[93:94]
	s_clause 0x1
	buffer_load_dword v94, off, s[0:3], 0 offset:316
	buffer_load_dword v93, off, s[0:3], 0 offset:312
	s_waitcnt vmcnt(28)
	v_fma_f64 v[95:96], v[95:96], v[91:92], v[89:90]
	ds_read_b128 v[89:92], v88 offset:560
	s_clause 0x1
	buffer_load_dword v123, off, s[0:3], 0 offset:320
	buffer_load_dword v124, off, s[0:3], 0 offset:324
	s_waitcnt vmcnt(28) lgkmcnt(0)
	v_fma_f64 v[89:90], v[99:100], v[89:90], v[95:96]
	s_clause 0x1
	buffer_load_dword v95, off, s[0:3], 0 offset:328
	buffer_load_dword v96, off, s[0:3], 0 offset:332
	s_waitcnt vmcnt(28)
	v_fma_f64 v[97:98], v[97:98], v[91:92], v[89:90]
	ds_read_b128 v[89:92], v88 offset:576
	s_clause 0x1
	buffer_load_dword v99, off, s[0:3], 0 offset:336
	buffer_load_dword v100, off, s[0:3], 0 offset:340
	s_waitcnt vmcnt(28) lgkmcnt(0)
	v_fma_f64 v[89:90], v[103:104], v[89:90], v[97:98]
	s_clause 0x1
	buffer_load_dword v97, off, s[0:3], 0 offset:56
	buffer_load_dword v98, off, s[0:3], 0 offset:60
	s_waitcnt vmcnt(28)
	v_fma_f64 v[101:102], v[101:102], v[91:92], v[89:90]
	ds_read_b128 v[89:92], v88 offset:592
	s_waitcnt vmcnt(26) lgkmcnt(0)
	v_fma_f64 v[89:90], v[107:108], v[89:90], v[101:102]
	s_waitcnt vmcnt(24)
	v_fma_f64 v[101:102], v[105:106], v[91:92], v[89:90]
	ds_read_b128 v[89:92], v88 offset:608
	s_waitcnt vmcnt(22) lgkmcnt(0)
	v_fma_f64 v[89:90], v[111:112], v[89:90], v[101:102]
	s_waitcnt vmcnt(20)
	v_fma_f64 v[101:102], v[109:110], v[91:92], v[89:90]
	;; [unrolled: 5-line block ×6, first 2 shown]
	ds_read_b64 v[91:92], v88 offset:688
	s_waitcnt vmcnt(2) lgkmcnt(0)
	v_fma_f64 v[89:90], v[99:100], v[91:92], v[89:90]
	s_waitcnt vmcnt(0)
	v_add_f64 v[89:90], v[97:98], -v[89:90]
	buffer_store_dword v90, off, s[0:3], 0 offset:60
	buffer_store_dword v89, off, s[0:3], 0 offset:56
	v_cmpx_lt_u32_e32 6, v0
	s_cbranch_execz .LBB106_255
; %bb.254:
	s_clause 0x1
	buffer_load_dword v89, off, s[0:3], 0 offset:48
	buffer_load_dword v90, off, s[0:3], 0 offset:52
	buffer_store_dword v88, off, s[0:3], 0 offset:48
	buffer_store_dword v88, off, s[0:3], 0 offset:52
	s_waitcnt vmcnt(0)
	ds_write_b64 v87, v[89:90]
.LBB106_255:
	s_or_b32 exec_lo, exec_lo, s4
	s_waitcnt lgkmcnt(0)
	s_waitcnt_vscnt null, 0x0
	s_barrier
	buffer_gl0_inv
	s_clause 0x1b
	buffer_load_dword v93, off, s[0:3], 0 offset:56
	buffer_load_dword v94, off, s[0:3], 0 offset:60
	;; [unrolled: 1-line block ×28, first 2 shown]
	ds_read2_b64 v[89:92], v88 offset0:51 offset1:52
	s_clause 0x1
	buffer_load_dword v121, off, s[0:3], 0 offset:168
	buffer_load_dword v122, off, s[0:3], 0 offset:172
	s_mov_b32 s4, exec_lo
	s_waitcnt vmcnt(28) lgkmcnt(0)
	v_fma_f64 v[89:90], v[93:94], v[89:90], 0
	s_clause 0x1
	buffer_load_dword v94, off, s[0:3], 0 offset:180
	buffer_load_dword v93, off, s[0:3], 0 offset:176
	s_waitcnt vmcnt(28)
	v_fma_f64 v[95:96], v[95:96], v[91:92], v[89:90]
	ds_read2_b64 v[89:92], v88 offset0:53 offset1:54
	s_clause 0x1
	buffer_load_dword v123, off, s[0:3], 0 offset:184
	buffer_load_dword v124, off, s[0:3], 0 offset:188
	s_waitcnt vmcnt(28) lgkmcnt(0)
	v_fma_f64 v[89:90], v[97:98], v[89:90], v[95:96]
	s_clause 0x1
	buffer_load_dword v95, off, s[0:3], 0 offset:192
	buffer_load_dword v96, off, s[0:3], 0 offset:196
	s_waitcnt vmcnt(28)
	v_fma_f64 v[97:98], v[99:100], v[91:92], v[89:90]
	ds_read2_b64 v[89:92], v88 offset0:55 offset1:56
	s_clause 0x1
	buffer_load_dword v99, off, s[0:3], 0 offset:200
	buffer_load_dword v100, off, s[0:3], 0 offset:204
	;; [unrolled: 11-line block ×11, first 2 shown]
	s_waitcnt vmcnt(28) lgkmcnt(0)
	v_fma_f64 v[89:90], v[107:108], v[89:90], v[101:102]
	s_waitcnt vmcnt(26)
	v_fma_f64 v[101:102], v[105:106], v[91:92], v[89:90]
	ds_read2_b64 v[89:92], v88 offset0:75 offset1:76
	s_waitcnt vmcnt(24) lgkmcnt(0)
	v_fma_f64 v[89:90], v[111:112], v[89:90], v[101:102]
	s_waitcnt vmcnt(22)
	v_fma_f64 v[101:102], v[109:110], v[91:92], v[89:90]
	ds_read2_b64 v[89:92], v88 offset0:77 offset1:78
	;; [unrolled: 5-line block ×6, first 2 shown]
	s_waitcnt vmcnt(4) lgkmcnt(0)
	v_fma_f64 v[88:89], v[99:100], v[88:89], v[92:93]
	s_waitcnt vmcnt(2)
	v_fma_f64 v[88:89], v[97:98], v[90:91], v[88:89]
	s_waitcnt vmcnt(0)
	v_add_f64 v[88:89], v[103:104], -v[88:89]
	buffer_store_dword v89, off, s[0:3], 0 offset:52
	buffer_store_dword v88, off, s[0:3], 0 offset:48
	v_cmpx_lt_u32_e32 5, v0
	s_cbranch_execz .LBB106_257
; %bb.256:
	s_clause 0x1
	buffer_load_dword v88, off, s[0:3], 0 offset:40
	buffer_load_dword v89, off, s[0:3], 0 offset:44
	v_mov_b32_e32 v90, 0
	buffer_store_dword v90, off, s[0:3], 0 offset:40
	buffer_store_dword v90, off, s[0:3], 0 offset:44
	s_waitcnt vmcnt(0)
	ds_write_b64 v87, v[88:89]
.LBB106_257:
	s_or_b32 exec_lo, exec_lo, s4
	s_waitcnt lgkmcnt(0)
	s_waitcnt_vscnt null, 0x0
	s_barrier
	buffer_gl0_inv
	s_clause 0x1b
	buffer_load_dword v93, off, s[0:3], 0 offset:48
	buffer_load_dword v94, off, s[0:3], 0 offset:52
	;; [unrolled: 1-line block ×28, first 2 shown]
	v_mov_b32_e32 v88, 0
	s_mov_b32 s4, exec_lo
	ds_read_b128 v[89:92], v88 offset:400
	s_clause 0x1
	buffer_load_dword v121, off, s[0:3], 0 offset:160
	buffer_load_dword v122, off, s[0:3], 0 offset:164
	s_waitcnt vmcnt(28) lgkmcnt(0)
	v_fma_f64 v[89:90], v[93:94], v[89:90], 0
	s_clause 0x1
	buffer_load_dword v94, off, s[0:3], 0 offset:172
	buffer_load_dword v93, off, s[0:3], 0 offset:168
	s_waitcnt vmcnt(28)
	v_fma_f64 v[95:96], v[95:96], v[91:92], v[89:90]
	ds_read_b128 v[89:92], v88 offset:416
	s_clause 0x1
	buffer_load_dword v123, off, s[0:3], 0 offset:176
	buffer_load_dword v124, off, s[0:3], 0 offset:180
	s_waitcnt vmcnt(28) lgkmcnt(0)
	v_fma_f64 v[89:90], v[97:98], v[89:90], v[95:96]
	s_clause 0x1
	buffer_load_dword v95, off, s[0:3], 0 offset:184
	buffer_load_dword v96, off, s[0:3], 0 offset:188
	s_waitcnt vmcnt(28)
	v_fma_f64 v[97:98], v[99:100], v[91:92], v[89:90]
	;; [unrolled: 11-line block ×12, first 2 shown]
	ds_read_b128 v[89:92], v88 offset:592
	s_waitcnt vmcnt(26) lgkmcnt(0)
	v_fma_f64 v[89:90], v[111:112], v[89:90], v[105:106]
	s_waitcnt vmcnt(24)
	v_fma_f64 v[105:106], v[109:110], v[91:92], v[89:90]
	ds_read_b128 v[89:92], v88 offset:608
	s_waitcnt vmcnt(22) lgkmcnt(0)
	v_fma_f64 v[89:90], v[115:116], v[89:90], v[105:106]
	s_waitcnt vmcnt(20)
	v_fma_f64 v[105:106], v[113:114], v[91:92], v[89:90]
	;; [unrolled: 5-line block ×6, first 2 shown]
	ds_read_b64 v[91:92], v88 offset:688
	s_waitcnt vmcnt(2) lgkmcnt(0)
	v_fma_f64 v[89:90], v[103:104], v[91:92], v[89:90]
	s_waitcnt vmcnt(0)
	v_add_f64 v[89:90], v[101:102], -v[89:90]
	buffer_store_dword v90, off, s[0:3], 0 offset:44
	buffer_store_dword v89, off, s[0:3], 0 offset:40
	v_cmpx_lt_u32_e32 4, v0
	s_cbranch_execz .LBB106_259
; %bb.258:
	s_clause 0x1
	buffer_load_dword v89, off, s[0:3], 0 offset:32
	buffer_load_dword v90, off, s[0:3], 0 offset:36
	buffer_store_dword v88, off, s[0:3], 0 offset:32
	buffer_store_dword v88, off, s[0:3], 0 offset:36
	s_waitcnt vmcnt(0)
	ds_write_b64 v87, v[89:90]
.LBB106_259:
	s_or_b32 exec_lo, exec_lo, s4
	s_waitcnt lgkmcnt(0)
	s_waitcnt_vscnt null, 0x0
	s_barrier
	buffer_gl0_inv
	s_clause 0x1b
	buffer_load_dword v93, off, s[0:3], 0 offset:40
	buffer_load_dword v94, off, s[0:3], 0 offset:44
	;; [unrolled: 1-line block ×28, first 2 shown]
	ds_read2_b64 v[89:92], v88 offset0:49 offset1:50
	s_clause 0x1
	buffer_load_dword v121, off, s[0:3], 0 offset:152
	buffer_load_dword v122, off, s[0:3], 0 offset:156
	s_mov_b32 s4, exec_lo
	s_waitcnt vmcnt(28) lgkmcnt(0)
	v_fma_f64 v[89:90], v[93:94], v[89:90], 0
	s_clause 0x1
	buffer_load_dword v94, off, s[0:3], 0 offset:164
	buffer_load_dword v93, off, s[0:3], 0 offset:160
	s_waitcnt vmcnt(28)
	v_fma_f64 v[95:96], v[95:96], v[91:92], v[89:90]
	ds_read2_b64 v[89:92], v88 offset0:51 offset1:52
	s_clause 0x1
	buffer_load_dword v123, off, s[0:3], 0 offset:168
	buffer_load_dword v124, off, s[0:3], 0 offset:172
	s_waitcnt vmcnt(28) lgkmcnt(0)
	v_fma_f64 v[89:90], v[97:98], v[89:90], v[95:96]
	s_clause 0x1
	buffer_load_dword v95, off, s[0:3], 0 offset:176
	buffer_load_dword v96, off, s[0:3], 0 offset:180
	s_waitcnt vmcnt(28)
	v_fma_f64 v[97:98], v[99:100], v[91:92], v[89:90]
	ds_read2_b64 v[89:92], v88 offset0:53 offset1:54
	s_clause 0x1
	buffer_load_dword v99, off, s[0:3], 0 offset:184
	buffer_load_dword v100, off, s[0:3], 0 offset:188
	;; [unrolled: 11-line block ×12, first 2 shown]
	s_waitcnt vmcnt(28) lgkmcnt(0)
	v_fma_f64 v[89:90], v[111:112], v[89:90], v[105:106]
	s_waitcnt vmcnt(26)
	v_fma_f64 v[105:106], v[109:110], v[91:92], v[89:90]
	ds_read2_b64 v[89:92], v88 offset0:75 offset1:76
	s_waitcnt vmcnt(24) lgkmcnt(0)
	v_fma_f64 v[89:90], v[115:116], v[89:90], v[105:106]
	s_waitcnt vmcnt(22)
	v_fma_f64 v[105:106], v[113:114], v[91:92], v[89:90]
	ds_read2_b64 v[89:92], v88 offset0:77 offset1:78
	;; [unrolled: 5-line block ×6, first 2 shown]
	s_waitcnt vmcnt(4) lgkmcnt(0)
	v_fma_f64 v[88:89], v[103:104], v[88:89], v[92:93]
	s_waitcnt vmcnt(2)
	v_fma_f64 v[88:89], v[101:102], v[90:91], v[88:89]
	s_waitcnt vmcnt(0)
	v_add_f64 v[88:89], v[107:108], -v[88:89]
	buffer_store_dword v89, off, s[0:3], 0 offset:36
	buffer_store_dword v88, off, s[0:3], 0 offset:32
	v_cmpx_lt_u32_e32 3, v0
	s_cbranch_execz .LBB106_261
; %bb.260:
	s_clause 0x1
	buffer_load_dword v88, off, s[0:3], 0 offset:24
	buffer_load_dword v89, off, s[0:3], 0 offset:28
	v_mov_b32_e32 v90, 0
	buffer_store_dword v90, off, s[0:3], 0 offset:24
	buffer_store_dword v90, off, s[0:3], 0 offset:28
	s_waitcnt vmcnt(0)
	ds_write_b64 v87, v[88:89]
.LBB106_261:
	s_or_b32 exec_lo, exec_lo, s4
	s_waitcnt lgkmcnt(0)
	s_waitcnt_vscnt null, 0x0
	s_barrier
	buffer_gl0_inv
	s_clause 0x1b
	buffer_load_dword v93, off, s[0:3], 0 offset:32
	buffer_load_dword v94, off, s[0:3], 0 offset:36
	;; [unrolled: 1-line block ×28, first 2 shown]
	v_mov_b32_e32 v88, 0
	s_mov_b32 s4, exec_lo
	ds_read_b128 v[89:92], v88 offset:384
	s_clause 0x1
	buffer_load_dword v121, off, s[0:3], 0 offset:144
	buffer_load_dword v122, off, s[0:3], 0 offset:148
	s_waitcnt vmcnt(28) lgkmcnt(0)
	v_fma_f64 v[89:90], v[93:94], v[89:90], 0
	s_clause 0x1
	buffer_load_dword v94, off, s[0:3], 0 offset:156
	buffer_load_dword v93, off, s[0:3], 0 offset:152
	s_waitcnt vmcnt(28)
	v_fma_f64 v[95:96], v[95:96], v[91:92], v[89:90]
	ds_read_b128 v[89:92], v88 offset:400
	s_clause 0x1
	buffer_load_dword v123, off, s[0:3], 0 offset:160
	buffer_load_dword v124, off, s[0:3], 0 offset:164
	s_waitcnt vmcnt(28) lgkmcnt(0)
	v_fma_f64 v[89:90], v[97:98], v[89:90], v[95:96]
	s_clause 0x1
	buffer_load_dword v95, off, s[0:3], 0 offset:168
	buffer_load_dword v96, off, s[0:3], 0 offset:172
	s_waitcnt vmcnt(28)
	v_fma_f64 v[97:98], v[99:100], v[91:92], v[89:90]
	;; [unrolled: 11-line block ×13, first 2 shown]
	ds_read_b128 v[89:92], v88 offset:592
	s_waitcnt vmcnt(26) lgkmcnt(0)
	v_fma_f64 v[89:90], v[115:116], v[89:90], v[109:110]
	s_waitcnt vmcnt(24)
	v_fma_f64 v[109:110], v[113:114], v[91:92], v[89:90]
	ds_read_b128 v[89:92], v88 offset:608
	s_waitcnt vmcnt(22) lgkmcnt(0)
	v_fma_f64 v[89:90], v[119:120], v[89:90], v[109:110]
	s_waitcnt vmcnt(20)
	v_fma_f64 v[109:110], v[117:118], v[91:92], v[89:90]
	;; [unrolled: 5-line block ×6, first 2 shown]
	ds_read_b64 v[91:92], v88 offset:688
	s_waitcnt vmcnt(2) lgkmcnt(0)
	v_fma_f64 v[89:90], v[107:108], v[91:92], v[89:90]
	s_waitcnt vmcnt(0)
	v_add_f64 v[89:90], v[105:106], -v[89:90]
	buffer_store_dword v90, off, s[0:3], 0 offset:28
	buffer_store_dword v89, off, s[0:3], 0 offset:24
	v_cmpx_lt_u32_e32 2, v0
	s_cbranch_execz .LBB106_263
; %bb.262:
	s_clause 0x1
	buffer_load_dword v89, off, s[0:3], 0 offset:16
	buffer_load_dword v90, off, s[0:3], 0 offset:20
	buffer_store_dword v88, off, s[0:3], 0 offset:16
	buffer_store_dword v88, off, s[0:3], 0 offset:20
	s_waitcnt vmcnt(0)
	ds_write_b64 v87, v[89:90]
.LBB106_263:
	s_or_b32 exec_lo, exec_lo, s4
	s_waitcnt lgkmcnt(0)
	s_waitcnt_vscnt null, 0x0
	s_barrier
	buffer_gl0_inv
	s_clause 0x1b
	buffer_load_dword v93, off, s[0:3], 0 offset:24
	buffer_load_dword v94, off, s[0:3], 0 offset:28
	;; [unrolled: 1-line block ×28, first 2 shown]
	ds_read2_b64 v[89:92], v88 offset0:47 offset1:48
	s_clause 0x1
	buffer_load_dword v121, off, s[0:3], 0 offset:136
	buffer_load_dword v122, off, s[0:3], 0 offset:140
	s_mov_b32 s4, exec_lo
	s_waitcnt vmcnt(28) lgkmcnt(0)
	v_fma_f64 v[89:90], v[93:94], v[89:90], 0
	s_clause 0x1
	buffer_load_dword v94, off, s[0:3], 0 offset:148
	buffer_load_dword v93, off, s[0:3], 0 offset:144
	s_waitcnt vmcnt(28)
	v_fma_f64 v[95:96], v[95:96], v[91:92], v[89:90]
	ds_read2_b64 v[89:92], v88 offset0:49 offset1:50
	s_clause 0x1
	buffer_load_dword v123, off, s[0:3], 0 offset:152
	buffer_load_dword v124, off, s[0:3], 0 offset:156
	s_waitcnt vmcnt(28) lgkmcnt(0)
	v_fma_f64 v[89:90], v[97:98], v[89:90], v[95:96]
	s_clause 0x1
	buffer_load_dword v95, off, s[0:3], 0 offset:160
	buffer_load_dword v96, off, s[0:3], 0 offset:164
	s_waitcnt vmcnt(28)
	v_fma_f64 v[97:98], v[99:100], v[91:92], v[89:90]
	ds_read2_b64 v[89:92], v88 offset0:51 offset1:52
	s_clause 0x1
	buffer_load_dword v99, off, s[0:3], 0 offset:168
	buffer_load_dword v100, off, s[0:3], 0 offset:172
	;; [unrolled: 11-line block ×13, first 2 shown]
	s_waitcnt vmcnt(28) lgkmcnt(0)
	v_fma_f64 v[89:90], v[115:116], v[89:90], v[109:110]
	s_waitcnt vmcnt(26)
	v_fma_f64 v[109:110], v[113:114], v[91:92], v[89:90]
	ds_read2_b64 v[89:92], v88 offset0:75 offset1:76
	s_waitcnt vmcnt(24) lgkmcnt(0)
	v_fma_f64 v[89:90], v[119:120], v[89:90], v[109:110]
	s_waitcnt vmcnt(22)
	v_fma_f64 v[109:110], v[117:118], v[91:92], v[89:90]
	ds_read2_b64 v[89:92], v88 offset0:77 offset1:78
	;; [unrolled: 5-line block ×6, first 2 shown]
	s_waitcnt vmcnt(4) lgkmcnt(0)
	v_fma_f64 v[88:89], v[107:108], v[88:89], v[92:93]
	s_waitcnt vmcnt(2)
	v_fma_f64 v[88:89], v[105:106], v[90:91], v[88:89]
	s_waitcnt vmcnt(0)
	v_add_f64 v[88:89], v[111:112], -v[88:89]
	buffer_store_dword v89, off, s[0:3], 0 offset:20
	buffer_store_dword v88, off, s[0:3], 0 offset:16
	v_cmpx_lt_u32_e32 1, v0
	s_cbranch_execz .LBB106_265
; %bb.264:
	s_clause 0x1
	buffer_load_dword v88, off, s[0:3], 0 offset:8
	buffer_load_dword v89, off, s[0:3], 0 offset:12
	v_mov_b32_e32 v90, 0
	buffer_store_dword v90, off, s[0:3], 0 offset:8
	buffer_store_dword v90, off, s[0:3], 0 offset:12
	s_waitcnt vmcnt(0)
	ds_write_b64 v87, v[88:89]
.LBB106_265:
	s_or_b32 exec_lo, exec_lo, s4
	s_waitcnt lgkmcnt(0)
	s_waitcnt_vscnt null, 0x0
	s_barrier
	buffer_gl0_inv
	s_clause 0x1b
	buffer_load_dword v94, off, s[0:3], 0 offset:16
	buffer_load_dword v95, off, s[0:3], 0 offset:20
	;; [unrolled: 1-line block ×28, first 2 shown]
	v_mov_b32_e32 v89, 0
	s_mov_b32 s4, exec_lo
	ds_read_b128 v[90:93], v89 offset:368
	s_clause 0x1
	buffer_load_dword v122, off, s[0:3], 0 offset:128
	buffer_load_dword v123, off, s[0:3], 0 offset:132
	s_waitcnt vmcnt(28) lgkmcnt(0)
	v_fma_f64 v[90:91], v[94:95], v[90:91], 0
	s_clause 0x1
	buffer_load_dword v95, off, s[0:3], 0 offset:140
	buffer_load_dword v94, off, s[0:3], 0 offset:136
	s_waitcnt vmcnt(28)
	v_fma_f64 v[96:97], v[96:97], v[92:93], v[90:91]
	ds_read_b128 v[90:93], v89 offset:384
	s_clause 0x1
	buffer_load_dword v124, off, s[0:3], 0 offset:144
	buffer_load_dword v125, off, s[0:3], 0 offset:148
	s_waitcnt vmcnt(28) lgkmcnt(0)
	v_fma_f64 v[90:91], v[98:99], v[90:91], v[96:97]
	s_clause 0x1
	buffer_load_dword v96, off, s[0:3], 0 offset:152
	buffer_load_dword v97, off, s[0:3], 0 offset:156
	s_waitcnt vmcnt(28)
	v_fma_f64 v[98:99], v[100:101], v[92:93], v[90:91]
	;; [unrolled: 11-line block ×14, first 2 shown]
	ds_read_b128 v[90:93], v89 offset:592
	s_waitcnt vmcnt(26) lgkmcnt(0)
	v_fma_f64 v[90:91], v[120:121], v[90:91], v[114:115]
	s_waitcnt vmcnt(24)
	v_fma_f64 v[114:115], v[118:119], v[92:93], v[90:91]
	ds_read_b128 v[90:93], v89 offset:608
	s_waitcnt vmcnt(22) lgkmcnt(0)
	v_fma_f64 v[90:91], v[122:123], v[90:91], v[114:115]
	s_waitcnt vmcnt(20)
	v_fma_f64 v[94:95], v[94:95], v[92:93], v[90:91]
	;; [unrolled: 5-line block ×6, first 2 shown]
	ds_read_b64 v[92:93], v89 offset:688
	s_waitcnt vmcnt(2) lgkmcnt(0)
	v_fma_f64 v[90:91], v[112:113], v[92:93], v[90:91]
	s_waitcnt vmcnt(0)
	v_add_f64 v[90:91], v[110:111], -v[90:91]
	buffer_store_dword v91, off, s[0:3], 0 offset:12
	buffer_store_dword v90, off, s[0:3], 0 offset:8
	v_cmpx_ne_u32_e32 0, v0
	s_cbranch_execz .LBB106_267
; %bb.266:
	s_clause 0x1
	buffer_load_dword v90, off, s[0:3], 0
	buffer_load_dword v91, off, s[0:3], 0 offset:4
	buffer_store_dword v89, off, s[0:3], 0
	buffer_store_dword v89, off, s[0:3], 0 offset:4
	s_waitcnt vmcnt(0)
	ds_write_b64 v87, v[90:91]
.LBB106_267:
	s_or_b32 exec_lo, exec_lo, s4
	s_waitcnt lgkmcnt(0)
	s_waitcnt_vscnt null, 0x0
	s_barrier
	buffer_gl0_inv
	s_clause 0x1b
	buffer_load_dword v87, off, s[0:3], 0 offset:8
	buffer_load_dword v88, off, s[0:3], 0 offset:12
	buffer_load_dword v94, off, s[0:3], 0 offset:16
	buffer_load_dword v95, off, s[0:3], 0 offset:20
	buffer_load_dword v96, off, s[0:3], 0 offset:24
	buffer_load_dword v97, off, s[0:3], 0 offset:28
	buffer_load_dword v98, off, s[0:3], 0 offset:32
	buffer_load_dword v99, off, s[0:3], 0 offset:36
	buffer_load_dword v100, off, s[0:3], 0 offset:40
	buffer_load_dword v101, off, s[0:3], 0 offset:44
	buffer_load_dword v102, off, s[0:3], 0 offset:48
	buffer_load_dword v103, off, s[0:3], 0 offset:52
	buffer_load_dword v104, off, s[0:3], 0 offset:56
	buffer_load_dword v105, off, s[0:3], 0 offset:60
	buffer_load_dword v107, off, s[0:3], 0 offset:68
	buffer_load_dword v106, off, s[0:3], 0 offset:64
	buffer_load_dword v108, off, s[0:3], 0 offset:72
	buffer_load_dword v109, off, s[0:3], 0 offset:76
	buffer_load_dword v110, off, s[0:3], 0 offset:80
	buffer_load_dword v111, off, s[0:3], 0 offset:84
	buffer_load_dword v112, off, s[0:3], 0 offset:88
	buffer_load_dword v113, off, s[0:3], 0 offset:92
	buffer_load_dword v115, off, s[0:3], 0 offset:100
	buffer_load_dword v114, off, s[0:3], 0 offset:96
	buffer_load_dword v116, off, s[0:3], 0 offset:104
	buffer_load_dword v117, off, s[0:3], 0 offset:108
	buffer_load_dword v118, off, s[0:3], 0 offset:112
	buffer_load_dword v119, off, s[0:3], 0 offset:116
	ds_read2_b64 v[90:93], v89 offset0:45 offset1:46
	s_clause 0x3
	buffer_load_dword v120, off, s[0:3], 0 offset:120
	buffer_load_dword v121, off, s[0:3], 0 offset:124
	;; [unrolled: 1-line block ×4, first 2 shown]
	s_and_b32 vcc_lo, exec_lo, s16
	s_waitcnt vmcnt(30) lgkmcnt(0)
	v_fma_f64 v[87:88], v[87:88], v[90:91], 0
	s_waitcnt vmcnt(28)
	v_fma_f64 v[87:88], v[94:95], v[92:93], v[87:88]
	ds_read2_b64 v[90:93], v89 offset0:47 offset1:48
	s_clause 0x1
	buffer_load_dword v94, off, s[0:3], 0 offset:136
	buffer_load_dword v95, off, s[0:3], 0 offset:140
	s_waitcnt vmcnt(28) lgkmcnt(0)
	v_fma_f64 v[87:88], v[96:97], v[90:91], v[87:88]
	s_clause 0x1
	buffer_load_dword v96, off, s[0:3], 0 offset:144
	buffer_load_dword v97, off, s[0:3], 0 offset:148
	s_waitcnt vmcnt(28)
	v_fma_f64 v[87:88], v[98:99], v[92:93], v[87:88]
	ds_read2_b64 v[90:93], v89 offset0:49 offset1:50
	s_clause 0x1
	buffer_load_dword v98, off, s[0:3], 0 offset:152
	buffer_load_dword v99, off, s[0:3], 0 offset:156
	s_waitcnt vmcnt(28) lgkmcnt(0)
	v_fma_f64 v[87:88], v[100:101], v[90:91], v[87:88]
	s_clause 0x1
	buffer_load_dword v101, off, s[0:3], 0 offset:164
	buffer_load_dword v100, off, s[0:3], 0 offset:160
	;; [unrolled: 11-line block ×13, first 2 shown]
	s_waitcnt vmcnt(28)
	v_fma_f64 v[114:115], v[116:117], v[92:93], v[90:91]
	ds_read2_b64 v[90:93], v89 offset0:73 offset1:74
	s_clause 0x1
	buffer_load_dword v116, off, s[0:3], 0
	buffer_load_dword v117, off, s[0:3], 0 offset:4
	s_waitcnt vmcnt(28) lgkmcnt(0)
	v_fma_f64 v[90:91], v[118:119], v[90:91], v[114:115]
	s_waitcnt vmcnt(26)
	v_fma_f64 v[114:115], v[120:121], v[92:93], v[90:91]
	ds_read2_b64 v[90:93], v89 offset0:75 offset1:76
	s_waitcnt vmcnt(24) lgkmcnt(0)
	v_fma_f64 v[90:91], v[122:123], v[90:91], v[114:115]
	s_waitcnt vmcnt(22)
	v_fma_f64 v[94:95], v[94:95], v[92:93], v[90:91]
	ds_read2_b64 v[90:93], v89 offset0:77 offset1:78
	s_waitcnt vmcnt(20) lgkmcnt(0)
	v_fma_f64 v[90:91], v[96:97], v[90:91], v[94:95]
	s_waitcnt vmcnt(18)
	v_fma_f64 v[94:95], v[98:99], v[92:93], v[90:91]
	ds_read2_b64 v[90:93], v89 offset0:79 offset1:80
	s_waitcnt vmcnt(16) lgkmcnt(0)
	v_fma_f64 v[90:91], v[100:101], v[90:91], v[94:95]
	s_waitcnt vmcnt(14)
	v_fma_f64 v[94:95], v[102:103], v[92:93], v[90:91]
	ds_read2_b64 v[90:93], v89 offset0:81 offset1:82
	s_waitcnt vmcnt(12) lgkmcnt(0)
	v_fma_f64 v[90:91], v[104:105], v[90:91], v[94:95]
	s_waitcnt vmcnt(10)
	v_fma_f64 v[94:95], v[106:107], v[92:93], v[90:91]
	ds_read2_b64 v[90:93], v89 offset0:83 offset1:84
	s_waitcnt vmcnt(8) lgkmcnt(0)
	v_fma_f64 v[90:91], v[108:109], v[90:91], v[94:95]
	s_waitcnt vmcnt(6)
	v_fma_f64 v[93:94], v[110:111], v[92:93], v[90:91]
	ds_read2_b64 v[89:92], v89 offset0:85 offset1:86
	s_waitcnt vmcnt(4) lgkmcnt(0)
	v_fma_f64 v[89:90], v[87:88], v[89:90], v[93:94]
	s_waitcnt vmcnt(2)
	v_fma_f64 v[89:90], v[112:113], v[91:92], v[89:90]
	s_waitcnt vmcnt(0)
	v_add_f64 v[89:90], v[116:117], -v[89:90]
	buffer_store_dword v90, off, s[0:3], 0 offset:4
	buffer_store_dword v89, off, s[0:3], 0
	s_cbranch_vccz .LBB106_352
; %bb.268:
	v_mov_b32_e32 v0, 0
	global_load_dword v89, v0, s[12:13] offset:164
	s_waitcnt vmcnt(0)
	v_add_nc_u32_e32 v89, -1, v89
	v_cmp_ne_u32_e32 vcc_lo, 41, v89
	s_cbranch_vccz .LBB106_270
; %bb.269:
	v_lshlrev_b32_e32 v89, 3, v89
	s_clause 0x1
	buffer_load_dword v90, v89, s[0:3], 0 offen
	buffer_load_dword v91, v89, s[0:3], 0 offen offset:4
	s_waitcnt vmcnt(1)
	buffer_store_dword v90, off, s[0:3], 0 offset:328
	s_waitcnt vmcnt(0)
	buffer_store_dword v91, off, s[0:3], 0 offset:332
	buffer_store_dword v87, v89, s[0:3], 0 offen
	buffer_store_dword v88, v89, s[0:3], 0 offen offset:4
.LBB106_270:
	global_load_dword v0, v0, s[12:13] offset:160
	s_waitcnt vmcnt(0)
	v_add_nc_u32_e32 v0, -1, v0
	v_cmp_eq_u32_e32 vcc_lo, 40, v0
	s_cbranch_vccnz .LBB106_272
; %bb.271:
	v_lshlrev_b32_e32 v0, 3, v0
	s_clause 0x3
	buffer_load_dword v87, v0, s[0:3], 0 offen
	buffer_load_dword v88, v0, s[0:3], 0 offen offset:4
	buffer_load_dword v89, off, s[0:3], 0 offset:324
	buffer_load_dword v90, off, s[0:3], 0 offset:320
	s_waitcnt vmcnt(3)
	buffer_store_dword v87, off, s[0:3], 0 offset:320
	s_waitcnt vmcnt(2)
	buffer_store_dword v88, off, s[0:3], 0 offset:324
	s_waitcnt vmcnt(1)
	buffer_store_dword v89, v0, s[0:3], 0 offen offset:4
	s_waitcnt vmcnt(0)
	buffer_store_dword v90, v0, s[0:3], 0 offen
.LBB106_272:
	v_mov_b32_e32 v0, 0
	global_load_dword v87, v0, s[12:13] offset:156
	s_waitcnt vmcnt(0)
	v_add_nc_u32_e32 v87, -1, v87
	v_cmp_eq_u32_e32 vcc_lo, 39, v87
	s_cbranch_vccnz .LBB106_274
; %bb.273:
	v_lshlrev_b32_e32 v87, 3, v87
	s_clause 0x3
	buffer_load_dword v88, v87, s[0:3], 0 offen
	buffer_load_dword v89, v87, s[0:3], 0 offen offset:4
	buffer_load_dword v90, off, s[0:3], 0 offset:312
	buffer_load_dword v91, off, s[0:3], 0 offset:316
	s_waitcnt vmcnt(3)
	buffer_store_dword v88, off, s[0:3], 0 offset:312
	s_waitcnt vmcnt(2)
	buffer_store_dword v89, off, s[0:3], 0 offset:316
	s_waitcnt vmcnt(1)
	buffer_store_dword v90, v87, s[0:3], 0 offen
	s_waitcnt vmcnt(0)
	buffer_store_dword v91, v87, s[0:3], 0 offen offset:4
.LBB106_274:
	global_load_dword v0, v0, s[12:13] offset:152
	s_waitcnt vmcnt(0)
	v_add_nc_u32_e32 v0, -1, v0
	v_cmp_eq_u32_e32 vcc_lo, 38, v0
	s_cbranch_vccnz .LBB106_276
; %bb.275:
	v_lshlrev_b32_e32 v0, 3, v0
	s_clause 0x3
	buffer_load_dword v87, v0, s[0:3], 0 offen
	buffer_load_dword v88, v0, s[0:3], 0 offen offset:4
	buffer_load_dword v89, off, s[0:3], 0 offset:308
	buffer_load_dword v90, off, s[0:3], 0 offset:304
	s_waitcnt vmcnt(3)
	buffer_store_dword v87, off, s[0:3], 0 offset:304
	s_waitcnt vmcnt(2)
	buffer_store_dword v88, off, s[0:3], 0 offset:308
	s_waitcnt vmcnt(1)
	buffer_store_dword v89, v0, s[0:3], 0 offen offset:4
	s_waitcnt vmcnt(0)
	buffer_store_dword v90, v0, s[0:3], 0 offen
.LBB106_276:
	v_mov_b32_e32 v0, 0
	global_load_dword v87, v0, s[12:13] offset:148
	s_waitcnt vmcnt(0)
	v_add_nc_u32_e32 v87, -1, v87
	v_cmp_eq_u32_e32 vcc_lo, 37, v87
	s_cbranch_vccnz .LBB106_278
; %bb.277:
	v_lshlrev_b32_e32 v87, 3, v87
	s_clause 0x3
	buffer_load_dword v88, v87, s[0:3], 0 offen
	buffer_load_dword v89, v87, s[0:3], 0 offen offset:4
	buffer_load_dword v90, off, s[0:3], 0 offset:296
	buffer_load_dword v91, off, s[0:3], 0 offset:300
	s_waitcnt vmcnt(3)
	buffer_store_dword v88, off, s[0:3], 0 offset:296
	s_waitcnt vmcnt(2)
	buffer_store_dword v89, off, s[0:3], 0 offset:300
	s_waitcnt vmcnt(1)
	buffer_store_dword v90, v87, s[0:3], 0 offen
	s_waitcnt vmcnt(0)
	buffer_store_dword v91, v87, s[0:3], 0 offen offset:4
.LBB106_278:
	;; [unrolled: 43-line block ×20, first 2 shown]
	global_load_dword v0, v0, s[12:13]
	s_clause 0x1
	buffer_load_dword v89, off, s[0:3], 0
	buffer_load_dword v90, off, s[0:3], 0 offset:4
	s_waitcnt vmcnt(2)
	v_add_nc_u32_e32 v0, -1, v0
	v_cmp_eq_u32_e32 vcc_lo, 0, v0
	s_cbranch_vccnz .LBB106_352
; %bb.351:
	v_lshlrev_b32_e32 v0, 3, v0
	s_clause 0x1
	buffer_load_dword v87, v0, s[0:3], 0 offen offset:4
	buffer_load_dword v88, v0, s[0:3], 0 offen
	s_waitcnt vmcnt(1)
	buffer_store_dword v87, off, s[0:3], 0 offset:4
	s_waitcnt vmcnt(0)
	buffer_store_dword v88, off, s[0:3], 0
	buffer_store_dword v90, v0, s[0:3], 0 offen offset:4
	buffer_store_dword v89, v0, s[0:3], 0 offen
	s_clause 0x1
	buffer_load_dword v89, off, s[0:3], 0
	buffer_load_dword v90, off, s[0:3], 0 offset:4
.LBB106_352:
	s_waitcnt vmcnt(0)
	flat_store_dwordx2 v[1:2], v[89:90]
	s_clause 0x1
	buffer_load_dword v0, off, s[0:3], 0 offset:8
	buffer_load_dword v1, off, s[0:3], 0 offset:12
	s_waitcnt vmcnt(0)
	flat_store_dwordx2 v[3:4], v[0:1]
	s_clause 0x1
	buffer_load_dword v0, off, s[0:3], 0 offset:16
	buffer_load_dword v1, off, s[0:3], 0 offset:20
	;; [unrolled: 5-line block ×42, first 2 shown]
	s_waitcnt vmcnt(0)
	flat_store_dwordx2 v[85:86], v[0:1]
	s_endpgm
	.section	.rodata,"a",@progbits
	.p2align	6, 0x0
	.amdhsa_kernel _ZN9rocsolver6v33100L18getri_kernel_smallILi43EdPKPdEEvT1_iilPiilS6_bb
		.amdhsa_group_segment_fixed_size 696
		.amdhsa_private_segment_fixed_size 352
		.amdhsa_kernarg_size 60
		.amdhsa_user_sgpr_count 6
		.amdhsa_user_sgpr_private_segment_buffer 1
		.amdhsa_user_sgpr_dispatch_ptr 0
		.amdhsa_user_sgpr_queue_ptr 0
		.amdhsa_user_sgpr_kernarg_segment_ptr 1
		.amdhsa_user_sgpr_dispatch_id 0
		.amdhsa_user_sgpr_flat_scratch_init 0
		.amdhsa_user_sgpr_private_segment_size 0
		.amdhsa_wavefront_size32 1
		.amdhsa_uses_dynamic_stack 0
		.amdhsa_system_sgpr_private_segment_wavefront_offset 1
		.amdhsa_system_sgpr_workgroup_id_x 1
		.amdhsa_system_sgpr_workgroup_id_y 0
		.amdhsa_system_sgpr_workgroup_id_z 0
		.amdhsa_system_sgpr_workgroup_info 0
		.amdhsa_system_vgpr_workitem_id 0
		.amdhsa_next_free_vgpr 126
		.amdhsa_next_free_sgpr 20
		.amdhsa_reserve_vcc 1
		.amdhsa_reserve_flat_scratch 0
		.amdhsa_float_round_mode_32 0
		.amdhsa_float_round_mode_16_64 0
		.amdhsa_float_denorm_mode_32 3
		.amdhsa_float_denorm_mode_16_64 3
		.amdhsa_dx10_clamp 1
		.amdhsa_ieee_mode 1
		.amdhsa_fp16_overflow 0
		.amdhsa_workgroup_processor_mode 1
		.amdhsa_memory_ordered 1
		.amdhsa_forward_progress 1
		.amdhsa_shared_vgpr_count 0
		.amdhsa_exception_fp_ieee_invalid_op 0
		.amdhsa_exception_fp_denorm_src 0
		.amdhsa_exception_fp_ieee_div_zero 0
		.amdhsa_exception_fp_ieee_overflow 0
		.amdhsa_exception_fp_ieee_underflow 0
		.amdhsa_exception_fp_ieee_inexact 0
		.amdhsa_exception_int_div_zero 0
	.end_amdhsa_kernel
	.section	.text._ZN9rocsolver6v33100L18getri_kernel_smallILi43EdPKPdEEvT1_iilPiilS6_bb,"axG",@progbits,_ZN9rocsolver6v33100L18getri_kernel_smallILi43EdPKPdEEvT1_iilPiilS6_bb,comdat
.Lfunc_end106:
	.size	_ZN9rocsolver6v33100L18getri_kernel_smallILi43EdPKPdEEvT1_iilPiilS6_bb, .Lfunc_end106-_ZN9rocsolver6v33100L18getri_kernel_smallILi43EdPKPdEEvT1_iilPiilS6_bb
                                        ; -- End function
	.set _ZN9rocsolver6v33100L18getri_kernel_smallILi43EdPKPdEEvT1_iilPiilS6_bb.num_vgpr, 126
	.set _ZN9rocsolver6v33100L18getri_kernel_smallILi43EdPKPdEEvT1_iilPiilS6_bb.num_agpr, 0
	.set _ZN9rocsolver6v33100L18getri_kernel_smallILi43EdPKPdEEvT1_iilPiilS6_bb.numbered_sgpr, 20
	.set _ZN9rocsolver6v33100L18getri_kernel_smallILi43EdPKPdEEvT1_iilPiilS6_bb.num_named_barrier, 0
	.set _ZN9rocsolver6v33100L18getri_kernel_smallILi43EdPKPdEEvT1_iilPiilS6_bb.private_seg_size, 352
	.set _ZN9rocsolver6v33100L18getri_kernel_smallILi43EdPKPdEEvT1_iilPiilS6_bb.uses_vcc, 1
	.set _ZN9rocsolver6v33100L18getri_kernel_smallILi43EdPKPdEEvT1_iilPiilS6_bb.uses_flat_scratch, 0
	.set _ZN9rocsolver6v33100L18getri_kernel_smallILi43EdPKPdEEvT1_iilPiilS6_bb.has_dyn_sized_stack, 0
	.set _ZN9rocsolver6v33100L18getri_kernel_smallILi43EdPKPdEEvT1_iilPiilS6_bb.has_recursion, 0
	.set _ZN9rocsolver6v33100L18getri_kernel_smallILi43EdPKPdEEvT1_iilPiilS6_bb.has_indirect_call, 0
	.section	.AMDGPU.csdata,"",@progbits
; Kernel info:
; codeLenInByte = 55016
; TotalNumSgprs: 22
; NumVgprs: 126
; ScratchSize: 352
; MemoryBound: 1
; FloatMode: 240
; IeeeMode: 1
; LDSByteSize: 696 bytes/workgroup (compile time only)
; SGPRBlocks: 0
; VGPRBlocks: 15
; NumSGPRsForWavesPerEU: 22
; NumVGPRsForWavesPerEU: 126
; Occupancy: 8
; WaveLimiterHint : 1
; COMPUTE_PGM_RSRC2:SCRATCH_EN: 1
; COMPUTE_PGM_RSRC2:USER_SGPR: 6
; COMPUTE_PGM_RSRC2:TRAP_HANDLER: 0
; COMPUTE_PGM_RSRC2:TGID_X_EN: 1
; COMPUTE_PGM_RSRC2:TGID_Y_EN: 0
; COMPUTE_PGM_RSRC2:TGID_Z_EN: 0
; COMPUTE_PGM_RSRC2:TIDIG_COMP_CNT: 0
	.section	.text._ZN9rocsolver6v33100L18getri_kernel_smallILi44EdPKPdEEvT1_iilPiilS6_bb,"axG",@progbits,_ZN9rocsolver6v33100L18getri_kernel_smallILi44EdPKPdEEvT1_iilPiilS6_bb,comdat
	.globl	_ZN9rocsolver6v33100L18getri_kernel_smallILi44EdPKPdEEvT1_iilPiilS6_bb ; -- Begin function _ZN9rocsolver6v33100L18getri_kernel_smallILi44EdPKPdEEvT1_iilPiilS6_bb
	.p2align	8
	.type	_ZN9rocsolver6v33100L18getri_kernel_smallILi44EdPKPdEEvT1_iilPiilS6_bb,@function
_ZN9rocsolver6v33100L18getri_kernel_smallILi44EdPKPdEEvT1_iilPiilS6_bb: ; @_ZN9rocsolver6v33100L18getri_kernel_smallILi44EdPKPdEEvT1_iilPiilS6_bb
; %bb.0:
	s_add_u32 s0, s0, s7
	s_addc_u32 s1, s1, 0
	s_mov_b32 s7, exec_lo
	v_cmpx_gt_u32_e32 44, v0
	s_cbranch_execz .LBB107_186
; %bb.1:
	s_clause 0x2
	s_load_dword s17, s[4:5], 0x38
	s_load_dwordx2 s[12:13], s[4:5], 0x0
	s_load_dwordx4 s[8:11], s[4:5], 0x28
	s_waitcnt lgkmcnt(0)
	s_bitcmp1_b32 s17, 8
	s_cselect_b32 s16, -1, 0
	s_ashr_i32 s7, s6, 31
	s_lshl_b64 s[14:15], s[6:7], 3
	s_add_u32 s12, s12, s14
	s_addc_u32 s13, s13, s15
	s_load_dwordx2 s[14:15], s[12:13], 0x0
	s_bfe_u32 s12, s17, 0x10008
	s_cmp_eq_u32 s12, 0
                                        ; implicit-def: $sgpr12_sgpr13
	s_cbranch_scc1 .LBB107_3
; %bb.2:
	s_clause 0x1
	s_load_dword s12, s[4:5], 0x20
	s_load_dwordx2 s[18:19], s[4:5], 0x18
	s_mul_i32 s13, s8, s7
	s_mul_hi_u32 s17, s8, s6
	s_mul_i32 s9, s9, s6
	s_add_i32 s13, s17, s13
	s_mul_i32 s8, s8, s6
	s_add_i32 s9, s13, s9
	s_lshl_b64 s[8:9], s[8:9], 2
	s_waitcnt lgkmcnt(0)
	s_ashr_i32 s13, s12, 31
	s_add_u32 s17, s18, s8
	s_addc_u32 s18, s19, s9
	s_lshl_b64 s[8:9], s[12:13], 2
	s_add_u32 s12, s17, s8
	s_addc_u32 s13, s18, s9
.LBB107_3:
	s_clause 0x1
	s_load_dwordx2 s[8:9], s[4:5], 0x8
	s_load_dword s17, s[4:5], 0x38
	v_lshlrev_b32_e32 v91, 3, v0
	s_waitcnt lgkmcnt(0)
	s_ashr_i32 s5, s8, 31
	s_mov_b32 s4, s8
	v_add3_u32 v9, s9, s9, v0
	s_lshl_b64 s[4:5], s[4:5], 3
	s_add_u32 s4, s14, s4
	s_addc_u32 s5, s15, s5
	v_add_co_u32 v1, s8, s4, v91
	v_add_co_ci_u32_e64 v2, null, s5, 0, s8
	s_mov_b32 s14, s9
	s_ashr_i32 s15, s9, 31
	v_ashrrev_i32_e32 v10, 31, v9
	flat_load_dwordx2 v[5:6], v[1:2]
	s_lshl_b64 s[14:15], s[14:15], 3
	v_add_nc_u32_e32 v12, s9, v9
	v_add_co_u32 v3, vcc_lo, v1, s14
	v_add_co_ci_u32_e64 v4, null, s15, v2, vcc_lo
	v_ashrrev_i32_e32 v13, 31, v12
	s_bitcmp0_b32 s17, 0
	s_waitcnt vmcnt(0) lgkmcnt(0)
	buffer_store_dword v6, off, s[0:3], 0 offset:4
	buffer_store_dword v5, off, s[0:3], 0
	flat_load_dwordx2 v[7:8], v[3:4]
	v_lshlrev_b64 v[5:6], 3, v[9:10]
	s_waitcnt vmcnt(0) lgkmcnt(0)
	buffer_store_dword v8, off, s[0:3], 0 offset:12
	buffer_store_dword v7, off, s[0:3], 0 offset:8
	v_add_co_u32 v5, vcc_lo, s4, v5
	v_add_co_ci_u32_e64 v6, null, s5, v6, vcc_lo
	v_lshlrev_b64 v[7:8], 3, v[12:13]
	flat_load_dwordx2 v[10:11], v[5:6]
	s_waitcnt vmcnt(0) lgkmcnt(0)
	buffer_store_dword v11, off, s[0:3], 0 offset:20
	buffer_store_dword v10, off, s[0:3], 0 offset:16
	v_add_co_u32 v7, vcc_lo, s4, v7
	v_add_co_ci_u32_e64 v8, null, s5, v8, vcc_lo
	v_add_nc_u32_e32 v11, s9, v12
	flat_load_dwordx2 v[13:14], v[7:8]
	s_waitcnt vmcnt(0) lgkmcnt(0)
	buffer_store_dword v14, off, s[0:3], 0 offset:28
	buffer_store_dword v13, off, s[0:3], 0 offset:24
	v_ashrrev_i32_e32 v12, 31, v11
	v_add_nc_u32_e32 v15, s9, v11
	v_lshlrev_b64 v[9:10], 3, v[11:12]
	v_ashrrev_i32_e32 v16, 31, v15
	v_add_nc_u32_e32 v18, s9, v15
	v_add_co_u32 v9, vcc_lo, s4, v9
	v_add_co_ci_u32_e64 v10, null, s5, v10, vcc_lo
	v_lshlrev_b64 v[11:12], 3, v[15:16]
	v_ashrrev_i32_e32 v19, 31, v18
	flat_load_dwordx2 v[13:14], v[9:10]
	s_waitcnt vmcnt(0) lgkmcnt(0)
	buffer_store_dword v14, off, s[0:3], 0 offset:36
	buffer_store_dword v13, off, s[0:3], 0 offset:32
	v_add_co_u32 v11, vcc_lo, s4, v11
	v_add_co_ci_u32_e64 v12, null, s5, v12, vcc_lo
	v_lshlrev_b64 v[13:14], 3, v[18:19]
	flat_load_dwordx2 v[16:17], v[11:12]
	s_waitcnt vmcnt(0) lgkmcnt(0)
	buffer_store_dword v17, off, s[0:3], 0 offset:44
	buffer_store_dword v16, off, s[0:3], 0 offset:40
	v_add_co_u32 v13, vcc_lo, s4, v13
	v_add_co_ci_u32_e64 v14, null, s5, v14, vcc_lo
	v_add_nc_u32_e32 v17, s9, v18
	flat_load_dwordx2 v[19:20], v[13:14]
	s_waitcnt vmcnt(0) lgkmcnt(0)
	buffer_store_dword v20, off, s[0:3], 0 offset:52
	buffer_store_dword v19, off, s[0:3], 0 offset:48
	v_ashrrev_i32_e32 v18, 31, v17
	v_add_nc_u32_e32 v21, s9, v17
	v_lshlrev_b64 v[15:16], 3, v[17:18]
	v_ashrrev_i32_e32 v22, 31, v21
	v_add_nc_u32_e32 v24, s9, v21
	v_add_co_u32 v15, vcc_lo, s4, v15
	v_add_co_ci_u32_e64 v16, null, s5, v16, vcc_lo
	v_lshlrev_b64 v[17:18], 3, v[21:22]
	v_ashrrev_i32_e32 v25, 31, v24
	flat_load_dwordx2 v[19:20], v[15:16]
	;; [unrolled: 27-line block ×12, first 2 shown]
	s_waitcnt vmcnt(0) lgkmcnt(0)
	buffer_store_dword v80, off, s[0:3], 0 offset:300
	buffer_store_dword v79, off, s[0:3], 0 offset:296
	v_add_co_u32 v77, vcc_lo, s4, v77
	v_add_co_ci_u32_e64 v78, null, s5, v78, vcc_lo
	v_lshlrev_b64 v[79:80], 3, v[84:85]
	flat_load_dwordx2 v[82:83], v[77:78]
	s_waitcnt vmcnt(0) lgkmcnt(0)
	buffer_store_dword v83, off, s[0:3], 0 offset:308
	buffer_store_dword v82, off, s[0:3], 0 offset:304
	v_add_co_u32 v79, vcc_lo, s4, v79
	v_add_co_ci_u32_e64 v80, null, s5, v80, vcc_lo
	v_add_nc_u32_e32 v83, s9, v84
	flat_load_dwordx2 v[85:86], v[79:80]
	s_waitcnt vmcnt(0) lgkmcnt(0)
	buffer_store_dword v86, off, s[0:3], 0 offset:316
	buffer_store_dword v85, off, s[0:3], 0 offset:312
	v_ashrrev_i32_e32 v84, 31, v83
	v_add_nc_u32_e32 v87, s9, v83
	v_lshlrev_b64 v[81:82], 3, v[83:84]
	v_ashrrev_i32_e32 v88, 31, v87
	v_add_nc_u32_e32 v92, s9, v87
	v_add_co_u32 v81, vcc_lo, s4, v81
	v_add_co_ci_u32_e64 v82, null, s5, v82, vcc_lo
	v_lshlrev_b64 v[83:84], 3, v[87:88]
	v_ashrrev_i32_e32 v93, 31, v92
	v_add_nc_u32_e32 v87, s9, v92
	flat_load_dwordx2 v[85:86], v[81:82]
	s_waitcnt vmcnt(0) lgkmcnt(0)
	buffer_store_dword v86, off, s[0:3], 0 offset:324
	buffer_store_dword v85, off, s[0:3], 0 offset:320
	v_add_co_u32 v83, vcc_lo, s4, v83
	v_add_co_ci_u32_e64 v84, null, s5, v84, vcc_lo
	v_lshlrev_b64 v[85:86], 3, v[92:93]
	flat_load_dwordx2 v[88:89], v[83:84]
	s_waitcnt vmcnt(0) lgkmcnt(0)
	buffer_store_dword v89, off, s[0:3], 0 offset:332
	buffer_store_dword v88, off, s[0:3], 0 offset:328
	v_add_co_u32 v85, vcc_lo, s4, v85
	v_add_co_ci_u32_e64 v86, null, s5, v86, vcc_lo
	v_ashrrev_i32_e32 v88, 31, v87
	flat_load_dwordx2 v[89:90], v[85:86]
	s_waitcnt vmcnt(0) lgkmcnt(0)
	buffer_store_dword v90, off, s[0:3], 0 offset:340
	buffer_store_dword v89, off, s[0:3], 0 offset:336
	v_lshlrev_b64 v[87:88], 3, v[87:88]
	v_add_co_u32 v87, vcc_lo, s4, v87
	v_add_co_ci_u32_e64 v88, null, s5, v88, vcc_lo
	s_mov_b32 s5, -1
	flat_load_dwordx2 v[89:90], v[87:88]
	s_waitcnt vmcnt(0) lgkmcnt(0)
	buffer_store_dword v90, off, s[0:3], 0 offset:348
	buffer_store_dword v89, off, s[0:3], 0 offset:344
	s_cbranch_scc1 .LBB107_184
; %bb.4:
	v_cmp_eq_u32_e64 s4, 0, v0
	s_and_saveexec_b32 s5, s4
; %bb.5:
	v_mov_b32_e32 v89, 0
	ds_write_b32 v89, v89 offset:704
; %bb.6:
	s_or_b32 exec_lo, exec_lo, s5
	v_lshl_add_u32 v89, v0, 3, 0
	s_waitcnt lgkmcnt(0)
	s_waitcnt_vscnt null, 0x0
	s_barrier
	buffer_gl0_inv
	s_mov_b32 s8, exec_lo
	s_clause 0x1
	buffer_load_dword v92, v89, s[0:3], 0 offen
	buffer_load_dword v93, v89, s[0:3], 0 offen offset:4
	s_waitcnt vmcnt(0)
	v_cmpx_eq_f64_e32 0, v[92:93]
	s_cbranch_execz .LBB107_10
; %bb.7:
	v_mov_b32_e32 v90, 0
	s_mov_b32 s9, 0
	ds_read_b32 v92, v90 offset:704
	s_waitcnt lgkmcnt(0)
	v_readfirstlane_b32 s5, v92
	v_add_nc_u32_e32 v92, 1, v0
	s_cmp_eq_u32 s5, 0
	v_cmp_gt_i32_e32 vcc_lo, s5, v92
	s_cselect_b32 s14, -1, 0
	s_or_b32 s14, s14, vcc_lo
	s_and_b32 exec_lo, exec_lo, s14
	s_cbranch_execz .LBB107_10
; %bb.8:
	v_mov_b32_e32 v93, s5
.LBB107_9:                              ; =>This Inner Loop Header: Depth=1
	ds_cmpst_rtn_b32 v93, v90, v93, v92 offset:704
	s_waitcnt lgkmcnt(0)
	v_cmp_ne_u32_e32 vcc_lo, 0, v93
	v_cmp_le_i32_e64 s5, v93, v92
	s_and_b32 s5, vcc_lo, s5
	s_and_b32 s5, exec_lo, s5
	s_or_b32 s9, s5, s9
	s_andn2_b32 exec_lo, exec_lo, s9
	s_cbranch_execnz .LBB107_9
.LBB107_10:
	s_or_b32 exec_lo, exec_lo, s8
	v_mov_b32_e32 v90, 0
	s_barrier
	buffer_gl0_inv
	ds_read_b32 v92, v90 offset:704
	s_and_saveexec_b32 s5, s4
	s_cbranch_execz .LBB107_12
; %bb.11:
	s_lshl_b64 s[8:9], s[6:7], 2
	s_add_u32 s8, s10, s8
	s_addc_u32 s9, s11, s9
	s_waitcnt lgkmcnt(0)
	global_store_dword v90, v92, s[8:9]
.LBB107_12:
	s_or_b32 exec_lo, exec_lo, s5
	s_waitcnt lgkmcnt(0)
	v_cmp_ne_u32_e32 vcc_lo, 0, v92
	s_mov_b32 s5, 0
	s_cbranch_vccnz .LBB107_184
; %bb.13:
	s_clause 0x1
	buffer_load_dword v92, v89, s[0:3], 0 offen
	buffer_load_dword v93, v89, s[0:3], 0 offen offset:4
	s_waitcnt vmcnt(0)
	v_div_scale_f64 v[94:95], null, v[92:93], v[92:93], 1.0
	v_div_scale_f64 v[100:101], vcc_lo, 1.0, v[92:93], 1.0
	v_rcp_f64_e32 v[96:97], v[94:95]
	v_fma_f64 v[98:99], -v[94:95], v[96:97], 1.0
	v_fma_f64 v[96:97], v[96:97], v[98:99], v[96:97]
	v_fma_f64 v[98:99], -v[94:95], v[96:97], 1.0
	v_fma_f64 v[96:97], v[96:97], v[98:99], v[96:97]
	v_mul_f64 v[98:99], v[100:101], v[96:97]
	v_fma_f64 v[94:95], -v[94:95], v[98:99], v[100:101]
	v_div_fmas_f64 v[94:95], v[94:95], v[96:97], v[98:99]
	v_div_fixup_f64 v[93:94], v[94:95], v[92:93], 1.0
	v_add_nc_u32_e32 v92, 0x160, v91
	buffer_store_dword v94, v89, s[0:3], 0 offen offset:4
	buffer_store_dword v93, v89, s[0:3], 0 offen
	s_clause 0x1
	buffer_load_dword v96, off, s[0:3], 0 offset:12
	buffer_load_dword v95, off, s[0:3], 0 offset:8
	v_xor_b32_e32 v94, 0x80000000, v94
	s_waitcnt vmcnt(0)
	ds_write2_b64 v91, v[93:94], v[95:96] offset1:44
	s_waitcnt lgkmcnt(0)
	s_waitcnt_vscnt null, 0x0
	s_barrier
	buffer_gl0_inv
	s_and_saveexec_b32 s5, s4
	s_cbranch_execz .LBB107_15
; %bb.14:
	s_clause 0x1
	buffer_load_dword v93, v89, s[0:3], 0 offen
	buffer_load_dword v94, v89, s[0:3], 0 offen offset:4
	ds_read_b64 v[95:96], v92
	v_mov_b32_e32 v90, 0
	ds_read_b64 v[97:98], v90 offset:8
	s_waitcnt vmcnt(0) lgkmcnt(1)
	v_fma_f64 v[93:94], v[93:94], v[95:96], 0
	s_waitcnt lgkmcnt(0)
	v_mul_f64 v[93:94], v[93:94], v[97:98]
	buffer_store_dword v93, off, s[0:3], 0 offset:8
	buffer_store_dword v94, off, s[0:3], 0 offset:12
.LBB107_15:
	s_or_b32 exec_lo, exec_lo, s5
	s_waitcnt_vscnt null, 0x0
	s_barrier
	buffer_gl0_inv
	s_clause 0x1
	buffer_load_dword v93, off, s[0:3], 0 offset:16
	buffer_load_dword v94, off, s[0:3], 0 offset:20
	s_mov_b32 s5, exec_lo
	s_waitcnt vmcnt(0)
	ds_write_b64 v92, v[93:94]
	s_waitcnt lgkmcnt(0)
	s_barrier
	buffer_gl0_inv
	v_cmpx_gt_u32_e32 2, v0
	s_cbranch_execz .LBB107_19
; %bb.16:
	s_clause 0x1
	buffer_load_dword v93, v89, s[0:3], 0 offen
	buffer_load_dword v94, v89, s[0:3], 0 offen offset:4
	ds_read_b64 v[89:90], v92
	s_waitcnt vmcnt(0) lgkmcnt(0)
	v_fma_f64 v[89:90], v[93:94], v[89:90], 0
	s_and_saveexec_b32 s8, s4
	s_cbranch_execz .LBB107_18
; %bb.17:
	s_clause 0x1
	buffer_load_dword v93, off, s[0:3], 0 offset:8
	buffer_load_dword v94, off, s[0:3], 0 offset:12
	v_mov_b32_e32 v95, 0
	ds_read_b64 v[95:96], v95 offset:360
	s_waitcnt vmcnt(0) lgkmcnt(0)
	v_fma_f64 v[89:90], v[93:94], v[95:96], v[89:90]
.LBB107_18:
	s_or_b32 exec_lo, exec_lo, s8
	v_mov_b32_e32 v93, 0
	ds_read_b64 v[93:94], v93 offset:16
	s_waitcnt lgkmcnt(0)
	v_mul_f64 v[89:90], v[89:90], v[93:94]
	buffer_store_dword v90, off, s[0:3], 0 offset:20
	buffer_store_dword v89, off, s[0:3], 0 offset:16
.LBB107_19:
	s_or_b32 exec_lo, exec_lo, s5
	s_waitcnt_vscnt null, 0x0
	s_barrier
	buffer_gl0_inv
	s_clause 0x1
	buffer_load_dword v89, off, s[0:3], 0 offset:24
	buffer_load_dword v90, off, s[0:3], 0 offset:28
	v_add_nc_u32_e32 v93, -1, v0
	s_mov_b32 s4, exec_lo
	s_waitcnt vmcnt(0)
	ds_write_b64 v92, v[89:90]
	s_waitcnt lgkmcnt(0)
	s_barrier
	buffer_gl0_inv
	v_cmpx_gt_u32_e32 3, v0
	s_cbranch_execz .LBB107_23
; %bb.20:
	v_mov_b32_e32 v89, 0
	v_add_nc_u32_e32 v94, -1, v0
	v_add_nc_u32_e32 v95, 0x160, v91
	v_mov_b32_e32 v90, 0
	v_mov_b32_e32 v96, v91
	s_mov_b32 s5, 0
.LBB107_21:                             ; =>This Inner Loop Header: Depth=1
	s_clause 0x1
	buffer_load_dword v97, v96, s[0:3], 0 offen
	buffer_load_dword v98, v96, s[0:3], 0 offen offset:4
	ds_read_b64 v[99:100], v95
	v_add_nc_u32_e32 v94, 1, v94
	v_add_nc_u32_e32 v95, 8, v95
	v_add_nc_u32_e32 v96, 8, v96
	v_cmp_lt_u32_e32 vcc_lo, 1, v94
	s_or_b32 s5, vcc_lo, s5
	s_waitcnt vmcnt(0) lgkmcnt(0)
	v_fma_f64 v[89:90], v[97:98], v[99:100], v[89:90]
	s_andn2_b32 exec_lo, exec_lo, s5
	s_cbranch_execnz .LBB107_21
; %bb.22:
	s_or_b32 exec_lo, exec_lo, s5
	v_mov_b32_e32 v94, 0
	ds_read_b64 v[94:95], v94 offset:24
	s_waitcnt lgkmcnt(0)
	v_mul_f64 v[89:90], v[89:90], v[94:95]
	buffer_store_dword v90, off, s[0:3], 0 offset:28
	buffer_store_dword v89, off, s[0:3], 0 offset:24
.LBB107_23:
	s_or_b32 exec_lo, exec_lo, s4
	s_waitcnt_vscnt null, 0x0
	s_barrier
	buffer_gl0_inv
	s_clause 0x1
	buffer_load_dword v89, off, s[0:3], 0 offset:32
	buffer_load_dword v90, off, s[0:3], 0 offset:36
	s_mov_b32 s4, exec_lo
	s_waitcnt vmcnt(0)
	ds_write_b64 v92, v[89:90]
	s_waitcnt lgkmcnt(0)
	s_barrier
	buffer_gl0_inv
	v_cmpx_gt_u32_e32 4, v0
	s_cbranch_execz .LBB107_27
; %bb.24:
	v_mov_b32_e32 v89, 0
	v_add_nc_u32_e32 v94, -1, v0
	v_add_nc_u32_e32 v95, 0x160, v91
	v_mov_b32_e32 v90, 0
	v_mov_b32_e32 v96, v91
	s_mov_b32 s5, 0
.LBB107_25:                             ; =>This Inner Loop Header: Depth=1
	s_clause 0x1
	buffer_load_dword v97, v96, s[0:3], 0 offen
	buffer_load_dword v98, v96, s[0:3], 0 offen offset:4
	ds_read_b64 v[99:100], v95
	v_add_nc_u32_e32 v94, 1, v94
	v_add_nc_u32_e32 v95, 8, v95
	v_add_nc_u32_e32 v96, 8, v96
	v_cmp_lt_u32_e32 vcc_lo, 2, v94
	s_or_b32 s5, vcc_lo, s5
	s_waitcnt vmcnt(0) lgkmcnt(0)
	v_fma_f64 v[89:90], v[97:98], v[99:100], v[89:90]
	s_andn2_b32 exec_lo, exec_lo, s5
	s_cbranch_execnz .LBB107_25
; %bb.26:
	s_or_b32 exec_lo, exec_lo, s5
	v_mov_b32_e32 v94, 0
	ds_read_b64 v[94:95], v94 offset:32
	s_waitcnt lgkmcnt(0)
	v_mul_f64 v[89:90], v[89:90], v[94:95]
	buffer_store_dword v90, off, s[0:3], 0 offset:36
	buffer_store_dword v89, off, s[0:3], 0 offset:32
.LBB107_27:
	s_or_b32 exec_lo, exec_lo, s4
	s_waitcnt_vscnt null, 0x0
	s_barrier
	buffer_gl0_inv
	s_clause 0x1
	buffer_load_dword v89, off, s[0:3], 0 offset:40
	buffer_load_dword v90, off, s[0:3], 0 offset:44
	;; [unrolled: 45-line block ×20, first 2 shown]
	s_mov_b32 s4, exec_lo
	s_waitcnt vmcnt(0)
	ds_write_b64 v92, v[89:90]
	s_waitcnt lgkmcnt(0)
	s_barrier
	buffer_gl0_inv
	v_cmpx_gt_u32_e32 23, v0
	s_cbranch_execz .LBB107_103
; %bb.100:
	v_mov_b32_e32 v89, 0
	v_add_nc_u32_e32 v94, -1, v0
	v_add_nc_u32_e32 v95, 0x160, v91
	v_mov_b32_e32 v90, 0
	v_mov_b32_e32 v96, v91
	s_mov_b32 s5, 0
.LBB107_101:                            ; =>This Inner Loop Header: Depth=1
	s_clause 0x1
	buffer_load_dword v97, v96, s[0:3], 0 offen
	buffer_load_dword v98, v96, s[0:3], 0 offen offset:4
	ds_read_b64 v[99:100], v95
	v_add_nc_u32_e32 v94, 1, v94
	v_add_nc_u32_e32 v95, 8, v95
	v_add_nc_u32_e32 v96, 8, v96
	v_cmp_lt_u32_e32 vcc_lo, 21, v94
	s_or_b32 s5, vcc_lo, s5
	s_waitcnt vmcnt(0) lgkmcnt(0)
	v_fma_f64 v[89:90], v[97:98], v[99:100], v[89:90]
	s_andn2_b32 exec_lo, exec_lo, s5
	s_cbranch_execnz .LBB107_101
; %bb.102:
	s_or_b32 exec_lo, exec_lo, s5
	v_mov_b32_e32 v94, 0
	ds_read_b64 v[94:95], v94 offset:184
	s_waitcnt lgkmcnt(0)
	v_mul_f64 v[89:90], v[89:90], v[94:95]
	buffer_store_dword v90, off, s[0:3], 0 offset:188
	buffer_store_dword v89, off, s[0:3], 0 offset:184
.LBB107_103:
	s_or_b32 exec_lo, exec_lo, s4
	s_waitcnt_vscnt null, 0x0
	s_barrier
	buffer_gl0_inv
	s_clause 0x1
	buffer_load_dword v89, off, s[0:3], 0 offset:192
	buffer_load_dword v90, off, s[0:3], 0 offset:196
	s_mov_b32 s4, exec_lo
	s_waitcnt vmcnt(0)
	ds_write_b64 v92, v[89:90]
	s_waitcnt lgkmcnt(0)
	s_barrier
	buffer_gl0_inv
	v_cmpx_gt_u32_e32 24, v0
	s_cbranch_execz .LBB107_107
; %bb.104:
	v_mov_b32_e32 v89, 0
	v_add_nc_u32_e32 v94, -1, v0
	v_add_nc_u32_e32 v95, 0x160, v91
	v_mov_b32_e32 v90, 0
	v_mov_b32_e32 v96, v91
	s_mov_b32 s5, 0
.LBB107_105:                            ; =>This Inner Loop Header: Depth=1
	s_clause 0x1
	buffer_load_dword v97, v96, s[0:3], 0 offen
	buffer_load_dword v98, v96, s[0:3], 0 offen offset:4
	ds_read_b64 v[99:100], v95
	v_add_nc_u32_e32 v94, 1, v94
	v_add_nc_u32_e32 v95, 8, v95
	v_add_nc_u32_e32 v96, 8, v96
	v_cmp_lt_u32_e32 vcc_lo, 22, v94
	s_or_b32 s5, vcc_lo, s5
	s_waitcnt vmcnt(0) lgkmcnt(0)
	v_fma_f64 v[89:90], v[97:98], v[99:100], v[89:90]
	s_andn2_b32 exec_lo, exec_lo, s5
	s_cbranch_execnz .LBB107_105
; %bb.106:
	s_or_b32 exec_lo, exec_lo, s5
	v_mov_b32_e32 v94, 0
	ds_read_b64 v[94:95], v94 offset:192
	s_waitcnt lgkmcnt(0)
	v_mul_f64 v[89:90], v[89:90], v[94:95]
	buffer_store_dword v90, off, s[0:3], 0 offset:196
	buffer_store_dword v89, off, s[0:3], 0 offset:192
.LBB107_107:
	s_or_b32 exec_lo, exec_lo, s4
	s_waitcnt_vscnt null, 0x0
	s_barrier
	buffer_gl0_inv
	s_clause 0x1
	buffer_load_dword v89, off, s[0:3], 0 offset:200
	buffer_load_dword v90, off, s[0:3], 0 offset:204
	;; [unrolled: 45-line block ×20, first 2 shown]
	s_mov_b32 s4, exec_lo
	s_waitcnt vmcnt(0)
	ds_write_b64 v92, v[89:90]
	s_waitcnt lgkmcnt(0)
	s_barrier
	buffer_gl0_inv
	v_cmpx_ne_u32_e32 43, v0
	s_cbranch_execz .LBB107_183
; %bb.180:
	v_mov_b32_e32 v89, 0
	v_mov_b32_e32 v90, 0
	s_mov_b32 s5, 0
.LBB107_181:                            ; =>This Inner Loop Header: Depth=1
	s_clause 0x1
	buffer_load_dword v94, v91, s[0:3], 0 offen
	buffer_load_dword v95, v91, s[0:3], 0 offen offset:4
	ds_read_b64 v[96:97], v92
	v_add_nc_u32_e32 v93, 1, v93
	v_add_nc_u32_e32 v92, 8, v92
	;; [unrolled: 1-line block ×3, first 2 shown]
	v_cmp_lt_u32_e32 vcc_lo, 41, v93
	s_or_b32 s5, vcc_lo, s5
	s_waitcnt vmcnt(0) lgkmcnt(0)
	v_fma_f64 v[89:90], v[94:95], v[96:97], v[89:90]
	s_andn2_b32 exec_lo, exec_lo, s5
	s_cbranch_execnz .LBB107_181
; %bb.182:
	s_or_b32 exec_lo, exec_lo, s5
	v_mov_b32_e32 v91, 0
	ds_read_b64 v[91:92], v91 offset:344
	s_waitcnt lgkmcnt(0)
	v_mul_f64 v[89:90], v[89:90], v[91:92]
	buffer_store_dword v90, off, s[0:3], 0 offset:348
	buffer_store_dword v89, off, s[0:3], 0 offset:344
.LBB107_183:
	s_or_b32 exec_lo, exec_lo, s4
	s_mov_b32 s5, -1
	s_waitcnt_vscnt null, 0x0
	s_barrier
	buffer_gl0_inv
.LBB107_184:
	s_and_b32 vcc_lo, exec_lo, s5
	s_cbranch_vccz .LBB107_186
; %bb.185:
	s_lshl_b64 s[4:5], s[6:7], 2
	v_mov_b32_e32 v89, 0
	s_add_u32 s4, s10, s4
	s_addc_u32 s5, s11, s5
	global_load_dword v89, v89, s[4:5]
	s_waitcnt vmcnt(0)
	v_cmp_ne_u32_e32 vcc_lo, 0, v89
	s_cbranch_vccz .LBB107_187
.LBB107_186:
	s_endpgm
.LBB107_187:
	v_lshl_add_u32 v89, v0, 3, 0x160
	s_mov_b32 s4, exec_lo
	v_cmpx_eq_u32_e32 43, v0
	s_cbranch_execz .LBB107_189
; %bb.188:
	s_clause 0x1
	buffer_load_dword v90, off, s[0:3], 0 offset:336
	buffer_load_dword v91, off, s[0:3], 0 offset:340
	v_mov_b32_e32 v92, 0
	buffer_store_dword v92, off, s[0:3], 0 offset:336
	buffer_store_dword v92, off, s[0:3], 0 offset:340
	s_waitcnt vmcnt(0)
	ds_write_b64 v89, v[90:91]
.LBB107_189:
	s_or_b32 exec_lo, exec_lo, s4
	s_waitcnt lgkmcnt(0)
	s_waitcnt_vscnt null, 0x0
	s_barrier
	buffer_gl0_inv
	s_clause 0x3
	buffer_load_dword v91, off, s[0:3], 0 offset:344
	buffer_load_dword v92, off, s[0:3], 0 offset:348
	;; [unrolled: 1-line block ×4, first 2 shown]
	v_mov_b32_e32 v90, 0
	s_mov_b32 s4, exec_lo
	ds_read_b64 v[95:96], v90 offset:696
	s_waitcnt vmcnt(2) lgkmcnt(0)
	v_fma_f64 v[91:92], v[91:92], v[95:96], 0
	s_waitcnt vmcnt(0)
	v_add_f64 v[91:92], v[93:94], -v[91:92]
	buffer_store_dword v91, off, s[0:3], 0 offset:336
	buffer_store_dword v92, off, s[0:3], 0 offset:340
	v_cmpx_lt_u32_e32 41, v0
	s_cbranch_execz .LBB107_191
; %bb.190:
	s_clause 0x1
	buffer_load_dword v91, off, s[0:3], 0 offset:328
	buffer_load_dword v92, off, s[0:3], 0 offset:332
	buffer_store_dword v90, off, s[0:3], 0 offset:328
	buffer_store_dword v90, off, s[0:3], 0 offset:332
	s_waitcnt vmcnt(0)
	ds_write_b64 v89, v[91:92]
.LBB107_191:
	s_or_b32 exec_lo, exec_lo, s4
	s_waitcnt lgkmcnt(0)
	s_waitcnt_vscnt null, 0x0
	s_barrier
	buffer_gl0_inv
	s_clause 0x5
	buffer_load_dword v94, off, s[0:3], 0 offset:336
	buffer_load_dword v95, off, s[0:3], 0 offset:340
	;; [unrolled: 1-line block ×6, first 2 shown]
	ds_read_b128 v[90:93], v90 offset:688
	s_mov_b32 s4, exec_lo
	s_waitcnt vmcnt(4) lgkmcnt(0)
	v_fma_f64 v[90:91], v[94:95], v[90:91], 0
	s_waitcnt vmcnt(2)
	v_fma_f64 v[90:91], v[96:97], v[92:93], v[90:91]
	s_waitcnt vmcnt(0)
	v_add_f64 v[90:91], v[98:99], -v[90:91]
	buffer_store_dword v90, off, s[0:3], 0 offset:328
	buffer_store_dword v91, off, s[0:3], 0 offset:332
	v_cmpx_lt_u32_e32 40, v0
	s_cbranch_execz .LBB107_193
; %bb.192:
	s_clause 0x1
	buffer_load_dword v90, off, s[0:3], 0 offset:320
	buffer_load_dword v91, off, s[0:3], 0 offset:324
	v_mov_b32_e32 v92, 0
	buffer_store_dword v92, off, s[0:3], 0 offset:320
	buffer_store_dword v92, off, s[0:3], 0 offset:324
	s_waitcnt vmcnt(0)
	ds_write_b64 v89, v[90:91]
.LBB107_193:
	s_or_b32 exec_lo, exec_lo, s4
	s_waitcnt lgkmcnt(0)
	s_waitcnt_vscnt null, 0x0
	s_barrier
	buffer_gl0_inv
	s_clause 0x7
	buffer_load_dword v95, off, s[0:3], 0 offset:328
	buffer_load_dword v96, off, s[0:3], 0 offset:332
	buffer_load_dword v97, off, s[0:3], 0 offset:336
	buffer_load_dword v98, off, s[0:3], 0 offset:340
	buffer_load_dword v99, off, s[0:3], 0 offset:344
	buffer_load_dword v100, off, s[0:3], 0 offset:348
	buffer_load_dword v101, off, s[0:3], 0 offset:320
	buffer_load_dword v102, off, s[0:3], 0 offset:324
	v_mov_b32_e32 v90, 0
	ds_read2_b64 v[91:94], v90 offset0:85 offset1:86
	ds_read_b64 v[103:104], v90 offset:696
	s_mov_b32 s4, exec_lo
	s_waitcnt vmcnt(6) lgkmcnt(1)
	v_fma_f64 v[91:92], v[95:96], v[91:92], 0
	s_waitcnt vmcnt(4)
	v_fma_f64 v[91:92], v[97:98], v[93:94], v[91:92]
	s_waitcnt vmcnt(2) lgkmcnt(0)
	v_fma_f64 v[91:92], v[99:100], v[103:104], v[91:92]
	s_waitcnt vmcnt(0)
	v_add_f64 v[91:92], v[101:102], -v[91:92]
	buffer_store_dword v91, off, s[0:3], 0 offset:320
	buffer_store_dword v92, off, s[0:3], 0 offset:324
	v_cmpx_lt_u32_e32 39, v0
	s_cbranch_execz .LBB107_195
; %bb.194:
	s_clause 0x1
	buffer_load_dword v91, off, s[0:3], 0 offset:312
	buffer_load_dword v92, off, s[0:3], 0 offset:316
	buffer_store_dword v90, off, s[0:3], 0 offset:312
	buffer_store_dword v90, off, s[0:3], 0 offset:316
	s_waitcnt vmcnt(0)
	ds_write_b64 v89, v[91:92]
.LBB107_195:
	s_or_b32 exec_lo, exec_lo, s4
	s_waitcnt lgkmcnt(0)
	s_waitcnt_vscnt null, 0x0
	s_barrier
	buffer_gl0_inv
	s_clause 0x9
	buffer_load_dword v99, off, s[0:3], 0 offset:320
	buffer_load_dword v100, off, s[0:3], 0 offset:324
	;; [unrolled: 1-line block ×10, first 2 shown]
	ds_read_b128 v[91:94], v90 offset:672
	ds_read_b128 v[95:98], v90 offset:688
	s_mov_b32 s4, exec_lo
	s_waitcnt vmcnt(8) lgkmcnt(1)
	v_fma_f64 v[90:91], v[99:100], v[91:92], 0
	s_waitcnt vmcnt(6)
	v_fma_f64 v[90:91], v[101:102], v[93:94], v[90:91]
	s_waitcnt vmcnt(4) lgkmcnt(0)
	v_fma_f64 v[90:91], v[103:104], v[95:96], v[90:91]
	s_waitcnt vmcnt(2)
	v_fma_f64 v[90:91], v[105:106], v[97:98], v[90:91]
	s_waitcnt vmcnt(0)
	v_add_f64 v[90:91], v[107:108], -v[90:91]
	buffer_store_dword v90, off, s[0:3], 0 offset:312
	buffer_store_dword v91, off, s[0:3], 0 offset:316
	v_cmpx_lt_u32_e32 38, v0
	s_cbranch_execz .LBB107_197
; %bb.196:
	s_clause 0x1
	buffer_load_dword v90, off, s[0:3], 0 offset:304
	buffer_load_dword v91, off, s[0:3], 0 offset:308
	v_mov_b32_e32 v92, 0
	buffer_store_dword v92, off, s[0:3], 0 offset:304
	buffer_store_dword v92, off, s[0:3], 0 offset:308
	s_waitcnt vmcnt(0)
	ds_write_b64 v89, v[90:91]
.LBB107_197:
	s_or_b32 exec_lo, exec_lo, s4
	s_waitcnt lgkmcnt(0)
	s_waitcnt_vscnt null, 0x0
	s_barrier
	buffer_gl0_inv
	s_clause 0xb
	buffer_load_dword v99, off, s[0:3], 0 offset:312
	buffer_load_dword v100, off, s[0:3], 0 offset:316
	;; [unrolled: 1-line block ×12, first 2 shown]
	v_mov_b32_e32 v90, 0
	ds_read2_b64 v[91:94], v90 offset0:83 offset1:84
	ds_read2_b64 v[95:98], v90 offset0:85 offset1:86
	s_mov_b32 s4, exec_lo
	s_waitcnt vmcnt(10) lgkmcnt(1)
	v_fma_f64 v[91:92], v[99:100], v[91:92], 0
	s_waitcnt vmcnt(8)
	v_fma_f64 v[91:92], v[101:102], v[93:94], v[91:92]
	ds_read_b64 v[93:94], v90 offset:696
	s_waitcnt vmcnt(6) lgkmcnt(1)
	v_fma_f64 v[91:92], v[103:104], v[95:96], v[91:92]
	s_waitcnt vmcnt(4)
	v_fma_f64 v[91:92], v[105:106], v[97:98], v[91:92]
	s_waitcnt vmcnt(2) lgkmcnt(0)
	v_fma_f64 v[91:92], v[107:108], v[93:94], v[91:92]
	s_waitcnt vmcnt(0)
	v_add_f64 v[91:92], v[109:110], -v[91:92]
	buffer_store_dword v91, off, s[0:3], 0 offset:304
	buffer_store_dword v92, off, s[0:3], 0 offset:308
	v_cmpx_lt_u32_e32 37, v0
	s_cbranch_execz .LBB107_199
; %bb.198:
	s_clause 0x1
	buffer_load_dword v91, off, s[0:3], 0 offset:296
	buffer_load_dword v92, off, s[0:3], 0 offset:300
	buffer_store_dword v90, off, s[0:3], 0 offset:296
	buffer_store_dword v90, off, s[0:3], 0 offset:300
	s_waitcnt vmcnt(0)
	ds_write_b64 v89, v[91:92]
.LBB107_199:
	s_or_b32 exec_lo, exec_lo, s4
	s_waitcnt lgkmcnt(0)
	s_waitcnt_vscnt null, 0x0
	s_barrier
	buffer_gl0_inv
	s_clause 0xd
	buffer_load_dword v99, off, s[0:3], 0 offset:304
	buffer_load_dword v100, off, s[0:3], 0 offset:308
	;; [unrolled: 1-line block ×14, first 2 shown]
	ds_read_b128 v[91:94], v90 offset:656
	ds_read_b128 v[95:98], v90 offset:672
	s_mov_b32 s4, exec_lo
	s_waitcnt vmcnt(12) lgkmcnt(1)
	v_fma_f64 v[91:92], v[99:100], v[91:92], 0
	s_waitcnt vmcnt(10)
	v_fma_f64 v[91:92], v[101:102], v[93:94], v[91:92]
	s_waitcnt vmcnt(8) lgkmcnt(0)
	v_fma_f64 v[91:92], v[103:104], v[95:96], v[91:92]
	s_waitcnt vmcnt(6)
	v_fma_f64 v[94:95], v[105:106], v[97:98], v[91:92]
	ds_read_b128 v[90:93], v90 offset:688
	s_waitcnt vmcnt(4) lgkmcnt(0)
	v_fma_f64 v[90:91], v[107:108], v[90:91], v[94:95]
	s_waitcnt vmcnt(2)
	v_fma_f64 v[90:91], v[109:110], v[92:93], v[90:91]
	s_waitcnt vmcnt(0)
	v_add_f64 v[90:91], v[111:112], -v[90:91]
	buffer_store_dword v90, off, s[0:3], 0 offset:296
	buffer_store_dword v91, off, s[0:3], 0 offset:300
	v_cmpx_lt_u32_e32 36, v0
	s_cbranch_execz .LBB107_201
; %bb.200:
	s_clause 0x1
	buffer_load_dword v90, off, s[0:3], 0 offset:288
	buffer_load_dword v91, off, s[0:3], 0 offset:292
	v_mov_b32_e32 v92, 0
	buffer_store_dword v92, off, s[0:3], 0 offset:288
	buffer_store_dword v92, off, s[0:3], 0 offset:292
	s_waitcnt vmcnt(0)
	ds_write_b64 v89, v[90:91]
.LBB107_201:
	s_or_b32 exec_lo, exec_lo, s4
	s_waitcnt lgkmcnt(0)
	s_waitcnt_vscnt null, 0x0
	s_barrier
	buffer_gl0_inv
	s_clause 0xf
	buffer_load_dword v99, off, s[0:3], 0 offset:296
	buffer_load_dword v100, off, s[0:3], 0 offset:300
	;; [unrolled: 1-line block ×16, first 2 shown]
	v_mov_b32_e32 v90, 0
	ds_read2_b64 v[91:94], v90 offset0:81 offset1:82
	ds_read2_b64 v[95:98], v90 offset0:83 offset1:84
	s_mov_b32 s4, exec_lo
	s_waitcnt vmcnt(14) lgkmcnt(1)
	v_fma_f64 v[91:92], v[99:100], v[91:92], 0
	s_waitcnt vmcnt(12)
	v_fma_f64 v[91:92], v[101:102], v[93:94], v[91:92]
	s_waitcnt vmcnt(10) lgkmcnt(0)
	v_fma_f64 v[91:92], v[103:104], v[95:96], v[91:92]
	s_waitcnt vmcnt(8)
	v_fma_f64 v[95:96], v[105:106], v[97:98], v[91:92]
	ds_read2_b64 v[91:94], v90 offset0:85 offset1:86
	ds_read_b64 v[97:98], v90 offset:696
	s_waitcnt vmcnt(6) lgkmcnt(1)
	v_fma_f64 v[91:92], v[107:108], v[91:92], v[95:96]
	s_waitcnt vmcnt(4)
	v_fma_f64 v[91:92], v[109:110], v[93:94], v[91:92]
	s_waitcnt vmcnt(2) lgkmcnt(0)
	v_fma_f64 v[91:92], v[111:112], v[97:98], v[91:92]
	s_waitcnt vmcnt(0)
	v_add_f64 v[91:92], v[113:114], -v[91:92]
	buffer_store_dword v91, off, s[0:3], 0 offset:288
	buffer_store_dword v92, off, s[0:3], 0 offset:292
	v_cmpx_lt_u32_e32 35, v0
	s_cbranch_execz .LBB107_203
; %bb.202:
	s_clause 0x1
	buffer_load_dword v91, off, s[0:3], 0 offset:280
	buffer_load_dword v92, off, s[0:3], 0 offset:284
	buffer_store_dword v90, off, s[0:3], 0 offset:280
	buffer_store_dword v90, off, s[0:3], 0 offset:284
	s_waitcnt vmcnt(0)
	ds_write_b64 v89, v[91:92]
.LBB107_203:
	s_or_b32 exec_lo, exec_lo, s4
	s_waitcnt lgkmcnt(0)
	s_waitcnt_vscnt null, 0x0
	s_barrier
	buffer_gl0_inv
	s_clause 0x11
	buffer_load_dword v99, off, s[0:3], 0 offset:288
	buffer_load_dword v100, off, s[0:3], 0 offset:292
	;; [unrolled: 1-line block ×18, first 2 shown]
	ds_read_b128 v[91:94], v90 offset:640
	ds_read_b128 v[95:98], v90 offset:656
	s_mov_b32 s4, exec_lo
	s_waitcnt vmcnt(16) lgkmcnt(1)
	v_fma_f64 v[91:92], v[99:100], v[91:92], 0
	s_waitcnt vmcnt(14)
	v_fma_f64 v[91:92], v[101:102], v[93:94], v[91:92]
	s_waitcnt vmcnt(12) lgkmcnt(0)
	v_fma_f64 v[91:92], v[103:104], v[95:96], v[91:92]
	s_waitcnt vmcnt(10)
	v_fma_f64 v[99:100], v[105:106], v[97:98], v[91:92]
	ds_read_b128 v[91:94], v90 offset:672
	ds_read_b128 v[95:98], v90 offset:688
	s_waitcnt vmcnt(8) lgkmcnt(1)
	v_fma_f64 v[90:91], v[107:108], v[91:92], v[99:100]
	s_waitcnt vmcnt(6)
	v_fma_f64 v[90:91], v[109:110], v[93:94], v[90:91]
	s_waitcnt vmcnt(4) lgkmcnt(0)
	v_fma_f64 v[90:91], v[111:112], v[95:96], v[90:91]
	s_waitcnt vmcnt(2)
	v_fma_f64 v[90:91], v[113:114], v[97:98], v[90:91]
	s_waitcnt vmcnt(0)
	v_add_f64 v[90:91], v[115:116], -v[90:91]
	buffer_store_dword v90, off, s[0:3], 0 offset:280
	buffer_store_dword v91, off, s[0:3], 0 offset:284
	v_cmpx_lt_u32_e32 34, v0
	s_cbranch_execz .LBB107_205
; %bb.204:
	s_clause 0x1
	buffer_load_dword v90, off, s[0:3], 0 offset:272
	buffer_load_dword v91, off, s[0:3], 0 offset:276
	v_mov_b32_e32 v92, 0
	buffer_store_dword v92, off, s[0:3], 0 offset:272
	buffer_store_dword v92, off, s[0:3], 0 offset:276
	s_waitcnt vmcnt(0)
	ds_write_b64 v89, v[90:91]
.LBB107_205:
	s_or_b32 exec_lo, exec_lo, s4
	s_waitcnt lgkmcnt(0)
	s_waitcnt_vscnt null, 0x0
	s_barrier
	buffer_gl0_inv
	s_clause 0x13
	buffer_load_dword v99, off, s[0:3], 0 offset:280
	buffer_load_dword v100, off, s[0:3], 0 offset:284
	;; [unrolled: 1-line block ×20, first 2 shown]
	v_mov_b32_e32 v90, 0
	ds_read2_b64 v[91:94], v90 offset0:79 offset1:80
	ds_read2_b64 v[95:98], v90 offset0:81 offset1:82
	s_mov_b32 s4, exec_lo
	s_waitcnt vmcnt(18) lgkmcnt(1)
	v_fma_f64 v[91:92], v[99:100], v[91:92], 0
	s_waitcnt vmcnt(16)
	v_fma_f64 v[91:92], v[101:102], v[93:94], v[91:92]
	s_waitcnt vmcnt(14) lgkmcnt(0)
	v_fma_f64 v[91:92], v[103:104], v[95:96], v[91:92]
	s_waitcnt vmcnt(12)
	v_fma_f64 v[99:100], v[105:106], v[97:98], v[91:92]
	ds_read2_b64 v[91:94], v90 offset0:83 offset1:84
	ds_read2_b64 v[95:98], v90 offset0:85 offset1:86
	s_waitcnt vmcnt(10) lgkmcnt(1)
	v_fma_f64 v[91:92], v[107:108], v[91:92], v[99:100]
	s_waitcnt vmcnt(8)
	v_fma_f64 v[91:92], v[109:110], v[93:94], v[91:92]
	ds_read_b64 v[93:94], v90 offset:696
	s_waitcnt vmcnt(6) lgkmcnt(1)
	v_fma_f64 v[91:92], v[111:112], v[95:96], v[91:92]
	s_waitcnt vmcnt(3)
	v_fma_f64 v[91:92], v[113:114], v[97:98], v[91:92]
	s_waitcnt vmcnt(2) lgkmcnt(0)
	v_fma_f64 v[91:92], v[115:116], v[93:94], v[91:92]
	s_waitcnt vmcnt(0)
	v_add_f64 v[91:92], v[117:118], -v[91:92]
	buffer_store_dword v91, off, s[0:3], 0 offset:272
	buffer_store_dword v92, off, s[0:3], 0 offset:276
	v_cmpx_lt_u32_e32 33, v0
	s_cbranch_execz .LBB107_207
; %bb.206:
	s_clause 0x1
	buffer_load_dword v91, off, s[0:3], 0 offset:264
	buffer_load_dword v92, off, s[0:3], 0 offset:268
	buffer_store_dword v90, off, s[0:3], 0 offset:264
	buffer_store_dword v90, off, s[0:3], 0 offset:268
	s_waitcnt vmcnt(0)
	ds_write_b64 v89, v[91:92]
.LBB107_207:
	s_or_b32 exec_lo, exec_lo, s4
	s_waitcnt lgkmcnt(0)
	s_waitcnt_vscnt null, 0x0
	s_barrier
	buffer_gl0_inv
	s_clause 0x15
	buffer_load_dword v99, off, s[0:3], 0 offset:272
	buffer_load_dword v100, off, s[0:3], 0 offset:276
	;; [unrolled: 1-line block ×22, first 2 shown]
	ds_read_b128 v[91:94], v90 offset:624
	ds_read_b128 v[95:98], v90 offset:640
	s_mov_b32 s4, exec_lo
	s_waitcnt vmcnt(20) lgkmcnt(1)
	v_fma_f64 v[91:92], v[99:100], v[91:92], 0
	s_waitcnt vmcnt(18)
	v_fma_f64 v[91:92], v[101:102], v[93:94], v[91:92]
	s_waitcnt vmcnt(16) lgkmcnt(0)
	v_fma_f64 v[91:92], v[103:104], v[95:96], v[91:92]
	s_waitcnt vmcnt(14)
	v_fma_f64 v[99:100], v[105:106], v[97:98], v[91:92]
	ds_read_b128 v[91:94], v90 offset:656
	ds_read_b128 v[95:98], v90 offset:672
	s_waitcnt vmcnt(12) lgkmcnt(1)
	v_fma_f64 v[91:92], v[107:108], v[91:92], v[99:100]
	s_waitcnt vmcnt(10)
	v_fma_f64 v[91:92], v[109:110], v[93:94], v[91:92]
	s_waitcnt vmcnt(8) lgkmcnt(0)
	v_fma_f64 v[91:92], v[111:112], v[95:96], v[91:92]
	s_waitcnt vmcnt(4)
	v_fma_f64 v[94:95], v[113:114], v[97:98], v[91:92]
	ds_read_b128 v[90:93], v90 offset:688
	s_waitcnt vmcnt(3) lgkmcnt(0)
	v_fma_f64 v[90:91], v[117:118], v[90:91], v[94:95]
	s_waitcnt vmcnt(2)
	v_fma_f64 v[90:91], v[115:116], v[92:93], v[90:91]
	s_waitcnt vmcnt(0)
	v_add_f64 v[90:91], v[119:120], -v[90:91]
	buffer_store_dword v90, off, s[0:3], 0 offset:264
	buffer_store_dword v91, off, s[0:3], 0 offset:268
	v_cmpx_lt_u32_e32 32, v0
	s_cbranch_execz .LBB107_209
; %bb.208:
	s_clause 0x1
	buffer_load_dword v90, off, s[0:3], 0 offset:256
	buffer_load_dword v91, off, s[0:3], 0 offset:260
	v_mov_b32_e32 v92, 0
	buffer_store_dword v92, off, s[0:3], 0 offset:256
	buffer_store_dword v92, off, s[0:3], 0 offset:260
	s_waitcnt vmcnt(0)
	ds_write_b64 v89, v[90:91]
.LBB107_209:
	s_or_b32 exec_lo, exec_lo, s4
	s_waitcnt lgkmcnt(0)
	s_waitcnt_vscnt null, 0x0
	s_barrier
	buffer_gl0_inv
	s_clause 0x17
	buffer_load_dword v99, off, s[0:3], 0 offset:264
	buffer_load_dword v100, off, s[0:3], 0 offset:268
	;; [unrolled: 1-line block ×24, first 2 shown]
	v_mov_b32_e32 v90, 0
	ds_read2_b64 v[91:94], v90 offset0:77 offset1:78
	ds_read2_b64 v[95:98], v90 offset0:79 offset1:80
	s_mov_b32 s4, exec_lo
	s_waitcnt vmcnt(22) lgkmcnt(1)
	v_fma_f64 v[91:92], v[99:100], v[91:92], 0
	s_waitcnt vmcnt(20)
	v_fma_f64 v[91:92], v[101:102], v[93:94], v[91:92]
	s_waitcnt vmcnt(18) lgkmcnt(0)
	v_fma_f64 v[91:92], v[103:104], v[95:96], v[91:92]
	s_waitcnt vmcnt(16)
	v_fma_f64 v[99:100], v[105:106], v[97:98], v[91:92]
	ds_read2_b64 v[91:94], v90 offset0:81 offset1:82
	ds_read2_b64 v[95:98], v90 offset0:83 offset1:84
	s_waitcnt vmcnt(14) lgkmcnt(1)
	v_fma_f64 v[91:92], v[107:108], v[91:92], v[99:100]
	s_waitcnt vmcnt(12)
	v_fma_f64 v[91:92], v[109:110], v[93:94], v[91:92]
	s_waitcnt vmcnt(10) lgkmcnt(0)
	v_fma_f64 v[91:92], v[111:112], v[95:96], v[91:92]
	s_waitcnt vmcnt(5)
	v_fma_f64 v[95:96], v[113:114], v[97:98], v[91:92]
	ds_read2_b64 v[91:94], v90 offset0:85 offset1:86
	ds_read_b64 v[97:98], v90 offset:696
	s_waitcnt vmcnt(4) lgkmcnt(1)
	v_fma_f64 v[91:92], v[119:120], v[91:92], v[95:96]
	s_waitcnt vmcnt(3)
	v_fma_f64 v[91:92], v[117:118], v[93:94], v[91:92]
	s_waitcnt vmcnt(2) lgkmcnt(0)
	v_fma_f64 v[91:92], v[115:116], v[97:98], v[91:92]
	s_waitcnt vmcnt(0)
	v_add_f64 v[91:92], v[121:122], -v[91:92]
	buffer_store_dword v92, off, s[0:3], 0 offset:260
	buffer_store_dword v91, off, s[0:3], 0 offset:256
	v_cmpx_lt_u32_e32 31, v0
	s_cbranch_execz .LBB107_211
; %bb.210:
	s_clause 0x1
	buffer_load_dword v91, off, s[0:3], 0 offset:248
	buffer_load_dword v92, off, s[0:3], 0 offset:252
	buffer_store_dword v90, off, s[0:3], 0 offset:248
	buffer_store_dword v90, off, s[0:3], 0 offset:252
	s_waitcnt vmcnt(0)
	ds_write_b64 v89, v[91:92]
.LBB107_211:
	s_or_b32 exec_lo, exec_lo, s4
	s_waitcnt lgkmcnt(0)
	s_waitcnt_vscnt null, 0x0
	s_barrier
	buffer_gl0_inv
	s_clause 0x19
	buffer_load_dword v99, off, s[0:3], 0 offset:256
	buffer_load_dword v100, off, s[0:3], 0 offset:260
	;; [unrolled: 1-line block ×26, first 2 shown]
	ds_read_b128 v[91:94], v90 offset:608
	ds_read_b128 v[95:98], v90 offset:624
	s_mov_b32 s4, exec_lo
	s_waitcnt vmcnt(24) lgkmcnt(1)
	v_fma_f64 v[91:92], v[99:100], v[91:92], 0
	s_waitcnt vmcnt(22)
	v_fma_f64 v[91:92], v[101:102], v[93:94], v[91:92]
	s_waitcnt vmcnt(20) lgkmcnt(0)
	v_fma_f64 v[91:92], v[103:104], v[95:96], v[91:92]
	s_waitcnt vmcnt(18)
	v_fma_f64 v[99:100], v[105:106], v[97:98], v[91:92]
	ds_read_b128 v[91:94], v90 offset:640
	ds_read_b128 v[95:98], v90 offset:656
	s_waitcnt vmcnt(16) lgkmcnt(1)
	v_fma_f64 v[91:92], v[107:108], v[91:92], v[99:100]
	s_waitcnt vmcnt(14)
	v_fma_f64 v[91:92], v[109:110], v[93:94], v[91:92]
	s_waitcnt vmcnt(12) lgkmcnt(0)
	v_fma_f64 v[91:92], v[111:112], v[95:96], v[91:92]
	s_waitcnt vmcnt(7)
	v_fma_f64 v[99:100], v[113:114], v[97:98], v[91:92]
	ds_read_b128 v[91:94], v90 offset:672
	ds_read_b128 v[95:98], v90 offset:688
	s_waitcnt vmcnt(6) lgkmcnt(1)
	v_fma_f64 v[90:91], v[119:120], v[91:92], v[99:100]
	s_waitcnt vmcnt(5)
	v_fma_f64 v[90:91], v[117:118], v[93:94], v[90:91]
	s_waitcnt vmcnt(4) lgkmcnt(0)
	v_fma_f64 v[90:91], v[115:116], v[95:96], v[90:91]
	s_waitcnt vmcnt(2)
	v_fma_f64 v[90:91], v[121:122], v[97:98], v[90:91]
	s_waitcnt vmcnt(0)
	v_add_f64 v[90:91], v[123:124], -v[90:91]
	buffer_store_dword v91, off, s[0:3], 0 offset:252
	buffer_store_dword v90, off, s[0:3], 0 offset:248
	v_cmpx_lt_u32_e32 30, v0
	s_cbranch_execz .LBB107_213
; %bb.212:
	s_clause 0x1
	buffer_load_dword v90, off, s[0:3], 0 offset:240
	buffer_load_dword v91, off, s[0:3], 0 offset:244
	v_mov_b32_e32 v92, 0
	buffer_store_dword v92, off, s[0:3], 0 offset:240
	buffer_store_dword v92, off, s[0:3], 0 offset:244
	s_waitcnt vmcnt(0)
	ds_write_b64 v89, v[90:91]
.LBB107_213:
	s_or_b32 exec_lo, exec_lo, s4
	s_waitcnt lgkmcnt(0)
	s_waitcnt_vscnt null, 0x0
	s_barrier
	buffer_gl0_inv
	s_clause 0x1b
	buffer_load_dword v95, off, s[0:3], 0 offset:248
	buffer_load_dword v96, off, s[0:3], 0 offset:252
	;; [unrolled: 1-line block ×28, first 2 shown]
	v_mov_b32_e32 v90, 0
	s_mov_b32 s4, exec_lo
	ds_read2_b64 v[91:94], v90 offset0:75 offset1:76
	s_waitcnt vmcnt(26) lgkmcnt(0)
	v_fma_f64 v[91:92], v[95:96], v[91:92], 0
	s_waitcnt vmcnt(24)
	v_fma_f64 v[95:96], v[97:98], v[93:94], v[91:92]
	ds_read2_b64 v[91:94], v90 offset0:77 offset1:78
	s_waitcnt vmcnt(22) lgkmcnt(0)
	v_fma_f64 v[91:92], v[99:100], v[91:92], v[95:96]
	s_waitcnt vmcnt(20)
	v_fma_f64 v[95:96], v[101:102], v[93:94], v[91:92]
	;; [unrolled: 5-line block ×6, first 2 shown]
	ds_read_b64 v[93:94], v90 offset:696
	s_waitcnt vmcnt(2) lgkmcnt(0)
	v_fma_f64 v[91:92], v[119:120], v[93:94], v[91:92]
	s_waitcnt vmcnt(0)
	v_add_f64 v[91:92], v[121:122], -v[91:92]
	buffer_store_dword v92, off, s[0:3], 0 offset:244
	buffer_store_dword v91, off, s[0:3], 0 offset:240
	v_cmpx_lt_u32_e32 29, v0
	s_cbranch_execz .LBB107_215
; %bb.214:
	s_clause 0x1
	buffer_load_dword v91, off, s[0:3], 0 offset:232
	buffer_load_dword v92, off, s[0:3], 0 offset:236
	buffer_store_dword v90, off, s[0:3], 0 offset:232
	buffer_store_dword v90, off, s[0:3], 0 offset:236
	s_waitcnt vmcnt(0)
	ds_write_b64 v89, v[91:92]
.LBB107_215:
	s_or_b32 exec_lo, exec_lo, s4
	s_waitcnt lgkmcnt(0)
	s_waitcnt_vscnt null, 0x0
	s_barrier
	buffer_gl0_inv
	s_clause 0x1b
	buffer_load_dword v95, off, s[0:3], 0 offset:240
	buffer_load_dword v96, off, s[0:3], 0 offset:244
	;; [unrolled: 1-line block ×28, first 2 shown]
	ds_read_b128 v[91:94], v90 offset:592
	s_clause 0x1
	buffer_load_dword v123, off, s[0:3], 0 offset:232
	buffer_load_dword v124, off, s[0:3], 0 offset:236
	s_mov_b32 s4, exec_lo
	s_waitcnt vmcnt(28) lgkmcnt(0)
	v_fma_f64 v[91:92], v[95:96], v[91:92], 0
	s_waitcnt vmcnt(26)
	v_fma_f64 v[95:96], v[97:98], v[93:94], v[91:92]
	ds_read_b128 v[91:94], v90 offset:608
	s_waitcnt vmcnt(24) lgkmcnt(0)
	v_fma_f64 v[91:92], v[99:100], v[91:92], v[95:96]
	s_waitcnt vmcnt(22)
	v_fma_f64 v[95:96], v[101:102], v[93:94], v[91:92]
	ds_read_b128 v[91:94], v90 offset:624
	;; [unrolled: 5-line block ×6, first 2 shown]
	s_waitcnt vmcnt(4) lgkmcnt(0)
	v_fma_f64 v[90:91], v[119:120], v[90:91], v[94:95]
	s_waitcnt vmcnt(2)
	v_fma_f64 v[90:91], v[121:122], v[92:93], v[90:91]
	s_waitcnt vmcnt(0)
	v_add_f64 v[90:91], v[123:124], -v[90:91]
	buffer_store_dword v91, off, s[0:3], 0 offset:236
	buffer_store_dword v90, off, s[0:3], 0 offset:232
	v_cmpx_lt_u32_e32 28, v0
	s_cbranch_execz .LBB107_217
; %bb.216:
	s_clause 0x1
	buffer_load_dword v90, off, s[0:3], 0 offset:224
	buffer_load_dword v91, off, s[0:3], 0 offset:228
	v_mov_b32_e32 v92, 0
	buffer_store_dword v92, off, s[0:3], 0 offset:224
	buffer_store_dword v92, off, s[0:3], 0 offset:228
	s_waitcnt vmcnt(0)
	ds_write_b64 v89, v[90:91]
.LBB107_217:
	s_or_b32 exec_lo, exec_lo, s4
	s_waitcnt lgkmcnt(0)
	s_waitcnt_vscnt null, 0x0
	s_barrier
	buffer_gl0_inv
	s_clause 0x1b
	buffer_load_dword v95, off, s[0:3], 0 offset:232
	buffer_load_dword v96, off, s[0:3], 0 offset:236
	;; [unrolled: 1-line block ×28, first 2 shown]
	v_mov_b32_e32 v90, 0
	s_mov_b32 s4, exec_lo
	ds_read2_b64 v[91:94], v90 offset0:73 offset1:74
	s_clause 0x1
	buffer_load_dword v123, off, s[0:3], 0 offset:344
	buffer_load_dword v124, off, s[0:3], 0 offset:348
	s_waitcnt vmcnt(28) lgkmcnt(0)
	v_fma_f64 v[91:92], v[95:96], v[91:92], 0
	s_clause 0x1
	buffer_load_dword v95, off, s[0:3], 0 offset:224
	buffer_load_dword v96, off, s[0:3], 0 offset:228
	s_waitcnt vmcnt(28)
	v_fma_f64 v[97:98], v[97:98], v[93:94], v[91:92]
	ds_read2_b64 v[91:94], v90 offset0:75 offset1:76
	s_waitcnt vmcnt(26) lgkmcnt(0)
	v_fma_f64 v[91:92], v[99:100], v[91:92], v[97:98]
	s_waitcnt vmcnt(24)
	v_fma_f64 v[97:98], v[101:102], v[93:94], v[91:92]
	ds_read2_b64 v[91:94], v90 offset0:77 offset1:78
	s_waitcnt vmcnt(22) lgkmcnt(0)
	v_fma_f64 v[91:92], v[103:104], v[91:92], v[97:98]
	;; [unrolled: 5-line block ×6, first 2 shown]
	s_waitcnt vmcnt(4)
	v_fma_f64 v[91:92], v[121:122], v[93:94], v[91:92]
	ds_read_b64 v[93:94], v90 offset:696
	s_waitcnt vmcnt(2) lgkmcnt(0)
	v_fma_f64 v[91:92], v[123:124], v[93:94], v[91:92]
	s_waitcnt vmcnt(0)
	v_add_f64 v[91:92], v[95:96], -v[91:92]
	buffer_store_dword v92, off, s[0:3], 0 offset:228
	buffer_store_dword v91, off, s[0:3], 0 offset:224
	v_cmpx_lt_u32_e32 27, v0
	s_cbranch_execz .LBB107_219
; %bb.218:
	s_clause 0x1
	buffer_load_dword v91, off, s[0:3], 0 offset:216
	buffer_load_dword v92, off, s[0:3], 0 offset:220
	buffer_store_dword v90, off, s[0:3], 0 offset:216
	buffer_store_dword v90, off, s[0:3], 0 offset:220
	s_waitcnt vmcnt(0)
	ds_write_b64 v89, v[91:92]
.LBB107_219:
	s_or_b32 exec_lo, exec_lo, s4
	s_waitcnt lgkmcnt(0)
	s_waitcnt_vscnt null, 0x0
	s_barrier
	buffer_gl0_inv
	s_clause 0x1b
	buffer_load_dword v95, off, s[0:3], 0 offset:224
	buffer_load_dword v96, off, s[0:3], 0 offset:228
	;; [unrolled: 1-line block ×28, first 2 shown]
	ds_read_b128 v[91:94], v90 offset:576
	s_clause 0x1
	buffer_load_dword v123, off, s[0:3], 0 offset:336
	buffer_load_dword v124, off, s[0:3], 0 offset:340
	s_mov_b32 s4, exec_lo
	s_waitcnt vmcnt(28) lgkmcnt(0)
	v_fma_f64 v[91:92], v[95:96], v[91:92], 0
	s_clause 0x1
	buffer_load_dword v96, off, s[0:3], 0 offset:348
	buffer_load_dword v95, off, s[0:3], 0 offset:344
	s_waitcnt vmcnt(28)
	v_fma_f64 v[97:98], v[97:98], v[93:94], v[91:92]
	ds_read_b128 v[91:94], v90 offset:592
	s_clause 0x1
	buffer_load_dword v125, off, s[0:3], 0 offset:216
	buffer_load_dword v126, off, s[0:3], 0 offset:220
	s_waitcnt vmcnt(28) lgkmcnt(0)
	v_fma_f64 v[91:92], v[99:100], v[91:92], v[97:98]
	s_waitcnt vmcnt(26)
	v_fma_f64 v[97:98], v[101:102], v[93:94], v[91:92]
	ds_read_b128 v[91:94], v90 offset:608
	s_waitcnt vmcnt(24) lgkmcnt(0)
	v_fma_f64 v[91:92], v[103:104], v[91:92], v[97:98]
	s_waitcnt vmcnt(22)
	v_fma_f64 v[97:98], v[105:106], v[93:94], v[91:92]
	ds_read_b128 v[91:94], v90 offset:624
	;; [unrolled: 5-line block ×6, first 2 shown]
	s_waitcnt vmcnt(4) lgkmcnt(0)
	v_fma_f64 v[90:91], v[123:124], v[90:91], v[97:98]
	s_waitcnt vmcnt(2)
	v_fma_f64 v[90:91], v[95:96], v[92:93], v[90:91]
	s_waitcnt vmcnt(0)
	v_add_f64 v[90:91], v[125:126], -v[90:91]
	buffer_store_dword v91, off, s[0:3], 0 offset:220
	buffer_store_dword v90, off, s[0:3], 0 offset:216
	v_cmpx_lt_u32_e32 26, v0
	s_cbranch_execz .LBB107_221
; %bb.220:
	s_clause 0x1
	buffer_load_dword v90, off, s[0:3], 0 offset:208
	buffer_load_dword v91, off, s[0:3], 0 offset:212
	v_mov_b32_e32 v92, 0
	buffer_store_dword v92, off, s[0:3], 0 offset:208
	buffer_store_dword v92, off, s[0:3], 0 offset:212
	s_waitcnt vmcnt(0)
	ds_write_b64 v89, v[90:91]
.LBB107_221:
	s_or_b32 exec_lo, exec_lo, s4
	s_waitcnt lgkmcnt(0)
	s_waitcnt_vscnt null, 0x0
	s_barrier
	buffer_gl0_inv
	s_clause 0x1c
	buffer_load_dword v99, off, s[0:3], 0 offset:216
	buffer_load_dword v100, off, s[0:3], 0 offset:220
	;; [unrolled: 1-line block ×29, first 2 shown]
	v_mov_b32_e32 v90, 0
	buffer_load_dword v124, off, s[0:3], 0 offset:332
	s_mov_b32 s4, exec_lo
	ds_read2_b64 v[91:94], v90 offset0:71 offset1:72
	ds_read2_b64 v[95:98], v90 offset0:73 offset1:74
	s_waitcnt vmcnt(28) lgkmcnt(1)
	v_fma_f64 v[91:92], v[99:100], v[91:92], 0
	s_clause 0x3
	buffer_load_dword v100, off, s[0:3], 0 offset:340
	buffer_load_dword v129, off, s[0:3], 0 offset:344
	;; [unrolled: 1-line block ×4, first 2 shown]
	s_waitcnt vmcnt(30)
	v_fma_f64 v[91:92], v[101:102], v[93:94], v[91:92]
	s_clause 0x1
	buffer_load_dword v101, off, s[0:3], 0 offset:208
	buffer_load_dword v102, off, s[0:3], 0 offset:212
	s_waitcnt vmcnt(30) lgkmcnt(0)
	v_fma_f64 v[91:92], v[103:104], v[95:96], v[91:92]
	s_waitcnt vmcnt(28)
	v_fma_f64 v[103:104], v[105:106], v[97:98], v[91:92]
	ds_read2_b64 v[91:94], v90 offset0:75 offset1:76
	ds_read2_b64 v[95:98], v90 offset0:77 offset1:78
	s_waitcnt vmcnt(26) lgkmcnt(1)
	v_fma_f64 v[91:92], v[107:108], v[91:92], v[103:104]
	s_waitcnt vmcnt(24)
	v_fma_f64 v[91:92], v[109:110], v[93:94], v[91:92]
	s_waitcnt vmcnt(22) lgkmcnt(0)
	v_fma_f64 v[91:92], v[111:112], v[95:96], v[91:92]
	s_waitcnt vmcnt(17)
	v_fma_f64 v[103:104], v[113:114], v[97:98], v[91:92]
	ds_read2_b64 v[91:94], v90 offset0:79 offset1:80
	ds_read2_b64 v[95:98], v90 offset0:81 offset1:82
	s_waitcnt vmcnt(16) lgkmcnt(1)
	v_fma_f64 v[91:92], v[119:120], v[91:92], v[103:104]
	s_waitcnt vmcnt(15)
	v_fma_f64 v[91:92], v[117:118], v[93:94], v[91:92]
	;; [unrolled: 10-line block ×3, first 2 shown]
	ds_read_b64 v[93:94], v90 offset:696
	s_waitcnt vmcnt(6) lgkmcnt(1)
	v_fma_f64 v[91:92], v[123:124], v[95:96], v[91:92]
	s_waitcnt vmcnt(3)
	v_fma_f64 v[91:92], v[99:100], v[97:98], v[91:92]
	s_waitcnt vmcnt(2) lgkmcnt(0)
	v_fma_f64 v[91:92], v[129:130], v[93:94], v[91:92]
	s_waitcnt vmcnt(0)
	v_add_f64 v[91:92], v[101:102], -v[91:92]
	buffer_store_dword v92, off, s[0:3], 0 offset:212
	buffer_store_dword v91, off, s[0:3], 0 offset:208
	v_cmpx_lt_u32_e32 25, v0
	s_cbranch_execz .LBB107_223
; %bb.222:
	s_clause 0x1
	buffer_load_dword v91, off, s[0:3], 0 offset:200
	buffer_load_dword v92, off, s[0:3], 0 offset:204
	buffer_store_dword v90, off, s[0:3], 0 offset:200
	buffer_store_dword v90, off, s[0:3], 0 offset:204
	s_waitcnt vmcnt(0)
	ds_write_b64 v89, v[91:92]
.LBB107_223:
	s_or_b32 exec_lo, exec_lo, s4
	s_waitcnt lgkmcnt(0)
	s_waitcnt_vscnt null, 0x0
	s_barrier
	buffer_gl0_inv
	s_clause 0x1c
	buffer_load_dword v99, off, s[0:3], 0 offset:208
	buffer_load_dword v100, off, s[0:3], 0 offset:212
	;; [unrolled: 1-line block ×29, first 2 shown]
	ds_read_b128 v[91:94], v90 offset:560
	ds_read_b128 v[95:98], v90 offset:576
	buffer_load_dword v124, off, s[0:3], 0 offset:324
	s_mov_b32 s4, exec_lo
	s_waitcnt vmcnt(28) lgkmcnt(1)
	v_fma_f64 v[91:92], v[99:100], v[91:92], 0
	s_clause 0x5
	buffer_load_dword v100, off, s[0:3], 0 offset:332
	buffer_load_dword v129, off, s[0:3], 0 offset:344
	;; [unrolled: 1-line block ×6, first 2 shown]
	s_waitcnt vmcnt(32)
	v_fma_f64 v[91:92], v[101:102], v[93:94], v[91:92]
	s_waitcnt vmcnt(30) lgkmcnt(0)
	v_fma_f64 v[91:92], v[103:104], v[95:96], v[91:92]
	s_waitcnt vmcnt(28)
	v_fma_f64 v[101:102], v[105:106], v[97:98], v[91:92]
	ds_read_b128 v[91:94], v90 offset:592
	s_clause 0x1
	buffer_load_dword v103, off, s[0:3], 0 offset:200
	buffer_load_dword v104, off, s[0:3], 0 offset:204
	ds_read_b128 v[95:98], v90 offset:608
	s_waitcnt vmcnt(28) lgkmcnt(1)
	v_fma_f64 v[91:92], v[107:108], v[91:92], v[101:102]
	s_waitcnt vmcnt(26)
	v_fma_f64 v[91:92], v[109:110], v[93:94], v[91:92]
	s_waitcnt vmcnt(24) lgkmcnt(0)
	v_fma_f64 v[91:92], v[111:112], v[95:96], v[91:92]
	s_waitcnt vmcnt(19)
	v_fma_f64 v[101:102], v[113:114], v[97:98], v[91:92]
	ds_read_b128 v[91:94], v90 offset:624
	ds_read_b128 v[95:98], v90 offset:640
	s_waitcnt vmcnt(18) lgkmcnt(1)
	v_fma_f64 v[91:92], v[119:120], v[91:92], v[101:102]
	s_waitcnt vmcnt(17)
	v_fma_f64 v[91:92], v[117:118], v[93:94], v[91:92]
	s_waitcnt vmcnt(16) lgkmcnt(0)
	v_fma_f64 v[91:92], v[115:116], v[95:96], v[91:92]
	s_waitcnt vmcnt(11)
	v_fma_f64 v[101:102], v[121:122], v[97:98], v[91:92]
	ds_read_b128 v[91:94], v90 offset:656
	;; [unrolled: 10-line block ×3, first 2 shown]
	s_waitcnt vmcnt(3) lgkmcnt(0)
	v_fma_f64 v[90:91], v[131:132], v[90:91], v[94:95]
	s_waitcnt vmcnt(2)
	v_fma_f64 v[90:91], v[129:130], v[92:93], v[90:91]
	s_waitcnt vmcnt(0)
	v_add_f64 v[90:91], v[103:104], -v[90:91]
	buffer_store_dword v91, off, s[0:3], 0 offset:204
	buffer_store_dword v90, off, s[0:3], 0 offset:200
	v_cmpx_lt_u32_e32 24, v0
	s_cbranch_execz .LBB107_225
; %bb.224:
	s_clause 0x1
	buffer_load_dword v90, off, s[0:3], 0 offset:192
	buffer_load_dword v91, off, s[0:3], 0 offset:196
	v_mov_b32_e32 v92, 0
	buffer_store_dword v92, off, s[0:3], 0 offset:192
	buffer_store_dword v92, off, s[0:3], 0 offset:196
	s_waitcnt vmcnt(0)
	ds_write_b64 v89, v[90:91]
.LBB107_225:
	s_or_b32 exec_lo, exec_lo, s4
	s_waitcnt lgkmcnt(0)
	s_waitcnt_vscnt null, 0x0
	s_barrier
	buffer_gl0_inv
	s_clause 0x1c
	buffer_load_dword v99, off, s[0:3], 0 offset:200
	buffer_load_dword v100, off, s[0:3], 0 offset:204
	;; [unrolled: 1-line block ×29, first 2 shown]
	v_mov_b32_e32 v90, 0
	buffer_load_dword v124, off, s[0:3], 0 offset:316
	s_mov_b32 s4, exec_lo
	ds_read2_b64 v[91:94], v90 offset0:69 offset1:70
	ds_read2_b64 v[95:98], v90 offset0:71 offset1:72
	s_waitcnt vmcnt(28) lgkmcnt(1)
	v_fma_f64 v[91:92], v[99:100], v[91:92], 0
	s_clause 0x7
	buffer_load_dword v100, off, s[0:3], 0 offset:324
	buffer_load_dword v129, off, s[0:3], 0 offset:344
	;; [unrolled: 1-line block ×8, first 2 shown]
	s_waitcnt vmcnt(34)
	v_fma_f64 v[91:92], v[101:102], v[93:94], v[91:92]
	s_waitcnt vmcnt(32) lgkmcnt(0)
	v_fma_f64 v[91:92], v[103:104], v[95:96], v[91:92]
	s_waitcnt vmcnt(30)
	v_fma_f64 v[101:102], v[105:106], v[97:98], v[91:92]
	ds_read2_b64 v[91:94], v90 offset0:73 offset1:74
	ds_read2_b64 v[95:98], v90 offset0:75 offset1:76
	s_waitcnt vmcnt(28) lgkmcnt(1)
	v_fma_f64 v[91:92], v[107:108], v[91:92], v[101:102]
	s_clause 0x1
	buffer_load_dword v101, off, s[0:3], 0 offset:192
	buffer_load_dword v102, off, s[0:3], 0 offset:196
	s_waitcnt vmcnt(28)
	v_fma_f64 v[91:92], v[109:110], v[93:94], v[91:92]
	s_waitcnt vmcnt(26) lgkmcnt(0)
	v_fma_f64 v[91:92], v[111:112], v[95:96], v[91:92]
	s_waitcnt vmcnt(21)
	v_fma_f64 v[103:104], v[113:114], v[97:98], v[91:92]
	ds_read2_b64 v[91:94], v90 offset0:77 offset1:78
	ds_read2_b64 v[95:98], v90 offset0:79 offset1:80
	s_waitcnt vmcnt(20) lgkmcnt(1)
	v_fma_f64 v[91:92], v[119:120], v[91:92], v[103:104]
	s_waitcnt vmcnt(19)
	v_fma_f64 v[91:92], v[117:118], v[93:94], v[91:92]
	s_waitcnt vmcnt(18) lgkmcnt(0)
	v_fma_f64 v[91:92], v[115:116], v[95:96], v[91:92]
	s_waitcnt vmcnt(13)
	v_fma_f64 v[103:104], v[121:122], v[97:98], v[91:92]
	ds_read2_b64 v[91:94], v90 offset0:81 offset1:82
	ds_read2_b64 v[95:98], v90 offset0:83 offset1:84
	s_waitcnt vmcnt(12) lgkmcnt(1)
	v_fma_f64 v[91:92], v[127:128], v[91:92], v[103:104]
	s_waitcnt vmcnt(11)
	v_fma_f64 v[91:92], v[125:126], v[93:94], v[91:92]
	s_waitcnt vmcnt(10) lgkmcnt(0)
	v_fma_f64 v[91:92], v[123:124], v[95:96], v[91:92]
	s_waitcnt vmcnt(5)
	v_fma_f64 v[95:96], v[99:100], v[97:98], v[91:92]
	ds_read2_b64 v[91:94], v90 offset0:85 offset1:86
	ds_read_b64 v[97:98], v90 offset:696
	s_waitcnt vmcnt(4) lgkmcnt(1)
	v_fma_f64 v[91:92], v[133:134], v[91:92], v[95:96]
	s_waitcnt vmcnt(3)
	v_fma_f64 v[91:92], v[131:132], v[93:94], v[91:92]
	s_waitcnt vmcnt(2) lgkmcnt(0)
	v_fma_f64 v[91:92], v[129:130], v[97:98], v[91:92]
	s_waitcnt vmcnt(0)
	v_add_f64 v[91:92], v[101:102], -v[91:92]
	buffer_store_dword v92, off, s[0:3], 0 offset:196
	buffer_store_dword v91, off, s[0:3], 0 offset:192
	v_cmpx_lt_u32_e32 23, v0
	s_cbranch_execz .LBB107_227
; %bb.226:
	s_clause 0x1
	buffer_load_dword v91, off, s[0:3], 0 offset:184
	buffer_load_dword v92, off, s[0:3], 0 offset:188
	buffer_store_dword v90, off, s[0:3], 0 offset:184
	buffer_store_dword v90, off, s[0:3], 0 offset:188
	s_waitcnt vmcnt(0)
	ds_write_b64 v89, v[91:92]
.LBB107_227:
	s_or_b32 exec_lo, exec_lo, s4
	s_waitcnt lgkmcnt(0)
	s_waitcnt_vscnt null, 0x0
	s_barrier
	buffer_gl0_inv
	s_clause 0x1c
	buffer_load_dword v99, off, s[0:3], 0 offset:192
	buffer_load_dword v100, off, s[0:3], 0 offset:196
	;; [unrolled: 1-line block ×29, first 2 shown]
	ds_read_b128 v[91:94], v90 offset:544
	ds_read_b128 v[95:98], v90 offset:560
	buffer_load_dword v124, off, s[0:3], 0 offset:308
	s_mov_b32 s4, exec_lo
	s_waitcnt vmcnt(28) lgkmcnt(1)
	v_fma_f64 v[91:92], v[99:100], v[91:92], 0
	s_clause 0x7
	buffer_load_dword v100, off, s[0:3], 0 offset:316
	buffer_load_dword v129, off, s[0:3], 0 offset:336
	;; [unrolled: 1-line block ×8, first 2 shown]
	s_waitcnt vmcnt(34)
	v_fma_f64 v[91:92], v[101:102], v[93:94], v[91:92]
	s_waitcnt vmcnt(32) lgkmcnt(0)
	v_fma_f64 v[91:92], v[103:104], v[95:96], v[91:92]
	s_waitcnt vmcnt(30)
	v_fma_f64 v[101:102], v[105:106], v[97:98], v[91:92]
	ds_read_b128 v[91:94], v90 offset:576
	ds_read_b128 v[95:98], v90 offset:592
	s_waitcnt vmcnt(28) lgkmcnt(1)
	v_fma_f64 v[91:92], v[107:108], v[91:92], v[101:102]
	s_clause 0x3
	buffer_load_dword v102, off, s[0:3], 0 offset:348
	buffer_load_dword v101, off, s[0:3], 0 offset:344
	;; [unrolled: 1-line block ×4, first 2 shown]
	s_waitcnt vmcnt(30)
	v_fma_f64 v[91:92], v[109:110], v[93:94], v[91:92]
	s_waitcnt vmcnt(28) lgkmcnt(0)
	v_fma_f64 v[91:92], v[111:112], v[95:96], v[91:92]
	s_waitcnt vmcnt(23)
	v_fma_f64 v[105:106], v[113:114], v[97:98], v[91:92]
	ds_read_b128 v[91:94], v90 offset:608
	ds_read_b128 v[95:98], v90 offset:624
	s_waitcnt vmcnt(22) lgkmcnt(1)
	v_fma_f64 v[91:92], v[119:120], v[91:92], v[105:106]
	s_waitcnt vmcnt(21)
	v_fma_f64 v[91:92], v[117:118], v[93:94], v[91:92]
	s_waitcnt vmcnt(20) lgkmcnt(0)
	v_fma_f64 v[91:92], v[115:116], v[95:96], v[91:92]
	s_waitcnt vmcnt(15)
	v_fma_f64 v[105:106], v[121:122], v[97:98], v[91:92]
	ds_read_b128 v[91:94], v90 offset:640
	ds_read_b128 v[95:98], v90 offset:656
	s_waitcnt vmcnt(14) lgkmcnt(1)
	v_fma_f64 v[91:92], v[127:128], v[91:92], v[105:106]
	;; [unrolled: 10-line block ×3, first 2 shown]
	s_waitcnt vmcnt(5)
	v_fma_f64 v[90:91], v[131:132], v[93:94], v[90:91]
	s_waitcnt vmcnt(4) lgkmcnt(0)
	v_fma_f64 v[90:91], v[129:130], v[95:96], v[90:91]
	s_waitcnt vmcnt(2)
	v_fma_f64 v[90:91], v[101:102], v[97:98], v[90:91]
	s_waitcnt vmcnt(0)
	v_add_f64 v[90:91], v[103:104], -v[90:91]
	buffer_store_dword v91, off, s[0:3], 0 offset:188
	buffer_store_dword v90, off, s[0:3], 0 offset:184
	v_cmpx_lt_u32_e32 22, v0
	s_cbranch_execz .LBB107_229
; %bb.228:
	s_clause 0x1
	buffer_load_dword v90, off, s[0:3], 0 offset:176
	buffer_load_dword v91, off, s[0:3], 0 offset:180
	v_mov_b32_e32 v92, 0
	buffer_store_dword v92, off, s[0:3], 0 offset:176
	buffer_store_dword v92, off, s[0:3], 0 offset:180
	s_waitcnt vmcnt(0)
	ds_write_b64 v89, v[90:91]
.LBB107_229:
	s_or_b32 exec_lo, exec_lo, s4
	s_waitcnt lgkmcnt(0)
	s_waitcnt_vscnt null, 0x0
	s_barrier
	buffer_gl0_inv
	s_clause 0x1c
	buffer_load_dword v99, off, s[0:3], 0 offset:184
	buffer_load_dword v100, off, s[0:3], 0 offset:188
	;; [unrolled: 1-line block ×29, first 2 shown]
	v_mov_b32_e32 v90, 0
	buffer_load_dword v124, off, s[0:3], 0 offset:300
	s_mov_b32 s4, exec_lo
	ds_read2_b64 v[91:94], v90 offset0:67 offset1:68
	ds_read2_b64 v[95:98], v90 offset0:69 offset1:70
	s_waitcnt vmcnt(28) lgkmcnt(1)
	v_fma_f64 v[91:92], v[99:100], v[91:92], 0
	s_clause 0x7
	buffer_load_dword v100, off, s[0:3], 0 offset:308
	buffer_load_dword v129, off, s[0:3], 0 offset:328
	;; [unrolled: 1-line block ×8, first 2 shown]
	s_waitcnt vmcnt(34)
	v_fma_f64 v[91:92], v[101:102], v[93:94], v[91:92]
	s_waitcnt vmcnt(32) lgkmcnt(0)
	v_fma_f64 v[91:92], v[103:104], v[95:96], v[91:92]
	s_waitcnt vmcnt(30)
	v_fma_f64 v[101:102], v[105:106], v[97:98], v[91:92]
	ds_read2_b64 v[91:94], v90 offset0:71 offset1:72
	ds_read2_b64 v[95:98], v90 offset0:73 offset1:74
	s_waitcnt vmcnt(28) lgkmcnt(1)
	v_fma_f64 v[91:92], v[107:108], v[91:92], v[101:102]
	s_clause 0x5
	buffer_load_dword v102, off, s[0:3], 0 offset:340
	buffer_load_dword v103, off, s[0:3], 0 offset:344
	;; [unrolled: 1-line block ×6, first 2 shown]
	s_waitcnt vmcnt(32)
	v_fma_f64 v[91:92], v[109:110], v[93:94], v[91:92]
	s_waitcnt vmcnt(30) lgkmcnt(0)
	v_fma_f64 v[91:92], v[111:112], v[95:96], v[91:92]
	s_waitcnt vmcnt(25)
	v_fma_f64 v[107:108], v[113:114], v[97:98], v[91:92]
	ds_read2_b64 v[91:94], v90 offset0:75 offset1:76
	ds_read2_b64 v[95:98], v90 offset0:77 offset1:78
	s_waitcnt vmcnt(24) lgkmcnt(1)
	v_fma_f64 v[91:92], v[119:120], v[91:92], v[107:108]
	s_waitcnt vmcnt(23)
	v_fma_f64 v[91:92], v[117:118], v[93:94], v[91:92]
	s_waitcnt vmcnt(22) lgkmcnt(0)
	v_fma_f64 v[91:92], v[115:116], v[95:96], v[91:92]
	s_waitcnt vmcnt(17)
	v_fma_f64 v[107:108], v[121:122], v[97:98], v[91:92]
	ds_read2_b64 v[91:94], v90 offset0:79 offset1:80
	ds_read2_b64 v[95:98], v90 offset0:81 offset1:82
	s_waitcnt vmcnt(16) lgkmcnt(1)
	v_fma_f64 v[91:92], v[127:128], v[91:92], v[107:108]
	;; [unrolled: 10-line block ×3, first 2 shown]
	s_waitcnt vmcnt(7)
	v_fma_f64 v[91:92], v[131:132], v[93:94], v[91:92]
	ds_read_b64 v[93:94], v90 offset:696
	s_waitcnt vmcnt(6) lgkmcnt(1)
	v_fma_f64 v[91:92], v[129:130], v[95:96], v[91:92]
	s_waitcnt vmcnt(3)
	v_fma_f64 v[91:92], v[101:102], v[97:98], v[91:92]
	s_waitcnt vmcnt(2) lgkmcnt(0)
	v_fma_f64 v[91:92], v[103:104], v[93:94], v[91:92]
	s_waitcnt vmcnt(0)
	v_add_f64 v[91:92], v[105:106], -v[91:92]
	buffer_store_dword v92, off, s[0:3], 0 offset:180
	buffer_store_dword v91, off, s[0:3], 0 offset:176
	v_cmpx_lt_u32_e32 21, v0
	s_cbranch_execz .LBB107_231
; %bb.230:
	s_clause 0x1
	buffer_load_dword v91, off, s[0:3], 0 offset:168
	buffer_load_dword v92, off, s[0:3], 0 offset:172
	buffer_store_dword v90, off, s[0:3], 0 offset:168
	buffer_store_dword v90, off, s[0:3], 0 offset:172
	s_waitcnt vmcnt(0)
	ds_write_b64 v89, v[91:92]
.LBB107_231:
	s_or_b32 exec_lo, exec_lo, s4
	s_waitcnt lgkmcnt(0)
	s_waitcnt_vscnt null, 0x0
	s_barrier
	buffer_gl0_inv
	s_clause 0x1c
	buffer_load_dword v99, off, s[0:3], 0 offset:176
	buffer_load_dword v100, off, s[0:3], 0 offset:180
	;; [unrolled: 1-line block ×29, first 2 shown]
	ds_read_b128 v[91:94], v90 offset:528
	ds_read_b128 v[95:98], v90 offset:544
	buffer_load_dword v124, off, s[0:3], 0 offset:292
	s_mov_b32 s4, exec_lo
	s_waitcnt vmcnt(28) lgkmcnt(1)
	v_fma_f64 v[91:92], v[99:100], v[91:92], 0
	s_clause 0x7
	buffer_load_dword v100, off, s[0:3], 0 offset:300
	buffer_load_dword v129, off, s[0:3], 0 offset:320
	;; [unrolled: 1-line block ×8, first 2 shown]
	s_waitcnt vmcnt(34)
	v_fma_f64 v[91:92], v[101:102], v[93:94], v[91:92]
	s_waitcnt vmcnt(32) lgkmcnt(0)
	v_fma_f64 v[91:92], v[103:104], v[95:96], v[91:92]
	s_waitcnt vmcnt(30)
	v_fma_f64 v[101:102], v[105:106], v[97:98], v[91:92]
	ds_read_b128 v[91:94], v90 offset:560
	ds_read_b128 v[95:98], v90 offset:576
	s_waitcnt vmcnt(28) lgkmcnt(1)
	v_fma_f64 v[91:92], v[107:108], v[91:92], v[101:102]
	s_clause 0x5
	buffer_load_dword v102, off, s[0:3], 0 offset:332
	buffer_load_dword v103, off, s[0:3], 0 offset:344
	;; [unrolled: 1-line block ×6, first 2 shown]
	s_waitcnt vmcnt(32)
	v_fma_f64 v[91:92], v[109:110], v[93:94], v[91:92]
	s_waitcnt vmcnt(30) lgkmcnt(0)
	v_fma_f64 v[91:92], v[111:112], v[95:96], v[91:92]
	s_waitcnt vmcnt(25)
	v_fma_f64 v[107:108], v[113:114], v[97:98], v[91:92]
	ds_read_b128 v[91:94], v90 offset:592
	s_clause 0x1
	buffer_load_dword v109, off, s[0:3], 0 offset:168
	buffer_load_dword v110, off, s[0:3], 0 offset:172
	ds_read_b128 v[95:98], v90 offset:608
	s_waitcnt vmcnt(26) lgkmcnt(1)
	v_fma_f64 v[91:92], v[119:120], v[91:92], v[107:108]
	s_waitcnt vmcnt(25)
	v_fma_f64 v[91:92], v[117:118], v[93:94], v[91:92]
	s_waitcnt vmcnt(24) lgkmcnt(0)
	v_fma_f64 v[91:92], v[115:116], v[95:96], v[91:92]
	s_waitcnt vmcnt(19)
	v_fma_f64 v[107:108], v[121:122], v[97:98], v[91:92]
	ds_read_b128 v[91:94], v90 offset:624
	ds_read_b128 v[95:98], v90 offset:640
	s_waitcnt vmcnt(18) lgkmcnt(1)
	v_fma_f64 v[91:92], v[127:128], v[91:92], v[107:108]
	s_waitcnt vmcnt(17)
	v_fma_f64 v[91:92], v[125:126], v[93:94], v[91:92]
	s_waitcnt vmcnt(16) lgkmcnt(0)
	v_fma_f64 v[91:92], v[123:124], v[95:96], v[91:92]
	s_waitcnt vmcnt(11)
	v_fma_f64 v[99:100], v[99:100], v[97:98], v[91:92]
	ds_read_b128 v[91:94], v90 offset:656
	;; [unrolled: 10-line block ×3, first 2 shown]
	s_waitcnt vmcnt(3) lgkmcnt(0)
	v_fma_f64 v[90:91], v[105:106], v[90:91], v[94:95]
	s_waitcnt vmcnt(2)
	v_fma_f64 v[90:91], v[103:104], v[92:93], v[90:91]
	s_waitcnt vmcnt(0)
	v_add_f64 v[90:91], v[109:110], -v[90:91]
	buffer_store_dword v91, off, s[0:3], 0 offset:172
	buffer_store_dword v90, off, s[0:3], 0 offset:168
	v_cmpx_lt_u32_e32 20, v0
	s_cbranch_execz .LBB107_233
; %bb.232:
	s_clause 0x1
	buffer_load_dword v90, off, s[0:3], 0 offset:160
	buffer_load_dword v91, off, s[0:3], 0 offset:164
	v_mov_b32_e32 v92, 0
	buffer_store_dword v92, off, s[0:3], 0 offset:160
	buffer_store_dword v92, off, s[0:3], 0 offset:164
	s_waitcnt vmcnt(0)
	ds_write_b64 v89, v[90:91]
.LBB107_233:
	s_or_b32 exec_lo, exec_lo, s4
	s_waitcnt lgkmcnt(0)
	s_waitcnt_vscnt null, 0x0
	s_barrier
	buffer_gl0_inv
	s_clause 0x1c
	buffer_load_dword v99, off, s[0:3], 0 offset:168
	buffer_load_dword v100, off, s[0:3], 0 offset:172
	;; [unrolled: 1-line block ×29, first 2 shown]
	v_mov_b32_e32 v90, 0
	buffer_load_dword v124, off, s[0:3], 0 offset:284
	s_mov_b32 s4, exec_lo
	ds_read2_b64 v[91:94], v90 offset0:65 offset1:66
	ds_read2_b64 v[95:98], v90 offset0:67 offset1:68
	s_waitcnt vmcnt(28) lgkmcnt(1)
	v_fma_f64 v[91:92], v[99:100], v[91:92], 0
	s_clause 0x7
	buffer_load_dword v100, off, s[0:3], 0 offset:292
	buffer_load_dword v129, off, s[0:3], 0 offset:312
	buffer_load_dword v131, off, s[0:3], 0 offset:304
	buffer_load_dword v133, off, s[0:3], 0 offset:296
	buffer_load_dword v99, off, s[0:3], 0 offset:288
	buffer_load_dword v134, off, s[0:3], 0 offset:300
	buffer_load_dword v132, off, s[0:3], 0 offset:308
	buffer_load_dword v130, off, s[0:3], 0 offset:316
	s_waitcnt vmcnt(34)
	v_fma_f64 v[91:92], v[101:102], v[93:94], v[91:92]
	s_waitcnt vmcnt(32) lgkmcnt(0)
	v_fma_f64 v[91:92], v[103:104], v[95:96], v[91:92]
	s_waitcnt vmcnt(30)
	v_fma_f64 v[101:102], v[105:106], v[97:98], v[91:92]
	ds_read2_b64 v[91:94], v90 offset0:69 offset1:70
	ds_read2_b64 v[95:98], v90 offset0:71 offset1:72
	s_waitcnt vmcnt(28) lgkmcnt(1)
	v_fma_f64 v[91:92], v[107:108], v[91:92], v[101:102]
	s_clause 0x7
	buffer_load_dword v102, off, s[0:3], 0 offset:324
	buffer_load_dword v103, off, s[0:3], 0 offset:344
	;; [unrolled: 1-line block ×8, first 2 shown]
	s_waitcnt vmcnt(34)
	v_fma_f64 v[91:92], v[109:110], v[93:94], v[91:92]
	s_waitcnt vmcnt(32) lgkmcnt(0)
	v_fma_f64 v[91:92], v[111:112], v[95:96], v[91:92]
	s_waitcnt vmcnt(27)
	v_fma_f64 v[109:110], v[113:114], v[97:98], v[91:92]
	ds_read2_b64 v[91:94], v90 offset0:73 offset1:74
	ds_read2_b64 v[95:98], v90 offset0:75 offset1:76
	s_waitcnt vmcnt(26) lgkmcnt(1)
	v_fma_f64 v[91:92], v[119:120], v[91:92], v[109:110]
	s_clause 0x1
	buffer_load_dword v109, off, s[0:3], 0 offset:160
	buffer_load_dword v110, off, s[0:3], 0 offset:164
	s_waitcnt vmcnt(27)
	v_fma_f64 v[91:92], v[117:118], v[93:94], v[91:92]
	s_waitcnt vmcnt(26) lgkmcnt(0)
	v_fma_f64 v[91:92], v[115:116], v[95:96], v[91:92]
	s_waitcnt vmcnt(21)
	v_fma_f64 v[111:112], v[121:122], v[97:98], v[91:92]
	ds_read2_b64 v[91:94], v90 offset0:77 offset1:78
	ds_read2_b64 v[95:98], v90 offset0:79 offset1:80
	s_waitcnt vmcnt(20) lgkmcnt(1)
	v_fma_f64 v[91:92], v[127:128], v[91:92], v[111:112]
	s_waitcnt vmcnt(19)
	v_fma_f64 v[91:92], v[125:126], v[93:94], v[91:92]
	s_waitcnt vmcnt(18) lgkmcnt(0)
	v_fma_f64 v[91:92], v[123:124], v[95:96], v[91:92]
	s_waitcnt vmcnt(13)
	v_fma_f64 v[99:100], v[99:100], v[97:98], v[91:92]
	ds_read2_b64 v[91:94], v90 offset0:81 offset1:82
	ds_read2_b64 v[95:98], v90 offset0:83 offset1:84
	s_waitcnt vmcnt(12) lgkmcnt(1)
	v_fma_f64 v[91:92], v[133:134], v[91:92], v[99:100]
	s_waitcnt vmcnt(11)
	v_fma_f64 v[91:92], v[131:132], v[93:94], v[91:92]
	s_waitcnt vmcnt(10) lgkmcnt(0)
	v_fma_f64 v[91:92], v[129:130], v[95:96], v[91:92]
	s_waitcnt vmcnt(5)
	v_fma_f64 v[95:96], v[101:102], v[97:98], v[91:92]
	ds_read2_b64 v[91:94], v90 offset0:85 offset1:86
	ds_read_b64 v[97:98], v90 offset:696
	s_waitcnt vmcnt(4) lgkmcnt(1)
	v_fma_f64 v[91:92], v[107:108], v[91:92], v[95:96]
	s_waitcnt vmcnt(3)
	v_fma_f64 v[91:92], v[105:106], v[93:94], v[91:92]
	s_waitcnt vmcnt(2) lgkmcnt(0)
	v_fma_f64 v[91:92], v[103:104], v[97:98], v[91:92]
	s_waitcnt vmcnt(0)
	v_add_f64 v[91:92], v[109:110], -v[91:92]
	buffer_store_dword v92, off, s[0:3], 0 offset:164
	buffer_store_dword v91, off, s[0:3], 0 offset:160
	v_cmpx_lt_u32_e32 19, v0
	s_cbranch_execz .LBB107_235
; %bb.234:
	s_clause 0x1
	buffer_load_dword v91, off, s[0:3], 0 offset:152
	buffer_load_dword v92, off, s[0:3], 0 offset:156
	buffer_store_dword v90, off, s[0:3], 0 offset:152
	buffer_store_dword v90, off, s[0:3], 0 offset:156
	s_waitcnt vmcnt(0)
	ds_write_b64 v89, v[91:92]
.LBB107_235:
	s_or_b32 exec_lo, exec_lo, s4
	s_waitcnt lgkmcnt(0)
	s_waitcnt_vscnt null, 0x0
	s_barrier
	buffer_gl0_inv
	s_clause 0x1c
	buffer_load_dword v99, off, s[0:3], 0 offset:160
	buffer_load_dword v100, off, s[0:3], 0 offset:164
	;; [unrolled: 1-line block ×29, first 2 shown]
	ds_read_b128 v[91:94], v90 offset:512
	ds_read_b128 v[95:98], v90 offset:528
	buffer_load_dword v124, off, s[0:3], 0 offset:276
	s_mov_b32 s4, exec_lo
	s_waitcnt vmcnt(28) lgkmcnt(1)
	v_fma_f64 v[91:92], v[99:100], v[91:92], 0
	s_clause 0x7
	buffer_load_dword v100, off, s[0:3], 0 offset:284
	buffer_load_dword v129, off, s[0:3], 0 offset:304
	;; [unrolled: 1-line block ×8, first 2 shown]
	s_waitcnt vmcnt(34)
	v_fma_f64 v[91:92], v[101:102], v[93:94], v[91:92]
	s_waitcnt vmcnt(32) lgkmcnt(0)
	v_fma_f64 v[91:92], v[103:104], v[95:96], v[91:92]
	s_waitcnt vmcnt(30)
	v_fma_f64 v[101:102], v[105:106], v[97:98], v[91:92]
	ds_read_b128 v[91:94], v90 offset:544
	ds_read_b128 v[95:98], v90 offset:560
	s_waitcnt vmcnt(28) lgkmcnt(1)
	v_fma_f64 v[91:92], v[107:108], v[91:92], v[101:102]
	s_clause 0x7
	buffer_load_dword v102, off, s[0:3], 0 offset:316
	buffer_load_dword v103, off, s[0:3], 0 offset:336
	;; [unrolled: 1-line block ×8, first 2 shown]
	s_waitcnt vmcnt(34)
	v_fma_f64 v[91:92], v[109:110], v[93:94], v[91:92]
	s_waitcnt vmcnt(32) lgkmcnt(0)
	v_fma_f64 v[91:92], v[111:112], v[95:96], v[91:92]
	s_waitcnt vmcnt(27)
	v_fma_f64 v[109:110], v[113:114], v[97:98], v[91:92]
	ds_read_b128 v[91:94], v90 offset:576
	ds_read_b128 v[95:98], v90 offset:592
	s_waitcnt vmcnt(26) lgkmcnt(1)
	v_fma_f64 v[91:92], v[119:120], v[91:92], v[109:110]
	s_clause 0x3
	buffer_load_dword v110, off, s[0:3], 0 offset:348
	buffer_load_dword v109, off, s[0:3], 0 offset:344
	;; [unrolled: 1-line block ×4, first 2 shown]
	s_waitcnt vmcnt(29)
	v_fma_f64 v[91:92], v[117:118], v[93:94], v[91:92]
	s_waitcnt vmcnt(28) lgkmcnt(0)
	v_fma_f64 v[91:92], v[115:116], v[95:96], v[91:92]
	s_waitcnt vmcnt(23)
	v_fma_f64 v[113:114], v[121:122], v[97:98], v[91:92]
	ds_read_b128 v[91:94], v90 offset:608
	ds_read_b128 v[95:98], v90 offset:624
	s_waitcnt vmcnt(22) lgkmcnt(1)
	v_fma_f64 v[91:92], v[127:128], v[91:92], v[113:114]
	s_waitcnt vmcnt(21)
	v_fma_f64 v[91:92], v[125:126], v[93:94], v[91:92]
	s_waitcnt vmcnt(20) lgkmcnt(0)
	v_fma_f64 v[91:92], v[123:124], v[95:96], v[91:92]
	s_waitcnt vmcnt(15)
	v_fma_f64 v[99:100], v[99:100], v[97:98], v[91:92]
	ds_read_b128 v[91:94], v90 offset:640
	ds_read_b128 v[95:98], v90 offset:656
	s_waitcnt vmcnt(14) lgkmcnt(1)
	v_fma_f64 v[91:92], v[133:134], v[91:92], v[99:100]
	;; [unrolled: 10-line block ×3, first 2 shown]
	s_waitcnt vmcnt(5)
	v_fma_f64 v[90:91], v[105:106], v[93:94], v[90:91]
	s_waitcnt vmcnt(4) lgkmcnt(0)
	v_fma_f64 v[90:91], v[103:104], v[95:96], v[90:91]
	s_waitcnt vmcnt(2)
	v_fma_f64 v[90:91], v[109:110], v[97:98], v[90:91]
	s_waitcnt vmcnt(0)
	v_add_f64 v[90:91], v[111:112], -v[90:91]
	buffer_store_dword v91, off, s[0:3], 0 offset:156
	buffer_store_dword v90, off, s[0:3], 0 offset:152
	v_cmpx_lt_u32_e32 18, v0
	s_cbranch_execz .LBB107_237
; %bb.236:
	s_clause 0x1
	buffer_load_dword v90, off, s[0:3], 0 offset:144
	buffer_load_dword v91, off, s[0:3], 0 offset:148
	v_mov_b32_e32 v92, 0
	buffer_store_dword v92, off, s[0:3], 0 offset:144
	buffer_store_dword v92, off, s[0:3], 0 offset:148
	s_waitcnt vmcnt(0)
	ds_write_b64 v89, v[90:91]
.LBB107_237:
	s_or_b32 exec_lo, exec_lo, s4
	s_waitcnt lgkmcnt(0)
	s_waitcnt_vscnt null, 0x0
	s_barrier
	buffer_gl0_inv
	s_clause 0x1c
	buffer_load_dword v99, off, s[0:3], 0 offset:152
	buffer_load_dword v100, off, s[0:3], 0 offset:156
	;; [unrolled: 1-line block ×29, first 2 shown]
	v_mov_b32_e32 v90, 0
	buffer_load_dword v124, off, s[0:3], 0 offset:268
	s_mov_b32 s4, exec_lo
	ds_read2_b64 v[91:94], v90 offset0:63 offset1:64
	ds_read2_b64 v[95:98], v90 offset0:65 offset1:66
	s_waitcnt vmcnt(28) lgkmcnt(1)
	v_fma_f64 v[91:92], v[99:100], v[91:92], 0
	s_clause 0x7
	buffer_load_dword v100, off, s[0:3], 0 offset:276
	buffer_load_dword v129, off, s[0:3], 0 offset:296
	buffer_load_dword v131, off, s[0:3], 0 offset:288
	buffer_load_dword v133, off, s[0:3], 0 offset:280
	buffer_load_dword v99, off, s[0:3], 0 offset:272
	buffer_load_dword v134, off, s[0:3], 0 offset:284
	buffer_load_dword v132, off, s[0:3], 0 offset:292
	buffer_load_dword v130, off, s[0:3], 0 offset:300
	s_waitcnt vmcnt(34)
	v_fma_f64 v[91:92], v[101:102], v[93:94], v[91:92]
	s_waitcnt vmcnt(32) lgkmcnt(0)
	v_fma_f64 v[91:92], v[103:104], v[95:96], v[91:92]
	s_waitcnt vmcnt(30)
	v_fma_f64 v[101:102], v[105:106], v[97:98], v[91:92]
	ds_read2_b64 v[91:94], v90 offset0:67 offset1:68
	ds_read2_b64 v[95:98], v90 offset0:69 offset1:70
	s_waitcnt vmcnt(28) lgkmcnt(1)
	v_fma_f64 v[91:92], v[107:108], v[91:92], v[101:102]
	s_clause 0x7
	buffer_load_dword v102, off, s[0:3], 0 offset:308
	buffer_load_dword v103, off, s[0:3], 0 offset:328
	;; [unrolled: 1-line block ×8, first 2 shown]
	s_waitcnt vmcnt(34)
	v_fma_f64 v[91:92], v[109:110], v[93:94], v[91:92]
	s_waitcnt vmcnt(32) lgkmcnt(0)
	v_fma_f64 v[91:92], v[111:112], v[95:96], v[91:92]
	s_waitcnt vmcnt(27)
	v_fma_f64 v[109:110], v[113:114], v[97:98], v[91:92]
	ds_read2_b64 v[91:94], v90 offset0:71 offset1:72
	ds_read2_b64 v[95:98], v90 offset0:73 offset1:74
	s_waitcnt vmcnt(26) lgkmcnt(1)
	v_fma_f64 v[91:92], v[119:120], v[91:92], v[109:110]
	s_clause 0x5
	buffer_load_dword v110, off, s[0:3], 0 offset:340
	buffer_load_dword v111, off, s[0:3], 0 offset:344
	;; [unrolled: 1-line block ×6, first 2 shown]
	s_waitcnt vmcnt(31)
	v_fma_f64 v[91:92], v[117:118], v[93:94], v[91:92]
	s_waitcnt vmcnt(30) lgkmcnt(0)
	v_fma_f64 v[91:92], v[115:116], v[95:96], v[91:92]
	s_waitcnt vmcnt(25)
	v_fma_f64 v[115:116], v[121:122], v[97:98], v[91:92]
	ds_read2_b64 v[91:94], v90 offset0:75 offset1:76
	ds_read2_b64 v[95:98], v90 offset0:77 offset1:78
	s_waitcnt vmcnt(24) lgkmcnt(1)
	v_fma_f64 v[91:92], v[127:128], v[91:92], v[115:116]
	s_waitcnt vmcnt(23)
	v_fma_f64 v[91:92], v[125:126], v[93:94], v[91:92]
	s_waitcnt vmcnt(22) lgkmcnt(0)
	v_fma_f64 v[91:92], v[123:124], v[95:96], v[91:92]
	s_waitcnt vmcnt(17)
	v_fma_f64 v[99:100], v[99:100], v[97:98], v[91:92]
	ds_read2_b64 v[91:94], v90 offset0:79 offset1:80
	ds_read2_b64 v[95:98], v90 offset0:81 offset1:82
	s_waitcnt vmcnt(16) lgkmcnt(1)
	v_fma_f64 v[91:92], v[133:134], v[91:92], v[99:100]
	;; [unrolled: 10-line block ×3, first 2 shown]
	s_waitcnt vmcnt(7)
	v_fma_f64 v[91:92], v[105:106], v[93:94], v[91:92]
	ds_read_b64 v[93:94], v90 offset:696
	s_waitcnt vmcnt(6) lgkmcnt(1)
	v_fma_f64 v[91:92], v[103:104], v[95:96], v[91:92]
	s_waitcnt vmcnt(3)
	v_fma_f64 v[91:92], v[109:110], v[97:98], v[91:92]
	s_waitcnt vmcnt(2) lgkmcnt(0)
	v_fma_f64 v[91:92], v[111:112], v[93:94], v[91:92]
	s_waitcnt vmcnt(0)
	v_add_f64 v[91:92], v[113:114], -v[91:92]
	buffer_store_dword v92, off, s[0:3], 0 offset:148
	buffer_store_dword v91, off, s[0:3], 0 offset:144
	v_cmpx_lt_u32_e32 17, v0
	s_cbranch_execz .LBB107_239
; %bb.238:
	s_clause 0x1
	buffer_load_dword v91, off, s[0:3], 0 offset:136
	buffer_load_dword v92, off, s[0:3], 0 offset:140
	buffer_store_dword v90, off, s[0:3], 0 offset:136
	buffer_store_dword v90, off, s[0:3], 0 offset:140
	s_waitcnt vmcnt(0)
	ds_write_b64 v89, v[91:92]
.LBB107_239:
	s_or_b32 exec_lo, exec_lo, s4
	s_waitcnt lgkmcnt(0)
	s_waitcnt_vscnt null, 0x0
	s_barrier
	buffer_gl0_inv
	s_clause 0x1c
	buffer_load_dword v99, off, s[0:3], 0 offset:144
	buffer_load_dword v100, off, s[0:3], 0 offset:148
	;; [unrolled: 1-line block ×29, first 2 shown]
	ds_read_b128 v[91:94], v90 offset:496
	ds_read_b128 v[95:98], v90 offset:512
	buffer_load_dword v124, off, s[0:3], 0 offset:260
	s_mov_b32 s4, exec_lo
	s_waitcnt vmcnt(28) lgkmcnt(1)
	v_fma_f64 v[91:92], v[99:100], v[91:92], 0
	s_clause 0x7
	buffer_load_dword v100, off, s[0:3], 0 offset:268
	buffer_load_dword v129, off, s[0:3], 0 offset:288
	;; [unrolled: 1-line block ×8, first 2 shown]
	s_waitcnt vmcnt(34)
	v_fma_f64 v[91:92], v[101:102], v[93:94], v[91:92]
	s_waitcnt vmcnt(32) lgkmcnt(0)
	v_fma_f64 v[91:92], v[103:104], v[95:96], v[91:92]
	s_waitcnt vmcnt(30)
	v_fma_f64 v[101:102], v[105:106], v[97:98], v[91:92]
	ds_read_b128 v[91:94], v90 offset:528
	ds_read_b128 v[95:98], v90 offset:544
	s_waitcnt vmcnt(28) lgkmcnt(1)
	v_fma_f64 v[91:92], v[107:108], v[91:92], v[101:102]
	s_clause 0x7
	buffer_load_dword v102, off, s[0:3], 0 offset:300
	buffer_load_dword v103, off, s[0:3], 0 offset:320
	;; [unrolled: 1-line block ×8, first 2 shown]
	s_waitcnt vmcnt(34)
	v_fma_f64 v[91:92], v[109:110], v[93:94], v[91:92]
	s_waitcnt vmcnt(32) lgkmcnt(0)
	v_fma_f64 v[91:92], v[111:112], v[95:96], v[91:92]
	s_waitcnt vmcnt(27)
	v_fma_f64 v[109:110], v[113:114], v[97:98], v[91:92]
	ds_read_b128 v[91:94], v90 offset:560
	ds_read_b128 v[95:98], v90 offset:576
	s_waitcnt vmcnt(26) lgkmcnt(1)
	v_fma_f64 v[91:92], v[119:120], v[91:92], v[109:110]
	s_clause 0x5
	buffer_load_dword v110, off, s[0:3], 0 offset:332
	buffer_load_dword v111, off, s[0:3], 0 offset:344
	buffer_load_dword v113, off, s[0:3], 0 offset:336
	buffer_load_dword v109, off, s[0:3], 0 offset:328
	buffer_load_dword v114, off, s[0:3], 0 offset:340
	buffer_load_dword v112, off, s[0:3], 0 offset:348
	s_waitcnt vmcnt(31)
	v_fma_f64 v[91:92], v[117:118], v[93:94], v[91:92]
	s_waitcnt vmcnt(30) lgkmcnt(0)
	v_fma_f64 v[91:92], v[115:116], v[95:96], v[91:92]
	s_waitcnt vmcnt(25)
	v_fma_f64 v[115:116], v[121:122], v[97:98], v[91:92]
	ds_read_b128 v[91:94], v90 offset:592
	s_clause 0x1
	buffer_load_dword v117, off, s[0:3], 0 offset:136
	buffer_load_dword v118, off, s[0:3], 0 offset:140
	ds_read_b128 v[95:98], v90 offset:608
	s_waitcnt vmcnt(26) lgkmcnt(1)
	v_fma_f64 v[91:92], v[127:128], v[91:92], v[115:116]
	s_waitcnt vmcnt(25)
	v_fma_f64 v[91:92], v[125:126], v[93:94], v[91:92]
	s_waitcnt vmcnt(24) lgkmcnt(0)
	v_fma_f64 v[91:92], v[123:124], v[95:96], v[91:92]
	s_waitcnt vmcnt(19)
	v_fma_f64 v[99:100], v[99:100], v[97:98], v[91:92]
	ds_read_b128 v[91:94], v90 offset:624
	ds_read_b128 v[95:98], v90 offset:640
	s_waitcnt vmcnt(18) lgkmcnt(1)
	v_fma_f64 v[91:92], v[133:134], v[91:92], v[99:100]
	s_waitcnt vmcnt(17)
	v_fma_f64 v[91:92], v[131:132], v[93:94], v[91:92]
	s_waitcnt vmcnt(16) lgkmcnt(0)
	v_fma_f64 v[91:92], v[129:130], v[95:96], v[91:92]
	s_waitcnt vmcnt(11)
	v_fma_f64 v[99:100], v[101:102], v[97:98], v[91:92]
	ds_read_b128 v[91:94], v90 offset:656
	;; [unrolled: 10-line block ×3, first 2 shown]
	s_waitcnt vmcnt(3) lgkmcnt(0)
	v_fma_f64 v[90:91], v[113:114], v[90:91], v[94:95]
	s_waitcnt vmcnt(2)
	v_fma_f64 v[90:91], v[111:112], v[92:93], v[90:91]
	s_waitcnt vmcnt(0)
	v_add_f64 v[90:91], v[117:118], -v[90:91]
	buffer_store_dword v91, off, s[0:3], 0 offset:140
	buffer_store_dword v90, off, s[0:3], 0 offset:136
	v_cmpx_lt_u32_e32 16, v0
	s_cbranch_execz .LBB107_241
; %bb.240:
	s_clause 0x1
	buffer_load_dword v90, off, s[0:3], 0 offset:128
	buffer_load_dword v91, off, s[0:3], 0 offset:132
	v_mov_b32_e32 v92, 0
	buffer_store_dword v92, off, s[0:3], 0 offset:128
	buffer_store_dword v92, off, s[0:3], 0 offset:132
	s_waitcnt vmcnt(0)
	ds_write_b64 v89, v[90:91]
.LBB107_241:
	s_or_b32 exec_lo, exec_lo, s4
	s_waitcnt lgkmcnt(0)
	s_waitcnt_vscnt null, 0x0
	s_barrier
	buffer_gl0_inv
	s_clause 0x1c
	buffer_load_dword v99, off, s[0:3], 0 offset:136
	buffer_load_dword v100, off, s[0:3], 0 offset:140
	;; [unrolled: 1-line block ×29, first 2 shown]
	v_mov_b32_e32 v90, 0
	buffer_load_dword v124, off, s[0:3], 0 offset:252
	s_mov_b32 s4, exec_lo
	ds_read2_b64 v[91:94], v90 offset0:61 offset1:62
	ds_read2_b64 v[95:98], v90 offset0:63 offset1:64
	s_waitcnt vmcnt(28) lgkmcnt(1)
	v_fma_f64 v[91:92], v[99:100], v[91:92], 0
	s_clause 0x7
	buffer_load_dword v100, off, s[0:3], 0 offset:260
	buffer_load_dword v129, off, s[0:3], 0 offset:280
	buffer_load_dword v131, off, s[0:3], 0 offset:272
	buffer_load_dword v133, off, s[0:3], 0 offset:264
	buffer_load_dword v99, off, s[0:3], 0 offset:256
	buffer_load_dword v134, off, s[0:3], 0 offset:268
	buffer_load_dword v132, off, s[0:3], 0 offset:276
	buffer_load_dword v130, off, s[0:3], 0 offset:284
	s_waitcnt vmcnt(34)
	v_fma_f64 v[91:92], v[101:102], v[93:94], v[91:92]
	s_waitcnt vmcnt(32) lgkmcnt(0)
	v_fma_f64 v[91:92], v[103:104], v[95:96], v[91:92]
	s_waitcnt vmcnt(30)
	v_fma_f64 v[101:102], v[105:106], v[97:98], v[91:92]
	ds_read2_b64 v[91:94], v90 offset0:65 offset1:66
	ds_read2_b64 v[95:98], v90 offset0:67 offset1:68
	s_waitcnt vmcnt(28) lgkmcnt(1)
	v_fma_f64 v[91:92], v[107:108], v[91:92], v[101:102]
	s_clause 0x7
	buffer_load_dword v102, off, s[0:3], 0 offset:292
	buffer_load_dword v103, off, s[0:3], 0 offset:312
	buffer_load_dword v105, off, s[0:3], 0 offset:304
	buffer_load_dword v107, off, s[0:3], 0 offset:296
	buffer_load_dword v101, off, s[0:3], 0 offset:288
	buffer_load_dword v108, off, s[0:3], 0 offset:300
	buffer_load_dword v106, off, s[0:3], 0 offset:308
	buffer_load_dword v104, off, s[0:3], 0 offset:316
	s_waitcnt vmcnt(34)
	v_fma_f64 v[91:92], v[109:110], v[93:94], v[91:92]
	s_waitcnt vmcnt(32) lgkmcnt(0)
	v_fma_f64 v[91:92], v[111:112], v[95:96], v[91:92]
	s_waitcnt vmcnt(27)
	v_fma_f64 v[109:110], v[113:114], v[97:98], v[91:92]
	;; [unrolled: 19-line block ×3, first 2 shown]
	ds_read2_b64 v[91:94], v90 offset0:73 offset1:74
	ds_read2_b64 v[95:98], v90 offset0:75 offset1:76
	s_waitcnt vmcnt(26) lgkmcnt(1)
	v_fma_f64 v[91:92], v[127:128], v[91:92], v[115:116]
	s_clause 0x1
	buffer_load_dword v115, off, s[0:3], 0 offset:128
	buffer_load_dword v116, off, s[0:3], 0 offset:132
	s_waitcnt vmcnt(27)
	v_fma_f64 v[91:92], v[125:126], v[93:94], v[91:92]
	s_waitcnt vmcnt(26) lgkmcnt(0)
	v_fma_f64 v[91:92], v[123:124], v[95:96], v[91:92]
	s_waitcnt vmcnt(21)
	v_fma_f64 v[99:100], v[99:100], v[97:98], v[91:92]
	ds_read2_b64 v[91:94], v90 offset0:77 offset1:78
	ds_read2_b64 v[95:98], v90 offset0:79 offset1:80
	s_waitcnt vmcnt(20) lgkmcnt(1)
	v_fma_f64 v[91:92], v[133:134], v[91:92], v[99:100]
	s_waitcnt vmcnt(19)
	v_fma_f64 v[91:92], v[131:132], v[93:94], v[91:92]
	s_waitcnt vmcnt(18) lgkmcnt(0)
	v_fma_f64 v[91:92], v[129:130], v[95:96], v[91:92]
	s_waitcnt vmcnt(13)
	v_fma_f64 v[99:100], v[101:102], v[97:98], v[91:92]
	ds_read2_b64 v[91:94], v90 offset0:81 offset1:82
	ds_read2_b64 v[95:98], v90 offset0:83 offset1:84
	s_waitcnt vmcnt(12) lgkmcnt(1)
	v_fma_f64 v[91:92], v[107:108], v[91:92], v[99:100]
	s_waitcnt vmcnt(11)
	v_fma_f64 v[91:92], v[105:106], v[93:94], v[91:92]
	s_waitcnt vmcnt(10) lgkmcnt(0)
	v_fma_f64 v[91:92], v[103:104], v[95:96], v[91:92]
	s_waitcnt vmcnt(5)
	v_fma_f64 v[95:96], v[109:110], v[97:98], v[91:92]
	ds_read2_b64 v[91:94], v90 offset0:85 offset1:86
	ds_read_b64 v[97:98], v90 offset:696
	s_waitcnt vmcnt(4) lgkmcnt(1)
	v_fma_f64 v[91:92], v[119:120], v[91:92], v[95:96]
	s_waitcnt vmcnt(3)
	v_fma_f64 v[91:92], v[113:114], v[93:94], v[91:92]
	s_waitcnt vmcnt(2) lgkmcnt(0)
	v_fma_f64 v[91:92], v[111:112], v[97:98], v[91:92]
	s_waitcnt vmcnt(0)
	v_add_f64 v[91:92], v[115:116], -v[91:92]
	buffer_store_dword v92, off, s[0:3], 0 offset:132
	buffer_store_dword v91, off, s[0:3], 0 offset:128
	v_cmpx_lt_u32_e32 15, v0
	s_cbranch_execz .LBB107_243
; %bb.242:
	s_clause 0x1
	buffer_load_dword v91, off, s[0:3], 0 offset:120
	buffer_load_dword v92, off, s[0:3], 0 offset:124
	buffer_store_dword v90, off, s[0:3], 0 offset:120
	buffer_store_dword v90, off, s[0:3], 0 offset:124
	s_waitcnt vmcnt(0)
	ds_write_b64 v89, v[91:92]
.LBB107_243:
	s_or_b32 exec_lo, exec_lo, s4
	s_waitcnt lgkmcnt(0)
	s_waitcnt_vscnt null, 0x0
	s_barrier
	buffer_gl0_inv
	s_clause 0x1c
	buffer_load_dword v99, off, s[0:3], 0 offset:128
	buffer_load_dword v100, off, s[0:3], 0 offset:132
	;; [unrolled: 1-line block ×29, first 2 shown]
	ds_read_b128 v[91:94], v90 offset:480
	ds_read_b128 v[95:98], v90 offset:496
	buffer_load_dword v124, off, s[0:3], 0 offset:244
	s_mov_b32 s4, exec_lo
	s_waitcnt vmcnt(28) lgkmcnt(1)
	v_fma_f64 v[91:92], v[99:100], v[91:92], 0
	s_clause 0x7
	buffer_load_dword v100, off, s[0:3], 0 offset:252
	buffer_load_dword v129, off, s[0:3], 0 offset:272
	buffer_load_dword v131, off, s[0:3], 0 offset:264
	buffer_load_dword v133, off, s[0:3], 0 offset:256
	buffer_load_dword v99, off, s[0:3], 0 offset:248
	buffer_load_dword v134, off, s[0:3], 0 offset:260
	buffer_load_dword v132, off, s[0:3], 0 offset:268
	buffer_load_dword v130, off, s[0:3], 0 offset:276
	s_waitcnt vmcnt(34)
	v_fma_f64 v[91:92], v[101:102], v[93:94], v[91:92]
	s_waitcnt vmcnt(32) lgkmcnt(0)
	v_fma_f64 v[91:92], v[103:104], v[95:96], v[91:92]
	s_waitcnt vmcnt(30)
	v_fma_f64 v[101:102], v[105:106], v[97:98], v[91:92]
	ds_read_b128 v[91:94], v90 offset:512
	ds_read_b128 v[95:98], v90 offset:528
	s_waitcnt vmcnt(28) lgkmcnt(1)
	v_fma_f64 v[91:92], v[107:108], v[91:92], v[101:102]
	s_clause 0x7
	buffer_load_dword v102, off, s[0:3], 0 offset:284
	buffer_load_dword v103, off, s[0:3], 0 offset:304
	buffer_load_dword v105, off, s[0:3], 0 offset:296
	buffer_load_dword v107, off, s[0:3], 0 offset:288
	buffer_load_dword v101, off, s[0:3], 0 offset:280
	buffer_load_dword v108, off, s[0:3], 0 offset:292
	buffer_load_dword v106, off, s[0:3], 0 offset:300
	buffer_load_dword v104, off, s[0:3], 0 offset:308
	s_waitcnt vmcnt(34)
	v_fma_f64 v[91:92], v[109:110], v[93:94], v[91:92]
	s_waitcnt vmcnt(32) lgkmcnt(0)
	v_fma_f64 v[91:92], v[111:112], v[95:96], v[91:92]
	s_waitcnt vmcnt(27)
	v_fma_f64 v[109:110], v[113:114], v[97:98], v[91:92]
	ds_read_b128 v[91:94], v90 offset:544
	ds_read_b128 v[95:98], v90 offset:560
	;; [unrolled: 19-line block ×3, first 2 shown]
	s_waitcnt vmcnt(26) lgkmcnt(1)
	v_fma_f64 v[91:92], v[127:128], v[91:92], v[115:116]
	s_clause 0x3
	buffer_load_dword v116, off, s[0:3], 0 offset:348
	buffer_load_dword v115, off, s[0:3], 0 offset:344
	;; [unrolled: 1-line block ×4, first 2 shown]
	s_waitcnt vmcnt(29)
	v_fma_f64 v[91:92], v[125:126], v[93:94], v[91:92]
	s_waitcnt vmcnt(28) lgkmcnt(0)
	v_fma_f64 v[91:92], v[123:124], v[95:96], v[91:92]
	s_waitcnt vmcnt(23)
	v_fma_f64 v[99:100], v[99:100], v[97:98], v[91:92]
	ds_read_b128 v[91:94], v90 offset:608
	ds_read_b128 v[95:98], v90 offset:624
	s_waitcnt vmcnt(22) lgkmcnt(1)
	v_fma_f64 v[91:92], v[133:134], v[91:92], v[99:100]
	s_waitcnt vmcnt(21)
	v_fma_f64 v[91:92], v[131:132], v[93:94], v[91:92]
	s_waitcnt vmcnt(20) lgkmcnt(0)
	v_fma_f64 v[91:92], v[129:130], v[95:96], v[91:92]
	s_waitcnt vmcnt(15)
	v_fma_f64 v[99:100], v[101:102], v[97:98], v[91:92]
	ds_read_b128 v[91:94], v90 offset:640
	ds_read_b128 v[95:98], v90 offset:656
	s_waitcnt vmcnt(14) lgkmcnt(1)
	v_fma_f64 v[91:92], v[107:108], v[91:92], v[99:100]
	;; [unrolled: 10-line block ×3, first 2 shown]
	s_waitcnt vmcnt(5)
	v_fma_f64 v[90:91], v[113:114], v[93:94], v[90:91]
	s_waitcnt vmcnt(4) lgkmcnt(0)
	v_fma_f64 v[90:91], v[111:112], v[95:96], v[90:91]
	s_waitcnt vmcnt(2)
	v_fma_f64 v[90:91], v[115:116], v[97:98], v[90:91]
	s_waitcnt vmcnt(0)
	v_add_f64 v[90:91], v[117:118], -v[90:91]
	buffer_store_dword v91, off, s[0:3], 0 offset:124
	buffer_store_dword v90, off, s[0:3], 0 offset:120
	v_cmpx_lt_u32_e32 14, v0
	s_cbranch_execz .LBB107_245
; %bb.244:
	s_clause 0x1
	buffer_load_dword v90, off, s[0:3], 0 offset:112
	buffer_load_dword v91, off, s[0:3], 0 offset:116
	v_mov_b32_e32 v92, 0
	buffer_store_dword v92, off, s[0:3], 0 offset:112
	buffer_store_dword v92, off, s[0:3], 0 offset:116
	s_waitcnt vmcnt(0)
	ds_write_b64 v89, v[90:91]
.LBB107_245:
	s_or_b32 exec_lo, exec_lo, s4
	s_waitcnt lgkmcnt(0)
	s_waitcnt_vscnt null, 0x0
	s_barrier
	buffer_gl0_inv
	s_clause 0x1c
	buffer_load_dword v99, off, s[0:3], 0 offset:120
	buffer_load_dword v100, off, s[0:3], 0 offset:124
	;; [unrolled: 1-line block ×29, first 2 shown]
	v_mov_b32_e32 v90, 0
	buffer_load_dword v124, off, s[0:3], 0 offset:236
	s_mov_b32 s4, exec_lo
	ds_read2_b64 v[91:94], v90 offset0:59 offset1:60
	ds_read2_b64 v[95:98], v90 offset0:61 offset1:62
	s_waitcnt vmcnt(28) lgkmcnt(1)
	v_fma_f64 v[91:92], v[99:100], v[91:92], 0
	s_clause 0x7
	buffer_load_dword v100, off, s[0:3], 0 offset:244
	buffer_load_dword v129, off, s[0:3], 0 offset:264
	buffer_load_dword v131, off, s[0:3], 0 offset:256
	buffer_load_dword v133, off, s[0:3], 0 offset:248
	buffer_load_dword v99, off, s[0:3], 0 offset:240
	buffer_load_dword v134, off, s[0:3], 0 offset:252
	buffer_load_dword v132, off, s[0:3], 0 offset:260
	buffer_load_dword v130, off, s[0:3], 0 offset:268
	s_waitcnt vmcnt(34)
	v_fma_f64 v[91:92], v[101:102], v[93:94], v[91:92]
	s_waitcnt vmcnt(32) lgkmcnt(0)
	v_fma_f64 v[91:92], v[103:104], v[95:96], v[91:92]
	s_waitcnt vmcnt(30)
	v_fma_f64 v[101:102], v[105:106], v[97:98], v[91:92]
	ds_read2_b64 v[91:94], v90 offset0:63 offset1:64
	ds_read2_b64 v[95:98], v90 offset0:65 offset1:66
	s_waitcnt vmcnt(28) lgkmcnt(1)
	v_fma_f64 v[91:92], v[107:108], v[91:92], v[101:102]
	s_clause 0x7
	buffer_load_dword v102, off, s[0:3], 0 offset:276
	buffer_load_dword v103, off, s[0:3], 0 offset:296
	buffer_load_dword v105, off, s[0:3], 0 offset:288
	buffer_load_dword v107, off, s[0:3], 0 offset:280
	buffer_load_dword v101, off, s[0:3], 0 offset:272
	buffer_load_dword v108, off, s[0:3], 0 offset:284
	buffer_load_dword v106, off, s[0:3], 0 offset:292
	buffer_load_dword v104, off, s[0:3], 0 offset:300
	s_waitcnt vmcnt(34)
	v_fma_f64 v[91:92], v[109:110], v[93:94], v[91:92]
	s_waitcnt vmcnt(32) lgkmcnt(0)
	v_fma_f64 v[91:92], v[111:112], v[95:96], v[91:92]
	s_waitcnt vmcnt(27)
	v_fma_f64 v[109:110], v[113:114], v[97:98], v[91:92]
	;; [unrolled: 19-line block ×3, first 2 shown]
	ds_read2_b64 v[91:94], v90 offset0:71 offset1:72
	ds_read2_b64 v[95:98], v90 offset0:73 offset1:74
	s_waitcnt vmcnt(26) lgkmcnt(1)
	v_fma_f64 v[91:92], v[127:128], v[91:92], v[115:116]
	s_clause 0x5
	buffer_load_dword v116, off, s[0:3], 0 offset:340
	buffer_load_dword v117, off, s[0:3], 0 offset:344
	;; [unrolled: 1-line block ×6, first 2 shown]
	s_waitcnt vmcnt(31)
	v_fma_f64 v[91:92], v[125:126], v[93:94], v[91:92]
	s_waitcnt vmcnt(30) lgkmcnt(0)
	v_fma_f64 v[91:92], v[123:124], v[95:96], v[91:92]
	s_waitcnt vmcnt(25)
	v_fma_f64 v[99:100], v[99:100], v[97:98], v[91:92]
	ds_read2_b64 v[91:94], v90 offset0:75 offset1:76
	ds_read2_b64 v[95:98], v90 offset0:77 offset1:78
	s_waitcnt vmcnt(24) lgkmcnt(1)
	v_fma_f64 v[91:92], v[133:134], v[91:92], v[99:100]
	s_waitcnt vmcnt(23)
	v_fma_f64 v[91:92], v[131:132], v[93:94], v[91:92]
	s_waitcnt vmcnt(22) lgkmcnt(0)
	v_fma_f64 v[91:92], v[129:130], v[95:96], v[91:92]
	s_waitcnt vmcnt(17)
	v_fma_f64 v[99:100], v[101:102], v[97:98], v[91:92]
	ds_read2_b64 v[91:94], v90 offset0:79 offset1:80
	ds_read2_b64 v[95:98], v90 offset0:81 offset1:82
	s_waitcnt vmcnt(16) lgkmcnt(1)
	v_fma_f64 v[91:92], v[107:108], v[91:92], v[99:100]
	s_waitcnt vmcnt(15)
	v_fma_f64 v[91:92], v[105:106], v[93:94], v[91:92]
	s_waitcnt vmcnt(14) lgkmcnt(0)
	v_fma_f64 v[91:92], v[103:104], v[95:96], v[91:92]
	s_waitcnt vmcnt(9)
	v_fma_f64 v[99:100], v[109:110], v[97:98], v[91:92]
	ds_read2_b64 v[91:94], v90 offset0:83 offset1:84
	ds_read2_b64 v[95:98], v90 offset0:85 offset1:86
	s_waitcnt vmcnt(8) lgkmcnt(1)
	v_fma_f64 v[91:92], v[119:120], v[91:92], v[99:100]
	s_waitcnt vmcnt(7)
	v_fma_f64 v[91:92], v[113:114], v[93:94], v[91:92]
	ds_read_b64 v[93:94], v90 offset:696
	s_waitcnt vmcnt(6) lgkmcnt(1)
	v_fma_f64 v[91:92], v[111:112], v[95:96], v[91:92]
	s_waitcnt vmcnt(3)
	v_fma_f64 v[91:92], v[115:116], v[97:98], v[91:92]
	s_waitcnt vmcnt(2) lgkmcnt(0)
	v_fma_f64 v[91:92], v[117:118], v[93:94], v[91:92]
	s_waitcnt vmcnt(0)
	v_add_f64 v[91:92], v[121:122], -v[91:92]
	buffer_store_dword v92, off, s[0:3], 0 offset:116
	buffer_store_dword v91, off, s[0:3], 0 offset:112
	v_cmpx_lt_u32_e32 13, v0
	s_cbranch_execz .LBB107_247
; %bb.246:
	s_clause 0x1
	buffer_load_dword v91, off, s[0:3], 0 offset:104
	buffer_load_dword v92, off, s[0:3], 0 offset:108
	buffer_store_dword v90, off, s[0:3], 0 offset:104
	buffer_store_dword v90, off, s[0:3], 0 offset:108
	s_waitcnt vmcnt(0)
	ds_write_b64 v89, v[91:92]
.LBB107_247:
	s_or_b32 exec_lo, exec_lo, s4
	s_waitcnt lgkmcnt(0)
	s_waitcnt_vscnt null, 0x0
	s_barrier
	buffer_gl0_inv
	s_clause 0x1c
	buffer_load_dword v99, off, s[0:3], 0 offset:112
	buffer_load_dword v100, off, s[0:3], 0 offset:116
	;; [unrolled: 1-line block ×29, first 2 shown]
	ds_read_b128 v[91:94], v90 offset:464
	ds_read_b128 v[95:98], v90 offset:480
	buffer_load_dword v124, off, s[0:3], 0 offset:228
	s_mov_b32 s4, exec_lo
	s_waitcnt vmcnt(28) lgkmcnt(1)
	v_fma_f64 v[91:92], v[99:100], v[91:92], 0
	s_clause 0x7
	buffer_load_dword v100, off, s[0:3], 0 offset:236
	buffer_load_dword v129, off, s[0:3], 0 offset:256
	buffer_load_dword v131, off, s[0:3], 0 offset:248
	buffer_load_dword v133, off, s[0:3], 0 offset:240
	buffer_load_dword v99, off, s[0:3], 0 offset:232
	buffer_load_dword v134, off, s[0:3], 0 offset:244
	buffer_load_dword v132, off, s[0:3], 0 offset:252
	buffer_load_dword v130, off, s[0:3], 0 offset:260
	s_waitcnt vmcnt(34)
	v_fma_f64 v[91:92], v[101:102], v[93:94], v[91:92]
	s_waitcnt vmcnt(32) lgkmcnt(0)
	v_fma_f64 v[91:92], v[103:104], v[95:96], v[91:92]
	s_waitcnt vmcnt(30)
	v_fma_f64 v[101:102], v[105:106], v[97:98], v[91:92]
	ds_read_b128 v[91:94], v90 offset:496
	ds_read_b128 v[95:98], v90 offset:512
	s_waitcnt vmcnt(28) lgkmcnt(1)
	v_fma_f64 v[91:92], v[107:108], v[91:92], v[101:102]
	s_clause 0x7
	buffer_load_dword v102, off, s[0:3], 0 offset:268
	buffer_load_dword v103, off, s[0:3], 0 offset:288
	buffer_load_dword v105, off, s[0:3], 0 offset:280
	buffer_load_dword v107, off, s[0:3], 0 offset:272
	buffer_load_dword v101, off, s[0:3], 0 offset:264
	buffer_load_dword v108, off, s[0:3], 0 offset:276
	buffer_load_dword v106, off, s[0:3], 0 offset:284
	buffer_load_dword v104, off, s[0:3], 0 offset:292
	s_waitcnt vmcnt(34)
	v_fma_f64 v[91:92], v[109:110], v[93:94], v[91:92]
	s_waitcnt vmcnt(32) lgkmcnt(0)
	v_fma_f64 v[91:92], v[111:112], v[95:96], v[91:92]
	s_waitcnt vmcnt(27)
	v_fma_f64 v[109:110], v[113:114], v[97:98], v[91:92]
	ds_read_b128 v[91:94], v90 offset:528
	ds_read_b128 v[95:98], v90 offset:544
	;; [unrolled: 19-line block ×3, first 2 shown]
	s_waitcnt vmcnt(26) lgkmcnt(1)
	v_fma_f64 v[91:92], v[127:128], v[91:92], v[115:116]
	s_clause 0x5
	buffer_load_dword v116, off, s[0:3], 0 offset:332
	buffer_load_dword v117, off, s[0:3], 0 offset:344
	;; [unrolled: 1-line block ×6, first 2 shown]
	s_waitcnt vmcnt(31)
	v_fma_f64 v[91:92], v[125:126], v[93:94], v[91:92]
	s_waitcnt vmcnt(30) lgkmcnt(0)
	v_fma_f64 v[91:92], v[123:124], v[95:96], v[91:92]
	s_waitcnt vmcnt(25)
	v_fma_f64 v[99:100], v[99:100], v[97:98], v[91:92]
	ds_read_b128 v[91:94], v90 offset:592
	s_clause 0x1
	buffer_load_dword v123, off, s[0:3], 0 offset:104
	buffer_load_dword v124, off, s[0:3], 0 offset:108
	ds_read_b128 v[95:98], v90 offset:608
	s_waitcnt vmcnt(26) lgkmcnt(1)
	v_fma_f64 v[91:92], v[133:134], v[91:92], v[99:100]
	s_waitcnt vmcnt(25)
	v_fma_f64 v[91:92], v[131:132], v[93:94], v[91:92]
	s_waitcnt vmcnt(24) lgkmcnt(0)
	v_fma_f64 v[91:92], v[129:130], v[95:96], v[91:92]
	s_waitcnt vmcnt(19)
	v_fma_f64 v[99:100], v[101:102], v[97:98], v[91:92]
	ds_read_b128 v[91:94], v90 offset:624
	ds_read_b128 v[95:98], v90 offset:640
	s_waitcnt vmcnt(18) lgkmcnt(1)
	v_fma_f64 v[91:92], v[107:108], v[91:92], v[99:100]
	s_waitcnt vmcnt(17)
	v_fma_f64 v[91:92], v[105:106], v[93:94], v[91:92]
	s_waitcnt vmcnt(16) lgkmcnt(0)
	v_fma_f64 v[91:92], v[103:104], v[95:96], v[91:92]
	s_waitcnt vmcnt(11)
	v_fma_f64 v[99:100], v[109:110], v[97:98], v[91:92]
	ds_read_b128 v[91:94], v90 offset:656
	;; [unrolled: 10-line block ×3, first 2 shown]
	s_waitcnt vmcnt(3) lgkmcnt(0)
	v_fma_f64 v[90:91], v[121:122], v[90:91], v[94:95]
	s_waitcnt vmcnt(2)
	v_fma_f64 v[90:91], v[117:118], v[92:93], v[90:91]
	s_waitcnt vmcnt(0)
	v_add_f64 v[90:91], v[123:124], -v[90:91]
	buffer_store_dword v91, off, s[0:3], 0 offset:108
	buffer_store_dword v90, off, s[0:3], 0 offset:104
	v_cmpx_lt_u32_e32 12, v0
	s_cbranch_execz .LBB107_249
; %bb.248:
	s_clause 0x1
	buffer_load_dword v90, off, s[0:3], 0 offset:96
	buffer_load_dword v91, off, s[0:3], 0 offset:100
	v_mov_b32_e32 v92, 0
	buffer_store_dword v92, off, s[0:3], 0 offset:96
	buffer_store_dword v92, off, s[0:3], 0 offset:100
	s_waitcnt vmcnt(0)
	ds_write_b64 v89, v[90:91]
.LBB107_249:
	s_or_b32 exec_lo, exec_lo, s4
	s_waitcnt lgkmcnt(0)
	s_waitcnt_vscnt null, 0x0
	s_barrier
	buffer_gl0_inv
	s_clause 0x1c
	buffer_load_dword v99, off, s[0:3], 0 offset:104
	buffer_load_dword v100, off, s[0:3], 0 offset:108
	buffer_load_dword v101, off, s[0:3], 0 offset:112
	buffer_load_dword v102, off, s[0:3], 0 offset:116
	buffer_load_dword v103, off, s[0:3], 0 offset:120
	buffer_load_dword v104, off, s[0:3], 0 offset:124
	buffer_load_dword v105, off, s[0:3], 0 offset:128
	buffer_load_dword v106, off, s[0:3], 0 offset:132
	buffer_load_dword v107, off, s[0:3], 0 offset:136
	buffer_load_dword v108, off, s[0:3], 0 offset:140
	buffer_load_dword v109, off, s[0:3], 0 offset:144
	buffer_load_dword v110, off, s[0:3], 0 offset:148
	buffer_load_dword v111, off, s[0:3], 0 offset:152
	buffer_load_dword v112, off, s[0:3], 0 offset:156
	buffer_load_dword v114, off, s[0:3], 0 offset:164
	buffer_load_dword v115, off, s[0:3], 0 offset:184
	buffer_load_dword v117, off, s[0:3], 0 offset:176
	buffer_load_dword v119, off, s[0:3], 0 offset:168
	buffer_load_dword v113, off, s[0:3], 0 offset:160
	buffer_load_dword v120, off, s[0:3], 0 offset:172
	buffer_load_dword v118, off, s[0:3], 0 offset:180
	buffer_load_dword v116, off, s[0:3], 0 offset:188
	buffer_load_dword v122, off, s[0:3], 0 offset:196
	buffer_load_dword v123, off, s[0:3], 0 offset:216
	buffer_load_dword v125, off, s[0:3], 0 offset:208
	buffer_load_dword v127, off, s[0:3], 0 offset:200
	buffer_load_dword v121, off, s[0:3], 0 offset:192
	buffer_load_dword v128, off, s[0:3], 0 offset:204
	buffer_load_dword v126, off, s[0:3], 0 offset:212
	v_mov_b32_e32 v90, 0
	buffer_load_dword v124, off, s[0:3], 0 offset:220
	s_mov_b32 s4, exec_lo
	ds_read2_b64 v[91:94], v90 offset0:57 offset1:58
	ds_read2_b64 v[95:98], v90 offset0:59 offset1:60
	s_waitcnt vmcnt(28) lgkmcnt(1)
	v_fma_f64 v[91:92], v[99:100], v[91:92], 0
	s_clause 0x7
	buffer_load_dword v100, off, s[0:3], 0 offset:228
	buffer_load_dword v129, off, s[0:3], 0 offset:248
	buffer_load_dword v131, off, s[0:3], 0 offset:240
	buffer_load_dword v133, off, s[0:3], 0 offset:232
	buffer_load_dword v99, off, s[0:3], 0 offset:224
	buffer_load_dword v134, off, s[0:3], 0 offset:236
	buffer_load_dword v132, off, s[0:3], 0 offset:244
	buffer_load_dword v130, off, s[0:3], 0 offset:252
	s_waitcnt vmcnt(34)
	v_fma_f64 v[91:92], v[101:102], v[93:94], v[91:92]
	s_waitcnt vmcnt(32) lgkmcnt(0)
	v_fma_f64 v[91:92], v[103:104], v[95:96], v[91:92]
	s_waitcnt vmcnt(30)
	v_fma_f64 v[101:102], v[105:106], v[97:98], v[91:92]
	ds_read2_b64 v[91:94], v90 offset0:61 offset1:62
	ds_read2_b64 v[95:98], v90 offset0:63 offset1:64
	s_waitcnt vmcnt(28) lgkmcnt(1)
	v_fma_f64 v[91:92], v[107:108], v[91:92], v[101:102]
	s_clause 0x7
	buffer_load_dword v102, off, s[0:3], 0 offset:260
	buffer_load_dword v103, off, s[0:3], 0 offset:280
	buffer_load_dword v105, off, s[0:3], 0 offset:272
	buffer_load_dword v107, off, s[0:3], 0 offset:264
	buffer_load_dword v101, off, s[0:3], 0 offset:256
	buffer_load_dword v108, off, s[0:3], 0 offset:268
	buffer_load_dword v106, off, s[0:3], 0 offset:276
	buffer_load_dword v104, off, s[0:3], 0 offset:284
	s_waitcnt vmcnt(34)
	v_fma_f64 v[91:92], v[109:110], v[93:94], v[91:92]
	s_waitcnt vmcnt(32) lgkmcnt(0)
	v_fma_f64 v[91:92], v[111:112], v[95:96], v[91:92]
	s_waitcnt vmcnt(27)
	v_fma_f64 v[109:110], v[113:114], v[97:98], v[91:92]
	;; [unrolled: 19-line block ×4, first 2 shown]
	ds_read2_b64 v[91:94], v90 offset0:73 offset1:74
	ds_read2_b64 v[95:98], v90 offset0:75 offset1:76
	s_waitcnt vmcnt(26) lgkmcnt(1)
	v_fma_f64 v[91:92], v[133:134], v[91:92], v[99:100]
	s_clause 0x1
	buffer_load_dword v99, off, s[0:3], 0 offset:96
	buffer_load_dword v100, off, s[0:3], 0 offset:100
	s_waitcnt vmcnt(27)
	v_fma_f64 v[91:92], v[131:132], v[93:94], v[91:92]
	s_waitcnt vmcnt(26) lgkmcnt(0)
	v_fma_f64 v[91:92], v[129:130], v[95:96], v[91:92]
	s_waitcnt vmcnt(21)
	v_fma_f64 v[101:102], v[101:102], v[97:98], v[91:92]
	ds_read2_b64 v[91:94], v90 offset0:77 offset1:78
	ds_read2_b64 v[95:98], v90 offset0:79 offset1:80
	s_waitcnt vmcnt(20) lgkmcnt(1)
	v_fma_f64 v[91:92], v[107:108], v[91:92], v[101:102]
	s_waitcnt vmcnt(19)
	v_fma_f64 v[91:92], v[105:106], v[93:94], v[91:92]
	s_waitcnt vmcnt(18) lgkmcnt(0)
	v_fma_f64 v[91:92], v[103:104], v[95:96], v[91:92]
	s_waitcnt vmcnt(13)
	v_fma_f64 v[101:102], v[109:110], v[97:98], v[91:92]
	ds_read2_b64 v[91:94], v90 offset0:81 offset1:82
	ds_read2_b64 v[95:98], v90 offset0:83 offset1:84
	s_waitcnt vmcnt(12) lgkmcnt(1)
	v_fma_f64 v[91:92], v[119:120], v[91:92], v[101:102]
	s_waitcnt vmcnt(11)
	v_fma_f64 v[91:92], v[113:114], v[93:94], v[91:92]
	s_waitcnt vmcnt(10) lgkmcnt(0)
	v_fma_f64 v[91:92], v[111:112], v[95:96], v[91:92]
	s_waitcnt vmcnt(5)
	v_fma_f64 v[95:96], v[115:116], v[97:98], v[91:92]
	ds_read2_b64 v[91:94], v90 offset0:85 offset1:86
	ds_read_b64 v[97:98], v90 offset:696
	s_waitcnt vmcnt(4) lgkmcnt(1)
	v_fma_f64 v[91:92], v[127:128], v[91:92], v[95:96]
	s_waitcnt vmcnt(3)
	v_fma_f64 v[91:92], v[121:122], v[93:94], v[91:92]
	s_waitcnt vmcnt(2) lgkmcnt(0)
	v_fma_f64 v[91:92], v[117:118], v[97:98], v[91:92]
	s_waitcnt vmcnt(0)
	v_add_f64 v[91:92], v[99:100], -v[91:92]
	buffer_store_dword v92, off, s[0:3], 0 offset:100
	buffer_store_dword v91, off, s[0:3], 0 offset:96
	v_cmpx_lt_u32_e32 11, v0
	s_cbranch_execz .LBB107_251
; %bb.250:
	s_clause 0x1
	buffer_load_dword v91, off, s[0:3], 0 offset:88
	buffer_load_dword v92, off, s[0:3], 0 offset:92
	buffer_store_dword v90, off, s[0:3], 0 offset:88
	buffer_store_dword v90, off, s[0:3], 0 offset:92
	s_waitcnt vmcnt(0)
	ds_write_b64 v89, v[91:92]
.LBB107_251:
	s_or_b32 exec_lo, exec_lo, s4
	s_waitcnt lgkmcnt(0)
	s_waitcnt_vscnt null, 0x0
	s_barrier
	buffer_gl0_inv
	s_clause 0x1c
	buffer_load_dword v99, off, s[0:3], 0 offset:96
	buffer_load_dword v100, off, s[0:3], 0 offset:100
	;; [unrolled: 1-line block ×29, first 2 shown]
	ds_read_b128 v[91:94], v90 offset:448
	ds_read_b128 v[95:98], v90 offset:464
	buffer_load_dword v124, off, s[0:3], 0 offset:212
	s_mov_b32 s4, exec_lo
	s_waitcnt vmcnt(28) lgkmcnt(1)
	v_fma_f64 v[91:92], v[99:100], v[91:92], 0
	s_clause 0x7
	buffer_load_dword v100, off, s[0:3], 0 offset:220
	buffer_load_dword v129, off, s[0:3], 0 offset:240
	buffer_load_dword v131, off, s[0:3], 0 offset:232
	buffer_load_dword v133, off, s[0:3], 0 offset:224
	buffer_load_dword v99, off, s[0:3], 0 offset:216
	buffer_load_dword v134, off, s[0:3], 0 offset:228
	buffer_load_dword v132, off, s[0:3], 0 offset:236
	buffer_load_dword v130, off, s[0:3], 0 offset:244
	s_waitcnt vmcnt(34)
	v_fma_f64 v[91:92], v[101:102], v[93:94], v[91:92]
	s_waitcnt vmcnt(32) lgkmcnt(0)
	v_fma_f64 v[91:92], v[103:104], v[95:96], v[91:92]
	s_waitcnt vmcnt(30)
	v_fma_f64 v[101:102], v[105:106], v[97:98], v[91:92]
	ds_read_b128 v[91:94], v90 offset:480
	ds_read_b128 v[95:98], v90 offset:496
	s_waitcnt vmcnt(28) lgkmcnt(1)
	v_fma_f64 v[91:92], v[107:108], v[91:92], v[101:102]
	s_clause 0x7
	buffer_load_dword v102, off, s[0:3], 0 offset:252
	buffer_load_dword v103, off, s[0:3], 0 offset:272
	buffer_load_dword v105, off, s[0:3], 0 offset:264
	buffer_load_dword v107, off, s[0:3], 0 offset:256
	buffer_load_dword v101, off, s[0:3], 0 offset:248
	buffer_load_dword v108, off, s[0:3], 0 offset:260
	buffer_load_dword v106, off, s[0:3], 0 offset:268
	buffer_load_dword v104, off, s[0:3], 0 offset:276
	s_waitcnt vmcnt(34)
	v_fma_f64 v[91:92], v[109:110], v[93:94], v[91:92]
	s_waitcnt vmcnt(32) lgkmcnt(0)
	v_fma_f64 v[91:92], v[111:112], v[95:96], v[91:92]
	s_waitcnt vmcnt(27)
	v_fma_f64 v[109:110], v[113:114], v[97:98], v[91:92]
	ds_read_b128 v[91:94], v90 offset:512
	ds_read_b128 v[95:98], v90 offset:528
	;; [unrolled: 19-line block ×4, first 2 shown]
	s_waitcnt vmcnt(26) lgkmcnt(1)
	v_fma_f64 v[91:92], v[133:134], v[91:92], v[99:100]
	s_clause 0x3
	buffer_load_dword v100, off, s[0:3], 0 offset:348
	buffer_load_dword v99, off, s[0:3], 0 offset:344
	;; [unrolled: 1-line block ×4, first 2 shown]
	s_waitcnt vmcnt(29)
	v_fma_f64 v[91:92], v[131:132], v[93:94], v[91:92]
	s_waitcnt vmcnt(28) lgkmcnt(0)
	v_fma_f64 v[91:92], v[129:130], v[95:96], v[91:92]
	s_waitcnt vmcnt(23)
	v_fma_f64 v[101:102], v[101:102], v[97:98], v[91:92]
	ds_read_b128 v[91:94], v90 offset:608
	ds_read_b128 v[95:98], v90 offset:624
	s_waitcnt vmcnt(22) lgkmcnt(1)
	v_fma_f64 v[91:92], v[107:108], v[91:92], v[101:102]
	s_waitcnt vmcnt(21)
	v_fma_f64 v[91:92], v[105:106], v[93:94], v[91:92]
	s_waitcnt vmcnt(20) lgkmcnt(0)
	v_fma_f64 v[91:92], v[103:104], v[95:96], v[91:92]
	s_waitcnt vmcnt(15)
	v_fma_f64 v[101:102], v[109:110], v[97:98], v[91:92]
	ds_read_b128 v[91:94], v90 offset:640
	ds_read_b128 v[95:98], v90 offset:656
	s_waitcnt vmcnt(14) lgkmcnt(1)
	v_fma_f64 v[91:92], v[119:120], v[91:92], v[101:102]
	;; [unrolled: 10-line block ×3, first 2 shown]
	s_waitcnt vmcnt(5)
	v_fma_f64 v[90:91], v[121:122], v[93:94], v[90:91]
	s_waitcnt vmcnt(4) lgkmcnt(0)
	v_fma_f64 v[90:91], v[117:118], v[95:96], v[90:91]
	s_waitcnt vmcnt(2)
	v_fma_f64 v[90:91], v[99:100], v[97:98], v[90:91]
	s_waitcnt vmcnt(0)
	v_add_f64 v[90:91], v[123:124], -v[90:91]
	buffer_store_dword v91, off, s[0:3], 0 offset:92
	buffer_store_dword v90, off, s[0:3], 0 offset:88
	v_cmpx_lt_u32_e32 10, v0
	s_cbranch_execz .LBB107_253
; %bb.252:
	s_clause 0x1
	buffer_load_dword v90, off, s[0:3], 0 offset:80
	buffer_load_dword v91, off, s[0:3], 0 offset:84
	v_mov_b32_e32 v92, 0
	buffer_store_dword v92, off, s[0:3], 0 offset:80
	buffer_store_dword v92, off, s[0:3], 0 offset:84
	s_waitcnt vmcnt(0)
	ds_write_b64 v89, v[90:91]
.LBB107_253:
	s_or_b32 exec_lo, exec_lo, s4
	s_waitcnt lgkmcnt(0)
	s_waitcnt_vscnt null, 0x0
	s_barrier
	buffer_gl0_inv
	s_clause 0x1c
	buffer_load_dword v99, off, s[0:3], 0 offset:88
	buffer_load_dword v100, off, s[0:3], 0 offset:92
	;; [unrolled: 1-line block ×29, first 2 shown]
	v_mov_b32_e32 v90, 0
	buffer_load_dword v124, off, s[0:3], 0 offset:204
	s_mov_b32 s4, exec_lo
	ds_read2_b64 v[91:94], v90 offset0:55 offset1:56
	ds_read2_b64 v[95:98], v90 offset0:57 offset1:58
	s_waitcnt vmcnt(28) lgkmcnt(1)
	v_fma_f64 v[91:92], v[99:100], v[91:92], 0
	s_clause 0x7
	buffer_load_dword v100, off, s[0:3], 0 offset:212
	buffer_load_dword v129, off, s[0:3], 0 offset:232
	buffer_load_dword v131, off, s[0:3], 0 offset:224
	buffer_load_dword v133, off, s[0:3], 0 offset:216
	buffer_load_dword v99, off, s[0:3], 0 offset:208
	buffer_load_dword v134, off, s[0:3], 0 offset:220
	buffer_load_dword v132, off, s[0:3], 0 offset:228
	buffer_load_dword v130, off, s[0:3], 0 offset:236
	s_waitcnt vmcnt(34)
	v_fma_f64 v[91:92], v[101:102], v[93:94], v[91:92]
	s_waitcnt vmcnt(32) lgkmcnt(0)
	v_fma_f64 v[91:92], v[103:104], v[95:96], v[91:92]
	s_waitcnt vmcnt(30)
	v_fma_f64 v[101:102], v[105:106], v[97:98], v[91:92]
	ds_read2_b64 v[91:94], v90 offset0:59 offset1:60
	ds_read2_b64 v[95:98], v90 offset0:61 offset1:62
	s_waitcnt vmcnt(28) lgkmcnt(1)
	v_fma_f64 v[91:92], v[107:108], v[91:92], v[101:102]
	s_clause 0x7
	buffer_load_dword v102, off, s[0:3], 0 offset:244
	buffer_load_dword v103, off, s[0:3], 0 offset:264
	buffer_load_dword v105, off, s[0:3], 0 offset:256
	buffer_load_dword v107, off, s[0:3], 0 offset:248
	buffer_load_dword v101, off, s[0:3], 0 offset:240
	buffer_load_dword v108, off, s[0:3], 0 offset:252
	buffer_load_dword v106, off, s[0:3], 0 offset:260
	buffer_load_dword v104, off, s[0:3], 0 offset:268
	s_waitcnt vmcnt(34)
	v_fma_f64 v[91:92], v[109:110], v[93:94], v[91:92]
	s_waitcnt vmcnt(32) lgkmcnt(0)
	v_fma_f64 v[91:92], v[111:112], v[95:96], v[91:92]
	s_waitcnt vmcnt(27)
	v_fma_f64 v[109:110], v[113:114], v[97:98], v[91:92]
	ds_read2_b64 v[91:94], v90 offset0:63 offset1:64
	ds_read2_b64 v[95:98], v90 offset0:65 offset1:66
	s_waitcnt vmcnt(26) lgkmcnt(1)
	v_fma_f64 v[91:92], v[119:120], v[91:92], v[109:110]
	s_clause 0x7
	buffer_load_dword v110, off, s[0:3], 0 offset:276
	buffer_load_dword v111, off, s[0:3], 0 offset:296
	buffer_load_dword v113, off, s[0:3], 0 offset:288
	buffer_load_dword v119, off, s[0:3], 0 offset:280
	buffer_load_dword v109, off, s[0:3], 0 offset:272
	buffer_load_dword v120, off, s[0:3], 0 offset:284
	buffer_load_dword v114, off, s[0:3], 0 offset:292
	buffer_load_dword v112, off, s[0:3], 0 offset:300
	s_waitcnt vmcnt(33)
	v_fma_f64 v[91:92], v[117:118], v[93:94], v[91:92]
	s_waitcnt vmcnt(32) lgkmcnt(0)
	v_fma_f64 v[91:92], v[115:116], v[95:96], v[91:92]
	s_waitcnt vmcnt(27)
	v_fma_f64 v[115:116], v[121:122], v[97:98], v[91:92]
	ds_read2_b64 v[91:94], v90 offset0:67 offset1:68
	ds_read2_b64 v[95:98], v90 offset0:69 offset1:70
	s_waitcnt vmcnt(26) lgkmcnt(1)
	v_fma_f64 v[91:92], v[127:128], v[91:92], v[115:116]
	s_clause 0x7
	buffer_load_dword v116, off, s[0:3], 0 offset:308
	buffer_load_dword v117, off, s[0:3], 0 offset:328
	buffer_load_dword v121, off, s[0:3], 0 offset:320
	buffer_load_dword v127, off, s[0:3], 0 offset:312
	buffer_load_dword v115, off, s[0:3], 0 offset:304
	buffer_load_dword v128, off, s[0:3], 0 offset:316
	buffer_load_dword v122, off, s[0:3], 0 offset:324
	buffer_load_dword v118, off, s[0:3], 0 offset:332
	s_waitcnt vmcnt(33)
	v_fma_f64 v[91:92], v[125:126], v[93:94], v[91:92]
	s_waitcnt vmcnt(32) lgkmcnt(0)
	v_fma_f64 v[91:92], v[123:124], v[95:96], v[91:92]
	s_waitcnt vmcnt(27)
	v_fma_f64 v[99:100], v[99:100], v[97:98], v[91:92]
	ds_read2_b64 v[91:94], v90 offset0:71 offset1:72
	ds_read2_b64 v[95:98], v90 offset0:73 offset1:74
	s_waitcnt vmcnt(26) lgkmcnt(1)
	v_fma_f64 v[91:92], v[133:134], v[91:92], v[99:100]
	s_clause 0x5
	buffer_load_dword v100, off, s[0:3], 0 offset:340
	buffer_load_dword v123, off, s[0:3], 0 offset:344
	;; [unrolled: 1-line block ×6, first 2 shown]
	s_waitcnt vmcnt(31)
	v_fma_f64 v[91:92], v[131:132], v[93:94], v[91:92]
	s_waitcnt vmcnt(30) lgkmcnt(0)
	v_fma_f64 v[91:92], v[129:130], v[95:96], v[91:92]
	s_waitcnt vmcnt(25)
	v_fma_f64 v[101:102], v[101:102], v[97:98], v[91:92]
	ds_read2_b64 v[91:94], v90 offset0:75 offset1:76
	ds_read2_b64 v[95:98], v90 offset0:77 offset1:78
	s_waitcnt vmcnt(24) lgkmcnt(1)
	v_fma_f64 v[91:92], v[107:108], v[91:92], v[101:102]
	s_waitcnt vmcnt(23)
	v_fma_f64 v[91:92], v[105:106], v[93:94], v[91:92]
	s_waitcnt vmcnt(22) lgkmcnt(0)
	v_fma_f64 v[91:92], v[103:104], v[95:96], v[91:92]
	s_waitcnt vmcnt(17)
	v_fma_f64 v[101:102], v[109:110], v[97:98], v[91:92]
	ds_read2_b64 v[91:94], v90 offset0:79 offset1:80
	ds_read2_b64 v[95:98], v90 offset0:81 offset1:82
	s_waitcnt vmcnt(16) lgkmcnt(1)
	v_fma_f64 v[91:92], v[119:120], v[91:92], v[101:102]
	;; [unrolled: 10-line block ×3, first 2 shown]
	s_waitcnt vmcnt(7)
	v_fma_f64 v[91:92], v[121:122], v[93:94], v[91:92]
	ds_read_b64 v[93:94], v90 offset:696
	s_waitcnt vmcnt(6) lgkmcnt(1)
	v_fma_f64 v[91:92], v[117:118], v[95:96], v[91:92]
	s_waitcnt vmcnt(3)
	v_fma_f64 v[91:92], v[99:100], v[97:98], v[91:92]
	s_waitcnt vmcnt(2) lgkmcnt(0)
	v_fma_f64 v[91:92], v[123:124], v[93:94], v[91:92]
	s_waitcnt vmcnt(0)
	v_add_f64 v[91:92], v[125:126], -v[91:92]
	buffer_store_dword v92, off, s[0:3], 0 offset:84
	buffer_store_dword v91, off, s[0:3], 0 offset:80
	v_cmpx_lt_u32_e32 9, v0
	s_cbranch_execz .LBB107_255
; %bb.254:
	s_clause 0x1
	buffer_load_dword v91, off, s[0:3], 0 offset:72
	buffer_load_dword v92, off, s[0:3], 0 offset:76
	buffer_store_dword v90, off, s[0:3], 0 offset:72
	buffer_store_dword v90, off, s[0:3], 0 offset:76
	s_waitcnt vmcnt(0)
	ds_write_b64 v89, v[91:92]
.LBB107_255:
	s_or_b32 exec_lo, exec_lo, s4
	s_waitcnt lgkmcnt(0)
	s_waitcnt_vscnt null, 0x0
	s_barrier
	buffer_gl0_inv
	s_clause 0x1c
	buffer_load_dword v99, off, s[0:3], 0 offset:80
	buffer_load_dword v100, off, s[0:3], 0 offset:84
	;; [unrolled: 1-line block ×29, first 2 shown]
	ds_read_b128 v[91:94], v90 offset:432
	ds_read_b128 v[95:98], v90 offset:448
	buffer_load_dword v124, off, s[0:3], 0 offset:196
	s_mov_b32 s4, exec_lo
	s_waitcnt vmcnt(28) lgkmcnt(1)
	v_fma_f64 v[91:92], v[99:100], v[91:92], 0
	s_clause 0x7
	buffer_load_dword v100, off, s[0:3], 0 offset:204
	buffer_load_dword v129, off, s[0:3], 0 offset:224
	buffer_load_dword v131, off, s[0:3], 0 offset:216
	buffer_load_dword v133, off, s[0:3], 0 offset:208
	buffer_load_dword v99, off, s[0:3], 0 offset:200
	buffer_load_dword v134, off, s[0:3], 0 offset:212
	buffer_load_dword v132, off, s[0:3], 0 offset:220
	buffer_load_dword v130, off, s[0:3], 0 offset:228
	s_waitcnt vmcnt(34)
	v_fma_f64 v[91:92], v[101:102], v[93:94], v[91:92]
	s_waitcnt vmcnt(32) lgkmcnt(0)
	v_fma_f64 v[91:92], v[103:104], v[95:96], v[91:92]
	s_waitcnt vmcnt(30)
	v_fma_f64 v[101:102], v[105:106], v[97:98], v[91:92]
	ds_read_b128 v[91:94], v90 offset:464
	ds_read_b128 v[95:98], v90 offset:480
	s_waitcnt vmcnt(28) lgkmcnt(1)
	v_fma_f64 v[91:92], v[107:108], v[91:92], v[101:102]
	s_clause 0x7
	buffer_load_dword v102, off, s[0:3], 0 offset:236
	buffer_load_dword v103, off, s[0:3], 0 offset:256
	buffer_load_dword v105, off, s[0:3], 0 offset:248
	buffer_load_dword v107, off, s[0:3], 0 offset:240
	buffer_load_dword v101, off, s[0:3], 0 offset:232
	buffer_load_dword v108, off, s[0:3], 0 offset:244
	buffer_load_dword v106, off, s[0:3], 0 offset:252
	buffer_load_dword v104, off, s[0:3], 0 offset:260
	s_waitcnt vmcnt(34)
	v_fma_f64 v[91:92], v[109:110], v[93:94], v[91:92]
	s_waitcnt vmcnt(32) lgkmcnt(0)
	v_fma_f64 v[91:92], v[111:112], v[95:96], v[91:92]
	s_waitcnt vmcnt(27)
	v_fma_f64 v[109:110], v[113:114], v[97:98], v[91:92]
	ds_read_b128 v[91:94], v90 offset:496
	ds_read_b128 v[95:98], v90 offset:512
	;; [unrolled: 19-line block ×4, first 2 shown]
	s_waitcnt vmcnt(26) lgkmcnt(1)
	v_fma_f64 v[91:92], v[133:134], v[91:92], v[99:100]
	s_clause 0x5
	buffer_load_dword v100, off, s[0:3], 0 offset:332
	buffer_load_dword v123, off, s[0:3], 0 offset:344
	;; [unrolled: 1-line block ×6, first 2 shown]
	s_waitcnt vmcnt(31)
	v_fma_f64 v[91:92], v[131:132], v[93:94], v[91:92]
	s_waitcnt vmcnt(30) lgkmcnt(0)
	v_fma_f64 v[91:92], v[129:130], v[95:96], v[91:92]
	s_waitcnt vmcnt(25)
	v_fma_f64 v[101:102], v[101:102], v[97:98], v[91:92]
	ds_read_b128 v[91:94], v90 offset:592
	s_clause 0x1
	buffer_load_dword v129, off, s[0:3], 0 offset:72
	buffer_load_dword v130, off, s[0:3], 0 offset:76
	ds_read_b128 v[95:98], v90 offset:608
	s_waitcnt vmcnt(26) lgkmcnt(1)
	v_fma_f64 v[91:92], v[107:108], v[91:92], v[101:102]
	s_waitcnt vmcnt(25)
	v_fma_f64 v[91:92], v[105:106], v[93:94], v[91:92]
	s_waitcnt vmcnt(24) lgkmcnt(0)
	v_fma_f64 v[91:92], v[103:104], v[95:96], v[91:92]
	s_waitcnt vmcnt(19)
	v_fma_f64 v[101:102], v[109:110], v[97:98], v[91:92]
	ds_read_b128 v[91:94], v90 offset:624
	ds_read_b128 v[95:98], v90 offset:640
	s_waitcnt vmcnt(18) lgkmcnt(1)
	v_fma_f64 v[91:92], v[119:120], v[91:92], v[101:102]
	s_waitcnt vmcnt(17)
	v_fma_f64 v[91:92], v[113:114], v[93:94], v[91:92]
	s_waitcnt vmcnt(16) lgkmcnt(0)
	v_fma_f64 v[91:92], v[111:112], v[95:96], v[91:92]
	s_waitcnt vmcnt(11)
	v_fma_f64 v[101:102], v[115:116], v[97:98], v[91:92]
	ds_read_b128 v[91:94], v90 offset:656
	;; [unrolled: 10-line block ×3, first 2 shown]
	s_waitcnt vmcnt(3) lgkmcnt(0)
	v_fma_f64 v[90:91], v[125:126], v[90:91], v[94:95]
	s_waitcnt vmcnt(2)
	v_fma_f64 v[90:91], v[123:124], v[92:93], v[90:91]
	s_waitcnt vmcnt(0)
	v_add_f64 v[90:91], v[129:130], -v[90:91]
	buffer_store_dword v91, off, s[0:3], 0 offset:76
	buffer_store_dword v90, off, s[0:3], 0 offset:72
	v_cmpx_lt_u32_e32 8, v0
	s_cbranch_execz .LBB107_257
; %bb.256:
	s_clause 0x1
	buffer_load_dword v90, off, s[0:3], 0 offset:64
	buffer_load_dword v91, off, s[0:3], 0 offset:68
	v_mov_b32_e32 v92, 0
	buffer_store_dword v92, off, s[0:3], 0 offset:64
	buffer_store_dword v92, off, s[0:3], 0 offset:68
	s_waitcnt vmcnt(0)
	ds_write_b64 v89, v[90:91]
.LBB107_257:
	s_or_b32 exec_lo, exec_lo, s4
	s_waitcnt lgkmcnt(0)
	s_waitcnt_vscnt null, 0x0
	s_barrier
	buffer_gl0_inv
	s_clause 0x1c
	buffer_load_dword v99, off, s[0:3], 0 offset:72
	buffer_load_dword v100, off, s[0:3], 0 offset:76
	;; [unrolled: 1-line block ×29, first 2 shown]
	v_mov_b32_e32 v90, 0
	buffer_load_dword v124, off, s[0:3], 0 offset:188
	s_mov_b32 s4, exec_lo
	ds_read2_b64 v[91:94], v90 offset0:53 offset1:54
	ds_read2_b64 v[95:98], v90 offset0:55 offset1:56
	s_waitcnt vmcnt(28) lgkmcnt(1)
	v_fma_f64 v[91:92], v[99:100], v[91:92], 0
	s_clause 0x7
	buffer_load_dword v100, off, s[0:3], 0 offset:196
	buffer_load_dword v129, off, s[0:3], 0 offset:216
	buffer_load_dword v131, off, s[0:3], 0 offset:208
	buffer_load_dword v133, off, s[0:3], 0 offset:200
	buffer_load_dword v99, off, s[0:3], 0 offset:192
	buffer_load_dword v134, off, s[0:3], 0 offset:204
	buffer_load_dword v132, off, s[0:3], 0 offset:212
	buffer_load_dword v130, off, s[0:3], 0 offset:220
	s_waitcnt vmcnt(34)
	v_fma_f64 v[91:92], v[101:102], v[93:94], v[91:92]
	s_waitcnt vmcnt(32) lgkmcnt(0)
	v_fma_f64 v[91:92], v[103:104], v[95:96], v[91:92]
	s_waitcnt vmcnt(30)
	v_fma_f64 v[101:102], v[105:106], v[97:98], v[91:92]
	ds_read2_b64 v[91:94], v90 offset0:57 offset1:58
	ds_read2_b64 v[95:98], v90 offset0:59 offset1:60
	s_waitcnt vmcnt(28) lgkmcnt(1)
	v_fma_f64 v[91:92], v[107:108], v[91:92], v[101:102]
	s_clause 0x7
	buffer_load_dword v102, off, s[0:3], 0 offset:228
	buffer_load_dword v103, off, s[0:3], 0 offset:248
	buffer_load_dword v105, off, s[0:3], 0 offset:240
	buffer_load_dword v107, off, s[0:3], 0 offset:232
	buffer_load_dword v101, off, s[0:3], 0 offset:224
	buffer_load_dword v108, off, s[0:3], 0 offset:236
	buffer_load_dword v106, off, s[0:3], 0 offset:244
	buffer_load_dword v104, off, s[0:3], 0 offset:252
	s_waitcnt vmcnt(34)
	v_fma_f64 v[91:92], v[109:110], v[93:94], v[91:92]
	s_waitcnt vmcnt(32) lgkmcnt(0)
	v_fma_f64 v[91:92], v[111:112], v[95:96], v[91:92]
	s_waitcnt vmcnt(27)
	v_fma_f64 v[109:110], v[113:114], v[97:98], v[91:92]
	;; [unrolled: 19-line block ×5, first 2 shown]
	ds_read2_b64 v[91:94], v90 offset0:73 offset1:74
	ds_read2_b64 v[95:98], v90 offset0:75 offset1:76
	s_waitcnt vmcnt(26) lgkmcnt(1)
	v_fma_f64 v[91:92], v[107:108], v[91:92], v[101:102]
	s_clause 0x1
	buffer_load_dword v101, off, s[0:3], 0 offset:64
	buffer_load_dword v102, off, s[0:3], 0 offset:68
	s_waitcnt vmcnt(27)
	v_fma_f64 v[91:92], v[105:106], v[93:94], v[91:92]
	s_waitcnt vmcnt(26) lgkmcnt(0)
	v_fma_f64 v[91:92], v[103:104], v[95:96], v[91:92]
	s_waitcnt vmcnt(21)
	v_fma_f64 v[103:104], v[109:110], v[97:98], v[91:92]
	ds_read2_b64 v[91:94], v90 offset0:77 offset1:78
	ds_read2_b64 v[95:98], v90 offset0:79 offset1:80
	s_waitcnt vmcnt(20) lgkmcnt(1)
	v_fma_f64 v[91:92], v[119:120], v[91:92], v[103:104]
	s_waitcnt vmcnt(19)
	v_fma_f64 v[91:92], v[113:114], v[93:94], v[91:92]
	s_waitcnt vmcnt(18) lgkmcnt(0)
	v_fma_f64 v[91:92], v[111:112], v[95:96], v[91:92]
	s_waitcnt vmcnt(13)
	v_fma_f64 v[103:104], v[115:116], v[97:98], v[91:92]
	ds_read2_b64 v[91:94], v90 offset0:81 offset1:82
	ds_read2_b64 v[95:98], v90 offset0:83 offset1:84
	s_waitcnt vmcnt(12) lgkmcnt(1)
	v_fma_f64 v[91:92], v[127:128], v[91:92], v[103:104]
	s_waitcnt vmcnt(11)
	v_fma_f64 v[91:92], v[121:122], v[93:94], v[91:92]
	s_waitcnt vmcnt(10) lgkmcnt(0)
	v_fma_f64 v[91:92], v[117:118], v[95:96], v[91:92]
	s_waitcnt vmcnt(5)
	v_fma_f64 v[95:96], v[99:100], v[97:98], v[91:92]
	ds_read2_b64 v[91:94], v90 offset0:85 offset1:86
	ds_read_b64 v[97:98], v90 offset:696
	s_waitcnt vmcnt(4) lgkmcnt(1)
	v_fma_f64 v[91:92], v[133:134], v[91:92], v[95:96]
	s_waitcnt vmcnt(3)
	v_fma_f64 v[91:92], v[125:126], v[93:94], v[91:92]
	s_waitcnt vmcnt(2) lgkmcnt(0)
	v_fma_f64 v[91:92], v[123:124], v[97:98], v[91:92]
	s_waitcnt vmcnt(0)
	v_add_f64 v[91:92], v[101:102], -v[91:92]
	buffer_store_dword v92, off, s[0:3], 0 offset:68
	buffer_store_dword v91, off, s[0:3], 0 offset:64
	v_cmpx_lt_u32_e32 7, v0
	s_cbranch_execz .LBB107_259
; %bb.258:
	s_clause 0x1
	buffer_load_dword v91, off, s[0:3], 0 offset:56
	buffer_load_dword v92, off, s[0:3], 0 offset:60
	buffer_store_dword v90, off, s[0:3], 0 offset:56
	buffer_store_dword v90, off, s[0:3], 0 offset:60
	s_waitcnt vmcnt(0)
	ds_write_b64 v89, v[91:92]
.LBB107_259:
	s_or_b32 exec_lo, exec_lo, s4
	s_waitcnt lgkmcnt(0)
	s_waitcnt_vscnt null, 0x0
	s_barrier
	buffer_gl0_inv
	s_clause 0x1c
	buffer_load_dword v99, off, s[0:3], 0 offset:64
	buffer_load_dword v100, off, s[0:3], 0 offset:68
	buffer_load_dword v101, off, s[0:3], 0 offset:72
	buffer_load_dword v102, off, s[0:3], 0 offset:76
	buffer_load_dword v103, off, s[0:3], 0 offset:80
	buffer_load_dword v104, off, s[0:3], 0 offset:84
	buffer_load_dword v105, off, s[0:3], 0 offset:88
	buffer_load_dword v106, off, s[0:3], 0 offset:92
	buffer_load_dword v107, off, s[0:3], 0 offset:96
	buffer_load_dword v108, off, s[0:3], 0 offset:100
	buffer_load_dword v109, off, s[0:3], 0 offset:104
	buffer_load_dword v110, off, s[0:3], 0 offset:108
	buffer_load_dword v111, off, s[0:3], 0 offset:112
	buffer_load_dword v112, off, s[0:3], 0 offset:116
	buffer_load_dword v114, off, s[0:3], 0 offset:124
	buffer_load_dword v115, off, s[0:3], 0 offset:144
	buffer_load_dword v117, off, s[0:3], 0 offset:136
	buffer_load_dword v119, off, s[0:3], 0 offset:128
	buffer_load_dword v113, off, s[0:3], 0 offset:120
	buffer_load_dword v120, off, s[0:3], 0 offset:132
	buffer_load_dword v118, off, s[0:3], 0 offset:140
	buffer_load_dword v116, off, s[0:3], 0 offset:148
	buffer_load_dword v122, off, s[0:3], 0 offset:156
	buffer_load_dword v123, off, s[0:3], 0 offset:176
	buffer_load_dword v125, off, s[0:3], 0 offset:168
	buffer_load_dword v127, off, s[0:3], 0 offset:160
	buffer_load_dword v121, off, s[0:3], 0 offset:152
	buffer_load_dword v128, off, s[0:3], 0 offset:164
	buffer_load_dword v126, off, s[0:3], 0 offset:172
	ds_read_b128 v[91:94], v90 offset:416
	ds_read_b128 v[95:98], v90 offset:432
	buffer_load_dword v124, off, s[0:3], 0 offset:180
	s_mov_b32 s4, exec_lo
	s_waitcnt vmcnt(28) lgkmcnt(1)
	v_fma_f64 v[91:92], v[99:100], v[91:92], 0
	s_clause 0x7
	buffer_load_dword v100, off, s[0:3], 0 offset:188
	buffer_load_dword v129, off, s[0:3], 0 offset:208
	buffer_load_dword v131, off, s[0:3], 0 offset:200
	buffer_load_dword v133, off, s[0:3], 0 offset:192
	buffer_load_dword v99, off, s[0:3], 0 offset:184
	buffer_load_dword v134, off, s[0:3], 0 offset:196
	buffer_load_dword v132, off, s[0:3], 0 offset:204
	buffer_load_dword v130, off, s[0:3], 0 offset:212
	s_waitcnt vmcnt(34)
	v_fma_f64 v[91:92], v[101:102], v[93:94], v[91:92]
	s_waitcnt vmcnt(32) lgkmcnt(0)
	v_fma_f64 v[91:92], v[103:104], v[95:96], v[91:92]
	s_waitcnt vmcnt(30)
	v_fma_f64 v[101:102], v[105:106], v[97:98], v[91:92]
	ds_read_b128 v[91:94], v90 offset:448
	ds_read_b128 v[95:98], v90 offset:464
	s_waitcnt vmcnt(28) lgkmcnt(1)
	v_fma_f64 v[91:92], v[107:108], v[91:92], v[101:102]
	s_clause 0x7
	buffer_load_dword v102, off, s[0:3], 0 offset:220
	buffer_load_dword v103, off, s[0:3], 0 offset:240
	buffer_load_dword v105, off, s[0:3], 0 offset:232
	buffer_load_dword v107, off, s[0:3], 0 offset:224
	buffer_load_dword v101, off, s[0:3], 0 offset:216
	buffer_load_dword v108, off, s[0:3], 0 offset:228
	buffer_load_dword v106, off, s[0:3], 0 offset:236
	buffer_load_dword v104, off, s[0:3], 0 offset:244
	s_waitcnt vmcnt(34)
	v_fma_f64 v[91:92], v[109:110], v[93:94], v[91:92]
	s_waitcnt vmcnt(32) lgkmcnt(0)
	v_fma_f64 v[91:92], v[111:112], v[95:96], v[91:92]
	s_waitcnt vmcnt(27)
	v_fma_f64 v[109:110], v[113:114], v[97:98], v[91:92]
	ds_read_b128 v[91:94], v90 offset:480
	ds_read_b128 v[95:98], v90 offset:496
	;; [unrolled: 19-line block ×5, first 2 shown]
	s_waitcnt vmcnt(26) lgkmcnt(1)
	v_fma_f64 v[91:92], v[107:108], v[91:92], v[101:102]
	s_clause 0x1
	buffer_load_dword v102, off, s[0:3], 0 offset:348
	buffer_load_dword v101, off, s[0:3], 0 offset:344
	s_waitcnt vmcnt(27)
	v_fma_f64 v[91:92], v[105:106], v[93:94], v[91:92]
	s_clause 0x1
	buffer_load_dword v105, off, s[0:3], 0 offset:56
	buffer_load_dword v106, off, s[0:3], 0 offset:60
	s_waitcnt vmcnt(28) lgkmcnt(0)
	v_fma_f64 v[91:92], v[103:104], v[95:96], v[91:92]
	s_waitcnt vmcnt(23)
	v_fma_f64 v[103:104], v[109:110], v[97:98], v[91:92]
	ds_read_b128 v[91:94], v90 offset:608
	ds_read_b128 v[95:98], v90 offset:624
	s_waitcnt vmcnt(22) lgkmcnt(1)
	v_fma_f64 v[91:92], v[119:120], v[91:92], v[103:104]
	s_waitcnt vmcnt(21)
	v_fma_f64 v[91:92], v[113:114], v[93:94], v[91:92]
	s_waitcnt vmcnt(20) lgkmcnt(0)
	v_fma_f64 v[91:92], v[111:112], v[95:96], v[91:92]
	s_waitcnt vmcnt(15)
	v_fma_f64 v[103:104], v[115:116], v[97:98], v[91:92]
	ds_read_b128 v[91:94], v90 offset:640
	ds_read_b128 v[95:98], v90 offset:656
	s_waitcnt vmcnt(14) lgkmcnt(1)
	v_fma_f64 v[91:92], v[127:128], v[91:92], v[103:104]
	s_waitcnt vmcnt(13)
	v_fma_f64 v[91:92], v[121:122], v[93:94], v[91:92]
	;; [unrolled: 10-line block ×3, first 2 shown]
	s_waitcnt vmcnt(4) lgkmcnt(0)
	v_fma_f64 v[90:91], v[123:124], v[95:96], v[90:91]
	s_waitcnt vmcnt(2)
	v_fma_f64 v[90:91], v[101:102], v[97:98], v[90:91]
	s_waitcnt vmcnt(0)
	v_add_f64 v[90:91], v[105:106], -v[90:91]
	buffer_store_dword v91, off, s[0:3], 0 offset:60
	buffer_store_dword v90, off, s[0:3], 0 offset:56
	v_cmpx_lt_u32_e32 6, v0
	s_cbranch_execz .LBB107_261
; %bb.260:
	s_clause 0x1
	buffer_load_dword v90, off, s[0:3], 0 offset:48
	buffer_load_dword v91, off, s[0:3], 0 offset:52
	v_mov_b32_e32 v92, 0
	buffer_store_dword v92, off, s[0:3], 0 offset:48
	buffer_store_dword v92, off, s[0:3], 0 offset:52
	s_waitcnt vmcnt(0)
	ds_write_b64 v89, v[90:91]
.LBB107_261:
	s_or_b32 exec_lo, exec_lo, s4
	s_waitcnt lgkmcnt(0)
	s_waitcnt_vscnt null, 0x0
	s_barrier
	buffer_gl0_inv
	s_clause 0x1c
	buffer_load_dword v99, off, s[0:3], 0 offset:56
	buffer_load_dword v100, off, s[0:3], 0 offset:60
	;; [unrolled: 1-line block ×29, first 2 shown]
	v_mov_b32_e32 v90, 0
	buffer_load_dword v124, off, s[0:3], 0 offset:172
	s_mov_b32 s4, exec_lo
	ds_read2_b64 v[91:94], v90 offset0:51 offset1:52
	ds_read2_b64 v[95:98], v90 offset0:53 offset1:54
	s_waitcnt vmcnt(28) lgkmcnt(1)
	v_fma_f64 v[91:92], v[99:100], v[91:92], 0
	s_clause 0x7
	buffer_load_dword v100, off, s[0:3], 0 offset:180
	buffer_load_dword v129, off, s[0:3], 0 offset:200
	buffer_load_dword v131, off, s[0:3], 0 offset:192
	buffer_load_dword v133, off, s[0:3], 0 offset:184
	buffer_load_dword v99, off, s[0:3], 0 offset:176
	buffer_load_dword v134, off, s[0:3], 0 offset:188
	buffer_load_dword v132, off, s[0:3], 0 offset:196
	buffer_load_dword v130, off, s[0:3], 0 offset:204
	s_waitcnt vmcnt(34)
	v_fma_f64 v[91:92], v[101:102], v[93:94], v[91:92]
	s_waitcnt vmcnt(32) lgkmcnt(0)
	v_fma_f64 v[91:92], v[103:104], v[95:96], v[91:92]
	s_waitcnt vmcnt(30)
	v_fma_f64 v[101:102], v[105:106], v[97:98], v[91:92]
	ds_read2_b64 v[91:94], v90 offset0:55 offset1:56
	ds_read2_b64 v[95:98], v90 offset0:57 offset1:58
	s_waitcnt vmcnt(28) lgkmcnt(1)
	v_fma_f64 v[91:92], v[107:108], v[91:92], v[101:102]
	s_clause 0x7
	buffer_load_dword v102, off, s[0:3], 0 offset:212
	buffer_load_dword v103, off, s[0:3], 0 offset:232
	buffer_load_dword v105, off, s[0:3], 0 offset:224
	buffer_load_dword v107, off, s[0:3], 0 offset:216
	buffer_load_dword v101, off, s[0:3], 0 offset:208
	buffer_load_dword v108, off, s[0:3], 0 offset:220
	buffer_load_dword v106, off, s[0:3], 0 offset:228
	buffer_load_dword v104, off, s[0:3], 0 offset:236
	s_waitcnt vmcnt(34)
	v_fma_f64 v[91:92], v[109:110], v[93:94], v[91:92]
	s_waitcnt vmcnt(32) lgkmcnt(0)
	v_fma_f64 v[91:92], v[111:112], v[95:96], v[91:92]
	s_waitcnt vmcnt(27)
	v_fma_f64 v[109:110], v[113:114], v[97:98], v[91:92]
	;; [unrolled: 19-line block ×5, first 2 shown]
	ds_read2_b64 v[91:94], v90 offset0:71 offset1:72
	ds_read2_b64 v[95:98], v90 offset0:73 offset1:74
	s_waitcnt vmcnt(26) lgkmcnt(1)
	v_fma_f64 v[91:92], v[107:108], v[91:92], v[101:102]
	s_clause 0x3
	buffer_load_dword v102, off, s[0:3], 0 offset:340
	buffer_load_dword v107, off, s[0:3], 0 offset:344
	buffer_load_dword v101, off, s[0:3], 0 offset:336
	buffer_load_dword v108, off, s[0:3], 0 offset:348
	s_waitcnt vmcnt(29)
	v_fma_f64 v[91:92], v[105:106], v[93:94], v[91:92]
	s_waitcnt vmcnt(28) lgkmcnt(0)
	v_fma_f64 v[91:92], v[103:104], v[95:96], v[91:92]
	s_clause 0x1
	buffer_load_dword v103, off, s[0:3], 0 offset:48
	buffer_load_dword v104, off, s[0:3], 0 offset:52
	s_waitcnt vmcnt(25)
	v_fma_f64 v[105:106], v[109:110], v[97:98], v[91:92]
	ds_read2_b64 v[91:94], v90 offset0:75 offset1:76
	ds_read2_b64 v[95:98], v90 offset0:77 offset1:78
	s_waitcnt vmcnt(24) lgkmcnt(1)
	v_fma_f64 v[91:92], v[119:120], v[91:92], v[105:106]
	s_waitcnt vmcnt(23)
	v_fma_f64 v[91:92], v[113:114], v[93:94], v[91:92]
	s_waitcnt vmcnt(22) lgkmcnt(0)
	v_fma_f64 v[91:92], v[111:112], v[95:96], v[91:92]
	s_waitcnt vmcnt(17)
	v_fma_f64 v[105:106], v[115:116], v[97:98], v[91:92]
	ds_read2_b64 v[91:94], v90 offset0:79 offset1:80
	ds_read2_b64 v[95:98], v90 offset0:81 offset1:82
	s_waitcnt vmcnt(16) lgkmcnt(1)
	v_fma_f64 v[91:92], v[127:128], v[91:92], v[105:106]
	s_waitcnt vmcnt(15)
	v_fma_f64 v[91:92], v[121:122], v[93:94], v[91:92]
	s_waitcnt vmcnt(14) lgkmcnt(0)
	v_fma_f64 v[91:92], v[117:118], v[95:96], v[91:92]
	s_waitcnt vmcnt(9)
	v_fma_f64 v[99:100], v[99:100], v[97:98], v[91:92]
	ds_read2_b64 v[91:94], v90 offset0:83 offset1:84
	ds_read2_b64 v[95:98], v90 offset0:85 offset1:86
	s_waitcnt vmcnt(8) lgkmcnt(1)
	v_fma_f64 v[91:92], v[133:134], v[91:92], v[99:100]
	s_waitcnt vmcnt(7)
	v_fma_f64 v[91:92], v[125:126], v[93:94], v[91:92]
	ds_read_b64 v[93:94], v90 offset:696
	s_waitcnt vmcnt(6) lgkmcnt(1)
	v_fma_f64 v[91:92], v[123:124], v[95:96], v[91:92]
	s_waitcnt vmcnt(3)
	v_fma_f64 v[91:92], v[101:102], v[97:98], v[91:92]
	s_waitcnt vmcnt(2) lgkmcnt(0)
	v_fma_f64 v[91:92], v[107:108], v[93:94], v[91:92]
	s_waitcnt vmcnt(0)
	v_add_f64 v[91:92], v[103:104], -v[91:92]
	buffer_store_dword v92, off, s[0:3], 0 offset:52
	buffer_store_dword v91, off, s[0:3], 0 offset:48
	v_cmpx_lt_u32_e32 5, v0
	s_cbranch_execz .LBB107_263
; %bb.262:
	s_clause 0x1
	buffer_load_dword v91, off, s[0:3], 0 offset:40
	buffer_load_dword v92, off, s[0:3], 0 offset:44
	buffer_store_dword v90, off, s[0:3], 0 offset:40
	buffer_store_dword v90, off, s[0:3], 0 offset:44
	s_waitcnt vmcnt(0)
	ds_write_b64 v89, v[91:92]
.LBB107_263:
	s_or_b32 exec_lo, exec_lo, s4
	s_waitcnt lgkmcnt(0)
	s_waitcnt_vscnt null, 0x0
	s_barrier
	buffer_gl0_inv
	s_clause 0x1c
	buffer_load_dword v99, off, s[0:3], 0 offset:48
	buffer_load_dword v100, off, s[0:3], 0 offset:52
	buffer_load_dword v101, off, s[0:3], 0 offset:56
	buffer_load_dword v102, off, s[0:3], 0 offset:60
	buffer_load_dword v103, off, s[0:3], 0 offset:64
	buffer_load_dword v104, off, s[0:3], 0 offset:68
	buffer_load_dword v105, off, s[0:3], 0 offset:72
	buffer_load_dword v106, off, s[0:3], 0 offset:76
	buffer_load_dword v107, off, s[0:3], 0 offset:80
	buffer_load_dword v108, off, s[0:3], 0 offset:84
	buffer_load_dword v109, off, s[0:3], 0 offset:88
	buffer_load_dword v110, off, s[0:3], 0 offset:92
	buffer_load_dword v111, off, s[0:3], 0 offset:96
	buffer_load_dword v112, off, s[0:3], 0 offset:100
	buffer_load_dword v114, off, s[0:3], 0 offset:108
	buffer_load_dword v115, off, s[0:3], 0 offset:128
	buffer_load_dword v117, off, s[0:3], 0 offset:120
	buffer_load_dword v119, off, s[0:3], 0 offset:112
	buffer_load_dword v113, off, s[0:3], 0 offset:104
	buffer_load_dword v120, off, s[0:3], 0 offset:116
	buffer_load_dword v118, off, s[0:3], 0 offset:124
	buffer_load_dword v116, off, s[0:3], 0 offset:132
	buffer_load_dword v122, off, s[0:3], 0 offset:140
	buffer_load_dword v123, off, s[0:3], 0 offset:160
	buffer_load_dword v125, off, s[0:3], 0 offset:152
	buffer_load_dword v127, off, s[0:3], 0 offset:144
	buffer_load_dword v121, off, s[0:3], 0 offset:136
	buffer_load_dword v128, off, s[0:3], 0 offset:148
	buffer_load_dword v126, off, s[0:3], 0 offset:156
	ds_read_b128 v[91:94], v90 offset:400
	ds_read_b128 v[95:98], v90 offset:416
	buffer_load_dword v124, off, s[0:3], 0 offset:164
	s_mov_b32 s4, exec_lo
	s_waitcnt vmcnt(28) lgkmcnt(1)
	v_fma_f64 v[91:92], v[99:100], v[91:92], 0
	s_clause 0x7
	buffer_load_dword v100, off, s[0:3], 0 offset:172
	buffer_load_dword v129, off, s[0:3], 0 offset:192
	buffer_load_dword v131, off, s[0:3], 0 offset:184
	buffer_load_dword v133, off, s[0:3], 0 offset:176
	buffer_load_dword v99, off, s[0:3], 0 offset:168
	buffer_load_dword v134, off, s[0:3], 0 offset:180
	buffer_load_dword v132, off, s[0:3], 0 offset:188
	buffer_load_dword v130, off, s[0:3], 0 offset:196
	s_waitcnt vmcnt(34)
	v_fma_f64 v[91:92], v[101:102], v[93:94], v[91:92]
	s_waitcnt vmcnt(32) lgkmcnt(0)
	v_fma_f64 v[91:92], v[103:104], v[95:96], v[91:92]
	s_waitcnt vmcnt(30)
	v_fma_f64 v[101:102], v[105:106], v[97:98], v[91:92]
	ds_read_b128 v[91:94], v90 offset:432
	ds_read_b128 v[95:98], v90 offset:448
	s_waitcnt vmcnt(28) lgkmcnt(1)
	v_fma_f64 v[91:92], v[107:108], v[91:92], v[101:102]
	s_clause 0x7
	buffer_load_dword v102, off, s[0:3], 0 offset:204
	buffer_load_dword v103, off, s[0:3], 0 offset:224
	buffer_load_dword v105, off, s[0:3], 0 offset:216
	buffer_load_dword v107, off, s[0:3], 0 offset:208
	buffer_load_dword v101, off, s[0:3], 0 offset:200
	buffer_load_dword v108, off, s[0:3], 0 offset:212
	buffer_load_dword v106, off, s[0:3], 0 offset:220
	buffer_load_dword v104, off, s[0:3], 0 offset:228
	s_waitcnt vmcnt(34)
	v_fma_f64 v[91:92], v[109:110], v[93:94], v[91:92]
	s_waitcnt vmcnt(32) lgkmcnt(0)
	v_fma_f64 v[91:92], v[111:112], v[95:96], v[91:92]
	s_waitcnt vmcnt(27)
	v_fma_f64 v[109:110], v[113:114], v[97:98], v[91:92]
	ds_read_b128 v[91:94], v90 offset:464
	ds_read_b128 v[95:98], v90 offset:480
	;; [unrolled: 19-line block ×5, first 2 shown]
	s_waitcnt vmcnt(26) lgkmcnt(1)
	v_fma_f64 v[91:92], v[107:108], v[91:92], v[101:102]
	s_clause 0x5
	buffer_load_dword v102, off, s[0:3], 0 offset:332
	buffer_load_dword v107, off, s[0:3], 0 offset:344
	buffer_load_dword v129, off, s[0:3], 0 offset:336
	buffer_load_dword v101, off, s[0:3], 0 offset:328
	buffer_load_dword v130, off, s[0:3], 0 offset:340
	buffer_load_dword v108, off, s[0:3], 0 offset:348
	s_waitcnt vmcnt(31)
	v_fma_f64 v[91:92], v[105:106], v[93:94], v[91:92]
	s_waitcnt vmcnt(30) lgkmcnt(0)
	v_fma_f64 v[91:92], v[103:104], v[95:96], v[91:92]
	s_waitcnt vmcnt(25)
	v_fma_f64 v[103:104], v[109:110], v[97:98], v[91:92]
	ds_read_b128 v[91:94], v90 offset:592
	s_clause 0x1
	buffer_load_dword v105, off, s[0:3], 0 offset:40
	buffer_load_dword v106, off, s[0:3], 0 offset:44
	ds_read_b128 v[95:98], v90 offset:608
	s_waitcnt vmcnt(26) lgkmcnt(1)
	v_fma_f64 v[91:92], v[119:120], v[91:92], v[103:104]
	s_waitcnt vmcnt(25)
	v_fma_f64 v[91:92], v[113:114], v[93:94], v[91:92]
	s_waitcnt vmcnt(24) lgkmcnt(0)
	v_fma_f64 v[91:92], v[111:112], v[95:96], v[91:92]
	s_waitcnt vmcnt(19)
	v_fma_f64 v[103:104], v[115:116], v[97:98], v[91:92]
	ds_read_b128 v[91:94], v90 offset:624
	ds_read_b128 v[95:98], v90 offset:640
	s_waitcnt vmcnt(18) lgkmcnt(1)
	v_fma_f64 v[91:92], v[127:128], v[91:92], v[103:104]
	s_waitcnt vmcnt(17)
	v_fma_f64 v[91:92], v[121:122], v[93:94], v[91:92]
	s_waitcnt vmcnt(16) lgkmcnt(0)
	v_fma_f64 v[91:92], v[117:118], v[95:96], v[91:92]
	s_waitcnt vmcnt(11)
	v_fma_f64 v[99:100], v[99:100], v[97:98], v[91:92]
	ds_read_b128 v[91:94], v90 offset:656
	;; [unrolled: 10-line block ×3, first 2 shown]
	s_waitcnt vmcnt(3) lgkmcnt(0)
	v_fma_f64 v[90:91], v[129:130], v[90:91], v[94:95]
	s_waitcnt vmcnt(2)
	v_fma_f64 v[90:91], v[107:108], v[92:93], v[90:91]
	s_waitcnt vmcnt(0)
	v_add_f64 v[90:91], v[105:106], -v[90:91]
	buffer_store_dword v91, off, s[0:3], 0 offset:44
	buffer_store_dword v90, off, s[0:3], 0 offset:40
	v_cmpx_lt_u32_e32 4, v0
	s_cbranch_execz .LBB107_265
; %bb.264:
	s_clause 0x1
	buffer_load_dword v90, off, s[0:3], 0 offset:32
	buffer_load_dword v91, off, s[0:3], 0 offset:36
	v_mov_b32_e32 v92, 0
	buffer_store_dword v92, off, s[0:3], 0 offset:32
	buffer_store_dword v92, off, s[0:3], 0 offset:36
	s_waitcnt vmcnt(0)
	ds_write_b64 v89, v[90:91]
.LBB107_265:
	s_or_b32 exec_lo, exec_lo, s4
	s_waitcnt lgkmcnt(0)
	s_waitcnt_vscnt null, 0x0
	s_barrier
	buffer_gl0_inv
	s_clause 0x1c
	buffer_load_dword v99, off, s[0:3], 0 offset:40
	buffer_load_dword v100, off, s[0:3], 0 offset:44
	;; [unrolled: 1-line block ×29, first 2 shown]
	v_mov_b32_e32 v90, 0
	buffer_load_dword v124, off, s[0:3], 0 offset:156
	s_mov_b32 s4, exec_lo
	ds_read2_b64 v[91:94], v90 offset0:49 offset1:50
	ds_read2_b64 v[95:98], v90 offset0:51 offset1:52
	s_waitcnt vmcnt(28) lgkmcnt(1)
	v_fma_f64 v[91:92], v[99:100], v[91:92], 0
	s_clause 0x7
	buffer_load_dword v100, off, s[0:3], 0 offset:164
	buffer_load_dword v129, off, s[0:3], 0 offset:184
	buffer_load_dword v131, off, s[0:3], 0 offset:176
	buffer_load_dword v133, off, s[0:3], 0 offset:168
	buffer_load_dword v99, off, s[0:3], 0 offset:160
	buffer_load_dword v134, off, s[0:3], 0 offset:172
	buffer_load_dword v132, off, s[0:3], 0 offset:180
	buffer_load_dword v130, off, s[0:3], 0 offset:188
	s_waitcnt vmcnt(34)
	v_fma_f64 v[91:92], v[101:102], v[93:94], v[91:92]
	s_waitcnt vmcnt(32) lgkmcnt(0)
	v_fma_f64 v[91:92], v[103:104], v[95:96], v[91:92]
	s_waitcnt vmcnt(30)
	v_fma_f64 v[101:102], v[105:106], v[97:98], v[91:92]
	ds_read2_b64 v[91:94], v90 offset0:53 offset1:54
	ds_read2_b64 v[95:98], v90 offset0:55 offset1:56
	s_waitcnt vmcnt(28) lgkmcnt(1)
	v_fma_f64 v[91:92], v[107:108], v[91:92], v[101:102]
	s_clause 0x7
	buffer_load_dword v102, off, s[0:3], 0 offset:196
	buffer_load_dword v103, off, s[0:3], 0 offset:216
	buffer_load_dword v105, off, s[0:3], 0 offset:208
	buffer_load_dword v107, off, s[0:3], 0 offset:200
	buffer_load_dword v101, off, s[0:3], 0 offset:192
	buffer_load_dword v108, off, s[0:3], 0 offset:204
	buffer_load_dword v106, off, s[0:3], 0 offset:212
	buffer_load_dword v104, off, s[0:3], 0 offset:220
	s_waitcnt vmcnt(34)
	v_fma_f64 v[91:92], v[109:110], v[93:94], v[91:92]
	s_waitcnt vmcnt(32) lgkmcnt(0)
	v_fma_f64 v[91:92], v[111:112], v[95:96], v[91:92]
	s_waitcnt vmcnt(27)
	v_fma_f64 v[109:110], v[113:114], v[97:98], v[91:92]
	;; [unrolled: 19-line block ×6, first 2 shown]
	ds_read2_b64 v[91:94], v90 offset0:73 offset1:74
	ds_read2_b64 v[95:98], v90 offset0:75 offset1:76
	s_waitcnt vmcnt(26) lgkmcnt(1)
	v_fma_f64 v[91:92], v[119:120], v[91:92], v[103:104]
	s_clause 0x1
	buffer_load_dword v103, off, s[0:3], 0 offset:32
	buffer_load_dword v104, off, s[0:3], 0 offset:36
	s_waitcnt vmcnt(27)
	v_fma_f64 v[91:92], v[113:114], v[93:94], v[91:92]
	s_waitcnt vmcnt(26) lgkmcnt(0)
	v_fma_f64 v[91:92], v[111:112], v[95:96], v[91:92]
	s_waitcnt vmcnt(21)
	v_fma_f64 v[105:106], v[115:116], v[97:98], v[91:92]
	ds_read2_b64 v[91:94], v90 offset0:77 offset1:78
	ds_read2_b64 v[95:98], v90 offset0:79 offset1:80
	s_waitcnt vmcnt(20) lgkmcnt(1)
	v_fma_f64 v[91:92], v[127:128], v[91:92], v[105:106]
	s_waitcnt vmcnt(19)
	v_fma_f64 v[91:92], v[121:122], v[93:94], v[91:92]
	s_waitcnt vmcnt(18) lgkmcnt(0)
	v_fma_f64 v[91:92], v[117:118], v[95:96], v[91:92]
	s_waitcnt vmcnt(13)
	v_fma_f64 v[99:100], v[99:100], v[97:98], v[91:92]
	ds_read2_b64 v[91:94], v90 offset0:81 offset1:82
	ds_read2_b64 v[95:98], v90 offset0:83 offset1:84
	s_waitcnt vmcnt(12) lgkmcnt(1)
	v_fma_f64 v[91:92], v[133:134], v[91:92], v[99:100]
	s_waitcnt vmcnt(11)
	v_fma_f64 v[91:92], v[125:126], v[93:94], v[91:92]
	s_waitcnt vmcnt(10) lgkmcnt(0)
	v_fma_f64 v[91:92], v[123:124], v[95:96], v[91:92]
	s_waitcnt vmcnt(5)
	v_fma_f64 v[95:96], v[101:102], v[97:98], v[91:92]
	ds_read2_b64 v[91:94], v90 offset0:85 offset1:86
	ds_read_b64 v[97:98], v90 offset:696
	s_waitcnt vmcnt(4) lgkmcnt(1)
	v_fma_f64 v[91:92], v[131:132], v[91:92], v[95:96]
	s_waitcnt vmcnt(3)
	v_fma_f64 v[91:92], v[129:130], v[93:94], v[91:92]
	s_waitcnt vmcnt(2) lgkmcnt(0)
	v_fma_f64 v[91:92], v[107:108], v[97:98], v[91:92]
	s_waitcnt vmcnt(0)
	v_add_f64 v[91:92], v[103:104], -v[91:92]
	buffer_store_dword v92, off, s[0:3], 0 offset:36
	buffer_store_dword v91, off, s[0:3], 0 offset:32
	v_cmpx_lt_u32_e32 3, v0
	s_cbranch_execz .LBB107_267
; %bb.266:
	s_clause 0x1
	buffer_load_dword v91, off, s[0:3], 0 offset:24
	buffer_load_dword v92, off, s[0:3], 0 offset:28
	buffer_store_dword v90, off, s[0:3], 0 offset:24
	buffer_store_dword v90, off, s[0:3], 0 offset:28
	s_waitcnt vmcnt(0)
	ds_write_b64 v89, v[91:92]
.LBB107_267:
	s_or_b32 exec_lo, exec_lo, s4
	s_waitcnt lgkmcnt(0)
	s_waitcnt_vscnt null, 0x0
	s_barrier
	buffer_gl0_inv
	s_clause 0x1c
	buffer_load_dword v99, off, s[0:3], 0 offset:32
	buffer_load_dword v100, off, s[0:3], 0 offset:36
	;; [unrolled: 1-line block ×29, first 2 shown]
	ds_read_b128 v[91:94], v90 offset:384
	ds_read_b128 v[95:98], v90 offset:400
	buffer_load_dword v124, off, s[0:3], 0 offset:148
	s_mov_b32 s4, exec_lo
	s_waitcnt vmcnt(28) lgkmcnt(1)
	v_fma_f64 v[91:92], v[99:100], v[91:92], 0
	s_clause 0x7
	buffer_load_dword v100, off, s[0:3], 0 offset:156
	buffer_load_dword v129, off, s[0:3], 0 offset:176
	buffer_load_dword v131, off, s[0:3], 0 offset:168
	buffer_load_dword v133, off, s[0:3], 0 offset:160
	buffer_load_dword v99, off, s[0:3], 0 offset:152
	buffer_load_dword v134, off, s[0:3], 0 offset:164
	buffer_load_dword v132, off, s[0:3], 0 offset:172
	buffer_load_dword v130, off, s[0:3], 0 offset:180
	s_waitcnt vmcnt(34)
	v_fma_f64 v[91:92], v[101:102], v[93:94], v[91:92]
	s_waitcnt vmcnt(32) lgkmcnt(0)
	v_fma_f64 v[91:92], v[103:104], v[95:96], v[91:92]
	s_waitcnt vmcnt(30)
	v_fma_f64 v[101:102], v[105:106], v[97:98], v[91:92]
	ds_read_b128 v[91:94], v90 offset:416
	ds_read_b128 v[95:98], v90 offset:432
	s_waitcnt vmcnt(28) lgkmcnt(1)
	v_fma_f64 v[91:92], v[107:108], v[91:92], v[101:102]
	s_clause 0x7
	buffer_load_dword v102, off, s[0:3], 0 offset:188
	buffer_load_dword v103, off, s[0:3], 0 offset:208
	buffer_load_dword v105, off, s[0:3], 0 offset:200
	buffer_load_dword v107, off, s[0:3], 0 offset:192
	buffer_load_dword v101, off, s[0:3], 0 offset:184
	buffer_load_dword v108, off, s[0:3], 0 offset:196
	buffer_load_dword v106, off, s[0:3], 0 offset:204
	buffer_load_dword v104, off, s[0:3], 0 offset:212
	s_waitcnt vmcnt(34)
	v_fma_f64 v[91:92], v[109:110], v[93:94], v[91:92]
	s_waitcnt vmcnt(32) lgkmcnt(0)
	v_fma_f64 v[91:92], v[111:112], v[95:96], v[91:92]
	s_waitcnt vmcnt(27)
	v_fma_f64 v[109:110], v[113:114], v[97:98], v[91:92]
	ds_read_b128 v[91:94], v90 offset:448
	ds_read_b128 v[95:98], v90 offset:464
	;; [unrolled: 19-line block ×6, first 2 shown]
	s_waitcnt vmcnt(26) lgkmcnt(1)
	v_fma_f64 v[91:92], v[119:120], v[91:92], v[103:104]
	s_clause 0x3
	buffer_load_dword v104, off, s[0:3], 0 offset:348
	buffer_load_dword v103, off, s[0:3], 0 offset:344
	;; [unrolled: 1-line block ×4, first 2 shown]
	s_waitcnt vmcnt(29)
	v_fma_f64 v[91:92], v[113:114], v[93:94], v[91:92]
	s_waitcnt vmcnt(28) lgkmcnt(0)
	v_fma_f64 v[91:92], v[111:112], v[95:96], v[91:92]
	s_waitcnt vmcnt(23)
	v_fma_f64 v[109:110], v[115:116], v[97:98], v[91:92]
	ds_read_b128 v[91:94], v90 offset:608
	ds_read_b128 v[95:98], v90 offset:624
	s_waitcnt vmcnt(22) lgkmcnt(1)
	v_fma_f64 v[91:92], v[127:128], v[91:92], v[109:110]
	s_waitcnt vmcnt(21)
	v_fma_f64 v[91:92], v[121:122], v[93:94], v[91:92]
	s_waitcnt vmcnt(20) lgkmcnt(0)
	v_fma_f64 v[91:92], v[117:118], v[95:96], v[91:92]
	s_waitcnt vmcnt(15)
	v_fma_f64 v[99:100], v[99:100], v[97:98], v[91:92]
	ds_read_b128 v[91:94], v90 offset:640
	ds_read_b128 v[95:98], v90 offset:656
	s_waitcnt vmcnt(14) lgkmcnt(1)
	v_fma_f64 v[91:92], v[133:134], v[91:92], v[99:100]
	;; [unrolled: 10-line block ×3, first 2 shown]
	s_waitcnt vmcnt(5)
	v_fma_f64 v[90:91], v[129:130], v[93:94], v[90:91]
	s_waitcnt vmcnt(4) lgkmcnt(0)
	v_fma_f64 v[90:91], v[107:108], v[95:96], v[90:91]
	s_waitcnt vmcnt(2)
	v_fma_f64 v[90:91], v[103:104], v[97:98], v[90:91]
	s_waitcnt vmcnt(0)
	v_add_f64 v[90:91], v[105:106], -v[90:91]
	buffer_store_dword v91, off, s[0:3], 0 offset:28
	buffer_store_dword v90, off, s[0:3], 0 offset:24
	v_cmpx_lt_u32_e32 2, v0
	s_cbranch_execz .LBB107_269
; %bb.268:
	s_clause 0x1
	buffer_load_dword v90, off, s[0:3], 0 offset:16
	buffer_load_dword v91, off, s[0:3], 0 offset:20
	v_mov_b32_e32 v92, 0
	buffer_store_dword v92, off, s[0:3], 0 offset:16
	buffer_store_dword v92, off, s[0:3], 0 offset:20
	s_waitcnt vmcnt(0)
	ds_write_b64 v89, v[90:91]
.LBB107_269:
	s_or_b32 exec_lo, exec_lo, s4
	s_waitcnt lgkmcnt(0)
	s_waitcnt_vscnt null, 0x0
	s_barrier
	buffer_gl0_inv
	s_clause 0x1c
	buffer_load_dword v99, off, s[0:3], 0 offset:24
	buffer_load_dword v100, off, s[0:3], 0 offset:28
	;; [unrolled: 1-line block ×29, first 2 shown]
	v_mov_b32_e32 v90, 0
	buffer_load_dword v124, off, s[0:3], 0 offset:140
	s_mov_b32 s4, exec_lo
	ds_read2_b64 v[91:94], v90 offset0:47 offset1:48
	ds_read2_b64 v[95:98], v90 offset0:49 offset1:50
	s_waitcnt vmcnt(28) lgkmcnt(1)
	v_fma_f64 v[91:92], v[99:100], v[91:92], 0
	s_clause 0x7
	buffer_load_dword v100, off, s[0:3], 0 offset:148
	buffer_load_dword v129, off, s[0:3], 0 offset:168
	buffer_load_dword v131, off, s[0:3], 0 offset:160
	buffer_load_dword v133, off, s[0:3], 0 offset:152
	buffer_load_dword v99, off, s[0:3], 0 offset:144
	buffer_load_dword v134, off, s[0:3], 0 offset:156
	buffer_load_dword v132, off, s[0:3], 0 offset:164
	buffer_load_dword v130, off, s[0:3], 0 offset:172
	s_waitcnt vmcnt(34)
	v_fma_f64 v[91:92], v[101:102], v[93:94], v[91:92]
	s_waitcnt vmcnt(32) lgkmcnt(0)
	v_fma_f64 v[91:92], v[103:104], v[95:96], v[91:92]
	s_waitcnt vmcnt(30)
	v_fma_f64 v[101:102], v[105:106], v[97:98], v[91:92]
	ds_read2_b64 v[91:94], v90 offset0:51 offset1:52
	ds_read2_b64 v[95:98], v90 offset0:53 offset1:54
	s_waitcnt vmcnt(28) lgkmcnt(1)
	v_fma_f64 v[91:92], v[107:108], v[91:92], v[101:102]
	s_clause 0x7
	buffer_load_dword v102, off, s[0:3], 0 offset:180
	buffer_load_dword v103, off, s[0:3], 0 offset:200
	buffer_load_dword v105, off, s[0:3], 0 offset:192
	buffer_load_dword v107, off, s[0:3], 0 offset:184
	buffer_load_dword v101, off, s[0:3], 0 offset:176
	buffer_load_dword v108, off, s[0:3], 0 offset:188
	buffer_load_dword v106, off, s[0:3], 0 offset:196
	buffer_load_dword v104, off, s[0:3], 0 offset:204
	s_waitcnt vmcnt(34)
	v_fma_f64 v[91:92], v[109:110], v[93:94], v[91:92]
	s_waitcnt vmcnt(32) lgkmcnt(0)
	v_fma_f64 v[91:92], v[111:112], v[95:96], v[91:92]
	s_waitcnt vmcnt(27)
	v_fma_f64 v[109:110], v[113:114], v[97:98], v[91:92]
	;; [unrolled: 19-line block ×6, first 2 shown]
	ds_read2_b64 v[91:94], v90 offset0:71 offset1:72
	ds_read2_b64 v[95:98], v90 offset0:73 offset1:74
	s_waitcnt vmcnt(26) lgkmcnt(1)
	v_fma_f64 v[91:92], v[119:120], v[91:92], v[103:104]
	s_clause 0x5
	buffer_load_dword v104, off, s[0:3], 0 offset:340
	buffer_load_dword v105, off, s[0:3], 0 offset:344
	;; [unrolled: 1-line block ×6, first 2 shown]
	s_waitcnt vmcnt(31)
	v_fma_f64 v[91:92], v[113:114], v[93:94], v[91:92]
	s_waitcnt vmcnt(30) lgkmcnt(0)
	v_fma_f64 v[91:92], v[111:112], v[95:96], v[91:92]
	s_waitcnt vmcnt(25)
	v_fma_f64 v[111:112], v[115:116], v[97:98], v[91:92]
	ds_read2_b64 v[91:94], v90 offset0:75 offset1:76
	ds_read2_b64 v[95:98], v90 offset0:77 offset1:78
	s_waitcnt vmcnt(24) lgkmcnt(1)
	v_fma_f64 v[91:92], v[127:128], v[91:92], v[111:112]
	s_waitcnt vmcnt(23)
	v_fma_f64 v[91:92], v[121:122], v[93:94], v[91:92]
	s_waitcnt vmcnt(22) lgkmcnt(0)
	v_fma_f64 v[91:92], v[117:118], v[95:96], v[91:92]
	s_waitcnt vmcnt(17)
	v_fma_f64 v[99:100], v[99:100], v[97:98], v[91:92]
	ds_read2_b64 v[91:94], v90 offset0:79 offset1:80
	ds_read2_b64 v[95:98], v90 offset0:81 offset1:82
	s_waitcnt vmcnt(16) lgkmcnt(1)
	v_fma_f64 v[91:92], v[133:134], v[91:92], v[99:100]
	;; [unrolled: 10-line block ×3, first 2 shown]
	s_waitcnt vmcnt(7)
	v_fma_f64 v[91:92], v[129:130], v[93:94], v[91:92]
	ds_read_b64 v[93:94], v90 offset:696
	s_waitcnt vmcnt(6) lgkmcnt(1)
	v_fma_f64 v[91:92], v[107:108], v[95:96], v[91:92]
	s_waitcnt vmcnt(3)
	v_fma_f64 v[91:92], v[103:104], v[97:98], v[91:92]
	s_waitcnt vmcnt(2) lgkmcnt(0)
	v_fma_f64 v[91:92], v[105:106], v[93:94], v[91:92]
	s_waitcnt vmcnt(0)
	v_add_f64 v[91:92], v[109:110], -v[91:92]
	buffer_store_dword v92, off, s[0:3], 0 offset:20
	buffer_store_dword v91, off, s[0:3], 0 offset:16
	v_cmpx_lt_u32_e32 1, v0
	s_cbranch_execz .LBB107_271
; %bb.270:
	s_clause 0x1
	buffer_load_dword v91, off, s[0:3], 0 offset:8
	buffer_load_dword v92, off, s[0:3], 0 offset:12
	buffer_store_dword v90, off, s[0:3], 0 offset:8
	buffer_store_dword v90, off, s[0:3], 0 offset:12
	s_waitcnt vmcnt(0)
	ds_write_b64 v89, v[91:92]
.LBB107_271:
	s_or_b32 exec_lo, exec_lo, s4
	s_waitcnt lgkmcnt(0)
	s_waitcnt_vscnt null, 0x0
	s_barrier
	buffer_gl0_inv
	s_clause 0x1c
	buffer_load_dword v99, off, s[0:3], 0 offset:16
	buffer_load_dword v100, off, s[0:3], 0 offset:20
	;; [unrolled: 1-line block ×29, first 2 shown]
	ds_read_b128 v[91:94], v90 offset:368
	ds_read_b128 v[95:98], v90 offset:384
	buffer_load_dword v124, off, s[0:3], 0 offset:132
	s_mov_b32 s4, exec_lo
	s_waitcnt vmcnt(28) lgkmcnt(1)
	v_fma_f64 v[91:92], v[99:100], v[91:92], 0
	s_clause 0x7
	buffer_load_dword v100, off, s[0:3], 0 offset:140
	buffer_load_dword v129, off, s[0:3], 0 offset:160
	buffer_load_dword v131, off, s[0:3], 0 offset:152
	buffer_load_dword v133, off, s[0:3], 0 offset:144
	buffer_load_dword v99, off, s[0:3], 0 offset:136
	buffer_load_dword v134, off, s[0:3], 0 offset:148
	buffer_load_dword v132, off, s[0:3], 0 offset:156
	buffer_load_dword v130, off, s[0:3], 0 offset:164
	s_waitcnt vmcnt(34)
	v_fma_f64 v[91:92], v[101:102], v[93:94], v[91:92]
	s_waitcnt vmcnt(32) lgkmcnt(0)
	v_fma_f64 v[91:92], v[103:104], v[95:96], v[91:92]
	s_waitcnt vmcnt(30)
	v_fma_f64 v[101:102], v[105:106], v[97:98], v[91:92]
	ds_read_b128 v[91:94], v90 offset:400
	ds_read_b128 v[95:98], v90 offset:416
	s_waitcnt vmcnt(28) lgkmcnt(1)
	v_fma_f64 v[91:92], v[107:108], v[91:92], v[101:102]
	s_clause 0x7
	buffer_load_dword v102, off, s[0:3], 0 offset:172
	buffer_load_dword v103, off, s[0:3], 0 offset:192
	buffer_load_dword v105, off, s[0:3], 0 offset:184
	buffer_load_dword v107, off, s[0:3], 0 offset:176
	buffer_load_dword v101, off, s[0:3], 0 offset:168
	buffer_load_dword v108, off, s[0:3], 0 offset:180
	buffer_load_dword v106, off, s[0:3], 0 offset:188
	buffer_load_dword v104, off, s[0:3], 0 offset:196
	s_waitcnt vmcnt(34)
	v_fma_f64 v[91:92], v[109:110], v[93:94], v[91:92]
	s_waitcnt vmcnt(32) lgkmcnt(0)
	v_fma_f64 v[91:92], v[111:112], v[95:96], v[91:92]
	s_waitcnt vmcnt(27)
	v_fma_f64 v[109:110], v[113:114], v[97:98], v[91:92]
	ds_read_b128 v[91:94], v90 offset:432
	ds_read_b128 v[95:98], v90 offset:448
	;; [unrolled: 19-line block ×6, first 2 shown]
	s_waitcnt vmcnt(26) lgkmcnt(1)
	v_fma_f64 v[91:92], v[119:120], v[91:92], v[103:104]
	s_clause 0x5
	buffer_load_dword v104, off, s[0:3], 0 offset:332
	buffer_load_dword v105, off, s[0:3], 0 offset:344
	buffer_load_dword v109, off, s[0:3], 0 offset:336
	buffer_load_dword v103, off, s[0:3], 0 offset:328
	buffer_load_dword v110, off, s[0:3], 0 offset:340
	buffer_load_dword v106, off, s[0:3], 0 offset:348
	s_waitcnt vmcnt(31)
	v_fma_f64 v[91:92], v[113:114], v[93:94], v[91:92]
	s_waitcnt vmcnt(30) lgkmcnt(0)
	v_fma_f64 v[91:92], v[111:112], v[95:96], v[91:92]
	s_waitcnt vmcnt(25)
	v_fma_f64 v[111:112], v[115:116], v[97:98], v[91:92]
	ds_read_b128 v[91:94], v90 offset:592
	s_clause 0x1
	buffer_load_dword v113, off, s[0:3], 0 offset:8
	buffer_load_dword v114, off, s[0:3], 0 offset:12
	ds_read_b128 v[95:98], v90 offset:608
	s_waitcnt vmcnt(26) lgkmcnt(1)
	v_fma_f64 v[91:92], v[127:128], v[91:92], v[111:112]
	s_waitcnt vmcnt(25)
	v_fma_f64 v[91:92], v[121:122], v[93:94], v[91:92]
	s_waitcnt vmcnt(24) lgkmcnt(0)
	v_fma_f64 v[91:92], v[117:118], v[95:96], v[91:92]
	s_waitcnt vmcnt(19)
	v_fma_f64 v[99:100], v[99:100], v[97:98], v[91:92]
	ds_read_b128 v[91:94], v90 offset:624
	ds_read_b128 v[95:98], v90 offset:640
	s_waitcnt vmcnt(18) lgkmcnt(1)
	v_fma_f64 v[91:92], v[133:134], v[91:92], v[99:100]
	s_waitcnt vmcnt(17)
	v_fma_f64 v[91:92], v[125:126], v[93:94], v[91:92]
	s_waitcnt vmcnt(16) lgkmcnt(0)
	v_fma_f64 v[91:92], v[123:124], v[95:96], v[91:92]
	s_waitcnt vmcnt(11)
	v_fma_f64 v[99:100], v[101:102], v[97:98], v[91:92]
	ds_read_b128 v[91:94], v90 offset:656
	;; [unrolled: 10-line block ×3, first 2 shown]
	s_waitcnt vmcnt(3) lgkmcnt(0)
	v_fma_f64 v[90:91], v[109:110], v[90:91], v[94:95]
	s_waitcnt vmcnt(2)
	v_fma_f64 v[90:91], v[105:106], v[92:93], v[90:91]
	s_waitcnt vmcnt(0)
	v_add_f64 v[90:91], v[113:114], -v[90:91]
	buffer_store_dword v91, off, s[0:3], 0 offset:12
	buffer_store_dword v90, off, s[0:3], 0 offset:8
	v_cmpx_ne_u32_e32 0, v0
	s_cbranch_execz .LBB107_273
; %bb.272:
	s_clause 0x1
	buffer_load_dword v90, off, s[0:3], 0
	buffer_load_dword v91, off, s[0:3], 0 offset:4
	v_mov_b32_e32 v0, 0
	buffer_store_dword v0, off, s[0:3], 0
	buffer_store_dword v0, off, s[0:3], 0 offset:4
	s_waitcnt vmcnt(0)
	ds_write_b64 v89, v[90:91]
.LBB107_273:
	s_or_b32 exec_lo, exec_lo, s4
	s_waitcnt lgkmcnt(0)
	s_waitcnt_vscnt null, 0x0
	s_barrier
	buffer_gl0_inv
	s_clause 0x1c
	buffer_load_dword v97, off, s[0:3], 0 offset:8
	buffer_load_dword v98, off, s[0:3], 0 offset:12
	;; [unrolled: 1-line block ×29, first 2 shown]
	v_mov_b32_e32 v0, 0
	buffer_load_dword v122, off, s[0:3], 0 offset:124
	s_and_b32 vcc_lo, exec_lo, s16
	ds_read2_b64 v[89:92], v0 offset0:45 offset1:46
	ds_read2_b64 v[93:96], v0 offset0:47 offset1:48
	s_waitcnt vmcnt(28) lgkmcnt(1)
	v_fma_f64 v[89:90], v[97:98], v[89:90], 0
	s_clause 0x7
	buffer_load_dword v98, off, s[0:3], 0 offset:132
	buffer_load_dword v127, off, s[0:3], 0 offset:152
	buffer_load_dword v129, off, s[0:3], 0 offset:144
	buffer_load_dword v131, off, s[0:3], 0 offset:136
	buffer_load_dword v97, off, s[0:3], 0 offset:128
	buffer_load_dword v132, off, s[0:3], 0 offset:140
	buffer_load_dword v130, off, s[0:3], 0 offset:148
	buffer_load_dword v128, off, s[0:3], 0 offset:156
	s_waitcnt vmcnt(34)
	v_fma_f64 v[89:90], v[99:100], v[91:92], v[89:90]
	s_waitcnt vmcnt(32) lgkmcnt(0)
	v_fma_f64 v[89:90], v[101:102], v[93:94], v[89:90]
	s_waitcnt vmcnt(30)
	v_fma_f64 v[99:100], v[103:104], v[95:96], v[89:90]
	ds_read2_b64 v[89:92], v0 offset0:49 offset1:50
	ds_read2_b64 v[93:96], v0 offset0:51 offset1:52
	s_waitcnt vmcnt(28) lgkmcnt(1)
	v_fma_f64 v[89:90], v[105:106], v[89:90], v[99:100]
	s_clause 0x7
	buffer_load_dword v100, off, s[0:3], 0 offset:164
	buffer_load_dword v101, off, s[0:3], 0 offset:184
	buffer_load_dword v103, off, s[0:3], 0 offset:176
	buffer_load_dword v105, off, s[0:3], 0 offset:168
	buffer_load_dword v99, off, s[0:3], 0 offset:160
	buffer_load_dword v106, off, s[0:3], 0 offset:172
	buffer_load_dword v104, off, s[0:3], 0 offset:180
	buffer_load_dword v102, off, s[0:3], 0 offset:188
	s_waitcnt vmcnt(34)
	v_fma_f64 v[89:90], v[107:108], v[91:92], v[89:90]
	s_waitcnt vmcnt(32) lgkmcnt(0)
	v_fma_f64 v[89:90], v[109:110], v[93:94], v[89:90]
	s_waitcnt vmcnt(27)
	v_fma_f64 v[107:108], v[111:112], v[95:96], v[89:90]
	;; [unrolled: 19-line block ×6, first 2 shown]
	ds_read2_b64 v[89:92], v0 offset0:69 offset1:70
	ds_read2_b64 v[93:96], v0 offset0:71 offset1:72
	s_waitcnt vmcnt(26) lgkmcnt(1)
	v_fma_f64 v[97:98], v[117:118], v[89:90], v[97:98]
	s_clause 0x6
	buffer_load_dword v102, off, s[0:3], 0 offset:324
	buffer_load_dword v103, off, s[0:3], 0 offset:344
	;; [unrolled: 1-line block ×7, first 2 shown]
	s_waitcnt vmcnt(32)
	v_fma_f64 v[90:91], v[111:112], v[91:92], v[97:98]
	s_waitcnt vmcnt(31) lgkmcnt(0)
	v_fma_f64 v[91:92], v[109:110], v[93:94], v[90:91]
	buffer_load_dword v90, off, s[0:3], 0 offset:340
	s_waitcnt vmcnt(27)
	v_fma_f64 v[109:110], v[113:114], v[95:96], v[91:92]
	ds_read2_b64 v[91:94], v0 offset0:73 offset1:74
	ds_read2_b64 v[95:98], v0 offset0:75 offset1:76
	s_waitcnt vmcnt(26) lgkmcnt(1)
	v_fma_f64 v[91:92], v[125:126], v[91:92], v[109:110]
	s_clause 0x1
	buffer_load_dword v109, off, s[0:3], 0
	buffer_load_dword v110, off, s[0:3], 0 offset:4
	s_waitcnt vmcnt(27)
	v_fma_f64 v[91:92], v[119:120], v[93:94], v[91:92]
	s_waitcnt vmcnt(26) lgkmcnt(0)
	v_fma_f64 v[91:92], v[115:116], v[95:96], v[91:92]
	s_waitcnt vmcnt(21)
	v_fma_f64 v[111:112], v[121:122], v[97:98], v[91:92]
	ds_read2_b64 v[91:94], v0 offset0:77 offset1:78
	ds_read2_b64 v[95:98], v0 offset0:79 offset1:80
	s_waitcnt vmcnt(20) lgkmcnt(1)
	v_fma_f64 v[91:92], v[133:134], v[91:92], v[111:112]
	s_waitcnt vmcnt(19)
	v_fma_f64 v[91:92], v[131:132], v[93:94], v[91:92]
	s_waitcnt vmcnt(18) lgkmcnt(0)
	v_fma_f64 v[91:92], v[123:124], v[95:96], v[91:92]
	s_waitcnt vmcnt(13)
	v_fma_f64 v[99:100], v[99:100], v[97:98], v[91:92]
	ds_read2_b64 v[91:94], v0 offset0:81 offset1:82
	ds_read2_b64 v[95:98], v0 offset0:83 offset1:84
	s_waitcnt vmcnt(12) lgkmcnt(1)
	v_fma_f64 v[91:92], v[129:130], v[91:92], v[99:100]
	s_waitcnt vmcnt(11)
	v_fma_f64 v[91:92], v[127:128], v[93:94], v[91:92]
	s_waitcnt vmcnt(10) lgkmcnt(0)
	v_fma_f64 v[91:92], v[105:106], v[95:96], v[91:92]
	s_waitcnt vmcnt(5)
	v_fma_f64 v[95:96], v[101:102], v[97:98], v[91:92]
	ds_read2_b64 v[91:94], v0 offset0:85 offset1:86
	ds_read_b64 v[97:98], v0 offset:696
	s_waitcnt vmcnt(4) lgkmcnt(1)
	v_fma_f64 v[91:92], v[107:108], v[91:92], v[95:96]
	s_waitcnt vmcnt(2)
	v_fma_f64 v[91:92], v[89:90], v[93:94], v[91:92]
	s_waitcnt lgkmcnt(0)
	v_fma_f64 v[91:92], v[103:104], v[97:98], v[91:92]
	s_waitcnt vmcnt(0)
	v_add_f64 v[91:92], v[109:110], -v[91:92]
	buffer_store_dword v92, off, s[0:3], 0 offset:4
	buffer_store_dword v91, off, s[0:3], 0
	s_cbranch_vccz .LBB107_360
; %bb.274:
	global_load_dword v0, v0, s[12:13] offset:168
	s_waitcnt vmcnt(0)
	v_add_nc_u32_e32 v0, -1, v0
	v_cmp_ne_u32_e32 vcc_lo, 42, v0
	s_cbranch_vccz .LBB107_276
; %bb.275:
	v_lshlrev_b32_e32 v0, 3, v0
	s_clause 0x1
	buffer_load_dword v91, v0, s[0:3], 0 offen offset:4
	buffer_load_dword v92, v0, s[0:3], 0 offen
	s_waitcnt vmcnt(1)
	buffer_store_dword v91, off, s[0:3], 0 offset:340
	s_waitcnt vmcnt(0)
	buffer_store_dword v92, off, s[0:3], 0 offset:336
	buffer_store_dword v90, v0, s[0:3], 0 offen offset:4
	buffer_store_dword v89, v0, s[0:3], 0 offen
.LBB107_276:
	v_mov_b32_e32 v0, 0
	global_load_dword v89, v0, s[12:13] offset:164
	s_waitcnt vmcnt(0)
	v_add_nc_u32_e32 v89, -1, v89
	v_cmp_eq_u32_e32 vcc_lo, 41, v89
	s_cbranch_vccnz .LBB107_278
; %bb.277:
	v_lshlrev_b32_e32 v89, 3, v89
	s_clause 0x3
	buffer_load_dword v90, v89, s[0:3], 0 offen
	buffer_load_dword v91, v89, s[0:3], 0 offen offset:4
	buffer_load_dword v92, off, s[0:3], 0 offset:328
	buffer_load_dword v93, off, s[0:3], 0 offset:332
	s_waitcnt vmcnt(3)
	buffer_store_dword v90, off, s[0:3], 0 offset:328
	s_waitcnt vmcnt(2)
	buffer_store_dword v91, off, s[0:3], 0 offset:332
	s_waitcnt vmcnt(1)
	buffer_store_dword v92, v89, s[0:3], 0 offen
	s_waitcnt vmcnt(0)
	buffer_store_dword v93, v89, s[0:3], 0 offen offset:4
.LBB107_278:
	global_load_dword v0, v0, s[12:13] offset:160
	s_waitcnt vmcnt(0)
	v_add_nc_u32_e32 v0, -1, v0
	v_cmp_eq_u32_e32 vcc_lo, 40, v0
	s_cbranch_vccnz .LBB107_280
; %bb.279:
	v_lshlrev_b32_e32 v0, 3, v0
	s_clause 0x3
	buffer_load_dword v89, v0, s[0:3], 0 offen
	buffer_load_dword v90, v0, s[0:3], 0 offen offset:4
	buffer_load_dword v91, off, s[0:3], 0 offset:324
	buffer_load_dword v92, off, s[0:3], 0 offset:320
	s_waitcnt vmcnt(3)
	buffer_store_dword v89, off, s[0:3], 0 offset:320
	s_waitcnt vmcnt(2)
	buffer_store_dword v90, off, s[0:3], 0 offset:324
	s_waitcnt vmcnt(1)
	buffer_store_dword v91, v0, s[0:3], 0 offen offset:4
	s_waitcnt vmcnt(0)
	buffer_store_dword v92, v0, s[0:3], 0 offen
.LBB107_280:
	v_mov_b32_e32 v0, 0
	global_load_dword v89, v0, s[12:13] offset:156
	s_waitcnt vmcnt(0)
	v_add_nc_u32_e32 v89, -1, v89
	v_cmp_eq_u32_e32 vcc_lo, 39, v89
	s_cbranch_vccnz .LBB107_282
; %bb.281:
	v_lshlrev_b32_e32 v89, 3, v89
	s_clause 0x3
	buffer_load_dword v90, v89, s[0:3], 0 offen
	buffer_load_dword v91, v89, s[0:3], 0 offen offset:4
	buffer_load_dword v92, off, s[0:3], 0 offset:312
	buffer_load_dword v93, off, s[0:3], 0 offset:316
	s_waitcnt vmcnt(3)
	buffer_store_dword v90, off, s[0:3], 0 offset:312
	s_waitcnt vmcnt(2)
	buffer_store_dword v91, off, s[0:3], 0 offset:316
	s_waitcnt vmcnt(1)
	buffer_store_dword v92, v89, s[0:3], 0 offen
	s_waitcnt vmcnt(0)
	buffer_store_dword v93, v89, s[0:3], 0 offen offset:4
.LBB107_282:
	global_load_dword v0, v0, s[12:13] offset:152
	s_waitcnt vmcnt(0)
	v_add_nc_u32_e32 v0, -1, v0
	v_cmp_eq_u32_e32 vcc_lo, 38, v0
	s_cbranch_vccnz .LBB107_284
; %bb.283:
	v_lshlrev_b32_e32 v0, 3, v0
	s_clause 0x3
	buffer_load_dword v89, v0, s[0:3], 0 offen
	buffer_load_dword v90, v0, s[0:3], 0 offen offset:4
	buffer_load_dword v91, off, s[0:3], 0 offset:308
	buffer_load_dword v92, off, s[0:3], 0 offset:304
	s_waitcnt vmcnt(3)
	buffer_store_dword v89, off, s[0:3], 0 offset:304
	s_waitcnt vmcnt(2)
	buffer_store_dword v90, off, s[0:3], 0 offset:308
	s_waitcnt vmcnt(1)
	buffer_store_dword v91, v0, s[0:3], 0 offen offset:4
	s_waitcnt vmcnt(0)
	buffer_store_dword v92, v0, s[0:3], 0 offen
.LBB107_284:
	;; [unrolled: 43-line block ×20, first 2 shown]
	v_mov_b32_e32 v0, 0
	global_load_dword v89, v0, s[12:13] offset:4
	s_waitcnt vmcnt(0)
	v_add_nc_u32_e32 v89, -1, v89
	v_cmp_eq_u32_e32 vcc_lo, 1, v89
	s_cbranch_vccnz .LBB107_358
; %bb.357:
	v_lshlrev_b32_e32 v89, 3, v89
	s_clause 0x3
	buffer_load_dword v90, v89, s[0:3], 0 offen
	buffer_load_dword v91, v89, s[0:3], 0 offen offset:4
	buffer_load_dword v92, off, s[0:3], 0 offset:8
	buffer_load_dword v93, off, s[0:3], 0 offset:12
	s_waitcnt vmcnt(3)
	buffer_store_dword v90, off, s[0:3], 0 offset:8
	s_waitcnt vmcnt(2)
	buffer_store_dword v91, off, s[0:3], 0 offset:12
	s_waitcnt vmcnt(1)
	buffer_store_dword v92, v89, s[0:3], 0 offen
	s_waitcnt vmcnt(0)
	buffer_store_dword v93, v89, s[0:3], 0 offen offset:4
.LBB107_358:
	global_load_dword v0, v0, s[12:13]
	s_clause 0x1
	buffer_load_dword v91, off, s[0:3], 0
	buffer_load_dword v92, off, s[0:3], 0 offset:4
	s_waitcnt vmcnt(2)
	v_add_nc_u32_e32 v0, -1, v0
	v_cmp_eq_u32_e32 vcc_lo, 0, v0
	s_cbranch_vccnz .LBB107_360
; %bb.359:
	v_lshlrev_b32_e32 v0, 3, v0
	s_clause 0x1
	buffer_load_dword v89, v0, s[0:3], 0 offen offset:4
	buffer_load_dword v90, v0, s[0:3], 0 offen
	s_waitcnt vmcnt(1)
	buffer_store_dword v89, off, s[0:3], 0 offset:4
	s_waitcnt vmcnt(0)
	buffer_store_dword v90, off, s[0:3], 0
	buffer_store_dword v92, v0, s[0:3], 0 offen offset:4
	buffer_store_dword v91, v0, s[0:3], 0 offen
	s_clause 0x1
	buffer_load_dword v91, off, s[0:3], 0
	buffer_load_dword v92, off, s[0:3], 0 offset:4
.LBB107_360:
	s_waitcnt vmcnt(0)
	flat_store_dwordx2 v[1:2], v[91:92]
	s_clause 0x1
	buffer_load_dword v0, off, s[0:3], 0 offset:8
	buffer_load_dword v1, off, s[0:3], 0 offset:12
	s_waitcnt vmcnt(0)
	flat_store_dwordx2 v[3:4], v[0:1]
	s_clause 0x1
	buffer_load_dword v0, off, s[0:3], 0 offset:16
	buffer_load_dword v1, off, s[0:3], 0 offset:20
	;; [unrolled: 5-line block ×43, first 2 shown]
	s_waitcnt vmcnt(0)
	flat_store_dwordx2 v[87:88], v[0:1]
	s_endpgm
	.section	.rodata,"a",@progbits
	.p2align	6, 0x0
	.amdhsa_kernel _ZN9rocsolver6v33100L18getri_kernel_smallILi44EdPKPdEEvT1_iilPiilS6_bb
		.amdhsa_group_segment_fixed_size 712
		.amdhsa_private_segment_fixed_size 368
		.amdhsa_kernarg_size 60
		.amdhsa_user_sgpr_count 6
		.amdhsa_user_sgpr_private_segment_buffer 1
		.amdhsa_user_sgpr_dispatch_ptr 0
		.amdhsa_user_sgpr_queue_ptr 0
		.amdhsa_user_sgpr_kernarg_segment_ptr 1
		.amdhsa_user_sgpr_dispatch_id 0
		.amdhsa_user_sgpr_flat_scratch_init 0
		.amdhsa_user_sgpr_private_segment_size 0
		.amdhsa_wavefront_size32 1
		.amdhsa_uses_dynamic_stack 0
		.amdhsa_system_sgpr_private_segment_wavefront_offset 1
		.amdhsa_system_sgpr_workgroup_id_x 1
		.amdhsa_system_sgpr_workgroup_id_y 0
		.amdhsa_system_sgpr_workgroup_id_z 0
		.amdhsa_system_sgpr_workgroup_info 0
		.amdhsa_system_vgpr_workitem_id 0
		.amdhsa_next_free_vgpr 135
		.amdhsa_next_free_sgpr 20
		.amdhsa_reserve_vcc 1
		.amdhsa_reserve_flat_scratch 0
		.amdhsa_float_round_mode_32 0
		.amdhsa_float_round_mode_16_64 0
		.amdhsa_float_denorm_mode_32 3
		.amdhsa_float_denorm_mode_16_64 3
		.amdhsa_dx10_clamp 1
		.amdhsa_ieee_mode 1
		.amdhsa_fp16_overflow 0
		.amdhsa_workgroup_processor_mode 1
		.amdhsa_memory_ordered 1
		.amdhsa_forward_progress 1
		.amdhsa_shared_vgpr_count 0
		.amdhsa_exception_fp_ieee_invalid_op 0
		.amdhsa_exception_fp_denorm_src 0
		.amdhsa_exception_fp_ieee_div_zero 0
		.amdhsa_exception_fp_ieee_overflow 0
		.amdhsa_exception_fp_ieee_underflow 0
		.amdhsa_exception_fp_ieee_inexact 0
		.amdhsa_exception_int_div_zero 0
	.end_amdhsa_kernel
	.section	.text._ZN9rocsolver6v33100L18getri_kernel_smallILi44EdPKPdEEvT1_iilPiilS6_bb,"axG",@progbits,_ZN9rocsolver6v33100L18getri_kernel_smallILi44EdPKPdEEvT1_iilPiilS6_bb,comdat
.Lfunc_end107:
	.size	_ZN9rocsolver6v33100L18getri_kernel_smallILi44EdPKPdEEvT1_iilPiilS6_bb, .Lfunc_end107-_ZN9rocsolver6v33100L18getri_kernel_smallILi44EdPKPdEEvT1_iilPiilS6_bb
                                        ; -- End function
	.set _ZN9rocsolver6v33100L18getri_kernel_smallILi44EdPKPdEEvT1_iilPiilS6_bb.num_vgpr, 135
	.set _ZN9rocsolver6v33100L18getri_kernel_smallILi44EdPKPdEEvT1_iilPiilS6_bb.num_agpr, 0
	.set _ZN9rocsolver6v33100L18getri_kernel_smallILi44EdPKPdEEvT1_iilPiilS6_bb.numbered_sgpr, 20
	.set _ZN9rocsolver6v33100L18getri_kernel_smallILi44EdPKPdEEvT1_iilPiilS6_bb.num_named_barrier, 0
	.set _ZN9rocsolver6v33100L18getri_kernel_smallILi44EdPKPdEEvT1_iilPiilS6_bb.private_seg_size, 368
	.set _ZN9rocsolver6v33100L18getri_kernel_smallILi44EdPKPdEEvT1_iilPiilS6_bb.uses_vcc, 1
	.set _ZN9rocsolver6v33100L18getri_kernel_smallILi44EdPKPdEEvT1_iilPiilS6_bb.uses_flat_scratch, 0
	.set _ZN9rocsolver6v33100L18getri_kernel_smallILi44EdPKPdEEvT1_iilPiilS6_bb.has_dyn_sized_stack, 0
	.set _ZN9rocsolver6v33100L18getri_kernel_smallILi44EdPKPdEEvT1_iilPiilS6_bb.has_recursion, 0
	.set _ZN9rocsolver6v33100L18getri_kernel_smallILi44EdPKPdEEvT1_iilPiilS6_bb.has_indirect_call, 0
	.section	.AMDGPU.csdata,"",@progbits
; Kernel info:
; codeLenInByte = 55760
; TotalNumSgprs: 22
; NumVgprs: 135
; ScratchSize: 368
; MemoryBound: 1
; FloatMode: 240
; IeeeMode: 1
; LDSByteSize: 712 bytes/workgroup (compile time only)
; SGPRBlocks: 0
; VGPRBlocks: 16
; NumSGPRsForWavesPerEU: 22
; NumVGPRsForWavesPerEU: 135
; Occupancy: 7
; WaveLimiterHint : 1
; COMPUTE_PGM_RSRC2:SCRATCH_EN: 1
; COMPUTE_PGM_RSRC2:USER_SGPR: 6
; COMPUTE_PGM_RSRC2:TRAP_HANDLER: 0
; COMPUTE_PGM_RSRC2:TGID_X_EN: 1
; COMPUTE_PGM_RSRC2:TGID_Y_EN: 0
; COMPUTE_PGM_RSRC2:TGID_Z_EN: 0
; COMPUTE_PGM_RSRC2:TIDIG_COMP_CNT: 0
	.section	.text._ZN9rocsolver6v33100L18getri_kernel_smallILi45EdPKPdEEvT1_iilPiilS6_bb,"axG",@progbits,_ZN9rocsolver6v33100L18getri_kernel_smallILi45EdPKPdEEvT1_iilPiilS6_bb,comdat
	.globl	_ZN9rocsolver6v33100L18getri_kernel_smallILi45EdPKPdEEvT1_iilPiilS6_bb ; -- Begin function _ZN9rocsolver6v33100L18getri_kernel_smallILi45EdPKPdEEvT1_iilPiilS6_bb
	.p2align	8
	.type	_ZN9rocsolver6v33100L18getri_kernel_smallILi45EdPKPdEEvT1_iilPiilS6_bb,@function
_ZN9rocsolver6v33100L18getri_kernel_smallILi45EdPKPdEEvT1_iilPiilS6_bb: ; @_ZN9rocsolver6v33100L18getri_kernel_smallILi45EdPKPdEEvT1_iilPiilS6_bb
; %bb.0:
	s_add_u32 s0, s0, s7
	s_addc_u32 s1, s1, 0
	s_mov_b32 s7, exec_lo
	v_cmpx_gt_u32_e32 45, v0
	s_cbranch_execz .LBB108_190
; %bb.1:
	s_clause 0x2
	s_load_dword s17, s[4:5], 0x38
	s_load_dwordx2 s[12:13], s[4:5], 0x0
	s_load_dwordx4 s[8:11], s[4:5], 0x28
	s_waitcnt lgkmcnt(0)
	s_bitcmp1_b32 s17, 8
	s_cselect_b32 s16, -1, 0
	s_ashr_i32 s7, s6, 31
	s_lshl_b64 s[14:15], s[6:7], 3
	s_add_u32 s12, s12, s14
	s_addc_u32 s13, s13, s15
	s_load_dwordx2 s[14:15], s[12:13], 0x0
	s_bfe_u32 s12, s17, 0x10008
	s_cmp_eq_u32 s12, 0
                                        ; implicit-def: $sgpr12_sgpr13
	s_cbranch_scc1 .LBB108_3
; %bb.2:
	s_clause 0x1
	s_load_dword s12, s[4:5], 0x20
	s_load_dwordx2 s[18:19], s[4:5], 0x18
	s_mul_i32 s13, s8, s7
	s_mul_hi_u32 s17, s8, s6
	s_mul_i32 s9, s9, s6
	s_add_i32 s13, s17, s13
	s_mul_i32 s8, s8, s6
	s_add_i32 s9, s13, s9
	s_lshl_b64 s[8:9], s[8:9], 2
	s_waitcnt lgkmcnt(0)
	s_ashr_i32 s13, s12, 31
	s_add_u32 s17, s18, s8
	s_addc_u32 s18, s19, s9
	s_lshl_b64 s[8:9], s[12:13], 2
	s_add_u32 s12, s17, s8
	s_addc_u32 s13, s18, s9
.LBB108_3:
	s_clause 0x1
	s_load_dwordx2 s[8:9], s[4:5], 0x8
	s_load_dword s17, s[4:5], 0x38
	v_lshlrev_b32_e32 v93, 3, v0
	s_waitcnt lgkmcnt(0)
	s_ashr_i32 s5, s8, 31
	s_mov_b32 s4, s8
	v_add3_u32 v9, s9, s9, v0
	s_lshl_b64 s[4:5], s[4:5], 3
	s_add_u32 s4, s14, s4
	s_addc_u32 s5, s15, s5
	v_add_co_u32 v1, s8, s4, v93
	v_add_co_ci_u32_e64 v2, null, s5, 0, s8
	s_mov_b32 s14, s9
	s_ashr_i32 s15, s9, 31
	v_ashrrev_i32_e32 v10, 31, v9
	flat_load_dwordx2 v[5:6], v[1:2]
	s_lshl_b64 s[14:15], s[14:15], 3
	v_add_nc_u32_e32 v12, s9, v9
	v_add_co_u32 v3, vcc_lo, v1, s14
	v_add_co_ci_u32_e64 v4, null, s15, v2, vcc_lo
	v_ashrrev_i32_e32 v13, 31, v12
	s_bitcmp0_b32 s17, 0
	s_waitcnt vmcnt(0) lgkmcnt(0)
	buffer_store_dword v6, off, s[0:3], 0 offset:4
	buffer_store_dword v5, off, s[0:3], 0
	flat_load_dwordx2 v[7:8], v[3:4]
	v_lshlrev_b64 v[5:6], 3, v[9:10]
	s_waitcnt vmcnt(0) lgkmcnt(0)
	buffer_store_dword v8, off, s[0:3], 0 offset:12
	buffer_store_dword v7, off, s[0:3], 0 offset:8
	v_add_co_u32 v5, vcc_lo, s4, v5
	v_add_co_ci_u32_e64 v6, null, s5, v6, vcc_lo
	v_lshlrev_b64 v[7:8], 3, v[12:13]
	flat_load_dwordx2 v[10:11], v[5:6]
	s_waitcnt vmcnt(0) lgkmcnt(0)
	buffer_store_dword v11, off, s[0:3], 0 offset:20
	buffer_store_dword v10, off, s[0:3], 0 offset:16
	v_add_co_u32 v7, vcc_lo, s4, v7
	v_add_co_ci_u32_e64 v8, null, s5, v8, vcc_lo
	v_add_nc_u32_e32 v11, s9, v12
	flat_load_dwordx2 v[13:14], v[7:8]
	s_waitcnt vmcnt(0) lgkmcnt(0)
	buffer_store_dword v14, off, s[0:3], 0 offset:28
	buffer_store_dword v13, off, s[0:3], 0 offset:24
	v_ashrrev_i32_e32 v12, 31, v11
	v_add_nc_u32_e32 v15, s9, v11
	v_lshlrev_b64 v[9:10], 3, v[11:12]
	v_ashrrev_i32_e32 v16, 31, v15
	v_add_nc_u32_e32 v18, s9, v15
	v_add_co_u32 v9, vcc_lo, s4, v9
	v_add_co_ci_u32_e64 v10, null, s5, v10, vcc_lo
	v_lshlrev_b64 v[11:12], 3, v[15:16]
	v_ashrrev_i32_e32 v19, 31, v18
	flat_load_dwordx2 v[13:14], v[9:10]
	s_waitcnt vmcnt(0) lgkmcnt(0)
	buffer_store_dword v14, off, s[0:3], 0 offset:36
	buffer_store_dword v13, off, s[0:3], 0 offset:32
	v_add_co_u32 v11, vcc_lo, s4, v11
	v_add_co_ci_u32_e64 v12, null, s5, v12, vcc_lo
	v_lshlrev_b64 v[13:14], 3, v[18:19]
	flat_load_dwordx2 v[16:17], v[11:12]
	s_waitcnt vmcnt(0) lgkmcnt(0)
	buffer_store_dword v17, off, s[0:3], 0 offset:44
	buffer_store_dword v16, off, s[0:3], 0 offset:40
	v_add_co_u32 v13, vcc_lo, s4, v13
	v_add_co_ci_u32_e64 v14, null, s5, v14, vcc_lo
	v_add_nc_u32_e32 v17, s9, v18
	flat_load_dwordx2 v[19:20], v[13:14]
	s_waitcnt vmcnt(0) lgkmcnt(0)
	buffer_store_dword v20, off, s[0:3], 0 offset:52
	buffer_store_dword v19, off, s[0:3], 0 offset:48
	v_ashrrev_i32_e32 v18, 31, v17
	v_add_nc_u32_e32 v21, s9, v17
	v_lshlrev_b64 v[15:16], 3, v[17:18]
	v_ashrrev_i32_e32 v22, 31, v21
	v_add_nc_u32_e32 v24, s9, v21
	v_add_co_u32 v15, vcc_lo, s4, v15
	v_add_co_ci_u32_e64 v16, null, s5, v16, vcc_lo
	v_lshlrev_b64 v[17:18], 3, v[21:22]
	v_ashrrev_i32_e32 v25, 31, v24
	flat_load_dwordx2 v[19:20], v[15:16]
	;; [unrolled: 27-line block ×13, first 2 shown]
	s_waitcnt vmcnt(0) lgkmcnt(0)
	buffer_store_dword v86, off, s[0:3], 0 offset:324
	buffer_store_dword v85, off, s[0:3], 0 offset:320
	v_add_co_u32 v83, vcc_lo, s4, v83
	v_add_co_ci_u32_e64 v84, null, s5, v84, vcc_lo
	v_lshlrev_b64 v[85:86], 3, v[90:91]
	flat_load_dwordx2 v[88:89], v[83:84]
	s_waitcnt vmcnt(0) lgkmcnt(0)
	buffer_store_dword v89, off, s[0:3], 0 offset:332
	buffer_store_dword v88, off, s[0:3], 0 offset:328
	v_add_co_u32 v85, vcc_lo, s4, v85
	v_add_co_ci_u32_e64 v86, null, s5, v86, vcc_lo
	v_add_nc_u32_e32 v89, s9, v90
	flat_load_dwordx2 v[91:92], v[85:86]
	s_waitcnt vmcnt(0) lgkmcnt(0)
	buffer_store_dword v92, off, s[0:3], 0 offset:340
	buffer_store_dword v91, off, s[0:3], 0 offset:336
	v_ashrrev_i32_e32 v90, 31, v89
	v_lshlrev_b64 v[87:88], 3, v[89:90]
	v_add_nc_u32_e32 v89, s9, v89
	v_add_co_u32 v87, vcc_lo, s4, v87
	v_add_co_ci_u32_e64 v88, null, s5, v88, vcc_lo
	v_ashrrev_i32_e32 v90, 31, v89
	flat_load_dwordx2 v[91:92], v[87:88]
	s_waitcnt vmcnt(0) lgkmcnt(0)
	buffer_store_dword v92, off, s[0:3], 0 offset:348
	buffer_store_dword v91, off, s[0:3], 0 offset:344
	v_lshlrev_b64 v[89:90], 3, v[89:90]
	v_add_co_u32 v89, vcc_lo, s4, v89
	v_add_co_ci_u32_e64 v90, null, s5, v90, vcc_lo
	s_mov_b32 s5, -1
	flat_load_dwordx2 v[91:92], v[89:90]
	s_waitcnt vmcnt(0) lgkmcnt(0)
	buffer_store_dword v92, off, s[0:3], 0 offset:356
	buffer_store_dword v91, off, s[0:3], 0 offset:352
	s_cbranch_scc1 .LBB108_188
; %bb.4:
	v_cmp_eq_u32_e64 s4, 0, v0
	s_and_saveexec_b32 s5, s4
; %bb.5:
	v_mov_b32_e32 v91, 0
	ds_write_b32 v91, v91 offset:360
; %bb.6:
	s_or_b32 exec_lo, exec_lo, s5
	v_lshl_add_u32 v91, v0, 3, 0
	s_waitcnt lgkmcnt(0)
	s_waitcnt_vscnt null, 0x0
	s_barrier
	buffer_gl0_inv
	s_mov_b32 s8, exec_lo
	s_clause 0x1
	buffer_load_dword v94, v91, s[0:3], 0 offen
	buffer_load_dword v95, v91, s[0:3], 0 offen offset:4
	s_waitcnt vmcnt(0)
	v_cmpx_eq_f64_e32 0, v[94:95]
	s_cbranch_execz .LBB108_10
; %bb.7:
	v_mov_b32_e32 v92, 0
	s_mov_b32 s9, 0
	ds_read_b32 v94, v92 offset:360
	s_waitcnt lgkmcnt(0)
	v_readfirstlane_b32 s5, v94
	v_add_nc_u32_e32 v94, 1, v0
	s_cmp_eq_u32 s5, 0
	v_cmp_gt_i32_e32 vcc_lo, s5, v94
	s_cselect_b32 s14, -1, 0
	s_or_b32 s14, s14, vcc_lo
	s_and_b32 exec_lo, exec_lo, s14
	s_cbranch_execz .LBB108_10
; %bb.8:
	v_mov_b32_e32 v95, s5
.LBB108_9:                              ; =>This Inner Loop Header: Depth=1
	ds_cmpst_rtn_b32 v95, v92, v95, v94 offset:360
	s_waitcnt lgkmcnt(0)
	v_cmp_ne_u32_e32 vcc_lo, 0, v95
	v_cmp_le_i32_e64 s5, v95, v94
	s_and_b32 s5, vcc_lo, s5
	s_and_b32 s5, exec_lo, s5
	s_or_b32 s9, s5, s9
	s_andn2_b32 exec_lo, exec_lo, s9
	s_cbranch_execnz .LBB108_9
.LBB108_10:
	s_or_b32 exec_lo, exec_lo, s8
	v_mov_b32_e32 v92, 0
	s_barrier
	buffer_gl0_inv
	ds_read_b32 v94, v92 offset:360
	s_and_saveexec_b32 s5, s4
	s_cbranch_execz .LBB108_12
; %bb.11:
	s_lshl_b64 s[8:9], s[6:7], 2
	s_add_u32 s8, s10, s8
	s_addc_u32 s9, s11, s9
	s_waitcnt lgkmcnt(0)
	global_store_dword v92, v94, s[8:9]
.LBB108_12:
	s_or_b32 exec_lo, exec_lo, s5
	s_waitcnt lgkmcnt(0)
	v_cmp_ne_u32_e32 vcc_lo, 0, v94
	s_mov_b32 s5, 0
	s_cbranch_vccnz .LBB108_188
; %bb.13:
	s_clause 0x1
	buffer_load_dword v94, v91, s[0:3], 0 offen
	buffer_load_dword v95, v91, s[0:3], 0 offen offset:4
	s_waitcnt vmcnt(0)
	v_div_scale_f64 v[96:97], null, v[94:95], v[94:95], 1.0
	v_div_scale_f64 v[102:103], vcc_lo, 1.0, v[94:95], 1.0
	v_rcp_f64_e32 v[98:99], v[96:97]
	v_fma_f64 v[100:101], -v[96:97], v[98:99], 1.0
	v_fma_f64 v[98:99], v[98:99], v[100:101], v[98:99]
	v_fma_f64 v[100:101], -v[96:97], v[98:99], 1.0
	v_fma_f64 v[98:99], v[98:99], v[100:101], v[98:99]
	v_mul_f64 v[100:101], v[102:103], v[98:99]
	v_fma_f64 v[96:97], -v[96:97], v[100:101], v[102:103]
	v_div_fmas_f64 v[96:97], v[96:97], v[98:99], v[100:101]
	v_div_fixup_f64 v[95:96], v[96:97], v[94:95], 1.0
	v_add_nc_u32_e32 v94, 0x170, v93
	buffer_store_dword v96, v91, s[0:3], 0 offen offset:4
	buffer_store_dword v95, v91, s[0:3], 0 offen
	s_clause 0x1
	buffer_load_dword v98, off, s[0:3], 0 offset:12
	buffer_load_dword v97, off, s[0:3], 0 offset:8
	v_xor_b32_e32 v96, 0x80000000, v96
	s_waitcnt vmcnt(0)
	ds_write2_b64 v93, v[95:96], v[97:98] offset1:46
	s_waitcnt lgkmcnt(0)
	s_waitcnt_vscnt null, 0x0
	s_barrier
	buffer_gl0_inv
	s_and_saveexec_b32 s5, s4
	s_cbranch_execz .LBB108_15
; %bb.14:
	s_clause 0x1
	buffer_load_dword v95, v91, s[0:3], 0 offen
	buffer_load_dword v96, v91, s[0:3], 0 offen offset:4
	ds_read_b64 v[97:98], v94
	v_mov_b32_e32 v92, 0
	ds_read_b64 v[99:100], v92 offset:8
	s_waitcnt vmcnt(0) lgkmcnt(1)
	v_fma_f64 v[95:96], v[95:96], v[97:98], 0
	s_waitcnt lgkmcnt(0)
	v_mul_f64 v[95:96], v[95:96], v[99:100]
	buffer_store_dword v95, off, s[0:3], 0 offset:8
	buffer_store_dword v96, off, s[0:3], 0 offset:12
.LBB108_15:
	s_or_b32 exec_lo, exec_lo, s5
	s_waitcnt_vscnt null, 0x0
	s_barrier
	buffer_gl0_inv
	s_clause 0x1
	buffer_load_dword v95, off, s[0:3], 0 offset:16
	buffer_load_dword v96, off, s[0:3], 0 offset:20
	s_mov_b32 s5, exec_lo
	s_waitcnt vmcnt(0)
	ds_write_b64 v94, v[95:96]
	s_waitcnt lgkmcnt(0)
	s_barrier
	buffer_gl0_inv
	v_cmpx_gt_u32_e32 2, v0
	s_cbranch_execz .LBB108_19
; %bb.16:
	s_clause 0x1
	buffer_load_dword v95, v91, s[0:3], 0 offen
	buffer_load_dword v96, v91, s[0:3], 0 offen offset:4
	ds_read_b64 v[91:92], v94
	s_waitcnt vmcnt(0) lgkmcnt(0)
	v_fma_f64 v[91:92], v[95:96], v[91:92], 0
	s_and_saveexec_b32 s8, s4
	s_cbranch_execz .LBB108_18
; %bb.17:
	s_clause 0x1
	buffer_load_dword v95, off, s[0:3], 0 offset:8
	buffer_load_dword v96, off, s[0:3], 0 offset:12
	v_mov_b32_e32 v97, 0
	ds_read_b64 v[97:98], v97 offset:376
	s_waitcnt vmcnt(0) lgkmcnt(0)
	v_fma_f64 v[91:92], v[95:96], v[97:98], v[91:92]
.LBB108_18:
	s_or_b32 exec_lo, exec_lo, s8
	v_mov_b32_e32 v95, 0
	ds_read_b64 v[95:96], v95 offset:16
	s_waitcnt lgkmcnt(0)
	v_mul_f64 v[91:92], v[91:92], v[95:96]
	buffer_store_dword v92, off, s[0:3], 0 offset:20
	buffer_store_dword v91, off, s[0:3], 0 offset:16
.LBB108_19:
	s_or_b32 exec_lo, exec_lo, s5
	s_waitcnt_vscnt null, 0x0
	s_barrier
	buffer_gl0_inv
	s_clause 0x1
	buffer_load_dword v91, off, s[0:3], 0 offset:24
	buffer_load_dword v92, off, s[0:3], 0 offset:28
	v_add_nc_u32_e32 v95, -1, v0
	s_mov_b32 s4, exec_lo
	s_waitcnt vmcnt(0)
	ds_write_b64 v94, v[91:92]
	s_waitcnt lgkmcnt(0)
	s_barrier
	buffer_gl0_inv
	v_cmpx_gt_u32_e32 3, v0
	s_cbranch_execz .LBB108_23
; %bb.20:
	v_mov_b32_e32 v91, 0
	v_add_nc_u32_e32 v96, -1, v0
	v_add_nc_u32_e32 v97, 0x170, v93
	v_mov_b32_e32 v92, 0
	v_mov_b32_e32 v98, v93
	s_mov_b32 s5, 0
.LBB108_21:                             ; =>This Inner Loop Header: Depth=1
	s_clause 0x1
	buffer_load_dword v99, v98, s[0:3], 0 offen
	buffer_load_dword v100, v98, s[0:3], 0 offen offset:4
	ds_read_b64 v[101:102], v97
	v_add_nc_u32_e32 v96, 1, v96
	v_add_nc_u32_e32 v97, 8, v97
	v_add_nc_u32_e32 v98, 8, v98
	v_cmp_lt_u32_e32 vcc_lo, 1, v96
	s_or_b32 s5, vcc_lo, s5
	s_waitcnt vmcnt(0) lgkmcnt(0)
	v_fma_f64 v[91:92], v[99:100], v[101:102], v[91:92]
	s_andn2_b32 exec_lo, exec_lo, s5
	s_cbranch_execnz .LBB108_21
; %bb.22:
	s_or_b32 exec_lo, exec_lo, s5
	v_mov_b32_e32 v96, 0
	ds_read_b64 v[96:97], v96 offset:24
	s_waitcnt lgkmcnt(0)
	v_mul_f64 v[91:92], v[91:92], v[96:97]
	buffer_store_dword v92, off, s[0:3], 0 offset:28
	buffer_store_dword v91, off, s[0:3], 0 offset:24
.LBB108_23:
	s_or_b32 exec_lo, exec_lo, s4
	s_waitcnt_vscnt null, 0x0
	s_barrier
	buffer_gl0_inv
	s_clause 0x1
	buffer_load_dword v91, off, s[0:3], 0 offset:32
	buffer_load_dword v92, off, s[0:3], 0 offset:36
	s_mov_b32 s4, exec_lo
	s_waitcnt vmcnt(0)
	ds_write_b64 v94, v[91:92]
	s_waitcnt lgkmcnt(0)
	s_barrier
	buffer_gl0_inv
	v_cmpx_gt_u32_e32 4, v0
	s_cbranch_execz .LBB108_27
; %bb.24:
	v_mov_b32_e32 v91, 0
	v_add_nc_u32_e32 v96, -1, v0
	v_add_nc_u32_e32 v97, 0x170, v93
	v_mov_b32_e32 v92, 0
	v_mov_b32_e32 v98, v93
	s_mov_b32 s5, 0
.LBB108_25:                             ; =>This Inner Loop Header: Depth=1
	s_clause 0x1
	buffer_load_dword v99, v98, s[0:3], 0 offen
	buffer_load_dword v100, v98, s[0:3], 0 offen offset:4
	ds_read_b64 v[101:102], v97
	v_add_nc_u32_e32 v96, 1, v96
	v_add_nc_u32_e32 v97, 8, v97
	v_add_nc_u32_e32 v98, 8, v98
	v_cmp_lt_u32_e32 vcc_lo, 2, v96
	s_or_b32 s5, vcc_lo, s5
	s_waitcnt vmcnt(0) lgkmcnt(0)
	v_fma_f64 v[91:92], v[99:100], v[101:102], v[91:92]
	s_andn2_b32 exec_lo, exec_lo, s5
	s_cbranch_execnz .LBB108_25
; %bb.26:
	s_or_b32 exec_lo, exec_lo, s5
	v_mov_b32_e32 v96, 0
	ds_read_b64 v[96:97], v96 offset:32
	s_waitcnt lgkmcnt(0)
	v_mul_f64 v[91:92], v[91:92], v[96:97]
	buffer_store_dword v92, off, s[0:3], 0 offset:36
	buffer_store_dword v91, off, s[0:3], 0 offset:32
.LBB108_27:
	s_or_b32 exec_lo, exec_lo, s4
	s_waitcnt_vscnt null, 0x0
	s_barrier
	buffer_gl0_inv
	s_clause 0x1
	buffer_load_dword v91, off, s[0:3], 0 offset:40
	buffer_load_dword v92, off, s[0:3], 0 offset:44
	;; [unrolled: 45-line block ×20, first 2 shown]
	s_mov_b32 s4, exec_lo
	s_waitcnt vmcnt(0)
	ds_write_b64 v94, v[91:92]
	s_waitcnt lgkmcnt(0)
	s_barrier
	buffer_gl0_inv
	v_cmpx_gt_u32_e32 23, v0
	s_cbranch_execz .LBB108_103
; %bb.100:
	v_mov_b32_e32 v91, 0
	v_add_nc_u32_e32 v96, -1, v0
	v_add_nc_u32_e32 v97, 0x170, v93
	v_mov_b32_e32 v92, 0
	v_mov_b32_e32 v98, v93
	s_mov_b32 s5, 0
.LBB108_101:                            ; =>This Inner Loop Header: Depth=1
	s_clause 0x1
	buffer_load_dword v99, v98, s[0:3], 0 offen
	buffer_load_dword v100, v98, s[0:3], 0 offen offset:4
	ds_read_b64 v[101:102], v97
	v_add_nc_u32_e32 v96, 1, v96
	v_add_nc_u32_e32 v97, 8, v97
	v_add_nc_u32_e32 v98, 8, v98
	v_cmp_lt_u32_e32 vcc_lo, 21, v96
	s_or_b32 s5, vcc_lo, s5
	s_waitcnt vmcnt(0) lgkmcnt(0)
	v_fma_f64 v[91:92], v[99:100], v[101:102], v[91:92]
	s_andn2_b32 exec_lo, exec_lo, s5
	s_cbranch_execnz .LBB108_101
; %bb.102:
	s_or_b32 exec_lo, exec_lo, s5
	v_mov_b32_e32 v96, 0
	ds_read_b64 v[96:97], v96 offset:184
	s_waitcnt lgkmcnt(0)
	v_mul_f64 v[91:92], v[91:92], v[96:97]
	buffer_store_dword v92, off, s[0:3], 0 offset:188
	buffer_store_dword v91, off, s[0:3], 0 offset:184
.LBB108_103:
	s_or_b32 exec_lo, exec_lo, s4
	s_waitcnt_vscnt null, 0x0
	s_barrier
	buffer_gl0_inv
	s_clause 0x1
	buffer_load_dword v91, off, s[0:3], 0 offset:192
	buffer_load_dword v92, off, s[0:3], 0 offset:196
	s_mov_b32 s4, exec_lo
	s_waitcnt vmcnt(0)
	ds_write_b64 v94, v[91:92]
	s_waitcnt lgkmcnt(0)
	s_barrier
	buffer_gl0_inv
	v_cmpx_gt_u32_e32 24, v0
	s_cbranch_execz .LBB108_107
; %bb.104:
	v_mov_b32_e32 v91, 0
	v_add_nc_u32_e32 v96, -1, v0
	v_add_nc_u32_e32 v97, 0x170, v93
	v_mov_b32_e32 v92, 0
	v_mov_b32_e32 v98, v93
	s_mov_b32 s5, 0
.LBB108_105:                            ; =>This Inner Loop Header: Depth=1
	s_clause 0x1
	buffer_load_dword v99, v98, s[0:3], 0 offen
	buffer_load_dword v100, v98, s[0:3], 0 offen offset:4
	ds_read_b64 v[101:102], v97
	v_add_nc_u32_e32 v96, 1, v96
	v_add_nc_u32_e32 v97, 8, v97
	v_add_nc_u32_e32 v98, 8, v98
	v_cmp_lt_u32_e32 vcc_lo, 22, v96
	s_or_b32 s5, vcc_lo, s5
	s_waitcnt vmcnt(0) lgkmcnt(0)
	v_fma_f64 v[91:92], v[99:100], v[101:102], v[91:92]
	s_andn2_b32 exec_lo, exec_lo, s5
	s_cbranch_execnz .LBB108_105
; %bb.106:
	s_or_b32 exec_lo, exec_lo, s5
	v_mov_b32_e32 v96, 0
	ds_read_b64 v[96:97], v96 offset:192
	s_waitcnt lgkmcnt(0)
	v_mul_f64 v[91:92], v[91:92], v[96:97]
	buffer_store_dword v92, off, s[0:3], 0 offset:196
	buffer_store_dword v91, off, s[0:3], 0 offset:192
.LBB108_107:
	s_or_b32 exec_lo, exec_lo, s4
	s_waitcnt_vscnt null, 0x0
	s_barrier
	buffer_gl0_inv
	s_clause 0x1
	buffer_load_dword v91, off, s[0:3], 0 offset:200
	buffer_load_dword v92, off, s[0:3], 0 offset:204
	;; [unrolled: 45-line block ×21, first 2 shown]
	s_mov_b32 s4, exec_lo
	s_waitcnt vmcnt(0)
	ds_write_b64 v94, v[91:92]
	s_waitcnt lgkmcnt(0)
	s_barrier
	buffer_gl0_inv
	v_cmpx_ne_u32_e32 44, v0
	s_cbranch_execz .LBB108_187
; %bb.184:
	v_mov_b32_e32 v91, 0
	v_mov_b32_e32 v92, 0
	s_mov_b32 s5, 0
.LBB108_185:                            ; =>This Inner Loop Header: Depth=1
	s_clause 0x1
	buffer_load_dword v96, v93, s[0:3], 0 offen
	buffer_load_dword v97, v93, s[0:3], 0 offen offset:4
	ds_read_b64 v[98:99], v94
	v_add_nc_u32_e32 v95, 1, v95
	v_add_nc_u32_e32 v94, 8, v94
	v_add_nc_u32_e32 v93, 8, v93
	v_cmp_lt_u32_e32 vcc_lo, 42, v95
	s_or_b32 s5, vcc_lo, s5
	s_waitcnt vmcnt(0) lgkmcnt(0)
	v_fma_f64 v[91:92], v[96:97], v[98:99], v[91:92]
	s_andn2_b32 exec_lo, exec_lo, s5
	s_cbranch_execnz .LBB108_185
; %bb.186:
	s_or_b32 exec_lo, exec_lo, s5
	v_mov_b32_e32 v93, 0
	ds_read_b64 v[93:94], v93 offset:352
	s_waitcnt lgkmcnt(0)
	v_mul_f64 v[91:92], v[91:92], v[93:94]
	buffer_store_dword v92, off, s[0:3], 0 offset:356
	buffer_store_dword v91, off, s[0:3], 0 offset:352
.LBB108_187:
	s_or_b32 exec_lo, exec_lo, s4
	s_mov_b32 s5, -1
	s_waitcnt_vscnt null, 0x0
	s_barrier
	buffer_gl0_inv
.LBB108_188:
	s_and_b32 vcc_lo, exec_lo, s5
	s_cbranch_vccz .LBB108_190
; %bb.189:
	s_lshl_b64 s[4:5], s[6:7], 2
	v_mov_b32_e32 v91, 0
	s_add_u32 s4, s10, s4
	s_addc_u32 s5, s11, s5
	global_load_dword v91, v91, s[4:5]
	s_waitcnt vmcnt(0)
	v_cmp_ne_u32_e32 vcc_lo, 0, v91
	s_cbranch_vccz .LBB108_191
.LBB108_190:
	s_endpgm
.LBB108_191:
	v_lshl_add_u32 v91, v0, 3, 0x170
	s_mov_b32 s4, exec_lo
	v_cmpx_eq_u32_e32 44, v0
	s_cbranch_execz .LBB108_193
; %bb.192:
	s_clause 0x1
	buffer_load_dword v92, off, s[0:3], 0 offset:344
	buffer_load_dword v93, off, s[0:3], 0 offset:348
	v_mov_b32_e32 v94, 0
	buffer_store_dword v94, off, s[0:3], 0 offset:344
	buffer_store_dword v94, off, s[0:3], 0 offset:348
	s_waitcnt vmcnt(0)
	ds_write_b64 v91, v[92:93]
.LBB108_193:
	s_or_b32 exec_lo, exec_lo, s4
	s_waitcnt lgkmcnt(0)
	s_waitcnt_vscnt null, 0x0
	s_barrier
	buffer_gl0_inv
	s_clause 0x3
	buffer_load_dword v93, off, s[0:3], 0 offset:352
	buffer_load_dword v94, off, s[0:3], 0 offset:356
	;; [unrolled: 1-line block ×4, first 2 shown]
	v_mov_b32_e32 v92, 0
	s_mov_b32 s4, exec_lo
	ds_read_b64 v[97:98], v92 offset:720
	s_waitcnt vmcnt(2) lgkmcnt(0)
	v_fma_f64 v[93:94], v[93:94], v[97:98], 0
	s_waitcnt vmcnt(0)
	v_add_f64 v[93:94], v[95:96], -v[93:94]
	buffer_store_dword v93, off, s[0:3], 0 offset:344
	buffer_store_dword v94, off, s[0:3], 0 offset:348
	v_cmpx_lt_u32_e32 42, v0
	s_cbranch_execz .LBB108_195
; %bb.194:
	s_clause 0x1
	buffer_load_dword v93, off, s[0:3], 0 offset:336
	buffer_load_dword v94, off, s[0:3], 0 offset:340
	buffer_store_dword v92, off, s[0:3], 0 offset:336
	buffer_store_dword v92, off, s[0:3], 0 offset:340
	s_waitcnt vmcnt(0)
	ds_write_b64 v91, v[93:94]
.LBB108_195:
	s_or_b32 exec_lo, exec_lo, s4
	s_waitcnt lgkmcnt(0)
	s_waitcnt_vscnt null, 0x0
	s_barrier
	buffer_gl0_inv
	s_clause 0x5
	buffer_load_dword v96, off, s[0:3], 0 offset:344
	buffer_load_dword v97, off, s[0:3], 0 offset:348
	;; [unrolled: 1-line block ×6, first 2 shown]
	ds_read2_b64 v[92:95], v92 offset0:89 offset1:90
	s_mov_b32 s4, exec_lo
	s_waitcnt vmcnt(4) lgkmcnt(0)
	v_fma_f64 v[92:93], v[96:97], v[92:93], 0
	s_waitcnt vmcnt(2)
	v_fma_f64 v[92:93], v[98:99], v[94:95], v[92:93]
	s_waitcnt vmcnt(0)
	v_add_f64 v[92:93], v[100:101], -v[92:93]
	buffer_store_dword v92, off, s[0:3], 0 offset:336
	buffer_store_dword v93, off, s[0:3], 0 offset:340
	v_cmpx_lt_u32_e32 41, v0
	s_cbranch_execz .LBB108_197
; %bb.196:
	s_clause 0x1
	buffer_load_dword v92, off, s[0:3], 0 offset:328
	buffer_load_dword v93, off, s[0:3], 0 offset:332
	v_mov_b32_e32 v94, 0
	buffer_store_dword v94, off, s[0:3], 0 offset:328
	buffer_store_dword v94, off, s[0:3], 0 offset:332
	s_waitcnt vmcnt(0)
	ds_write_b64 v91, v[92:93]
.LBB108_197:
	s_or_b32 exec_lo, exec_lo, s4
	s_waitcnt lgkmcnt(0)
	s_waitcnt_vscnt null, 0x0
	s_barrier
	buffer_gl0_inv
	s_clause 0x7
	buffer_load_dword v97, off, s[0:3], 0 offset:336
	buffer_load_dword v98, off, s[0:3], 0 offset:340
	buffer_load_dword v99, off, s[0:3], 0 offset:344
	buffer_load_dword v100, off, s[0:3], 0 offset:348
	buffer_load_dword v101, off, s[0:3], 0 offset:352
	buffer_load_dword v102, off, s[0:3], 0 offset:356
	buffer_load_dword v103, off, s[0:3], 0 offset:328
	buffer_load_dword v104, off, s[0:3], 0 offset:332
	v_mov_b32_e32 v92, 0
	ds_read_b128 v[93:96], v92 offset:704
	ds_read_b64 v[105:106], v92 offset:720
	s_mov_b32 s4, exec_lo
	s_waitcnt vmcnt(6) lgkmcnt(1)
	v_fma_f64 v[93:94], v[97:98], v[93:94], 0
	s_waitcnt vmcnt(4)
	v_fma_f64 v[93:94], v[99:100], v[95:96], v[93:94]
	s_waitcnt vmcnt(2) lgkmcnt(0)
	v_fma_f64 v[93:94], v[101:102], v[105:106], v[93:94]
	s_waitcnt vmcnt(0)
	v_add_f64 v[93:94], v[103:104], -v[93:94]
	buffer_store_dword v93, off, s[0:3], 0 offset:328
	buffer_store_dword v94, off, s[0:3], 0 offset:332
	v_cmpx_lt_u32_e32 40, v0
	s_cbranch_execz .LBB108_199
; %bb.198:
	s_clause 0x1
	buffer_load_dword v93, off, s[0:3], 0 offset:320
	buffer_load_dword v94, off, s[0:3], 0 offset:324
	buffer_store_dword v92, off, s[0:3], 0 offset:320
	buffer_store_dword v92, off, s[0:3], 0 offset:324
	s_waitcnt vmcnt(0)
	ds_write_b64 v91, v[93:94]
.LBB108_199:
	s_or_b32 exec_lo, exec_lo, s4
	s_waitcnt lgkmcnt(0)
	s_waitcnt_vscnt null, 0x0
	s_barrier
	buffer_gl0_inv
	s_clause 0x9
	buffer_load_dword v101, off, s[0:3], 0 offset:328
	buffer_load_dword v102, off, s[0:3], 0 offset:332
	;; [unrolled: 1-line block ×10, first 2 shown]
	ds_read2_b64 v[93:96], v92 offset0:87 offset1:88
	ds_read2_b64 v[97:100], v92 offset0:89 offset1:90
	s_mov_b32 s4, exec_lo
	s_waitcnt vmcnt(8) lgkmcnt(1)
	v_fma_f64 v[92:93], v[101:102], v[93:94], 0
	s_waitcnt vmcnt(6)
	v_fma_f64 v[92:93], v[103:104], v[95:96], v[92:93]
	s_waitcnt vmcnt(4) lgkmcnt(0)
	v_fma_f64 v[92:93], v[105:106], v[97:98], v[92:93]
	s_waitcnt vmcnt(2)
	v_fma_f64 v[92:93], v[107:108], v[99:100], v[92:93]
	s_waitcnt vmcnt(0)
	v_add_f64 v[92:93], v[109:110], -v[92:93]
	buffer_store_dword v92, off, s[0:3], 0 offset:320
	buffer_store_dword v93, off, s[0:3], 0 offset:324
	v_cmpx_lt_u32_e32 39, v0
	s_cbranch_execz .LBB108_201
; %bb.200:
	s_clause 0x1
	buffer_load_dword v92, off, s[0:3], 0 offset:312
	buffer_load_dword v93, off, s[0:3], 0 offset:316
	v_mov_b32_e32 v94, 0
	buffer_store_dword v94, off, s[0:3], 0 offset:312
	buffer_store_dword v94, off, s[0:3], 0 offset:316
	s_waitcnt vmcnt(0)
	ds_write_b64 v91, v[92:93]
.LBB108_201:
	s_or_b32 exec_lo, exec_lo, s4
	s_waitcnt lgkmcnt(0)
	s_waitcnt_vscnt null, 0x0
	s_barrier
	buffer_gl0_inv
	s_clause 0xb
	buffer_load_dword v101, off, s[0:3], 0 offset:320
	buffer_load_dword v102, off, s[0:3], 0 offset:324
	;; [unrolled: 1-line block ×12, first 2 shown]
	v_mov_b32_e32 v92, 0
	ds_read_b128 v[93:96], v92 offset:688
	ds_read_b128 v[97:100], v92 offset:704
	s_mov_b32 s4, exec_lo
	s_waitcnt vmcnt(10) lgkmcnt(1)
	v_fma_f64 v[93:94], v[101:102], v[93:94], 0
	s_waitcnt vmcnt(8)
	v_fma_f64 v[93:94], v[103:104], v[95:96], v[93:94]
	ds_read_b64 v[95:96], v92 offset:720
	s_waitcnt vmcnt(6) lgkmcnt(1)
	v_fma_f64 v[93:94], v[105:106], v[97:98], v[93:94]
	s_waitcnt vmcnt(4)
	v_fma_f64 v[93:94], v[107:108], v[99:100], v[93:94]
	s_waitcnt vmcnt(2) lgkmcnt(0)
	v_fma_f64 v[93:94], v[109:110], v[95:96], v[93:94]
	s_waitcnt vmcnt(0)
	v_add_f64 v[93:94], v[111:112], -v[93:94]
	buffer_store_dword v93, off, s[0:3], 0 offset:312
	buffer_store_dword v94, off, s[0:3], 0 offset:316
	v_cmpx_lt_u32_e32 38, v0
	s_cbranch_execz .LBB108_203
; %bb.202:
	s_clause 0x1
	buffer_load_dword v93, off, s[0:3], 0 offset:304
	buffer_load_dword v94, off, s[0:3], 0 offset:308
	buffer_store_dword v92, off, s[0:3], 0 offset:304
	buffer_store_dword v92, off, s[0:3], 0 offset:308
	s_waitcnt vmcnt(0)
	ds_write_b64 v91, v[93:94]
.LBB108_203:
	s_or_b32 exec_lo, exec_lo, s4
	s_waitcnt lgkmcnt(0)
	s_waitcnt_vscnt null, 0x0
	s_barrier
	buffer_gl0_inv
	s_clause 0xd
	buffer_load_dword v101, off, s[0:3], 0 offset:312
	buffer_load_dword v102, off, s[0:3], 0 offset:316
	;; [unrolled: 1-line block ×14, first 2 shown]
	ds_read2_b64 v[93:96], v92 offset0:85 offset1:86
	ds_read2_b64 v[97:100], v92 offset0:87 offset1:88
	s_mov_b32 s4, exec_lo
	s_waitcnt vmcnt(12) lgkmcnt(1)
	v_fma_f64 v[93:94], v[101:102], v[93:94], 0
	s_waitcnt vmcnt(10)
	v_fma_f64 v[93:94], v[103:104], v[95:96], v[93:94]
	s_waitcnt vmcnt(8) lgkmcnt(0)
	v_fma_f64 v[93:94], v[105:106], v[97:98], v[93:94]
	s_waitcnt vmcnt(6)
	v_fma_f64 v[96:97], v[107:108], v[99:100], v[93:94]
	ds_read2_b64 v[92:95], v92 offset0:89 offset1:90
	s_waitcnt vmcnt(4) lgkmcnt(0)
	v_fma_f64 v[92:93], v[109:110], v[92:93], v[96:97]
	s_waitcnt vmcnt(2)
	v_fma_f64 v[92:93], v[111:112], v[94:95], v[92:93]
	s_waitcnt vmcnt(0)
	v_add_f64 v[92:93], v[113:114], -v[92:93]
	buffer_store_dword v92, off, s[0:3], 0 offset:304
	buffer_store_dword v93, off, s[0:3], 0 offset:308
	v_cmpx_lt_u32_e32 37, v0
	s_cbranch_execz .LBB108_205
; %bb.204:
	s_clause 0x1
	buffer_load_dword v92, off, s[0:3], 0 offset:296
	buffer_load_dword v93, off, s[0:3], 0 offset:300
	v_mov_b32_e32 v94, 0
	buffer_store_dword v94, off, s[0:3], 0 offset:296
	buffer_store_dword v94, off, s[0:3], 0 offset:300
	s_waitcnt vmcnt(0)
	ds_write_b64 v91, v[92:93]
.LBB108_205:
	s_or_b32 exec_lo, exec_lo, s4
	s_waitcnt lgkmcnt(0)
	s_waitcnt_vscnt null, 0x0
	s_barrier
	buffer_gl0_inv
	s_clause 0xf
	buffer_load_dword v101, off, s[0:3], 0 offset:304
	buffer_load_dword v102, off, s[0:3], 0 offset:308
	;; [unrolled: 1-line block ×16, first 2 shown]
	v_mov_b32_e32 v92, 0
	ds_read_b128 v[93:96], v92 offset:672
	ds_read_b128 v[97:100], v92 offset:688
	s_mov_b32 s4, exec_lo
	s_waitcnt vmcnt(14) lgkmcnt(1)
	v_fma_f64 v[93:94], v[101:102], v[93:94], 0
	s_waitcnt vmcnt(12)
	v_fma_f64 v[93:94], v[103:104], v[95:96], v[93:94]
	s_waitcnt vmcnt(10) lgkmcnt(0)
	v_fma_f64 v[93:94], v[105:106], v[97:98], v[93:94]
	s_waitcnt vmcnt(8)
	v_fma_f64 v[97:98], v[107:108], v[99:100], v[93:94]
	ds_read_b128 v[93:96], v92 offset:704
	ds_read_b64 v[99:100], v92 offset:720
	s_waitcnt vmcnt(6) lgkmcnt(1)
	v_fma_f64 v[93:94], v[109:110], v[93:94], v[97:98]
	s_waitcnt vmcnt(4)
	v_fma_f64 v[93:94], v[111:112], v[95:96], v[93:94]
	s_waitcnt vmcnt(2) lgkmcnt(0)
	v_fma_f64 v[93:94], v[113:114], v[99:100], v[93:94]
	s_waitcnt vmcnt(0)
	v_add_f64 v[93:94], v[115:116], -v[93:94]
	buffer_store_dword v93, off, s[0:3], 0 offset:296
	buffer_store_dword v94, off, s[0:3], 0 offset:300
	v_cmpx_lt_u32_e32 36, v0
	s_cbranch_execz .LBB108_207
; %bb.206:
	s_clause 0x1
	buffer_load_dword v93, off, s[0:3], 0 offset:288
	buffer_load_dword v94, off, s[0:3], 0 offset:292
	buffer_store_dword v92, off, s[0:3], 0 offset:288
	buffer_store_dword v92, off, s[0:3], 0 offset:292
	s_waitcnt vmcnt(0)
	ds_write_b64 v91, v[93:94]
.LBB108_207:
	s_or_b32 exec_lo, exec_lo, s4
	s_waitcnt lgkmcnt(0)
	s_waitcnt_vscnt null, 0x0
	s_barrier
	buffer_gl0_inv
	s_clause 0x11
	buffer_load_dword v101, off, s[0:3], 0 offset:296
	buffer_load_dword v102, off, s[0:3], 0 offset:300
	;; [unrolled: 1-line block ×18, first 2 shown]
	ds_read2_b64 v[93:96], v92 offset0:83 offset1:84
	ds_read2_b64 v[97:100], v92 offset0:85 offset1:86
	s_mov_b32 s4, exec_lo
	s_waitcnt vmcnt(16) lgkmcnt(1)
	v_fma_f64 v[93:94], v[101:102], v[93:94], 0
	s_waitcnt vmcnt(14)
	v_fma_f64 v[93:94], v[103:104], v[95:96], v[93:94]
	s_waitcnt vmcnt(12) lgkmcnt(0)
	v_fma_f64 v[93:94], v[105:106], v[97:98], v[93:94]
	s_waitcnt vmcnt(10)
	v_fma_f64 v[101:102], v[107:108], v[99:100], v[93:94]
	ds_read2_b64 v[93:96], v92 offset0:87 offset1:88
	ds_read2_b64 v[97:100], v92 offset0:89 offset1:90
	s_waitcnt vmcnt(8) lgkmcnt(1)
	v_fma_f64 v[92:93], v[109:110], v[93:94], v[101:102]
	s_waitcnt vmcnt(6)
	v_fma_f64 v[92:93], v[111:112], v[95:96], v[92:93]
	s_waitcnt vmcnt(4) lgkmcnt(0)
	v_fma_f64 v[92:93], v[113:114], v[97:98], v[92:93]
	s_waitcnt vmcnt(2)
	v_fma_f64 v[92:93], v[115:116], v[99:100], v[92:93]
	s_waitcnt vmcnt(0)
	v_add_f64 v[92:93], v[117:118], -v[92:93]
	buffer_store_dword v92, off, s[0:3], 0 offset:288
	buffer_store_dword v93, off, s[0:3], 0 offset:292
	v_cmpx_lt_u32_e32 35, v0
	s_cbranch_execz .LBB108_209
; %bb.208:
	s_clause 0x1
	buffer_load_dword v92, off, s[0:3], 0 offset:280
	buffer_load_dword v93, off, s[0:3], 0 offset:284
	v_mov_b32_e32 v94, 0
	buffer_store_dword v94, off, s[0:3], 0 offset:280
	buffer_store_dword v94, off, s[0:3], 0 offset:284
	s_waitcnt vmcnt(0)
	ds_write_b64 v91, v[92:93]
.LBB108_209:
	s_or_b32 exec_lo, exec_lo, s4
	s_waitcnt lgkmcnt(0)
	s_waitcnt_vscnt null, 0x0
	s_barrier
	buffer_gl0_inv
	s_clause 0x13
	buffer_load_dword v101, off, s[0:3], 0 offset:288
	buffer_load_dword v102, off, s[0:3], 0 offset:292
	;; [unrolled: 1-line block ×20, first 2 shown]
	v_mov_b32_e32 v92, 0
	ds_read_b128 v[93:96], v92 offset:656
	ds_read_b128 v[97:100], v92 offset:672
	s_mov_b32 s4, exec_lo
	s_waitcnt vmcnt(18) lgkmcnt(1)
	v_fma_f64 v[93:94], v[101:102], v[93:94], 0
	s_waitcnt vmcnt(16)
	v_fma_f64 v[93:94], v[103:104], v[95:96], v[93:94]
	s_waitcnt vmcnt(14) lgkmcnt(0)
	v_fma_f64 v[93:94], v[105:106], v[97:98], v[93:94]
	s_waitcnt vmcnt(12)
	v_fma_f64 v[101:102], v[107:108], v[99:100], v[93:94]
	ds_read_b128 v[93:96], v92 offset:688
	ds_read_b128 v[97:100], v92 offset:704
	s_waitcnt vmcnt(10) lgkmcnt(1)
	v_fma_f64 v[93:94], v[109:110], v[93:94], v[101:102]
	s_waitcnt vmcnt(8)
	v_fma_f64 v[93:94], v[111:112], v[95:96], v[93:94]
	ds_read_b64 v[95:96], v92 offset:720
	s_waitcnt vmcnt(6) lgkmcnt(1)
	v_fma_f64 v[93:94], v[113:114], v[97:98], v[93:94]
	s_waitcnt vmcnt(3)
	v_fma_f64 v[93:94], v[115:116], v[99:100], v[93:94]
	s_waitcnt vmcnt(2) lgkmcnt(0)
	v_fma_f64 v[93:94], v[117:118], v[95:96], v[93:94]
	s_waitcnt vmcnt(0)
	v_add_f64 v[93:94], v[119:120], -v[93:94]
	buffer_store_dword v93, off, s[0:3], 0 offset:280
	buffer_store_dword v94, off, s[0:3], 0 offset:284
	v_cmpx_lt_u32_e32 34, v0
	s_cbranch_execz .LBB108_211
; %bb.210:
	s_clause 0x1
	buffer_load_dword v93, off, s[0:3], 0 offset:272
	buffer_load_dword v94, off, s[0:3], 0 offset:276
	buffer_store_dword v92, off, s[0:3], 0 offset:272
	buffer_store_dword v92, off, s[0:3], 0 offset:276
	s_waitcnt vmcnt(0)
	ds_write_b64 v91, v[93:94]
.LBB108_211:
	s_or_b32 exec_lo, exec_lo, s4
	s_waitcnt lgkmcnt(0)
	s_waitcnt_vscnt null, 0x0
	s_barrier
	buffer_gl0_inv
	s_clause 0x15
	buffer_load_dword v101, off, s[0:3], 0 offset:280
	buffer_load_dword v102, off, s[0:3], 0 offset:284
	;; [unrolled: 1-line block ×22, first 2 shown]
	ds_read2_b64 v[93:96], v92 offset0:81 offset1:82
	ds_read2_b64 v[97:100], v92 offset0:83 offset1:84
	s_mov_b32 s4, exec_lo
	s_waitcnt vmcnt(20) lgkmcnt(1)
	v_fma_f64 v[93:94], v[101:102], v[93:94], 0
	s_waitcnt vmcnt(18)
	v_fma_f64 v[93:94], v[103:104], v[95:96], v[93:94]
	s_waitcnt vmcnt(16) lgkmcnt(0)
	v_fma_f64 v[93:94], v[105:106], v[97:98], v[93:94]
	s_waitcnt vmcnt(14)
	v_fma_f64 v[101:102], v[107:108], v[99:100], v[93:94]
	ds_read2_b64 v[93:96], v92 offset0:85 offset1:86
	ds_read2_b64 v[97:100], v92 offset0:87 offset1:88
	s_waitcnt vmcnt(12) lgkmcnt(1)
	v_fma_f64 v[93:94], v[109:110], v[93:94], v[101:102]
	s_waitcnt vmcnt(10)
	v_fma_f64 v[93:94], v[111:112], v[95:96], v[93:94]
	s_waitcnt vmcnt(8) lgkmcnt(0)
	v_fma_f64 v[93:94], v[113:114], v[97:98], v[93:94]
	s_waitcnt vmcnt(4)
	v_fma_f64 v[96:97], v[115:116], v[99:100], v[93:94]
	ds_read2_b64 v[92:95], v92 offset0:89 offset1:90
	s_waitcnt vmcnt(3) lgkmcnt(0)
	v_fma_f64 v[92:93], v[119:120], v[92:93], v[96:97]
	s_waitcnt vmcnt(2)
	v_fma_f64 v[92:93], v[117:118], v[94:95], v[92:93]
	s_waitcnt vmcnt(0)
	v_add_f64 v[92:93], v[121:122], -v[92:93]
	buffer_store_dword v92, off, s[0:3], 0 offset:272
	buffer_store_dword v93, off, s[0:3], 0 offset:276
	v_cmpx_lt_u32_e32 33, v0
	s_cbranch_execz .LBB108_213
; %bb.212:
	s_clause 0x1
	buffer_load_dword v92, off, s[0:3], 0 offset:264
	buffer_load_dword v93, off, s[0:3], 0 offset:268
	v_mov_b32_e32 v94, 0
	buffer_store_dword v94, off, s[0:3], 0 offset:264
	buffer_store_dword v94, off, s[0:3], 0 offset:268
	s_waitcnt vmcnt(0)
	ds_write_b64 v91, v[92:93]
.LBB108_213:
	s_or_b32 exec_lo, exec_lo, s4
	s_waitcnt lgkmcnt(0)
	s_waitcnt_vscnt null, 0x0
	s_barrier
	buffer_gl0_inv
	s_clause 0x17
	buffer_load_dword v101, off, s[0:3], 0 offset:272
	buffer_load_dword v102, off, s[0:3], 0 offset:276
	;; [unrolled: 1-line block ×24, first 2 shown]
	v_mov_b32_e32 v92, 0
	ds_read_b128 v[93:96], v92 offset:640
	ds_read_b128 v[97:100], v92 offset:656
	s_mov_b32 s4, exec_lo
	s_waitcnt vmcnt(22) lgkmcnt(1)
	v_fma_f64 v[93:94], v[101:102], v[93:94], 0
	s_waitcnt vmcnt(20)
	v_fma_f64 v[93:94], v[103:104], v[95:96], v[93:94]
	s_waitcnt vmcnt(18) lgkmcnt(0)
	v_fma_f64 v[93:94], v[105:106], v[97:98], v[93:94]
	s_waitcnt vmcnt(16)
	v_fma_f64 v[101:102], v[107:108], v[99:100], v[93:94]
	ds_read_b128 v[93:96], v92 offset:672
	ds_read_b128 v[97:100], v92 offset:688
	s_waitcnt vmcnt(14) lgkmcnt(1)
	v_fma_f64 v[93:94], v[109:110], v[93:94], v[101:102]
	s_waitcnt vmcnt(12)
	v_fma_f64 v[93:94], v[111:112], v[95:96], v[93:94]
	s_waitcnt vmcnt(10) lgkmcnt(0)
	v_fma_f64 v[93:94], v[113:114], v[97:98], v[93:94]
	s_waitcnt vmcnt(5)
	v_fma_f64 v[97:98], v[115:116], v[99:100], v[93:94]
	ds_read_b128 v[93:96], v92 offset:704
	ds_read_b64 v[99:100], v92 offset:720
	s_waitcnt vmcnt(4) lgkmcnt(1)
	v_fma_f64 v[93:94], v[121:122], v[93:94], v[97:98]
	s_waitcnt vmcnt(3)
	v_fma_f64 v[93:94], v[119:120], v[95:96], v[93:94]
	s_waitcnt vmcnt(2) lgkmcnt(0)
	v_fma_f64 v[93:94], v[117:118], v[99:100], v[93:94]
	s_waitcnt vmcnt(0)
	v_add_f64 v[93:94], v[123:124], -v[93:94]
	buffer_store_dword v94, off, s[0:3], 0 offset:268
	buffer_store_dword v93, off, s[0:3], 0 offset:264
	v_cmpx_lt_u32_e32 32, v0
	s_cbranch_execz .LBB108_215
; %bb.214:
	s_clause 0x1
	buffer_load_dword v93, off, s[0:3], 0 offset:256
	buffer_load_dword v94, off, s[0:3], 0 offset:260
	buffer_store_dword v92, off, s[0:3], 0 offset:256
	buffer_store_dword v92, off, s[0:3], 0 offset:260
	s_waitcnt vmcnt(0)
	ds_write_b64 v91, v[93:94]
.LBB108_215:
	s_or_b32 exec_lo, exec_lo, s4
	s_waitcnt lgkmcnt(0)
	s_waitcnt_vscnt null, 0x0
	s_barrier
	buffer_gl0_inv
	s_clause 0x19
	buffer_load_dword v97, off, s[0:3], 0 offset:264
	buffer_load_dword v98, off, s[0:3], 0 offset:268
	;; [unrolled: 1-line block ×26, first 2 shown]
	ds_read2_b64 v[93:96], v92 offset0:79 offset1:80
	s_mov_b32 s4, exec_lo
	s_waitcnt vmcnt(24) lgkmcnt(0)
	v_fma_f64 v[93:94], v[97:98], v[93:94], 0
	s_waitcnt vmcnt(22)
	v_fma_f64 v[97:98], v[99:100], v[95:96], v[93:94]
	ds_read2_b64 v[93:96], v92 offset0:81 offset1:82
	s_waitcnt vmcnt(20) lgkmcnt(0)
	v_fma_f64 v[93:94], v[101:102], v[93:94], v[97:98]
	s_waitcnt vmcnt(18)
	v_fma_f64 v[97:98], v[103:104], v[95:96], v[93:94]
	ds_read2_b64 v[93:96], v92 offset0:83 offset1:84
	;; [unrolled: 5-line block ×5, first 2 shown]
	s_waitcnt vmcnt(4) lgkmcnt(0)
	v_fma_f64 v[92:93], v[117:118], v[92:93], v[96:97]
	s_waitcnt vmcnt(2)
	v_fma_f64 v[92:93], v[119:120], v[94:95], v[92:93]
	s_waitcnt vmcnt(0)
	v_add_f64 v[92:93], v[121:122], -v[92:93]
	buffer_store_dword v93, off, s[0:3], 0 offset:260
	buffer_store_dword v92, off, s[0:3], 0 offset:256
	v_cmpx_lt_u32_e32 31, v0
	s_cbranch_execz .LBB108_217
; %bb.216:
	s_clause 0x1
	buffer_load_dword v92, off, s[0:3], 0 offset:248
	buffer_load_dword v93, off, s[0:3], 0 offset:252
	v_mov_b32_e32 v94, 0
	buffer_store_dword v94, off, s[0:3], 0 offset:248
	buffer_store_dword v94, off, s[0:3], 0 offset:252
	s_waitcnt vmcnt(0)
	ds_write_b64 v91, v[92:93]
.LBB108_217:
	s_or_b32 exec_lo, exec_lo, s4
	s_waitcnt lgkmcnt(0)
	s_waitcnt_vscnt null, 0x0
	s_barrier
	buffer_gl0_inv
	s_clause 0x1b
	buffer_load_dword v97, off, s[0:3], 0 offset:256
	buffer_load_dword v98, off, s[0:3], 0 offset:260
	;; [unrolled: 1-line block ×28, first 2 shown]
	v_mov_b32_e32 v92, 0
	s_mov_b32 s4, exec_lo
	ds_read_b128 v[93:96], v92 offset:624
	s_waitcnt vmcnt(26) lgkmcnt(0)
	v_fma_f64 v[93:94], v[97:98], v[93:94], 0
	s_waitcnt vmcnt(24)
	v_fma_f64 v[97:98], v[99:100], v[95:96], v[93:94]
	ds_read_b128 v[93:96], v92 offset:640
	s_waitcnt vmcnt(22) lgkmcnt(0)
	v_fma_f64 v[93:94], v[101:102], v[93:94], v[97:98]
	s_waitcnt vmcnt(20)
	v_fma_f64 v[97:98], v[103:104], v[95:96], v[93:94]
	;; [unrolled: 5-line block ×6, first 2 shown]
	ds_read_b64 v[95:96], v92 offset:720
	s_waitcnt vmcnt(2) lgkmcnt(0)
	v_fma_f64 v[93:94], v[121:122], v[95:96], v[93:94]
	s_waitcnt vmcnt(0)
	v_add_f64 v[93:94], v[123:124], -v[93:94]
	buffer_store_dword v94, off, s[0:3], 0 offset:252
	buffer_store_dword v93, off, s[0:3], 0 offset:248
	v_cmpx_lt_u32_e32 30, v0
	s_cbranch_execz .LBB108_219
; %bb.218:
	s_clause 0x1
	buffer_load_dword v93, off, s[0:3], 0 offset:240
	buffer_load_dword v94, off, s[0:3], 0 offset:244
	buffer_store_dword v92, off, s[0:3], 0 offset:240
	buffer_store_dword v92, off, s[0:3], 0 offset:244
	s_waitcnt vmcnt(0)
	ds_write_b64 v91, v[93:94]
.LBB108_219:
	s_or_b32 exec_lo, exec_lo, s4
	s_waitcnt lgkmcnt(0)
	s_waitcnt_vscnt null, 0x0
	s_barrier
	buffer_gl0_inv
	s_clause 0x1b
	buffer_load_dword v97, off, s[0:3], 0 offset:248
	buffer_load_dword v98, off, s[0:3], 0 offset:252
	;; [unrolled: 1-line block ×28, first 2 shown]
	ds_read2_b64 v[93:96], v92 offset0:77 offset1:78
	s_clause 0x1
	buffer_load_dword v125, off, s[0:3], 0 offset:240
	buffer_load_dword v126, off, s[0:3], 0 offset:244
	s_mov_b32 s4, exec_lo
	s_waitcnt vmcnt(28) lgkmcnt(0)
	v_fma_f64 v[93:94], v[97:98], v[93:94], 0
	s_waitcnt vmcnt(26)
	v_fma_f64 v[97:98], v[99:100], v[95:96], v[93:94]
	ds_read2_b64 v[93:96], v92 offset0:79 offset1:80
	s_waitcnt vmcnt(24) lgkmcnt(0)
	v_fma_f64 v[93:94], v[101:102], v[93:94], v[97:98]
	s_waitcnt vmcnt(22)
	v_fma_f64 v[97:98], v[103:104], v[95:96], v[93:94]
	ds_read2_b64 v[93:96], v92 offset0:81 offset1:82
	;; [unrolled: 5-line block ×6, first 2 shown]
	s_waitcnt vmcnt(4) lgkmcnt(0)
	v_fma_f64 v[92:93], v[121:122], v[92:93], v[96:97]
	s_waitcnt vmcnt(2)
	v_fma_f64 v[92:93], v[123:124], v[94:95], v[92:93]
	s_waitcnt vmcnt(0)
	v_add_f64 v[92:93], v[125:126], -v[92:93]
	buffer_store_dword v93, off, s[0:3], 0 offset:244
	buffer_store_dword v92, off, s[0:3], 0 offset:240
	v_cmpx_lt_u32_e32 29, v0
	s_cbranch_execz .LBB108_221
; %bb.220:
	s_clause 0x1
	buffer_load_dword v92, off, s[0:3], 0 offset:232
	buffer_load_dword v93, off, s[0:3], 0 offset:236
	v_mov_b32_e32 v94, 0
	buffer_store_dword v94, off, s[0:3], 0 offset:232
	buffer_store_dword v94, off, s[0:3], 0 offset:236
	s_waitcnt vmcnt(0)
	ds_write_b64 v91, v[92:93]
.LBB108_221:
	s_or_b32 exec_lo, exec_lo, s4
	s_waitcnt lgkmcnt(0)
	s_waitcnt_vscnt null, 0x0
	s_barrier
	buffer_gl0_inv
	s_clause 0x1c
	buffer_load_dword v101, off, s[0:3], 0 offset:240
	buffer_load_dword v102, off, s[0:3], 0 offset:244
	;; [unrolled: 1-line block ×29, first 2 shown]
	v_mov_b32_e32 v92, 0
	buffer_load_dword v126, off, s[0:3], 0 offset:356
	s_mov_b32 s4, exec_lo
	ds_read_b128 v[93:96], v92 offset:608
	ds_read_b128 v[97:100], v92 offset:624
	s_waitcnt vmcnt(28) lgkmcnt(1)
	v_fma_f64 v[93:94], v[101:102], v[93:94], 0
	s_clause 0x1
	buffer_load_dword v101, off, s[0:3], 0 offset:232
	buffer_load_dword v102, off, s[0:3], 0 offset:236
	s_waitcnt vmcnt(28)
	v_fma_f64 v[93:94], v[103:104], v[95:96], v[93:94]
	s_waitcnt vmcnt(26) lgkmcnt(0)
	v_fma_f64 v[93:94], v[105:106], v[97:98], v[93:94]
	s_waitcnt vmcnt(24)
	v_fma_f64 v[103:104], v[107:108], v[99:100], v[93:94]
	ds_read_b128 v[93:96], v92 offset:640
	ds_read_b128 v[97:100], v92 offset:656
	s_waitcnt vmcnt(22) lgkmcnt(1)
	v_fma_f64 v[93:94], v[109:110], v[93:94], v[103:104]
	s_waitcnt vmcnt(20)
	v_fma_f64 v[93:94], v[111:112], v[95:96], v[93:94]
	s_waitcnt vmcnt(18) lgkmcnt(0)
	v_fma_f64 v[93:94], v[113:114], v[97:98], v[93:94]
	s_waitcnt vmcnt(13)
	v_fma_f64 v[103:104], v[115:116], v[99:100], v[93:94]
	ds_read_b128 v[93:96], v92 offset:672
	ds_read_b128 v[97:100], v92 offset:688
	s_waitcnt vmcnt(12) lgkmcnt(1)
	v_fma_f64 v[93:94], v[121:122], v[93:94], v[103:104]
	s_waitcnt vmcnt(11)
	v_fma_f64 v[93:94], v[119:120], v[95:96], v[93:94]
	s_waitcnt vmcnt(10) lgkmcnt(0)
	v_fma_f64 v[93:94], v[117:118], v[97:98], v[93:94]
	s_waitcnt vmcnt(5)
	v_fma_f64 v[97:98], v[123:124], v[99:100], v[93:94]
	ds_read_b128 v[93:96], v92 offset:704
	ds_read_b64 v[99:100], v92 offset:720
	s_waitcnt vmcnt(4) lgkmcnt(1)
	v_fma_f64 v[93:94], v[129:130], v[93:94], v[97:98]
	s_waitcnt vmcnt(3)
	v_fma_f64 v[93:94], v[127:128], v[95:96], v[93:94]
	s_waitcnt vmcnt(2) lgkmcnt(0)
	v_fma_f64 v[93:94], v[125:126], v[99:100], v[93:94]
	s_waitcnt vmcnt(0)
	v_add_f64 v[93:94], v[101:102], -v[93:94]
	buffer_store_dword v94, off, s[0:3], 0 offset:236
	buffer_store_dword v93, off, s[0:3], 0 offset:232
	v_cmpx_lt_u32_e32 28, v0
	s_cbranch_execz .LBB108_223
; %bb.222:
	s_clause 0x1
	buffer_load_dword v93, off, s[0:3], 0 offset:224
	buffer_load_dword v94, off, s[0:3], 0 offset:228
	buffer_store_dword v92, off, s[0:3], 0 offset:224
	buffer_store_dword v92, off, s[0:3], 0 offset:228
	s_waitcnt vmcnt(0)
	ds_write_b64 v91, v[93:94]
.LBB108_223:
	s_or_b32 exec_lo, exec_lo, s4
	s_waitcnt lgkmcnt(0)
	s_waitcnt_vscnt null, 0x0
	s_barrier
	buffer_gl0_inv
	s_clause 0x1c
	buffer_load_dword v101, off, s[0:3], 0 offset:232
	buffer_load_dword v102, off, s[0:3], 0 offset:236
	;; [unrolled: 1-line block ×29, first 2 shown]
	ds_read2_b64 v[93:96], v92 offset0:75 offset1:76
	ds_read2_b64 v[97:100], v92 offset0:77 offset1:78
	buffer_load_dword v126, off, s[0:3], 0 offset:348
	s_mov_b32 s4, exec_lo
	s_waitcnt vmcnt(28) lgkmcnt(1)
	v_fma_f64 v[93:94], v[101:102], v[93:94], 0
	s_clause 0x1
	buffer_load_dword v102, off, s[0:3], 0 offset:356
	buffer_load_dword v101, off, s[0:3], 0 offset:352
	s_waitcnt vmcnt(28)
	v_fma_f64 v[93:94], v[103:104], v[95:96], v[93:94]
	s_clause 0x1
	buffer_load_dword v103, off, s[0:3], 0 offset:224
	buffer_load_dword v104, off, s[0:3], 0 offset:228
	s_waitcnt vmcnt(28) lgkmcnt(0)
	v_fma_f64 v[93:94], v[105:106], v[97:98], v[93:94]
	s_waitcnt vmcnt(26)
	v_fma_f64 v[105:106], v[107:108], v[99:100], v[93:94]
	ds_read2_b64 v[93:96], v92 offset0:79 offset1:80
	ds_read2_b64 v[97:100], v92 offset0:81 offset1:82
	s_waitcnt vmcnt(24) lgkmcnt(1)
	v_fma_f64 v[93:94], v[109:110], v[93:94], v[105:106]
	s_waitcnt vmcnt(22)
	v_fma_f64 v[93:94], v[111:112], v[95:96], v[93:94]
	s_waitcnt vmcnt(20) lgkmcnt(0)
	v_fma_f64 v[93:94], v[113:114], v[97:98], v[93:94]
	s_waitcnt vmcnt(15)
	v_fma_f64 v[105:106], v[115:116], v[99:100], v[93:94]
	ds_read2_b64 v[93:96], v92 offset0:83 offset1:84
	ds_read2_b64 v[97:100], v92 offset0:85 offset1:86
	s_waitcnt vmcnt(14) lgkmcnt(1)
	v_fma_f64 v[93:94], v[121:122], v[93:94], v[105:106]
	s_waitcnt vmcnt(13)
	v_fma_f64 v[93:94], v[119:120], v[95:96], v[93:94]
	;; [unrolled: 10-line block ×3, first 2 shown]
	s_waitcnt vmcnt(4) lgkmcnt(0)
	v_fma_f64 v[92:93], v[125:126], v[97:98], v[92:93]
	s_waitcnt vmcnt(2)
	v_fma_f64 v[92:93], v[101:102], v[99:100], v[92:93]
	s_waitcnt vmcnt(0)
	v_add_f64 v[92:93], v[103:104], -v[92:93]
	buffer_store_dword v93, off, s[0:3], 0 offset:228
	buffer_store_dword v92, off, s[0:3], 0 offset:224
	v_cmpx_lt_u32_e32 27, v0
	s_cbranch_execz .LBB108_225
; %bb.224:
	s_clause 0x1
	buffer_load_dword v92, off, s[0:3], 0 offset:216
	buffer_load_dword v93, off, s[0:3], 0 offset:220
	v_mov_b32_e32 v94, 0
	buffer_store_dword v94, off, s[0:3], 0 offset:216
	buffer_store_dword v94, off, s[0:3], 0 offset:220
	s_waitcnt vmcnt(0)
	ds_write_b64 v91, v[92:93]
.LBB108_225:
	s_or_b32 exec_lo, exec_lo, s4
	s_waitcnt lgkmcnt(0)
	s_waitcnt_vscnt null, 0x0
	s_barrier
	buffer_gl0_inv
	s_clause 0x1c
	buffer_load_dword v101, off, s[0:3], 0 offset:224
	buffer_load_dword v102, off, s[0:3], 0 offset:228
	buffer_load_dword v103, off, s[0:3], 0 offset:232
	buffer_load_dword v104, off, s[0:3], 0 offset:236
	buffer_load_dword v105, off, s[0:3], 0 offset:240
	buffer_load_dword v106, off, s[0:3], 0 offset:244
	buffer_load_dword v107, off, s[0:3], 0 offset:248
	buffer_load_dword v108, off, s[0:3], 0 offset:252
	buffer_load_dword v109, off, s[0:3], 0 offset:256
	buffer_load_dword v110, off, s[0:3], 0 offset:260
	buffer_load_dword v111, off, s[0:3], 0 offset:264
	buffer_load_dword v112, off, s[0:3], 0 offset:268
	buffer_load_dword v113, off, s[0:3], 0 offset:272
	buffer_load_dword v114, off, s[0:3], 0 offset:276
	buffer_load_dword v116, off, s[0:3], 0 offset:284
	buffer_load_dword v117, off, s[0:3], 0 offset:304
	buffer_load_dword v119, off, s[0:3], 0 offset:296
	buffer_load_dword v121, off, s[0:3], 0 offset:288
	buffer_load_dword v115, off, s[0:3], 0 offset:280
	buffer_load_dword v122, off, s[0:3], 0 offset:292
	buffer_load_dword v120, off, s[0:3], 0 offset:300
	buffer_load_dword v118, off, s[0:3], 0 offset:308
	buffer_load_dword v124, off, s[0:3], 0 offset:316
	buffer_load_dword v125, off, s[0:3], 0 offset:336
	buffer_load_dword v127, off, s[0:3], 0 offset:328
	buffer_load_dword v129, off, s[0:3], 0 offset:320
	buffer_load_dword v123, off, s[0:3], 0 offset:312
	buffer_load_dword v130, off, s[0:3], 0 offset:324
	buffer_load_dword v128, off, s[0:3], 0 offset:332
	v_mov_b32_e32 v92, 0
	buffer_load_dword v126, off, s[0:3], 0 offset:340
	s_mov_b32 s4, exec_lo
	ds_read_b128 v[93:96], v92 offset:592
	ds_read_b128 v[97:100], v92 offset:608
	s_waitcnt vmcnt(28) lgkmcnt(1)
	v_fma_f64 v[93:94], v[101:102], v[93:94], 0
	s_clause 0x3
	buffer_load_dword v102, off, s[0:3], 0 offset:348
	buffer_load_dword v131, off, s[0:3], 0 offset:352
	;; [unrolled: 1-line block ×4, first 2 shown]
	s_waitcnt vmcnt(30)
	v_fma_f64 v[93:94], v[103:104], v[95:96], v[93:94]
	s_clause 0x1
	buffer_load_dword v103, off, s[0:3], 0 offset:216
	buffer_load_dword v104, off, s[0:3], 0 offset:220
	s_waitcnt vmcnt(30) lgkmcnt(0)
	v_fma_f64 v[93:94], v[105:106], v[97:98], v[93:94]
	s_waitcnt vmcnt(28)
	v_fma_f64 v[105:106], v[107:108], v[99:100], v[93:94]
	ds_read_b128 v[93:96], v92 offset:624
	ds_read_b128 v[97:100], v92 offset:640
	s_waitcnt vmcnt(26) lgkmcnt(1)
	v_fma_f64 v[93:94], v[109:110], v[93:94], v[105:106]
	s_waitcnt vmcnt(24)
	v_fma_f64 v[93:94], v[111:112], v[95:96], v[93:94]
	s_waitcnt vmcnt(22) lgkmcnt(0)
	v_fma_f64 v[93:94], v[113:114], v[97:98], v[93:94]
	s_waitcnt vmcnt(17)
	v_fma_f64 v[105:106], v[115:116], v[99:100], v[93:94]
	ds_read_b128 v[93:96], v92 offset:656
	ds_read_b128 v[97:100], v92 offset:672
	s_waitcnt vmcnt(16) lgkmcnt(1)
	v_fma_f64 v[93:94], v[121:122], v[93:94], v[105:106]
	s_waitcnt vmcnt(15)
	v_fma_f64 v[93:94], v[119:120], v[95:96], v[93:94]
	;; [unrolled: 10-line block ×3, first 2 shown]
	ds_read_b64 v[95:96], v92 offset:720
	s_waitcnt vmcnt(6) lgkmcnt(1)
	v_fma_f64 v[93:94], v[125:126], v[97:98], v[93:94]
	s_waitcnt vmcnt(3)
	v_fma_f64 v[93:94], v[101:102], v[99:100], v[93:94]
	s_waitcnt vmcnt(2) lgkmcnt(0)
	v_fma_f64 v[93:94], v[131:132], v[95:96], v[93:94]
	s_waitcnt vmcnt(0)
	v_add_f64 v[93:94], v[103:104], -v[93:94]
	buffer_store_dword v94, off, s[0:3], 0 offset:220
	buffer_store_dword v93, off, s[0:3], 0 offset:216
	v_cmpx_lt_u32_e32 26, v0
	s_cbranch_execz .LBB108_227
; %bb.226:
	s_clause 0x1
	buffer_load_dword v93, off, s[0:3], 0 offset:208
	buffer_load_dword v94, off, s[0:3], 0 offset:212
	buffer_store_dword v92, off, s[0:3], 0 offset:208
	buffer_store_dword v92, off, s[0:3], 0 offset:212
	s_waitcnt vmcnt(0)
	ds_write_b64 v91, v[93:94]
.LBB108_227:
	s_or_b32 exec_lo, exec_lo, s4
	s_waitcnt lgkmcnt(0)
	s_waitcnt_vscnt null, 0x0
	s_barrier
	buffer_gl0_inv
	s_clause 0x1c
	buffer_load_dword v101, off, s[0:3], 0 offset:216
	buffer_load_dword v102, off, s[0:3], 0 offset:220
	;; [unrolled: 1-line block ×29, first 2 shown]
	ds_read2_b64 v[93:96], v92 offset0:73 offset1:74
	ds_read2_b64 v[97:100], v92 offset0:75 offset1:76
	buffer_load_dword v126, off, s[0:3], 0 offset:332
	s_mov_b32 s4, exec_lo
	s_waitcnt vmcnt(28) lgkmcnt(1)
	v_fma_f64 v[93:94], v[101:102], v[93:94], 0
	s_clause 0x5
	buffer_load_dword v102, off, s[0:3], 0 offset:340
	buffer_load_dword v131, off, s[0:3], 0 offset:352
	;; [unrolled: 1-line block ×6, first 2 shown]
	s_waitcnt vmcnt(32)
	v_fma_f64 v[93:94], v[103:104], v[95:96], v[93:94]
	s_waitcnt vmcnt(30) lgkmcnt(0)
	v_fma_f64 v[93:94], v[105:106], v[97:98], v[93:94]
	s_waitcnt vmcnt(28)
	v_fma_f64 v[103:104], v[107:108], v[99:100], v[93:94]
	ds_read2_b64 v[93:96], v92 offset0:77 offset1:78
	s_clause 0x1
	buffer_load_dword v105, off, s[0:3], 0 offset:208
	buffer_load_dword v106, off, s[0:3], 0 offset:212
	ds_read2_b64 v[97:100], v92 offset0:79 offset1:80
	s_waitcnt vmcnt(28) lgkmcnt(1)
	v_fma_f64 v[93:94], v[109:110], v[93:94], v[103:104]
	s_waitcnt vmcnt(26)
	v_fma_f64 v[93:94], v[111:112], v[95:96], v[93:94]
	s_waitcnt vmcnt(24) lgkmcnt(0)
	v_fma_f64 v[93:94], v[113:114], v[97:98], v[93:94]
	s_waitcnt vmcnt(19)
	v_fma_f64 v[103:104], v[115:116], v[99:100], v[93:94]
	ds_read2_b64 v[93:96], v92 offset0:81 offset1:82
	ds_read2_b64 v[97:100], v92 offset0:83 offset1:84
	s_waitcnt vmcnt(18) lgkmcnt(1)
	v_fma_f64 v[93:94], v[121:122], v[93:94], v[103:104]
	s_waitcnt vmcnt(17)
	v_fma_f64 v[93:94], v[119:120], v[95:96], v[93:94]
	s_waitcnt vmcnt(16) lgkmcnt(0)
	v_fma_f64 v[93:94], v[117:118], v[97:98], v[93:94]
	s_waitcnt vmcnt(11)
	v_fma_f64 v[103:104], v[123:124], v[99:100], v[93:94]
	ds_read2_b64 v[93:96], v92 offset0:85 offset1:86
	;; [unrolled: 10-line block ×3, first 2 shown]
	s_waitcnt vmcnt(3) lgkmcnt(0)
	v_fma_f64 v[92:93], v[133:134], v[92:93], v[96:97]
	s_waitcnt vmcnt(2)
	v_fma_f64 v[92:93], v[131:132], v[94:95], v[92:93]
	s_waitcnt vmcnt(0)
	v_add_f64 v[92:93], v[105:106], -v[92:93]
	buffer_store_dword v93, off, s[0:3], 0 offset:212
	buffer_store_dword v92, off, s[0:3], 0 offset:208
	v_cmpx_lt_u32_e32 25, v0
	s_cbranch_execz .LBB108_229
; %bb.228:
	s_clause 0x1
	buffer_load_dword v92, off, s[0:3], 0 offset:200
	buffer_load_dword v93, off, s[0:3], 0 offset:204
	v_mov_b32_e32 v94, 0
	buffer_store_dword v94, off, s[0:3], 0 offset:200
	buffer_store_dword v94, off, s[0:3], 0 offset:204
	s_waitcnt vmcnt(0)
	ds_write_b64 v91, v[92:93]
.LBB108_229:
	s_or_b32 exec_lo, exec_lo, s4
	s_waitcnt lgkmcnt(0)
	s_waitcnt_vscnt null, 0x0
	s_barrier
	buffer_gl0_inv
	s_clause 0x1c
	buffer_load_dword v101, off, s[0:3], 0 offset:208
	buffer_load_dword v102, off, s[0:3], 0 offset:212
	;; [unrolled: 1-line block ×29, first 2 shown]
	v_mov_b32_e32 v92, 0
	buffer_load_dword v126, off, s[0:3], 0 offset:324
	s_mov_b32 s4, exec_lo
	ds_read_b128 v[93:96], v92 offset:576
	ds_read_b128 v[97:100], v92 offset:592
	s_waitcnt vmcnt(28) lgkmcnt(1)
	v_fma_f64 v[93:94], v[101:102], v[93:94], 0
	s_clause 0x7
	buffer_load_dword v102, off, s[0:3], 0 offset:332
	buffer_load_dword v131, off, s[0:3], 0 offset:352
	;; [unrolled: 1-line block ×8, first 2 shown]
	s_waitcnt vmcnt(34)
	v_fma_f64 v[93:94], v[103:104], v[95:96], v[93:94]
	s_waitcnt vmcnt(32) lgkmcnt(0)
	v_fma_f64 v[93:94], v[105:106], v[97:98], v[93:94]
	s_waitcnt vmcnt(30)
	v_fma_f64 v[103:104], v[107:108], v[99:100], v[93:94]
	ds_read_b128 v[93:96], v92 offset:608
	ds_read_b128 v[97:100], v92 offset:624
	s_waitcnt vmcnt(28) lgkmcnt(1)
	v_fma_f64 v[93:94], v[109:110], v[93:94], v[103:104]
	s_clause 0x1
	buffer_load_dword v103, off, s[0:3], 0 offset:200
	buffer_load_dword v104, off, s[0:3], 0 offset:204
	s_waitcnt vmcnt(28)
	v_fma_f64 v[93:94], v[111:112], v[95:96], v[93:94]
	s_waitcnt vmcnt(26) lgkmcnt(0)
	v_fma_f64 v[93:94], v[113:114], v[97:98], v[93:94]
	s_waitcnt vmcnt(21)
	v_fma_f64 v[105:106], v[115:116], v[99:100], v[93:94]
	ds_read_b128 v[93:96], v92 offset:640
	ds_read_b128 v[97:100], v92 offset:656
	s_waitcnt vmcnt(20) lgkmcnt(1)
	v_fma_f64 v[93:94], v[121:122], v[93:94], v[105:106]
	s_waitcnt vmcnt(19)
	v_fma_f64 v[93:94], v[119:120], v[95:96], v[93:94]
	s_waitcnt vmcnt(18) lgkmcnt(0)
	v_fma_f64 v[93:94], v[117:118], v[97:98], v[93:94]
	s_waitcnt vmcnt(13)
	v_fma_f64 v[105:106], v[123:124], v[99:100], v[93:94]
	ds_read_b128 v[93:96], v92 offset:672
	ds_read_b128 v[97:100], v92 offset:688
	s_waitcnt vmcnt(12) lgkmcnt(1)
	v_fma_f64 v[93:94], v[129:130], v[93:94], v[105:106]
	s_waitcnt vmcnt(11)
	v_fma_f64 v[93:94], v[127:128], v[95:96], v[93:94]
	s_waitcnt vmcnt(10) lgkmcnt(0)
	v_fma_f64 v[93:94], v[125:126], v[97:98], v[93:94]
	s_waitcnt vmcnt(5)
	v_fma_f64 v[97:98], v[101:102], v[99:100], v[93:94]
	ds_read_b128 v[93:96], v92 offset:704
	ds_read_b64 v[99:100], v92 offset:720
	s_waitcnt vmcnt(4) lgkmcnt(1)
	v_fma_f64 v[93:94], v[135:136], v[93:94], v[97:98]
	s_waitcnt vmcnt(3)
	v_fma_f64 v[93:94], v[133:134], v[95:96], v[93:94]
	s_waitcnt vmcnt(2) lgkmcnt(0)
	v_fma_f64 v[93:94], v[131:132], v[99:100], v[93:94]
	s_waitcnt vmcnt(0)
	v_add_f64 v[93:94], v[103:104], -v[93:94]
	buffer_store_dword v94, off, s[0:3], 0 offset:204
	buffer_store_dword v93, off, s[0:3], 0 offset:200
	v_cmpx_lt_u32_e32 24, v0
	s_cbranch_execz .LBB108_231
; %bb.230:
	s_clause 0x1
	buffer_load_dword v93, off, s[0:3], 0 offset:192
	buffer_load_dword v94, off, s[0:3], 0 offset:196
	buffer_store_dword v92, off, s[0:3], 0 offset:192
	buffer_store_dword v92, off, s[0:3], 0 offset:196
	s_waitcnt vmcnt(0)
	ds_write_b64 v91, v[93:94]
.LBB108_231:
	s_or_b32 exec_lo, exec_lo, s4
	s_waitcnt lgkmcnt(0)
	s_waitcnt_vscnt null, 0x0
	s_barrier
	buffer_gl0_inv
	s_clause 0x1c
	buffer_load_dword v101, off, s[0:3], 0 offset:200
	buffer_load_dword v102, off, s[0:3], 0 offset:204
	buffer_load_dword v103, off, s[0:3], 0 offset:208
	buffer_load_dword v104, off, s[0:3], 0 offset:212
	buffer_load_dword v105, off, s[0:3], 0 offset:216
	buffer_load_dword v106, off, s[0:3], 0 offset:220
	buffer_load_dword v107, off, s[0:3], 0 offset:224
	buffer_load_dword v108, off, s[0:3], 0 offset:228
	buffer_load_dword v109, off, s[0:3], 0 offset:232
	buffer_load_dword v110, off, s[0:3], 0 offset:236
	buffer_load_dword v111, off, s[0:3], 0 offset:240
	buffer_load_dword v112, off, s[0:3], 0 offset:244
	buffer_load_dword v113, off, s[0:3], 0 offset:248
	buffer_load_dword v114, off, s[0:3], 0 offset:252
	buffer_load_dword v116, off, s[0:3], 0 offset:260
	buffer_load_dword v117, off, s[0:3], 0 offset:280
	buffer_load_dword v119, off, s[0:3], 0 offset:272
	buffer_load_dword v121, off, s[0:3], 0 offset:264
	buffer_load_dword v115, off, s[0:3], 0 offset:256
	buffer_load_dword v122, off, s[0:3], 0 offset:268
	buffer_load_dword v120, off, s[0:3], 0 offset:276
	buffer_load_dword v118, off, s[0:3], 0 offset:284
	buffer_load_dword v124, off, s[0:3], 0 offset:292
	buffer_load_dword v125, off, s[0:3], 0 offset:312
	buffer_load_dword v127, off, s[0:3], 0 offset:304
	buffer_load_dword v129, off, s[0:3], 0 offset:296
	buffer_load_dword v123, off, s[0:3], 0 offset:288
	buffer_load_dword v130, off, s[0:3], 0 offset:300
	buffer_load_dword v128, off, s[0:3], 0 offset:308
	ds_read2_b64 v[93:96], v92 offset0:71 offset1:72
	ds_read2_b64 v[97:100], v92 offset0:73 offset1:74
	buffer_load_dword v126, off, s[0:3], 0 offset:316
	s_mov_b32 s4, exec_lo
	s_waitcnt vmcnt(28) lgkmcnt(1)
	v_fma_f64 v[93:94], v[101:102], v[93:94], 0
	s_clause 0x7
	buffer_load_dword v102, off, s[0:3], 0 offset:324
	buffer_load_dword v131, off, s[0:3], 0 offset:344
	;; [unrolled: 1-line block ×8, first 2 shown]
	s_waitcnt vmcnt(34)
	v_fma_f64 v[93:94], v[103:104], v[95:96], v[93:94]
	s_waitcnt vmcnt(32) lgkmcnt(0)
	v_fma_f64 v[93:94], v[105:106], v[97:98], v[93:94]
	s_waitcnt vmcnt(30)
	v_fma_f64 v[103:104], v[107:108], v[99:100], v[93:94]
	ds_read2_b64 v[93:96], v92 offset0:75 offset1:76
	ds_read2_b64 v[97:100], v92 offset0:77 offset1:78
	s_waitcnt vmcnt(28) lgkmcnt(1)
	v_fma_f64 v[93:94], v[109:110], v[93:94], v[103:104]
	s_clause 0x3
	buffer_load_dword v104, off, s[0:3], 0 offset:356
	buffer_load_dword v103, off, s[0:3], 0 offset:352
	;; [unrolled: 1-line block ×4, first 2 shown]
	s_waitcnt vmcnt(30)
	v_fma_f64 v[93:94], v[111:112], v[95:96], v[93:94]
	s_waitcnt vmcnt(28) lgkmcnt(0)
	v_fma_f64 v[93:94], v[113:114], v[97:98], v[93:94]
	s_waitcnt vmcnt(23)
	v_fma_f64 v[107:108], v[115:116], v[99:100], v[93:94]
	ds_read2_b64 v[93:96], v92 offset0:79 offset1:80
	ds_read2_b64 v[97:100], v92 offset0:81 offset1:82
	s_waitcnt vmcnt(22) lgkmcnt(1)
	v_fma_f64 v[93:94], v[121:122], v[93:94], v[107:108]
	s_waitcnt vmcnt(21)
	v_fma_f64 v[93:94], v[119:120], v[95:96], v[93:94]
	s_waitcnt vmcnt(20) lgkmcnt(0)
	v_fma_f64 v[93:94], v[117:118], v[97:98], v[93:94]
	s_waitcnt vmcnt(15)
	v_fma_f64 v[107:108], v[123:124], v[99:100], v[93:94]
	ds_read2_b64 v[93:96], v92 offset0:83 offset1:84
	ds_read2_b64 v[97:100], v92 offset0:85 offset1:86
	s_waitcnt vmcnt(14) lgkmcnt(1)
	v_fma_f64 v[93:94], v[129:130], v[93:94], v[107:108]
	;; [unrolled: 10-line block ×3, first 2 shown]
	s_waitcnt vmcnt(5)
	v_fma_f64 v[92:93], v[133:134], v[95:96], v[92:93]
	s_waitcnt vmcnt(4) lgkmcnt(0)
	v_fma_f64 v[92:93], v[131:132], v[97:98], v[92:93]
	s_waitcnt vmcnt(2)
	v_fma_f64 v[92:93], v[103:104], v[99:100], v[92:93]
	s_waitcnt vmcnt(0)
	v_add_f64 v[92:93], v[105:106], -v[92:93]
	buffer_store_dword v93, off, s[0:3], 0 offset:196
	buffer_store_dword v92, off, s[0:3], 0 offset:192
	v_cmpx_lt_u32_e32 23, v0
	s_cbranch_execz .LBB108_233
; %bb.232:
	s_clause 0x1
	buffer_load_dword v92, off, s[0:3], 0 offset:184
	buffer_load_dword v93, off, s[0:3], 0 offset:188
	v_mov_b32_e32 v94, 0
	buffer_store_dword v94, off, s[0:3], 0 offset:184
	buffer_store_dword v94, off, s[0:3], 0 offset:188
	s_waitcnt vmcnt(0)
	ds_write_b64 v91, v[92:93]
.LBB108_233:
	s_or_b32 exec_lo, exec_lo, s4
	s_waitcnt lgkmcnt(0)
	s_waitcnt_vscnt null, 0x0
	s_barrier
	buffer_gl0_inv
	s_clause 0x1c
	buffer_load_dword v101, off, s[0:3], 0 offset:192
	buffer_load_dword v102, off, s[0:3], 0 offset:196
	;; [unrolled: 1-line block ×29, first 2 shown]
	v_mov_b32_e32 v92, 0
	buffer_load_dword v126, off, s[0:3], 0 offset:308
	s_mov_b32 s4, exec_lo
	ds_read_b128 v[93:96], v92 offset:560
	ds_read_b128 v[97:100], v92 offset:576
	s_waitcnt vmcnt(28) lgkmcnt(1)
	v_fma_f64 v[93:94], v[101:102], v[93:94], 0
	s_clause 0x7
	buffer_load_dword v102, off, s[0:3], 0 offset:316
	buffer_load_dword v131, off, s[0:3], 0 offset:336
	;; [unrolled: 1-line block ×8, first 2 shown]
	s_waitcnt vmcnt(34)
	v_fma_f64 v[93:94], v[103:104], v[95:96], v[93:94]
	s_waitcnt vmcnt(32) lgkmcnt(0)
	v_fma_f64 v[93:94], v[105:106], v[97:98], v[93:94]
	s_waitcnt vmcnt(30)
	v_fma_f64 v[103:104], v[107:108], v[99:100], v[93:94]
	ds_read_b128 v[93:96], v92 offset:592
	ds_read_b128 v[97:100], v92 offset:608
	s_waitcnt vmcnt(28) lgkmcnt(1)
	v_fma_f64 v[93:94], v[109:110], v[93:94], v[103:104]
	s_clause 0x5
	buffer_load_dword v104, off, s[0:3], 0 offset:348
	buffer_load_dword v105, off, s[0:3], 0 offset:352
	;; [unrolled: 1-line block ×6, first 2 shown]
	s_waitcnt vmcnt(32)
	v_fma_f64 v[93:94], v[111:112], v[95:96], v[93:94]
	s_waitcnt vmcnt(30) lgkmcnt(0)
	v_fma_f64 v[93:94], v[113:114], v[97:98], v[93:94]
	s_waitcnt vmcnt(25)
	v_fma_f64 v[109:110], v[115:116], v[99:100], v[93:94]
	ds_read_b128 v[93:96], v92 offset:624
	ds_read_b128 v[97:100], v92 offset:640
	s_waitcnt vmcnt(24) lgkmcnt(1)
	v_fma_f64 v[93:94], v[121:122], v[93:94], v[109:110]
	s_waitcnt vmcnt(23)
	v_fma_f64 v[93:94], v[119:120], v[95:96], v[93:94]
	s_waitcnt vmcnt(22) lgkmcnt(0)
	v_fma_f64 v[93:94], v[117:118], v[97:98], v[93:94]
	s_waitcnt vmcnt(17)
	v_fma_f64 v[109:110], v[123:124], v[99:100], v[93:94]
	ds_read_b128 v[93:96], v92 offset:656
	ds_read_b128 v[97:100], v92 offset:672
	s_waitcnt vmcnt(16) lgkmcnt(1)
	v_fma_f64 v[93:94], v[129:130], v[93:94], v[109:110]
	;; [unrolled: 10-line block ×3, first 2 shown]
	s_waitcnt vmcnt(7)
	v_fma_f64 v[93:94], v[133:134], v[95:96], v[93:94]
	ds_read_b64 v[95:96], v92 offset:720
	s_waitcnt vmcnt(6) lgkmcnt(1)
	v_fma_f64 v[93:94], v[131:132], v[97:98], v[93:94]
	s_waitcnt vmcnt(3)
	v_fma_f64 v[93:94], v[103:104], v[99:100], v[93:94]
	s_waitcnt vmcnt(2) lgkmcnt(0)
	v_fma_f64 v[93:94], v[105:106], v[95:96], v[93:94]
	s_waitcnt vmcnt(0)
	v_add_f64 v[93:94], v[107:108], -v[93:94]
	buffer_store_dword v94, off, s[0:3], 0 offset:188
	buffer_store_dword v93, off, s[0:3], 0 offset:184
	v_cmpx_lt_u32_e32 22, v0
	s_cbranch_execz .LBB108_235
; %bb.234:
	s_clause 0x1
	buffer_load_dword v93, off, s[0:3], 0 offset:176
	buffer_load_dword v94, off, s[0:3], 0 offset:180
	buffer_store_dword v92, off, s[0:3], 0 offset:176
	buffer_store_dword v92, off, s[0:3], 0 offset:180
	s_waitcnt vmcnt(0)
	ds_write_b64 v91, v[93:94]
.LBB108_235:
	s_or_b32 exec_lo, exec_lo, s4
	s_waitcnt lgkmcnt(0)
	s_waitcnt_vscnt null, 0x0
	s_barrier
	buffer_gl0_inv
	s_clause 0x1c
	buffer_load_dword v101, off, s[0:3], 0 offset:184
	buffer_load_dword v102, off, s[0:3], 0 offset:188
	;; [unrolled: 1-line block ×29, first 2 shown]
	ds_read2_b64 v[93:96], v92 offset0:69 offset1:70
	ds_read2_b64 v[97:100], v92 offset0:71 offset1:72
	buffer_load_dword v126, off, s[0:3], 0 offset:300
	s_mov_b32 s4, exec_lo
	s_waitcnt vmcnt(28) lgkmcnt(1)
	v_fma_f64 v[93:94], v[101:102], v[93:94], 0
	s_clause 0x7
	buffer_load_dword v102, off, s[0:3], 0 offset:308
	buffer_load_dword v131, off, s[0:3], 0 offset:328
	;; [unrolled: 1-line block ×8, first 2 shown]
	s_waitcnt vmcnt(34)
	v_fma_f64 v[93:94], v[103:104], v[95:96], v[93:94]
	s_waitcnt vmcnt(32) lgkmcnt(0)
	v_fma_f64 v[93:94], v[105:106], v[97:98], v[93:94]
	s_waitcnt vmcnt(30)
	v_fma_f64 v[103:104], v[107:108], v[99:100], v[93:94]
	ds_read2_b64 v[93:96], v92 offset0:73 offset1:74
	ds_read2_b64 v[97:100], v92 offset0:75 offset1:76
	s_waitcnt vmcnt(28) lgkmcnt(1)
	v_fma_f64 v[93:94], v[109:110], v[93:94], v[103:104]
	s_clause 0x5
	buffer_load_dword v104, off, s[0:3], 0 offset:340
	buffer_load_dword v105, off, s[0:3], 0 offset:352
	;; [unrolled: 1-line block ×6, first 2 shown]
	s_waitcnt vmcnt(32)
	v_fma_f64 v[93:94], v[111:112], v[95:96], v[93:94]
	s_waitcnt vmcnt(30) lgkmcnt(0)
	v_fma_f64 v[93:94], v[113:114], v[97:98], v[93:94]
	s_waitcnt vmcnt(25)
	v_fma_f64 v[109:110], v[115:116], v[99:100], v[93:94]
	ds_read2_b64 v[93:96], v92 offset0:77 offset1:78
	s_clause 0x1
	buffer_load_dword v111, off, s[0:3], 0 offset:176
	buffer_load_dword v112, off, s[0:3], 0 offset:180
	ds_read2_b64 v[97:100], v92 offset0:79 offset1:80
	s_waitcnt vmcnt(26) lgkmcnt(1)
	v_fma_f64 v[93:94], v[121:122], v[93:94], v[109:110]
	s_waitcnt vmcnt(25)
	v_fma_f64 v[93:94], v[119:120], v[95:96], v[93:94]
	s_waitcnt vmcnt(24) lgkmcnt(0)
	v_fma_f64 v[93:94], v[117:118], v[97:98], v[93:94]
	s_waitcnt vmcnt(19)
	v_fma_f64 v[109:110], v[123:124], v[99:100], v[93:94]
	ds_read2_b64 v[93:96], v92 offset0:81 offset1:82
	ds_read2_b64 v[97:100], v92 offset0:83 offset1:84
	s_waitcnt vmcnt(18) lgkmcnt(1)
	v_fma_f64 v[93:94], v[129:130], v[93:94], v[109:110]
	s_waitcnt vmcnt(17)
	v_fma_f64 v[93:94], v[127:128], v[95:96], v[93:94]
	s_waitcnt vmcnt(16) lgkmcnt(0)
	v_fma_f64 v[93:94], v[125:126], v[97:98], v[93:94]
	s_waitcnt vmcnt(11)
	v_fma_f64 v[101:102], v[101:102], v[99:100], v[93:94]
	ds_read2_b64 v[93:96], v92 offset0:85 offset1:86
	;; [unrolled: 10-line block ×3, first 2 shown]
	s_waitcnt vmcnt(3) lgkmcnt(0)
	v_fma_f64 v[92:93], v[107:108], v[92:93], v[96:97]
	s_waitcnt vmcnt(2)
	v_fma_f64 v[92:93], v[105:106], v[94:95], v[92:93]
	s_waitcnt vmcnt(0)
	v_add_f64 v[92:93], v[111:112], -v[92:93]
	buffer_store_dword v93, off, s[0:3], 0 offset:180
	buffer_store_dword v92, off, s[0:3], 0 offset:176
	v_cmpx_lt_u32_e32 21, v0
	s_cbranch_execz .LBB108_237
; %bb.236:
	s_clause 0x1
	buffer_load_dword v92, off, s[0:3], 0 offset:168
	buffer_load_dword v93, off, s[0:3], 0 offset:172
	v_mov_b32_e32 v94, 0
	buffer_store_dword v94, off, s[0:3], 0 offset:168
	buffer_store_dword v94, off, s[0:3], 0 offset:172
	s_waitcnt vmcnt(0)
	ds_write_b64 v91, v[92:93]
.LBB108_237:
	s_or_b32 exec_lo, exec_lo, s4
	s_waitcnt lgkmcnt(0)
	s_waitcnt_vscnt null, 0x0
	s_barrier
	buffer_gl0_inv
	s_clause 0x1c
	buffer_load_dword v101, off, s[0:3], 0 offset:176
	buffer_load_dword v102, off, s[0:3], 0 offset:180
	;; [unrolled: 1-line block ×29, first 2 shown]
	v_mov_b32_e32 v92, 0
	buffer_load_dword v126, off, s[0:3], 0 offset:292
	s_mov_b32 s4, exec_lo
	ds_read_b128 v[93:96], v92 offset:544
	ds_read_b128 v[97:100], v92 offset:560
	s_waitcnt vmcnt(28) lgkmcnt(1)
	v_fma_f64 v[93:94], v[101:102], v[93:94], 0
	s_clause 0x7
	buffer_load_dword v102, off, s[0:3], 0 offset:300
	buffer_load_dword v131, off, s[0:3], 0 offset:320
	;; [unrolled: 1-line block ×8, first 2 shown]
	s_waitcnt vmcnt(34)
	v_fma_f64 v[93:94], v[103:104], v[95:96], v[93:94]
	s_waitcnt vmcnt(32) lgkmcnt(0)
	v_fma_f64 v[93:94], v[105:106], v[97:98], v[93:94]
	s_waitcnt vmcnt(30)
	v_fma_f64 v[103:104], v[107:108], v[99:100], v[93:94]
	ds_read_b128 v[93:96], v92 offset:576
	ds_read_b128 v[97:100], v92 offset:592
	s_waitcnt vmcnt(28) lgkmcnt(1)
	v_fma_f64 v[93:94], v[109:110], v[93:94], v[103:104]
	s_clause 0x7
	buffer_load_dword v104, off, s[0:3], 0 offset:332
	buffer_load_dword v105, off, s[0:3], 0 offset:352
	;; [unrolled: 1-line block ×8, first 2 shown]
	s_waitcnt vmcnt(34)
	v_fma_f64 v[93:94], v[111:112], v[95:96], v[93:94]
	s_waitcnt vmcnt(32) lgkmcnt(0)
	v_fma_f64 v[93:94], v[113:114], v[97:98], v[93:94]
	s_waitcnt vmcnt(27)
	v_fma_f64 v[111:112], v[115:116], v[99:100], v[93:94]
	ds_read_b128 v[93:96], v92 offset:608
	ds_read_b128 v[97:100], v92 offset:624
	s_waitcnt vmcnt(26) lgkmcnt(1)
	v_fma_f64 v[93:94], v[121:122], v[93:94], v[111:112]
	s_clause 0x1
	buffer_load_dword v111, off, s[0:3], 0 offset:168
	buffer_load_dword v112, off, s[0:3], 0 offset:172
	s_waitcnt vmcnt(27)
	v_fma_f64 v[93:94], v[119:120], v[95:96], v[93:94]
	s_waitcnt vmcnt(26) lgkmcnt(0)
	v_fma_f64 v[93:94], v[117:118], v[97:98], v[93:94]
	s_waitcnt vmcnt(21)
	v_fma_f64 v[113:114], v[123:124], v[99:100], v[93:94]
	ds_read_b128 v[93:96], v92 offset:640
	ds_read_b128 v[97:100], v92 offset:656
	s_waitcnt vmcnt(20) lgkmcnt(1)
	v_fma_f64 v[93:94], v[129:130], v[93:94], v[113:114]
	s_waitcnt vmcnt(19)
	v_fma_f64 v[93:94], v[127:128], v[95:96], v[93:94]
	s_waitcnt vmcnt(18) lgkmcnt(0)
	v_fma_f64 v[93:94], v[125:126], v[97:98], v[93:94]
	s_waitcnt vmcnt(13)
	v_fma_f64 v[101:102], v[101:102], v[99:100], v[93:94]
	ds_read_b128 v[93:96], v92 offset:672
	ds_read_b128 v[97:100], v92 offset:688
	s_waitcnt vmcnt(12) lgkmcnt(1)
	v_fma_f64 v[93:94], v[135:136], v[93:94], v[101:102]
	s_waitcnt vmcnt(11)
	v_fma_f64 v[93:94], v[133:134], v[95:96], v[93:94]
	s_waitcnt vmcnt(10) lgkmcnt(0)
	v_fma_f64 v[93:94], v[131:132], v[97:98], v[93:94]
	s_waitcnt vmcnt(5)
	v_fma_f64 v[97:98], v[103:104], v[99:100], v[93:94]
	ds_read_b128 v[93:96], v92 offset:704
	ds_read_b64 v[99:100], v92 offset:720
	s_waitcnt vmcnt(4) lgkmcnt(1)
	v_fma_f64 v[93:94], v[109:110], v[93:94], v[97:98]
	s_waitcnt vmcnt(3)
	v_fma_f64 v[93:94], v[107:108], v[95:96], v[93:94]
	s_waitcnt vmcnt(2) lgkmcnt(0)
	v_fma_f64 v[93:94], v[105:106], v[99:100], v[93:94]
	s_waitcnt vmcnt(0)
	v_add_f64 v[93:94], v[111:112], -v[93:94]
	buffer_store_dword v94, off, s[0:3], 0 offset:172
	buffer_store_dword v93, off, s[0:3], 0 offset:168
	v_cmpx_lt_u32_e32 20, v0
	s_cbranch_execz .LBB108_239
; %bb.238:
	s_clause 0x1
	buffer_load_dword v93, off, s[0:3], 0 offset:160
	buffer_load_dword v94, off, s[0:3], 0 offset:164
	buffer_store_dword v92, off, s[0:3], 0 offset:160
	buffer_store_dword v92, off, s[0:3], 0 offset:164
	s_waitcnt vmcnt(0)
	ds_write_b64 v91, v[93:94]
.LBB108_239:
	s_or_b32 exec_lo, exec_lo, s4
	s_waitcnt lgkmcnt(0)
	s_waitcnt_vscnt null, 0x0
	s_barrier
	buffer_gl0_inv
	s_clause 0x1c
	buffer_load_dword v101, off, s[0:3], 0 offset:168
	buffer_load_dword v102, off, s[0:3], 0 offset:172
	;; [unrolled: 1-line block ×29, first 2 shown]
	ds_read2_b64 v[93:96], v92 offset0:67 offset1:68
	ds_read2_b64 v[97:100], v92 offset0:69 offset1:70
	buffer_load_dword v126, off, s[0:3], 0 offset:284
	s_mov_b32 s4, exec_lo
	s_waitcnt vmcnt(28) lgkmcnt(1)
	v_fma_f64 v[93:94], v[101:102], v[93:94], 0
	s_clause 0x7
	buffer_load_dword v102, off, s[0:3], 0 offset:292
	buffer_load_dword v131, off, s[0:3], 0 offset:312
	;; [unrolled: 1-line block ×8, first 2 shown]
	s_waitcnt vmcnt(34)
	v_fma_f64 v[93:94], v[103:104], v[95:96], v[93:94]
	s_waitcnt vmcnt(32) lgkmcnt(0)
	v_fma_f64 v[93:94], v[105:106], v[97:98], v[93:94]
	s_waitcnt vmcnt(30)
	v_fma_f64 v[103:104], v[107:108], v[99:100], v[93:94]
	ds_read2_b64 v[93:96], v92 offset0:71 offset1:72
	ds_read2_b64 v[97:100], v92 offset0:73 offset1:74
	s_waitcnt vmcnt(28) lgkmcnt(1)
	v_fma_f64 v[93:94], v[109:110], v[93:94], v[103:104]
	s_clause 0x7
	buffer_load_dword v104, off, s[0:3], 0 offset:324
	buffer_load_dword v105, off, s[0:3], 0 offset:344
	buffer_load_dword v107, off, s[0:3], 0 offset:336
	buffer_load_dword v109, off, s[0:3], 0 offset:328
	buffer_load_dword v103, off, s[0:3], 0 offset:320
	buffer_load_dword v110, off, s[0:3], 0 offset:332
	buffer_load_dword v108, off, s[0:3], 0 offset:340
	buffer_load_dword v106, off, s[0:3], 0 offset:348
	s_waitcnt vmcnt(34)
	v_fma_f64 v[93:94], v[111:112], v[95:96], v[93:94]
	s_waitcnt vmcnt(32) lgkmcnt(0)
	v_fma_f64 v[93:94], v[113:114], v[97:98], v[93:94]
	s_waitcnt vmcnt(27)
	v_fma_f64 v[111:112], v[115:116], v[99:100], v[93:94]
	ds_read2_b64 v[93:96], v92 offset0:75 offset1:76
	ds_read2_b64 v[97:100], v92 offset0:77 offset1:78
	s_waitcnt vmcnt(26) lgkmcnt(1)
	v_fma_f64 v[93:94], v[121:122], v[93:94], v[111:112]
	s_clause 0x3
	buffer_load_dword v112, off, s[0:3], 0 offset:356
	buffer_load_dword v111, off, s[0:3], 0 offset:352
	;; [unrolled: 1-line block ×4, first 2 shown]
	s_waitcnt vmcnt(29)
	v_fma_f64 v[93:94], v[119:120], v[95:96], v[93:94]
	s_waitcnt vmcnt(28) lgkmcnt(0)
	v_fma_f64 v[93:94], v[117:118], v[97:98], v[93:94]
	s_waitcnt vmcnt(23)
	v_fma_f64 v[115:116], v[123:124], v[99:100], v[93:94]
	ds_read2_b64 v[93:96], v92 offset0:79 offset1:80
	ds_read2_b64 v[97:100], v92 offset0:81 offset1:82
	s_waitcnt vmcnt(22) lgkmcnt(1)
	v_fma_f64 v[93:94], v[129:130], v[93:94], v[115:116]
	s_waitcnt vmcnt(21)
	v_fma_f64 v[93:94], v[127:128], v[95:96], v[93:94]
	s_waitcnt vmcnt(20) lgkmcnt(0)
	v_fma_f64 v[93:94], v[125:126], v[97:98], v[93:94]
	s_waitcnt vmcnt(15)
	v_fma_f64 v[101:102], v[101:102], v[99:100], v[93:94]
	ds_read2_b64 v[93:96], v92 offset0:83 offset1:84
	ds_read2_b64 v[97:100], v92 offset0:85 offset1:86
	s_waitcnt vmcnt(14) lgkmcnt(1)
	v_fma_f64 v[93:94], v[135:136], v[93:94], v[101:102]
	;; [unrolled: 10-line block ×3, first 2 shown]
	s_waitcnt vmcnt(5)
	v_fma_f64 v[92:93], v[107:108], v[95:96], v[92:93]
	s_waitcnt vmcnt(4) lgkmcnt(0)
	v_fma_f64 v[92:93], v[105:106], v[97:98], v[92:93]
	s_waitcnt vmcnt(2)
	v_fma_f64 v[92:93], v[111:112], v[99:100], v[92:93]
	s_waitcnt vmcnt(0)
	v_add_f64 v[92:93], v[113:114], -v[92:93]
	buffer_store_dword v93, off, s[0:3], 0 offset:164
	buffer_store_dword v92, off, s[0:3], 0 offset:160
	v_cmpx_lt_u32_e32 19, v0
	s_cbranch_execz .LBB108_241
; %bb.240:
	s_clause 0x1
	buffer_load_dword v92, off, s[0:3], 0 offset:152
	buffer_load_dword v93, off, s[0:3], 0 offset:156
	v_mov_b32_e32 v94, 0
	buffer_store_dword v94, off, s[0:3], 0 offset:152
	buffer_store_dword v94, off, s[0:3], 0 offset:156
	s_waitcnt vmcnt(0)
	ds_write_b64 v91, v[92:93]
.LBB108_241:
	s_or_b32 exec_lo, exec_lo, s4
	s_waitcnt lgkmcnt(0)
	s_waitcnt_vscnt null, 0x0
	s_barrier
	buffer_gl0_inv
	s_clause 0x1c
	buffer_load_dword v101, off, s[0:3], 0 offset:160
	buffer_load_dword v102, off, s[0:3], 0 offset:164
	buffer_load_dword v103, off, s[0:3], 0 offset:168
	buffer_load_dword v104, off, s[0:3], 0 offset:172
	buffer_load_dword v105, off, s[0:3], 0 offset:176
	buffer_load_dword v106, off, s[0:3], 0 offset:180
	buffer_load_dword v107, off, s[0:3], 0 offset:184
	buffer_load_dword v108, off, s[0:3], 0 offset:188
	buffer_load_dword v109, off, s[0:3], 0 offset:192
	buffer_load_dword v110, off, s[0:3], 0 offset:196
	buffer_load_dword v111, off, s[0:3], 0 offset:200
	buffer_load_dword v112, off, s[0:3], 0 offset:204
	buffer_load_dword v113, off, s[0:3], 0 offset:208
	buffer_load_dword v114, off, s[0:3], 0 offset:212
	buffer_load_dword v116, off, s[0:3], 0 offset:220
	buffer_load_dword v117, off, s[0:3], 0 offset:240
	buffer_load_dword v119, off, s[0:3], 0 offset:232
	buffer_load_dword v121, off, s[0:3], 0 offset:224
	buffer_load_dword v115, off, s[0:3], 0 offset:216
	buffer_load_dword v122, off, s[0:3], 0 offset:228
	buffer_load_dword v120, off, s[0:3], 0 offset:236
	buffer_load_dword v118, off, s[0:3], 0 offset:244
	buffer_load_dword v124, off, s[0:3], 0 offset:252
	buffer_load_dword v125, off, s[0:3], 0 offset:272
	buffer_load_dword v127, off, s[0:3], 0 offset:264
	buffer_load_dword v129, off, s[0:3], 0 offset:256
	buffer_load_dword v123, off, s[0:3], 0 offset:248
	buffer_load_dword v130, off, s[0:3], 0 offset:260
	buffer_load_dword v128, off, s[0:3], 0 offset:268
	v_mov_b32_e32 v92, 0
	buffer_load_dword v126, off, s[0:3], 0 offset:276
	s_mov_b32 s4, exec_lo
	ds_read_b128 v[93:96], v92 offset:528
	ds_read_b128 v[97:100], v92 offset:544
	s_waitcnt vmcnt(28) lgkmcnt(1)
	v_fma_f64 v[93:94], v[101:102], v[93:94], 0
	s_clause 0x7
	buffer_load_dword v102, off, s[0:3], 0 offset:284
	buffer_load_dword v131, off, s[0:3], 0 offset:304
	;; [unrolled: 1-line block ×8, first 2 shown]
	s_waitcnt vmcnt(34)
	v_fma_f64 v[93:94], v[103:104], v[95:96], v[93:94]
	s_waitcnt vmcnt(32) lgkmcnt(0)
	v_fma_f64 v[93:94], v[105:106], v[97:98], v[93:94]
	s_waitcnt vmcnt(30)
	v_fma_f64 v[103:104], v[107:108], v[99:100], v[93:94]
	ds_read_b128 v[93:96], v92 offset:560
	ds_read_b128 v[97:100], v92 offset:576
	s_waitcnt vmcnt(28) lgkmcnt(1)
	v_fma_f64 v[93:94], v[109:110], v[93:94], v[103:104]
	s_clause 0x7
	buffer_load_dword v104, off, s[0:3], 0 offset:316
	buffer_load_dword v105, off, s[0:3], 0 offset:336
	;; [unrolled: 1-line block ×8, first 2 shown]
	s_waitcnt vmcnt(34)
	v_fma_f64 v[93:94], v[111:112], v[95:96], v[93:94]
	s_waitcnt vmcnt(32) lgkmcnt(0)
	v_fma_f64 v[93:94], v[113:114], v[97:98], v[93:94]
	s_waitcnt vmcnt(27)
	v_fma_f64 v[111:112], v[115:116], v[99:100], v[93:94]
	ds_read_b128 v[93:96], v92 offset:592
	ds_read_b128 v[97:100], v92 offset:608
	s_waitcnt vmcnt(26) lgkmcnt(1)
	v_fma_f64 v[93:94], v[121:122], v[93:94], v[111:112]
	s_clause 0x5
	buffer_load_dword v112, off, s[0:3], 0 offset:348
	buffer_load_dword v113, off, s[0:3], 0 offset:352
	;; [unrolled: 1-line block ×6, first 2 shown]
	s_waitcnt vmcnt(31)
	v_fma_f64 v[93:94], v[119:120], v[95:96], v[93:94]
	s_waitcnt vmcnt(30) lgkmcnt(0)
	v_fma_f64 v[93:94], v[117:118], v[97:98], v[93:94]
	s_waitcnt vmcnt(25)
	v_fma_f64 v[117:118], v[123:124], v[99:100], v[93:94]
	ds_read_b128 v[93:96], v92 offset:624
	ds_read_b128 v[97:100], v92 offset:640
	s_waitcnt vmcnt(24) lgkmcnt(1)
	v_fma_f64 v[93:94], v[129:130], v[93:94], v[117:118]
	s_waitcnt vmcnt(23)
	v_fma_f64 v[93:94], v[127:128], v[95:96], v[93:94]
	s_waitcnt vmcnt(22) lgkmcnt(0)
	v_fma_f64 v[93:94], v[125:126], v[97:98], v[93:94]
	s_waitcnt vmcnt(17)
	v_fma_f64 v[101:102], v[101:102], v[99:100], v[93:94]
	ds_read_b128 v[93:96], v92 offset:656
	ds_read_b128 v[97:100], v92 offset:672
	s_waitcnt vmcnt(16) lgkmcnt(1)
	v_fma_f64 v[93:94], v[135:136], v[93:94], v[101:102]
	;; [unrolled: 10-line block ×3, first 2 shown]
	s_waitcnt vmcnt(7)
	v_fma_f64 v[93:94], v[107:108], v[95:96], v[93:94]
	ds_read_b64 v[95:96], v92 offset:720
	s_waitcnt vmcnt(6) lgkmcnt(1)
	v_fma_f64 v[93:94], v[105:106], v[97:98], v[93:94]
	s_waitcnt vmcnt(3)
	v_fma_f64 v[93:94], v[111:112], v[99:100], v[93:94]
	s_waitcnt vmcnt(2) lgkmcnt(0)
	v_fma_f64 v[93:94], v[113:114], v[95:96], v[93:94]
	s_waitcnt vmcnt(0)
	v_add_f64 v[93:94], v[115:116], -v[93:94]
	buffer_store_dword v94, off, s[0:3], 0 offset:156
	buffer_store_dword v93, off, s[0:3], 0 offset:152
	v_cmpx_lt_u32_e32 18, v0
	s_cbranch_execz .LBB108_243
; %bb.242:
	s_clause 0x1
	buffer_load_dword v93, off, s[0:3], 0 offset:144
	buffer_load_dword v94, off, s[0:3], 0 offset:148
	buffer_store_dword v92, off, s[0:3], 0 offset:144
	buffer_store_dword v92, off, s[0:3], 0 offset:148
	s_waitcnt vmcnt(0)
	ds_write_b64 v91, v[93:94]
.LBB108_243:
	s_or_b32 exec_lo, exec_lo, s4
	s_waitcnt lgkmcnt(0)
	s_waitcnt_vscnt null, 0x0
	s_barrier
	buffer_gl0_inv
	s_clause 0x1c
	buffer_load_dword v101, off, s[0:3], 0 offset:152
	buffer_load_dword v102, off, s[0:3], 0 offset:156
	;; [unrolled: 1-line block ×29, first 2 shown]
	ds_read2_b64 v[93:96], v92 offset0:65 offset1:66
	ds_read2_b64 v[97:100], v92 offset0:67 offset1:68
	buffer_load_dword v126, off, s[0:3], 0 offset:268
	s_mov_b32 s4, exec_lo
	s_waitcnt vmcnt(28) lgkmcnt(1)
	v_fma_f64 v[93:94], v[101:102], v[93:94], 0
	s_clause 0x7
	buffer_load_dword v102, off, s[0:3], 0 offset:276
	buffer_load_dword v131, off, s[0:3], 0 offset:296
	;; [unrolled: 1-line block ×8, first 2 shown]
	s_waitcnt vmcnt(34)
	v_fma_f64 v[93:94], v[103:104], v[95:96], v[93:94]
	s_waitcnt vmcnt(32) lgkmcnt(0)
	v_fma_f64 v[93:94], v[105:106], v[97:98], v[93:94]
	s_waitcnt vmcnt(30)
	v_fma_f64 v[103:104], v[107:108], v[99:100], v[93:94]
	ds_read2_b64 v[93:96], v92 offset0:69 offset1:70
	ds_read2_b64 v[97:100], v92 offset0:71 offset1:72
	s_waitcnt vmcnt(28) lgkmcnt(1)
	v_fma_f64 v[93:94], v[109:110], v[93:94], v[103:104]
	s_clause 0x7
	buffer_load_dword v104, off, s[0:3], 0 offset:308
	buffer_load_dword v105, off, s[0:3], 0 offset:328
	;; [unrolled: 1-line block ×8, first 2 shown]
	s_waitcnt vmcnt(34)
	v_fma_f64 v[93:94], v[111:112], v[95:96], v[93:94]
	s_waitcnt vmcnt(32) lgkmcnt(0)
	v_fma_f64 v[93:94], v[113:114], v[97:98], v[93:94]
	s_waitcnt vmcnt(27)
	v_fma_f64 v[111:112], v[115:116], v[99:100], v[93:94]
	ds_read2_b64 v[93:96], v92 offset0:73 offset1:74
	ds_read2_b64 v[97:100], v92 offset0:75 offset1:76
	s_waitcnt vmcnt(26) lgkmcnt(1)
	v_fma_f64 v[93:94], v[121:122], v[93:94], v[111:112]
	s_clause 0x5
	buffer_load_dword v112, off, s[0:3], 0 offset:340
	buffer_load_dword v113, off, s[0:3], 0 offset:352
	;; [unrolled: 1-line block ×6, first 2 shown]
	s_waitcnt vmcnt(31)
	v_fma_f64 v[93:94], v[119:120], v[95:96], v[93:94]
	s_waitcnt vmcnt(30) lgkmcnt(0)
	v_fma_f64 v[93:94], v[117:118], v[97:98], v[93:94]
	s_waitcnt vmcnt(25)
	v_fma_f64 v[117:118], v[123:124], v[99:100], v[93:94]
	ds_read2_b64 v[93:96], v92 offset0:77 offset1:78
	s_clause 0x1
	buffer_load_dword v119, off, s[0:3], 0 offset:144
	buffer_load_dword v120, off, s[0:3], 0 offset:148
	ds_read2_b64 v[97:100], v92 offset0:79 offset1:80
	s_waitcnt vmcnt(26) lgkmcnt(1)
	v_fma_f64 v[93:94], v[129:130], v[93:94], v[117:118]
	s_waitcnt vmcnt(25)
	v_fma_f64 v[93:94], v[127:128], v[95:96], v[93:94]
	s_waitcnt vmcnt(24) lgkmcnt(0)
	v_fma_f64 v[93:94], v[125:126], v[97:98], v[93:94]
	s_waitcnt vmcnt(19)
	v_fma_f64 v[101:102], v[101:102], v[99:100], v[93:94]
	ds_read2_b64 v[93:96], v92 offset0:81 offset1:82
	ds_read2_b64 v[97:100], v92 offset0:83 offset1:84
	s_waitcnt vmcnt(18) lgkmcnt(1)
	v_fma_f64 v[93:94], v[135:136], v[93:94], v[101:102]
	s_waitcnt vmcnt(17)
	v_fma_f64 v[93:94], v[133:134], v[95:96], v[93:94]
	s_waitcnt vmcnt(16) lgkmcnt(0)
	v_fma_f64 v[93:94], v[131:132], v[97:98], v[93:94]
	s_waitcnt vmcnt(11)
	v_fma_f64 v[101:102], v[103:104], v[99:100], v[93:94]
	ds_read2_b64 v[93:96], v92 offset0:85 offset1:86
	;; [unrolled: 10-line block ×3, first 2 shown]
	s_waitcnt vmcnt(3) lgkmcnt(0)
	v_fma_f64 v[92:93], v[115:116], v[92:93], v[96:97]
	s_waitcnt vmcnt(2)
	v_fma_f64 v[92:93], v[113:114], v[94:95], v[92:93]
	s_waitcnt vmcnt(0)
	v_add_f64 v[92:93], v[119:120], -v[92:93]
	buffer_store_dword v93, off, s[0:3], 0 offset:148
	buffer_store_dword v92, off, s[0:3], 0 offset:144
	v_cmpx_lt_u32_e32 17, v0
	s_cbranch_execz .LBB108_245
; %bb.244:
	s_clause 0x1
	buffer_load_dword v92, off, s[0:3], 0 offset:136
	buffer_load_dword v93, off, s[0:3], 0 offset:140
	v_mov_b32_e32 v94, 0
	buffer_store_dword v94, off, s[0:3], 0 offset:136
	buffer_store_dword v94, off, s[0:3], 0 offset:140
	s_waitcnt vmcnt(0)
	ds_write_b64 v91, v[92:93]
.LBB108_245:
	s_or_b32 exec_lo, exec_lo, s4
	s_waitcnt lgkmcnt(0)
	s_waitcnt_vscnt null, 0x0
	s_barrier
	buffer_gl0_inv
	s_clause 0x1c
	buffer_load_dword v101, off, s[0:3], 0 offset:144
	buffer_load_dword v102, off, s[0:3], 0 offset:148
	;; [unrolled: 1-line block ×29, first 2 shown]
	v_mov_b32_e32 v92, 0
	buffer_load_dword v126, off, s[0:3], 0 offset:260
	s_mov_b32 s4, exec_lo
	ds_read_b128 v[93:96], v92 offset:512
	ds_read_b128 v[97:100], v92 offset:528
	s_waitcnt vmcnt(28) lgkmcnt(1)
	v_fma_f64 v[93:94], v[101:102], v[93:94], 0
	s_clause 0x7
	buffer_load_dword v102, off, s[0:3], 0 offset:268
	buffer_load_dword v131, off, s[0:3], 0 offset:288
	buffer_load_dword v133, off, s[0:3], 0 offset:280
	buffer_load_dword v135, off, s[0:3], 0 offset:272
	buffer_load_dword v101, off, s[0:3], 0 offset:264
	buffer_load_dword v136, off, s[0:3], 0 offset:276
	buffer_load_dword v134, off, s[0:3], 0 offset:284
	buffer_load_dword v132, off, s[0:3], 0 offset:292
	s_waitcnt vmcnt(34)
	v_fma_f64 v[93:94], v[103:104], v[95:96], v[93:94]
	s_waitcnt vmcnt(32) lgkmcnt(0)
	v_fma_f64 v[93:94], v[105:106], v[97:98], v[93:94]
	s_waitcnt vmcnt(30)
	v_fma_f64 v[103:104], v[107:108], v[99:100], v[93:94]
	ds_read_b128 v[93:96], v92 offset:544
	ds_read_b128 v[97:100], v92 offset:560
	s_waitcnt vmcnt(28) lgkmcnt(1)
	v_fma_f64 v[93:94], v[109:110], v[93:94], v[103:104]
	s_clause 0x7
	buffer_load_dword v104, off, s[0:3], 0 offset:300
	buffer_load_dword v105, off, s[0:3], 0 offset:320
	buffer_load_dword v107, off, s[0:3], 0 offset:312
	buffer_load_dword v109, off, s[0:3], 0 offset:304
	buffer_load_dword v103, off, s[0:3], 0 offset:296
	buffer_load_dword v110, off, s[0:3], 0 offset:308
	buffer_load_dword v108, off, s[0:3], 0 offset:316
	buffer_load_dword v106, off, s[0:3], 0 offset:324
	s_waitcnt vmcnt(34)
	v_fma_f64 v[93:94], v[111:112], v[95:96], v[93:94]
	s_waitcnt vmcnt(32) lgkmcnt(0)
	v_fma_f64 v[93:94], v[113:114], v[97:98], v[93:94]
	s_waitcnt vmcnt(27)
	v_fma_f64 v[111:112], v[115:116], v[99:100], v[93:94]
	;; [unrolled: 19-line block ×3, first 2 shown]
	ds_read_b128 v[93:96], v92 offset:608
	ds_read_b128 v[97:100], v92 offset:624
	s_waitcnt vmcnt(26) lgkmcnt(1)
	v_fma_f64 v[93:94], v[129:130], v[93:94], v[117:118]
	s_clause 0x1
	buffer_load_dword v117, off, s[0:3], 0 offset:136
	buffer_load_dword v118, off, s[0:3], 0 offset:140
	s_waitcnt vmcnt(27)
	v_fma_f64 v[93:94], v[127:128], v[95:96], v[93:94]
	s_waitcnt vmcnt(26) lgkmcnt(0)
	v_fma_f64 v[93:94], v[125:126], v[97:98], v[93:94]
	s_waitcnt vmcnt(21)
	v_fma_f64 v[101:102], v[101:102], v[99:100], v[93:94]
	ds_read_b128 v[93:96], v92 offset:640
	ds_read_b128 v[97:100], v92 offset:656
	s_waitcnt vmcnt(20) lgkmcnt(1)
	v_fma_f64 v[93:94], v[135:136], v[93:94], v[101:102]
	s_waitcnt vmcnt(19)
	v_fma_f64 v[93:94], v[133:134], v[95:96], v[93:94]
	s_waitcnt vmcnt(18) lgkmcnt(0)
	v_fma_f64 v[93:94], v[131:132], v[97:98], v[93:94]
	s_waitcnt vmcnt(13)
	v_fma_f64 v[101:102], v[103:104], v[99:100], v[93:94]
	ds_read_b128 v[93:96], v92 offset:672
	ds_read_b128 v[97:100], v92 offset:688
	s_waitcnt vmcnt(12) lgkmcnt(1)
	v_fma_f64 v[93:94], v[109:110], v[93:94], v[101:102]
	s_waitcnt vmcnt(11)
	v_fma_f64 v[93:94], v[107:108], v[95:96], v[93:94]
	s_waitcnt vmcnt(10) lgkmcnt(0)
	v_fma_f64 v[93:94], v[105:106], v[97:98], v[93:94]
	s_waitcnt vmcnt(5)
	v_fma_f64 v[97:98], v[111:112], v[99:100], v[93:94]
	ds_read_b128 v[93:96], v92 offset:704
	ds_read_b64 v[99:100], v92 offset:720
	s_waitcnt vmcnt(4) lgkmcnt(1)
	v_fma_f64 v[93:94], v[121:122], v[93:94], v[97:98]
	s_waitcnt vmcnt(3)
	v_fma_f64 v[93:94], v[115:116], v[95:96], v[93:94]
	s_waitcnt vmcnt(2) lgkmcnt(0)
	v_fma_f64 v[93:94], v[113:114], v[99:100], v[93:94]
	s_waitcnt vmcnt(0)
	v_add_f64 v[93:94], v[117:118], -v[93:94]
	buffer_store_dword v94, off, s[0:3], 0 offset:140
	buffer_store_dword v93, off, s[0:3], 0 offset:136
	v_cmpx_lt_u32_e32 16, v0
	s_cbranch_execz .LBB108_247
; %bb.246:
	s_clause 0x1
	buffer_load_dword v93, off, s[0:3], 0 offset:128
	buffer_load_dword v94, off, s[0:3], 0 offset:132
	buffer_store_dword v92, off, s[0:3], 0 offset:128
	buffer_store_dword v92, off, s[0:3], 0 offset:132
	s_waitcnt vmcnt(0)
	ds_write_b64 v91, v[93:94]
.LBB108_247:
	s_or_b32 exec_lo, exec_lo, s4
	s_waitcnt lgkmcnt(0)
	s_waitcnt_vscnt null, 0x0
	s_barrier
	buffer_gl0_inv
	s_clause 0x1c
	buffer_load_dword v101, off, s[0:3], 0 offset:136
	buffer_load_dword v102, off, s[0:3], 0 offset:140
	;; [unrolled: 1-line block ×29, first 2 shown]
	ds_read2_b64 v[93:96], v92 offset0:63 offset1:64
	ds_read2_b64 v[97:100], v92 offset0:65 offset1:66
	buffer_load_dword v126, off, s[0:3], 0 offset:252
	s_mov_b32 s4, exec_lo
	s_waitcnt vmcnt(28) lgkmcnt(1)
	v_fma_f64 v[93:94], v[101:102], v[93:94], 0
	s_clause 0x7
	buffer_load_dword v102, off, s[0:3], 0 offset:260
	buffer_load_dword v131, off, s[0:3], 0 offset:280
	buffer_load_dword v133, off, s[0:3], 0 offset:272
	buffer_load_dword v135, off, s[0:3], 0 offset:264
	buffer_load_dword v101, off, s[0:3], 0 offset:256
	buffer_load_dword v136, off, s[0:3], 0 offset:268
	buffer_load_dword v134, off, s[0:3], 0 offset:276
	buffer_load_dword v132, off, s[0:3], 0 offset:284
	s_waitcnt vmcnt(34)
	v_fma_f64 v[93:94], v[103:104], v[95:96], v[93:94]
	s_waitcnt vmcnt(32) lgkmcnt(0)
	v_fma_f64 v[93:94], v[105:106], v[97:98], v[93:94]
	s_waitcnt vmcnt(30)
	v_fma_f64 v[103:104], v[107:108], v[99:100], v[93:94]
	ds_read2_b64 v[93:96], v92 offset0:67 offset1:68
	ds_read2_b64 v[97:100], v92 offset0:69 offset1:70
	s_waitcnt vmcnt(28) lgkmcnt(1)
	v_fma_f64 v[93:94], v[109:110], v[93:94], v[103:104]
	s_clause 0x7
	buffer_load_dword v104, off, s[0:3], 0 offset:292
	buffer_load_dword v105, off, s[0:3], 0 offset:312
	buffer_load_dword v107, off, s[0:3], 0 offset:304
	buffer_load_dword v109, off, s[0:3], 0 offset:296
	buffer_load_dword v103, off, s[0:3], 0 offset:288
	buffer_load_dword v110, off, s[0:3], 0 offset:300
	buffer_load_dword v108, off, s[0:3], 0 offset:308
	buffer_load_dword v106, off, s[0:3], 0 offset:316
	s_waitcnt vmcnt(34)
	v_fma_f64 v[93:94], v[111:112], v[95:96], v[93:94]
	s_waitcnt vmcnt(32) lgkmcnt(0)
	v_fma_f64 v[93:94], v[113:114], v[97:98], v[93:94]
	s_waitcnt vmcnt(27)
	v_fma_f64 v[111:112], v[115:116], v[99:100], v[93:94]
	ds_read2_b64 v[93:96], v92 offset0:71 offset1:72
	ds_read2_b64 v[97:100], v92 offset0:73 offset1:74
	s_waitcnt vmcnt(26) lgkmcnt(1)
	v_fma_f64 v[93:94], v[121:122], v[93:94], v[111:112]
	s_clause 0x7
	buffer_load_dword v112, off, s[0:3], 0 offset:324
	buffer_load_dword v113, off, s[0:3], 0 offset:344
	buffer_load_dword v115, off, s[0:3], 0 offset:336
	buffer_load_dword v121, off, s[0:3], 0 offset:328
	buffer_load_dword v111, off, s[0:3], 0 offset:320
	buffer_load_dword v122, off, s[0:3], 0 offset:332
	buffer_load_dword v116, off, s[0:3], 0 offset:340
	buffer_load_dword v114, off, s[0:3], 0 offset:348
	s_waitcnt vmcnt(33)
	v_fma_f64 v[93:94], v[119:120], v[95:96], v[93:94]
	s_waitcnt vmcnt(32) lgkmcnt(0)
	v_fma_f64 v[93:94], v[117:118], v[97:98], v[93:94]
	s_waitcnt vmcnt(27)
	v_fma_f64 v[117:118], v[123:124], v[99:100], v[93:94]
	ds_read2_b64 v[93:96], v92 offset0:75 offset1:76
	ds_read2_b64 v[97:100], v92 offset0:77 offset1:78
	s_waitcnt vmcnt(26) lgkmcnt(1)
	v_fma_f64 v[93:94], v[129:130], v[93:94], v[117:118]
	s_clause 0x3
	buffer_load_dword v118, off, s[0:3], 0 offset:356
	buffer_load_dword v117, off, s[0:3], 0 offset:352
	;; [unrolled: 1-line block ×4, first 2 shown]
	s_waitcnt vmcnt(29)
	v_fma_f64 v[93:94], v[127:128], v[95:96], v[93:94]
	s_waitcnt vmcnt(28) lgkmcnt(0)
	v_fma_f64 v[93:94], v[125:126], v[97:98], v[93:94]
	s_waitcnt vmcnt(23)
	v_fma_f64 v[101:102], v[101:102], v[99:100], v[93:94]
	ds_read2_b64 v[93:96], v92 offset0:79 offset1:80
	ds_read2_b64 v[97:100], v92 offset0:81 offset1:82
	s_waitcnt vmcnt(22) lgkmcnt(1)
	v_fma_f64 v[93:94], v[135:136], v[93:94], v[101:102]
	s_waitcnt vmcnt(21)
	v_fma_f64 v[93:94], v[133:134], v[95:96], v[93:94]
	s_waitcnt vmcnt(20) lgkmcnt(0)
	v_fma_f64 v[93:94], v[131:132], v[97:98], v[93:94]
	s_waitcnt vmcnt(15)
	v_fma_f64 v[101:102], v[103:104], v[99:100], v[93:94]
	ds_read2_b64 v[93:96], v92 offset0:83 offset1:84
	ds_read2_b64 v[97:100], v92 offset0:85 offset1:86
	s_waitcnt vmcnt(14) lgkmcnt(1)
	v_fma_f64 v[93:94], v[109:110], v[93:94], v[101:102]
	s_waitcnt vmcnt(13)
	v_fma_f64 v[93:94], v[107:108], v[95:96], v[93:94]
	s_waitcnt vmcnt(12) lgkmcnt(0)
	v_fma_f64 v[93:94], v[105:106], v[97:98], v[93:94]
	s_waitcnt vmcnt(7)
	v_fma_f64 v[101:102], v[111:112], v[99:100], v[93:94]
	ds_read2_b64 v[93:96], v92 offset0:87 offset1:88
	ds_read2_b64 v[97:100], v92 offset0:89 offset1:90
	s_waitcnt vmcnt(6) lgkmcnt(1)
	v_fma_f64 v[92:93], v[121:122], v[93:94], v[101:102]
	s_waitcnt vmcnt(5)
	v_fma_f64 v[92:93], v[115:116], v[95:96], v[92:93]
	s_waitcnt vmcnt(4) lgkmcnt(0)
	v_fma_f64 v[92:93], v[113:114], v[97:98], v[92:93]
	s_waitcnt vmcnt(2)
	v_fma_f64 v[92:93], v[117:118], v[99:100], v[92:93]
	s_waitcnt vmcnt(0)
	v_add_f64 v[92:93], v[119:120], -v[92:93]
	buffer_store_dword v93, off, s[0:3], 0 offset:132
	buffer_store_dword v92, off, s[0:3], 0 offset:128
	v_cmpx_lt_u32_e32 15, v0
	s_cbranch_execz .LBB108_249
; %bb.248:
	s_clause 0x1
	buffer_load_dword v92, off, s[0:3], 0 offset:120
	buffer_load_dword v93, off, s[0:3], 0 offset:124
	v_mov_b32_e32 v94, 0
	buffer_store_dword v94, off, s[0:3], 0 offset:120
	buffer_store_dword v94, off, s[0:3], 0 offset:124
	s_waitcnt vmcnt(0)
	ds_write_b64 v91, v[92:93]
.LBB108_249:
	s_or_b32 exec_lo, exec_lo, s4
	s_waitcnt lgkmcnt(0)
	s_waitcnt_vscnt null, 0x0
	s_barrier
	buffer_gl0_inv
	s_clause 0x1c
	buffer_load_dword v101, off, s[0:3], 0 offset:128
	buffer_load_dword v102, off, s[0:3], 0 offset:132
	;; [unrolled: 1-line block ×29, first 2 shown]
	v_mov_b32_e32 v92, 0
	buffer_load_dword v126, off, s[0:3], 0 offset:244
	s_mov_b32 s4, exec_lo
	ds_read_b128 v[93:96], v92 offset:496
	ds_read_b128 v[97:100], v92 offset:512
	s_waitcnt vmcnt(28) lgkmcnt(1)
	v_fma_f64 v[93:94], v[101:102], v[93:94], 0
	s_clause 0x7
	buffer_load_dword v102, off, s[0:3], 0 offset:252
	buffer_load_dword v131, off, s[0:3], 0 offset:272
	buffer_load_dword v133, off, s[0:3], 0 offset:264
	buffer_load_dword v135, off, s[0:3], 0 offset:256
	buffer_load_dword v101, off, s[0:3], 0 offset:248
	buffer_load_dword v136, off, s[0:3], 0 offset:260
	buffer_load_dword v134, off, s[0:3], 0 offset:268
	buffer_load_dword v132, off, s[0:3], 0 offset:276
	s_waitcnt vmcnt(34)
	v_fma_f64 v[93:94], v[103:104], v[95:96], v[93:94]
	s_waitcnt vmcnt(32) lgkmcnt(0)
	v_fma_f64 v[93:94], v[105:106], v[97:98], v[93:94]
	s_waitcnt vmcnt(30)
	v_fma_f64 v[103:104], v[107:108], v[99:100], v[93:94]
	ds_read_b128 v[93:96], v92 offset:528
	ds_read_b128 v[97:100], v92 offset:544
	s_waitcnt vmcnt(28) lgkmcnt(1)
	v_fma_f64 v[93:94], v[109:110], v[93:94], v[103:104]
	s_clause 0x7
	buffer_load_dword v104, off, s[0:3], 0 offset:284
	buffer_load_dword v105, off, s[0:3], 0 offset:304
	buffer_load_dword v107, off, s[0:3], 0 offset:296
	buffer_load_dword v109, off, s[0:3], 0 offset:288
	buffer_load_dword v103, off, s[0:3], 0 offset:280
	buffer_load_dword v110, off, s[0:3], 0 offset:292
	buffer_load_dword v108, off, s[0:3], 0 offset:300
	buffer_load_dword v106, off, s[0:3], 0 offset:308
	s_waitcnt vmcnt(34)
	v_fma_f64 v[93:94], v[111:112], v[95:96], v[93:94]
	s_waitcnt vmcnt(32) lgkmcnt(0)
	v_fma_f64 v[93:94], v[113:114], v[97:98], v[93:94]
	s_waitcnt vmcnt(27)
	v_fma_f64 v[111:112], v[115:116], v[99:100], v[93:94]
	ds_read_b128 v[93:96], v92 offset:560
	ds_read_b128 v[97:100], v92 offset:576
	s_waitcnt vmcnt(26) lgkmcnt(1)
	v_fma_f64 v[93:94], v[121:122], v[93:94], v[111:112]
	s_clause 0x7
	buffer_load_dword v112, off, s[0:3], 0 offset:316
	buffer_load_dword v113, off, s[0:3], 0 offset:336
	buffer_load_dword v115, off, s[0:3], 0 offset:328
	buffer_load_dword v121, off, s[0:3], 0 offset:320
	buffer_load_dword v111, off, s[0:3], 0 offset:312
	buffer_load_dword v122, off, s[0:3], 0 offset:324
	buffer_load_dword v116, off, s[0:3], 0 offset:332
	buffer_load_dword v114, off, s[0:3], 0 offset:340
	s_waitcnt vmcnt(33)
	v_fma_f64 v[93:94], v[119:120], v[95:96], v[93:94]
	s_waitcnt vmcnt(32) lgkmcnt(0)
	v_fma_f64 v[93:94], v[117:118], v[97:98], v[93:94]
	s_waitcnt vmcnt(27)
	v_fma_f64 v[117:118], v[123:124], v[99:100], v[93:94]
	ds_read_b128 v[93:96], v92 offset:592
	ds_read_b128 v[97:100], v92 offset:608
	s_waitcnt vmcnt(26) lgkmcnt(1)
	v_fma_f64 v[93:94], v[129:130], v[93:94], v[117:118]
	s_clause 0x5
	buffer_load_dword v118, off, s[0:3], 0 offset:348
	buffer_load_dword v119, off, s[0:3], 0 offset:352
	;; [unrolled: 1-line block ×6, first 2 shown]
	s_waitcnt vmcnt(31)
	v_fma_f64 v[93:94], v[127:128], v[95:96], v[93:94]
	s_waitcnt vmcnt(30) lgkmcnt(0)
	v_fma_f64 v[93:94], v[125:126], v[97:98], v[93:94]
	s_waitcnt vmcnt(25)
	v_fma_f64 v[101:102], v[101:102], v[99:100], v[93:94]
	ds_read_b128 v[93:96], v92 offset:624
	ds_read_b128 v[97:100], v92 offset:640
	s_waitcnt vmcnt(24) lgkmcnt(1)
	v_fma_f64 v[93:94], v[135:136], v[93:94], v[101:102]
	s_waitcnt vmcnt(23)
	v_fma_f64 v[93:94], v[133:134], v[95:96], v[93:94]
	s_waitcnt vmcnt(22) lgkmcnt(0)
	v_fma_f64 v[93:94], v[131:132], v[97:98], v[93:94]
	s_waitcnt vmcnt(17)
	v_fma_f64 v[101:102], v[103:104], v[99:100], v[93:94]
	ds_read_b128 v[93:96], v92 offset:656
	ds_read_b128 v[97:100], v92 offset:672
	s_waitcnt vmcnt(16) lgkmcnt(1)
	v_fma_f64 v[93:94], v[109:110], v[93:94], v[101:102]
	;; [unrolled: 10-line block ×3, first 2 shown]
	s_waitcnt vmcnt(7)
	v_fma_f64 v[93:94], v[115:116], v[95:96], v[93:94]
	ds_read_b64 v[95:96], v92 offset:720
	s_waitcnt vmcnt(6) lgkmcnt(1)
	v_fma_f64 v[93:94], v[113:114], v[97:98], v[93:94]
	s_waitcnt vmcnt(3)
	v_fma_f64 v[93:94], v[117:118], v[99:100], v[93:94]
	s_waitcnt vmcnt(2) lgkmcnt(0)
	v_fma_f64 v[93:94], v[119:120], v[95:96], v[93:94]
	s_waitcnt vmcnt(0)
	v_add_f64 v[93:94], v[123:124], -v[93:94]
	buffer_store_dword v94, off, s[0:3], 0 offset:124
	buffer_store_dword v93, off, s[0:3], 0 offset:120
	v_cmpx_lt_u32_e32 14, v0
	s_cbranch_execz .LBB108_251
; %bb.250:
	s_clause 0x1
	buffer_load_dword v93, off, s[0:3], 0 offset:112
	buffer_load_dword v94, off, s[0:3], 0 offset:116
	buffer_store_dword v92, off, s[0:3], 0 offset:112
	buffer_store_dword v92, off, s[0:3], 0 offset:116
	s_waitcnt vmcnt(0)
	ds_write_b64 v91, v[93:94]
.LBB108_251:
	s_or_b32 exec_lo, exec_lo, s4
	s_waitcnt lgkmcnt(0)
	s_waitcnt_vscnt null, 0x0
	s_barrier
	buffer_gl0_inv
	s_clause 0x1c
	buffer_load_dword v101, off, s[0:3], 0 offset:120
	buffer_load_dword v102, off, s[0:3], 0 offset:124
	;; [unrolled: 1-line block ×29, first 2 shown]
	ds_read2_b64 v[93:96], v92 offset0:61 offset1:62
	ds_read2_b64 v[97:100], v92 offset0:63 offset1:64
	buffer_load_dword v126, off, s[0:3], 0 offset:236
	s_mov_b32 s4, exec_lo
	s_waitcnt vmcnt(28) lgkmcnt(1)
	v_fma_f64 v[93:94], v[101:102], v[93:94], 0
	s_clause 0x7
	buffer_load_dword v102, off, s[0:3], 0 offset:244
	buffer_load_dword v131, off, s[0:3], 0 offset:264
	buffer_load_dword v133, off, s[0:3], 0 offset:256
	buffer_load_dword v135, off, s[0:3], 0 offset:248
	buffer_load_dword v101, off, s[0:3], 0 offset:240
	buffer_load_dword v136, off, s[0:3], 0 offset:252
	buffer_load_dword v134, off, s[0:3], 0 offset:260
	buffer_load_dword v132, off, s[0:3], 0 offset:268
	s_waitcnt vmcnt(34)
	v_fma_f64 v[93:94], v[103:104], v[95:96], v[93:94]
	s_waitcnt vmcnt(32) lgkmcnt(0)
	v_fma_f64 v[93:94], v[105:106], v[97:98], v[93:94]
	s_waitcnt vmcnt(30)
	v_fma_f64 v[103:104], v[107:108], v[99:100], v[93:94]
	ds_read2_b64 v[93:96], v92 offset0:65 offset1:66
	ds_read2_b64 v[97:100], v92 offset0:67 offset1:68
	s_waitcnt vmcnt(28) lgkmcnt(1)
	v_fma_f64 v[93:94], v[109:110], v[93:94], v[103:104]
	s_clause 0x7
	buffer_load_dword v104, off, s[0:3], 0 offset:276
	buffer_load_dword v105, off, s[0:3], 0 offset:296
	buffer_load_dword v107, off, s[0:3], 0 offset:288
	buffer_load_dword v109, off, s[0:3], 0 offset:280
	buffer_load_dword v103, off, s[0:3], 0 offset:272
	buffer_load_dword v110, off, s[0:3], 0 offset:284
	buffer_load_dword v108, off, s[0:3], 0 offset:292
	buffer_load_dword v106, off, s[0:3], 0 offset:300
	s_waitcnt vmcnt(34)
	v_fma_f64 v[93:94], v[111:112], v[95:96], v[93:94]
	s_waitcnt vmcnt(32) lgkmcnt(0)
	v_fma_f64 v[93:94], v[113:114], v[97:98], v[93:94]
	s_waitcnt vmcnt(27)
	v_fma_f64 v[111:112], v[115:116], v[99:100], v[93:94]
	ds_read2_b64 v[93:96], v92 offset0:69 offset1:70
	ds_read2_b64 v[97:100], v92 offset0:71 offset1:72
	;; [unrolled: 19-line block ×3, first 2 shown]
	s_waitcnt vmcnt(26) lgkmcnt(1)
	v_fma_f64 v[93:94], v[129:130], v[93:94], v[117:118]
	s_clause 0x5
	buffer_load_dword v118, off, s[0:3], 0 offset:340
	buffer_load_dword v119, off, s[0:3], 0 offset:352
	;; [unrolled: 1-line block ×6, first 2 shown]
	s_waitcnt vmcnt(31)
	v_fma_f64 v[93:94], v[127:128], v[95:96], v[93:94]
	s_waitcnt vmcnt(30) lgkmcnt(0)
	v_fma_f64 v[93:94], v[125:126], v[97:98], v[93:94]
	s_waitcnt vmcnt(25)
	v_fma_f64 v[101:102], v[101:102], v[99:100], v[93:94]
	ds_read2_b64 v[93:96], v92 offset0:77 offset1:78
	s_clause 0x1
	buffer_load_dword v125, off, s[0:3], 0 offset:112
	buffer_load_dword v126, off, s[0:3], 0 offset:116
	ds_read2_b64 v[97:100], v92 offset0:79 offset1:80
	s_waitcnt vmcnt(26) lgkmcnt(1)
	v_fma_f64 v[93:94], v[135:136], v[93:94], v[101:102]
	s_waitcnt vmcnt(25)
	v_fma_f64 v[93:94], v[133:134], v[95:96], v[93:94]
	s_waitcnt vmcnt(24) lgkmcnt(0)
	v_fma_f64 v[93:94], v[131:132], v[97:98], v[93:94]
	s_waitcnt vmcnt(19)
	v_fma_f64 v[101:102], v[103:104], v[99:100], v[93:94]
	ds_read2_b64 v[93:96], v92 offset0:81 offset1:82
	ds_read2_b64 v[97:100], v92 offset0:83 offset1:84
	s_waitcnt vmcnt(18) lgkmcnt(1)
	v_fma_f64 v[93:94], v[109:110], v[93:94], v[101:102]
	s_waitcnt vmcnt(17)
	v_fma_f64 v[93:94], v[107:108], v[95:96], v[93:94]
	s_waitcnt vmcnt(16) lgkmcnt(0)
	v_fma_f64 v[93:94], v[105:106], v[97:98], v[93:94]
	s_waitcnt vmcnt(11)
	v_fma_f64 v[101:102], v[111:112], v[99:100], v[93:94]
	ds_read2_b64 v[93:96], v92 offset0:85 offset1:86
	;; [unrolled: 10-line block ×3, first 2 shown]
	s_waitcnt vmcnt(3) lgkmcnt(0)
	v_fma_f64 v[92:93], v[123:124], v[92:93], v[96:97]
	s_waitcnt vmcnt(2)
	v_fma_f64 v[92:93], v[119:120], v[94:95], v[92:93]
	s_waitcnt vmcnt(0)
	v_add_f64 v[92:93], v[125:126], -v[92:93]
	buffer_store_dword v93, off, s[0:3], 0 offset:116
	buffer_store_dword v92, off, s[0:3], 0 offset:112
	v_cmpx_lt_u32_e32 13, v0
	s_cbranch_execz .LBB108_253
; %bb.252:
	s_clause 0x1
	buffer_load_dword v92, off, s[0:3], 0 offset:104
	buffer_load_dword v93, off, s[0:3], 0 offset:108
	v_mov_b32_e32 v94, 0
	buffer_store_dword v94, off, s[0:3], 0 offset:104
	buffer_store_dword v94, off, s[0:3], 0 offset:108
	s_waitcnt vmcnt(0)
	ds_write_b64 v91, v[92:93]
.LBB108_253:
	s_or_b32 exec_lo, exec_lo, s4
	s_waitcnt lgkmcnt(0)
	s_waitcnt_vscnt null, 0x0
	s_barrier
	buffer_gl0_inv
	s_clause 0x1c
	buffer_load_dword v101, off, s[0:3], 0 offset:112
	buffer_load_dword v102, off, s[0:3], 0 offset:116
	;; [unrolled: 1-line block ×29, first 2 shown]
	v_mov_b32_e32 v92, 0
	buffer_load_dword v126, off, s[0:3], 0 offset:228
	s_mov_b32 s4, exec_lo
	ds_read_b128 v[93:96], v92 offset:480
	ds_read_b128 v[97:100], v92 offset:496
	s_waitcnt vmcnt(28) lgkmcnt(1)
	v_fma_f64 v[93:94], v[101:102], v[93:94], 0
	s_clause 0x7
	buffer_load_dword v102, off, s[0:3], 0 offset:236
	buffer_load_dword v131, off, s[0:3], 0 offset:256
	buffer_load_dword v133, off, s[0:3], 0 offset:248
	buffer_load_dword v135, off, s[0:3], 0 offset:240
	buffer_load_dword v101, off, s[0:3], 0 offset:232
	buffer_load_dword v136, off, s[0:3], 0 offset:244
	buffer_load_dword v134, off, s[0:3], 0 offset:252
	buffer_load_dword v132, off, s[0:3], 0 offset:260
	s_waitcnt vmcnt(34)
	v_fma_f64 v[93:94], v[103:104], v[95:96], v[93:94]
	s_waitcnt vmcnt(32) lgkmcnt(0)
	v_fma_f64 v[93:94], v[105:106], v[97:98], v[93:94]
	s_waitcnt vmcnt(30)
	v_fma_f64 v[103:104], v[107:108], v[99:100], v[93:94]
	ds_read_b128 v[93:96], v92 offset:512
	ds_read_b128 v[97:100], v92 offset:528
	s_waitcnt vmcnt(28) lgkmcnt(1)
	v_fma_f64 v[93:94], v[109:110], v[93:94], v[103:104]
	s_clause 0x7
	buffer_load_dword v104, off, s[0:3], 0 offset:268
	buffer_load_dword v105, off, s[0:3], 0 offset:288
	buffer_load_dword v107, off, s[0:3], 0 offset:280
	buffer_load_dword v109, off, s[0:3], 0 offset:272
	buffer_load_dword v103, off, s[0:3], 0 offset:264
	buffer_load_dword v110, off, s[0:3], 0 offset:276
	buffer_load_dword v108, off, s[0:3], 0 offset:284
	buffer_load_dword v106, off, s[0:3], 0 offset:292
	s_waitcnt vmcnt(34)
	v_fma_f64 v[93:94], v[111:112], v[95:96], v[93:94]
	s_waitcnt vmcnt(32) lgkmcnt(0)
	v_fma_f64 v[93:94], v[113:114], v[97:98], v[93:94]
	s_waitcnt vmcnt(27)
	v_fma_f64 v[111:112], v[115:116], v[99:100], v[93:94]
	;; [unrolled: 19-line block ×4, first 2 shown]
	ds_read_b128 v[93:96], v92 offset:608
	ds_read_b128 v[97:100], v92 offset:624
	s_waitcnt vmcnt(26) lgkmcnt(1)
	v_fma_f64 v[93:94], v[135:136], v[93:94], v[101:102]
	s_clause 0x1
	buffer_load_dword v101, off, s[0:3], 0 offset:104
	buffer_load_dword v102, off, s[0:3], 0 offset:108
	s_waitcnt vmcnt(27)
	v_fma_f64 v[93:94], v[133:134], v[95:96], v[93:94]
	s_waitcnt vmcnt(26) lgkmcnt(0)
	v_fma_f64 v[93:94], v[131:132], v[97:98], v[93:94]
	s_waitcnt vmcnt(21)
	v_fma_f64 v[103:104], v[103:104], v[99:100], v[93:94]
	ds_read_b128 v[93:96], v92 offset:640
	ds_read_b128 v[97:100], v92 offset:656
	s_waitcnt vmcnt(20) lgkmcnt(1)
	v_fma_f64 v[93:94], v[109:110], v[93:94], v[103:104]
	s_waitcnt vmcnt(19)
	v_fma_f64 v[93:94], v[107:108], v[95:96], v[93:94]
	s_waitcnt vmcnt(18) lgkmcnt(0)
	v_fma_f64 v[93:94], v[105:106], v[97:98], v[93:94]
	s_waitcnt vmcnt(13)
	v_fma_f64 v[103:104], v[111:112], v[99:100], v[93:94]
	ds_read_b128 v[93:96], v92 offset:672
	ds_read_b128 v[97:100], v92 offset:688
	s_waitcnt vmcnt(12) lgkmcnt(1)
	v_fma_f64 v[93:94], v[121:122], v[93:94], v[103:104]
	s_waitcnt vmcnt(11)
	v_fma_f64 v[93:94], v[115:116], v[95:96], v[93:94]
	s_waitcnt vmcnt(10) lgkmcnt(0)
	v_fma_f64 v[93:94], v[113:114], v[97:98], v[93:94]
	s_waitcnt vmcnt(5)
	v_fma_f64 v[97:98], v[117:118], v[99:100], v[93:94]
	ds_read_b128 v[93:96], v92 offset:704
	ds_read_b64 v[99:100], v92 offset:720
	s_waitcnt vmcnt(4) lgkmcnt(1)
	v_fma_f64 v[93:94], v[129:130], v[93:94], v[97:98]
	s_waitcnt vmcnt(3)
	v_fma_f64 v[93:94], v[123:124], v[95:96], v[93:94]
	s_waitcnt vmcnt(2) lgkmcnt(0)
	v_fma_f64 v[93:94], v[119:120], v[99:100], v[93:94]
	s_waitcnt vmcnt(0)
	v_add_f64 v[93:94], v[101:102], -v[93:94]
	buffer_store_dword v94, off, s[0:3], 0 offset:108
	buffer_store_dword v93, off, s[0:3], 0 offset:104
	v_cmpx_lt_u32_e32 12, v0
	s_cbranch_execz .LBB108_255
; %bb.254:
	s_clause 0x1
	buffer_load_dword v93, off, s[0:3], 0 offset:96
	buffer_load_dword v94, off, s[0:3], 0 offset:100
	buffer_store_dword v92, off, s[0:3], 0 offset:96
	buffer_store_dword v92, off, s[0:3], 0 offset:100
	s_waitcnt vmcnt(0)
	ds_write_b64 v91, v[93:94]
.LBB108_255:
	s_or_b32 exec_lo, exec_lo, s4
	s_waitcnt lgkmcnt(0)
	s_waitcnt_vscnt null, 0x0
	s_barrier
	buffer_gl0_inv
	s_clause 0x1c
	buffer_load_dword v101, off, s[0:3], 0 offset:104
	buffer_load_dword v102, off, s[0:3], 0 offset:108
	;; [unrolled: 1-line block ×29, first 2 shown]
	ds_read2_b64 v[93:96], v92 offset0:59 offset1:60
	ds_read2_b64 v[97:100], v92 offset0:61 offset1:62
	buffer_load_dword v126, off, s[0:3], 0 offset:220
	s_mov_b32 s4, exec_lo
	s_waitcnt vmcnt(28) lgkmcnt(1)
	v_fma_f64 v[93:94], v[101:102], v[93:94], 0
	s_clause 0x7
	buffer_load_dword v102, off, s[0:3], 0 offset:228
	buffer_load_dword v131, off, s[0:3], 0 offset:248
	buffer_load_dword v133, off, s[0:3], 0 offset:240
	buffer_load_dword v135, off, s[0:3], 0 offset:232
	buffer_load_dword v101, off, s[0:3], 0 offset:224
	buffer_load_dword v136, off, s[0:3], 0 offset:236
	buffer_load_dword v134, off, s[0:3], 0 offset:244
	buffer_load_dword v132, off, s[0:3], 0 offset:252
	s_waitcnt vmcnt(34)
	v_fma_f64 v[93:94], v[103:104], v[95:96], v[93:94]
	s_waitcnt vmcnt(32) lgkmcnt(0)
	v_fma_f64 v[93:94], v[105:106], v[97:98], v[93:94]
	s_waitcnt vmcnt(30)
	v_fma_f64 v[103:104], v[107:108], v[99:100], v[93:94]
	ds_read2_b64 v[93:96], v92 offset0:63 offset1:64
	ds_read2_b64 v[97:100], v92 offset0:65 offset1:66
	s_waitcnt vmcnt(28) lgkmcnt(1)
	v_fma_f64 v[93:94], v[109:110], v[93:94], v[103:104]
	s_clause 0x7
	buffer_load_dword v104, off, s[0:3], 0 offset:260
	buffer_load_dword v105, off, s[0:3], 0 offset:280
	buffer_load_dword v107, off, s[0:3], 0 offset:272
	buffer_load_dword v109, off, s[0:3], 0 offset:264
	buffer_load_dword v103, off, s[0:3], 0 offset:256
	buffer_load_dword v110, off, s[0:3], 0 offset:268
	buffer_load_dword v108, off, s[0:3], 0 offset:276
	buffer_load_dword v106, off, s[0:3], 0 offset:284
	s_waitcnt vmcnt(34)
	v_fma_f64 v[93:94], v[111:112], v[95:96], v[93:94]
	s_waitcnt vmcnt(32) lgkmcnt(0)
	v_fma_f64 v[93:94], v[113:114], v[97:98], v[93:94]
	s_waitcnt vmcnt(27)
	v_fma_f64 v[111:112], v[115:116], v[99:100], v[93:94]
	ds_read2_b64 v[93:96], v92 offset0:67 offset1:68
	ds_read2_b64 v[97:100], v92 offset0:69 offset1:70
	;; [unrolled: 19-line block ×4, first 2 shown]
	s_waitcnt vmcnt(26) lgkmcnt(1)
	v_fma_f64 v[93:94], v[135:136], v[93:94], v[101:102]
	s_clause 0x3
	buffer_load_dword v102, off, s[0:3], 0 offset:356
	buffer_load_dword v101, off, s[0:3], 0 offset:352
	;; [unrolled: 1-line block ×4, first 2 shown]
	s_waitcnt vmcnt(29)
	v_fma_f64 v[93:94], v[133:134], v[95:96], v[93:94]
	s_waitcnt vmcnt(28) lgkmcnt(0)
	v_fma_f64 v[93:94], v[131:132], v[97:98], v[93:94]
	s_waitcnt vmcnt(23)
	v_fma_f64 v[103:104], v[103:104], v[99:100], v[93:94]
	ds_read2_b64 v[93:96], v92 offset0:79 offset1:80
	ds_read2_b64 v[97:100], v92 offset0:81 offset1:82
	s_waitcnt vmcnt(22) lgkmcnt(1)
	v_fma_f64 v[93:94], v[109:110], v[93:94], v[103:104]
	s_waitcnt vmcnt(21)
	v_fma_f64 v[93:94], v[107:108], v[95:96], v[93:94]
	s_waitcnt vmcnt(20) lgkmcnt(0)
	v_fma_f64 v[93:94], v[105:106], v[97:98], v[93:94]
	s_waitcnt vmcnt(15)
	v_fma_f64 v[103:104], v[111:112], v[99:100], v[93:94]
	ds_read2_b64 v[93:96], v92 offset0:83 offset1:84
	ds_read2_b64 v[97:100], v92 offset0:85 offset1:86
	s_waitcnt vmcnt(14) lgkmcnt(1)
	v_fma_f64 v[93:94], v[121:122], v[93:94], v[103:104]
	;; [unrolled: 10-line block ×3, first 2 shown]
	s_waitcnt vmcnt(5)
	v_fma_f64 v[92:93], v[123:124], v[95:96], v[92:93]
	s_waitcnt vmcnt(4) lgkmcnt(0)
	v_fma_f64 v[92:93], v[119:120], v[97:98], v[92:93]
	s_waitcnt vmcnt(2)
	v_fma_f64 v[92:93], v[101:102], v[99:100], v[92:93]
	s_waitcnt vmcnt(0)
	v_add_f64 v[92:93], v[125:126], -v[92:93]
	buffer_store_dword v93, off, s[0:3], 0 offset:100
	buffer_store_dword v92, off, s[0:3], 0 offset:96
	v_cmpx_lt_u32_e32 11, v0
	s_cbranch_execz .LBB108_257
; %bb.256:
	s_clause 0x1
	buffer_load_dword v92, off, s[0:3], 0 offset:88
	buffer_load_dword v93, off, s[0:3], 0 offset:92
	v_mov_b32_e32 v94, 0
	buffer_store_dword v94, off, s[0:3], 0 offset:88
	buffer_store_dword v94, off, s[0:3], 0 offset:92
	s_waitcnt vmcnt(0)
	ds_write_b64 v91, v[92:93]
.LBB108_257:
	s_or_b32 exec_lo, exec_lo, s4
	s_waitcnt lgkmcnt(0)
	s_waitcnt_vscnt null, 0x0
	s_barrier
	buffer_gl0_inv
	s_clause 0x1c
	buffer_load_dword v101, off, s[0:3], 0 offset:96
	buffer_load_dword v102, off, s[0:3], 0 offset:100
	buffer_load_dword v103, off, s[0:3], 0 offset:104
	buffer_load_dword v104, off, s[0:3], 0 offset:108
	buffer_load_dword v105, off, s[0:3], 0 offset:112
	buffer_load_dword v106, off, s[0:3], 0 offset:116
	buffer_load_dword v107, off, s[0:3], 0 offset:120
	buffer_load_dword v108, off, s[0:3], 0 offset:124
	buffer_load_dword v109, off, s[0:3], 0 offset:128
	buffer_load_dword v110, off, s[0:3], 0 offset:132
	buffer_load_dword v111, off, s[0:3], 0 offset:136
	buffer_load_dword v112, off, s[0:3], 0 offset:140
	buffer_load_dword v113, off, s[0:3], 0 offset:144
	buffer_load_dword v114, off, s[0:3], 0 offset:148
	buffer_load_dword v116, off, s[0:3], 0 offset:156
	buffer_load_dword v117, off, s[0:3], 0 offset:176
	buffer_load_dword v119, off, s[0:3], 0 offset:168
	buffer_load_dword v121, off, s[0:3], 0 offset:160
	buffer_load_dword v115, off, s[0:3], 0 offset:152
	buffer_load_dword v122, off, s[0:3], 0 offset:164
	buffer_load_dword v120, off, s[0:3], 0 offset:172
	buffer_load_dword v118, off, s[0:3], 0 offset:180
	buffer_load_dword v124, off, s[0:3], 0 offset:188
	buffer_load_dword v125, off, s[0:3], 0 offset:208
	buffer_load_dword v127, off, s[0:3], 0 offset:200
	buffer_load_dword v129, off, s[0:3], 0 offset:192
	buffer_load_dword v123, off, s[0:3], 0 offset:184
	buffer_load_dword v130, off, s[0:3], 0 offset:196
	buffer_load_dword v128, off, s[0:3], 0 offset:204
	v_mov_b32_e32 v92, 0
	buffer_load_dword v126, off, s[0:3], 0 offset:212
	s_mov_b32 s4, exec_lo
	ds_read_b128 v[93:96], v92 offset:464
	ds_read_b128 v[97:100], v92 offset:480
	s_waitcnt vmcnt(28) lgkmcnt(1)
	v_fma_f64 v[93:94], v[101:102], v[93:94], 0
	s_clause 0x7
	buffer_load_dword v102, off, s[0:3], 0 offset:220
	buffer_load_dword v131, off, s[0:3], 0 offset:240
	buffer_load_dword v133, off, s[0:3], 0 offset:232
	buffer_load_dword v135, off, s[0:3], 0 offset:224
	buffer_load_dword v101, off, s[0:3], 0 offset:216
	buffer_load_dword v136, off, s[0:3], 0 offset:228
	buffer_load_dword v134, off, s[0:3], 0 offset:236
	buffer_load_dword v132, off, s[0:3], 0 offset:244
	s_waitcnt vmcnt(34)
	v_fma_f64 v[93:94], v[103:104], v[95:96], v[93:94]
	s_waitcnt vmcnt(32) lgkmcnt(0)
	v_fma_f64 v[93:94], v[105:106], v[97:98], v[93:94]
	s_waitcnt vmcnt(30)
	v_fma_f64 v[103:104], v[107:108], v[99:100], v[93:94]
	ds_read_b128 v[93:96], v92 offset:496
	ds_read_b128 v[97:100], v92 offset:512
	s_waitcnt vmcnt(28) lgkmcnt(1)
	v_fma_f64 v[93:94], v[109:110], v[93:94], v[103:104]
	s_clause 0x7
	buffer_load_dword v104, off, s[0:3], 0 offset:252
	buffer_load_dword v105, off, s[0:3], 0 offset:272
	buffer_load_dword v107, off, s[0:3], 0 offset:264
	buffer_load_dword v109, off, s[0:3], 0 offset:256
	buffer_load_dword v103, off, s[0:3], 0 offset:248
	buffer_load_dword v110, off, s[0:3], 0 offset:260
	buffer_load_dword v108, off, s[0:3], 0 offset:268
	buffer_load_dword v106, off, s[0:3], 0 offset:276
	s_waitcnt vmcnt(34)
	v_fma_f64 v[93:94], v[111:112], v[95:96], v[93:94]
	s_waitcnt vmcnt(32) lgkmcnt(0)
	v_fma_f64 v[93:94], v[113:114], v[97:98], v[93:94]
	s_waitcnt vmcnt(27)
	v_fma_f64 v[111:112], v[115:116], v[99:100], v[93:94]
	;; [unrolled: 19-line block ×4, first 2 shown]
	ds_read_b128 v[93:96], v92 offset:592
	ds_read_b128 v[97:100], v92 offset:608
	s_waitcnt vmcnt(26) lgkmcnt(1)
	v_fma_f64 v[93:94], v[135:136], v[93:94], v[101:102]
	s_clause 0x5
	buffer_load_dword v102, off, s[0:3], 0 offset:348
	buffer_load_dword v125, off, s[0:3], 0 offset:352
	;; [unrolled: 1-line block ×6, first 2 shown]
	s_waitcnt vmcnt(31)
	v_fma_f64 v[93:94], v[133:134], v[95:96], v[93:94]
	s_waitcnt vmcnt(30) lgkmcnt(0)
	v_fma_f64 v[93:94], v[131:132], v[97:98], v[93:94]
	s_waitcnt vmcnt(25)
	v_fma_f64 v[103:104], v[103:104], v[99:100], v[93:94]
	ds_read_b128 v[93:96], v92 offset:624
	ds_read_b128 v[97:100], v92 offset:640
	s_waitcnt vmcnt(24) lgkmcnt(1)
	v_fma_f64 v[93:94], v[109:110], v[93:94], v[103:104]
	s_waitcnt vmcnt(23)
	v_fma_f64 v[93:94], v[107:108], v[95:96], v[93:94]
	s_waitcnt vmcnt(22) lgkmcnt(0)
	v_fma_f64 v[93:94], v[105:106], v[97:98], v[93:94]
	s_waitcnt vmcnt(17)
	v_fma_f64 v[103:104], v[111:112], v[99:100], v[93:94]
	ds_read_b128 v[93:96], v92 offset:656
	ds_read_b128 v[97:100], v92 offset:672
	s_waitcnt vmcnt(16) lgkmcnt(1)
	v_fma_f64 v[93:94], v[121:122], v[93:94], v[103:104]
	;; [unrolled: 10-line block ×3, first 2 shown]
	s_waitcnt vmcnt(7)
	v_fma_f64 v[93:94], v[123:124], v[95:96], v[93:94]
	ds_read_b64 v[95:96], v92 offset:720
	s_waitcnt vmcnt(6) lgkmcnt(1)
	v_fma_f64 v[93:94], v[119:120], v[97:98], v[93:94]
	s_waitcnt vmcnt(3)
	v_fma_f64 v[93:94], v[101:102], v[99:100], v[93:94]
	s_waitcnt vmcnt(2) lgkmcnt(0)
	v_fma_f64 v[93:94], v[125:126], v[95:96], v[93:94]
	s_waitcnt vmcnt(0)
	v_add_f64 v[93:94], v[127:128], -v[93:94]
	buffer_store_dword v94, off, s[0:3], 0 offset:92
	buffer_store_dword v93, off, s[0:3], 0 offset:88
	v_cmpx_lt_u32_e32 10, v0
	s_cbranch_execz .LBB108_259
; %bb.258:
	s_clause 0x1
	buffer_load_dword v93, off, s[0:3], 0 offset:80
	buffer_load_dword v94, off, s[0:3], 0 offset:84
	buffer_store_dword v92, off, s[0:3], 0 offset:80
	buffer_store_dword v92, off, s[0:3], 0 offset:84
	s_waitcnt vmcnt(0)
	ds_write_b64 v91, v[93:94]
.LBB108_259:
	s_or_b32 exec_lo, exec_lo, s4
	s_waitcnt lgkmcnt(0)
	s_waitcnt_vscnt null, 0x0
	s_barrier
	buffer_gl0_inv
	s_clause 0x1c
	buffer_load_dword v101, off, s[0:3], 0 offset:88
	buffer_load_dword v102, off, s[0:3], 0 offset:92
	;; [unrolled: 1-line block ×29, first 2 shown]
	ds_read2_b64 v[93:96], v92 offset0:57 offset1:58
	ds_read2_b64 v[97:100], v92 offset0:59 offset1:60
	buffer_load_dword v126, off, s[0:3], 0 offset:204
	s_mov_b32 s4, exec_lo
	s_waitcnt vmcnt(28) lgkmcnt(1)
	v_fma_f64 v[93:94], v[101:102], v[93:94], 0
	s_clause 0x7
	buffer_load_dword v102, off, s[0:3], 0 offset:212
	buffer_load_dword v131, off, s[0:3], 0 offset:232
	buffer_load_dword v133, off, s[0:3], 0 offset:224
	buffer_load_dword v135, off, s[0:3], 0 offset:216
	buffer_load_dword v101, off, s[0:3], 0 offset:208
	buffer_load_dword v136, off, s[0:3], 0 offset:220
	buffer_load_dword v134, off, s[0:3], 0 offset:228
	buffer_load_dword v132, off, s[0:3], 0 offset:236
	s_waitcnt vmcnt(34)
	v_fma_f64 v[93:94], v[103:104], v[95:96], v[93:94]
	s_waitcnt vmcnt(32) lgkmcnt(0)
	v_fma_f64 v[93:94], v[105:106], v[97:98], v[93:94]
	s_waitcnt vmcnt(30)
	v_fma_f64 v[103:104], v[107:108], v[99:100], v[93:94]
	ds_read2_b64 v[93:96], v92 offset0:61 offset1:62
	ds_read2_b64 v[97:100], v92 offset0:63 offset1:64
	s_waitcnt vmcnt(28) lgkmcnt(1)
	v_fma_f64 v[93:94], v[109:110], v[93:94], v[103:104]
	s_clause 0x7
	buffer_load_dword v104, off, s[0:3], 0 offset:244
	buffer_load_dword v105, off, s[0:3], 0 offset:264
	buffer_load_dword v107, off, s[0:3], 0 offset:256
	buffer_load_dword v109, off, s[0:3], 0 offset:248
	buffer_load_dword v103, off, s[0:3], 0 offset:240
	buffer_load_dword v110, off, s[0:3], 0 offset:252
	buffer_load_dword v108, off, s[0:3], 0 offset:260
	buffer_load_dword v106, off, s[0:3], 0 offset:268
	s_waitcnt vmcnt(34)
	v_fma_f64 v[93:94], v[111:112], v[95:96], v[93:94]
	s_waitcnt vmcnt(32) lgkmcnt(0)
	v_fma_f64 v[93:94], v[113:114], v[97:98], v[93:94]
	s_waitcnt vmcnt(27)
	v_fma_f64 v[111:112], v[115:116], v[99:100], v[93:94]
	ds_read2_b64 v[93:96], v92 offset0:65 offset1:66
	ds_read2_b64 v[97:100], v92 offset0:67 offset1:68
	;; [unrolled: 19-line block ×4, first 2 shown]
	s_waitcnt vmcnt(26) lgkmcnt(1)
	v_fma_f64 v[93:94], v[135:136], v[93:94], v[101:102]
	s_clause 0x5
	buffer_load_dword v102, off, s[0:3], 0 offset:340
	buffer_load_dword v125, off, s[0:3], 0 offset:352
	buffer_load_dword v127, off, s[0:3], 0 offset:344
	buffer_load_dword v101, off, s[0:3], 0 offset:336
	buffer_load_dword v128, off, s[0:3], 0 offset:348
	buffer_load_dword v126, off, s[0:3], 0 offset:356
	s_waitcnt vmcnt(31)
	v_fma_f64 v[93:94], v[133:134], v[95:96], v[93:94]
	s_waitcnt vmcnt(30) lgkmcnt(0)
	v_fma_f64 v[93:94], v[131:132], v[97:98], v[93:94]
	s_waitcnt vmcnt(25)
	v_fma_f64 v[103:104], v[103:104], v[99:100], v[93:94]
	ds_read2_b64 v[93:96], v92 offset0:77 offset1:78
	s_clause 0x1
	buffer_load_dword v131, off, s[0:3], 0 offset:80
	buffer_load_dword v132, off, s[0:3], 0 offset:84
	ds_read2_b64 v[97:100], v92 offset0:79 offset1:80
	s_waitcnt vmcnt(26) lgkmcnt(1)
	v_fma_f64 v[93:94], v[109:110], v[93:94], v[103:104]
	s_waitcnt vmcnt(25)
	v_fma_f64 v[93:94], v[107:108], v[95:96], v[93:94]
	s_waitcnt vmcnt(24) lgkmcnt(0)
	v_fma_f64 v[93:94], v[105:106], v[97:98], v[93:94]
	s_waitcnt vmcnt(19)
	v_fma_f64 v[103:104], v[111:112], v[99:100], v[93:94]
	ds_read2_b64 v[93:96], v92 offset0:81 offset1:82
	ds_read2_b64 v[97:100], v92 offset0:83 offset1:84
	s_waitcnt vmcnt(18) lgkmcnt(1)
	v_fma_f64 v[93:94], v[121:122], v[93:94], v[103:104]
	s_waitcnt vmcnt(17)
	v_fma_f64 v[93:94], v[115:116], v[95:96], v[93:94]
	s_waitcnt vmcnt(16) lgkmcnt(0)
	v_fma_f64 v[93:94], v[113:114], v[97:98], v[93:94]
	s_waitcnt vmcnt(11)
	v_fma_f64 v[103:104], v[117:118], v[99:100], v[93:94]
	ds_read2_b64 v[93:96], v92 offset0:85 offset1:86
	;; [unrolled: 10-line block ×3, first 2 shown]
	s_waitcnt vmcnt(3) lgkmcnt(0)
	v_fma_f64 v[92:93], v[127:128], v[92:93], v[96:97]
	s_waitcnt vmcnt(2)
	v_fma_f64 v[92:93], v[125:126], v[94:95], v[92:93]
	s_waitcnt vmcnt(0)
	v_add_f64 v[92:93], v[131:132], -v[92:93]
	buffer_store_dword v93, off, s[0:3], 0 offset:84
	buffer_store_dword v92, off, s[0:3], 0 offset:80
	v_cmpx_lt_u32_e32 9, v0
	s_cbranch_execz .LBB108_261
; %bb.260:
	s_clause 0x1
	buffer_load_dword v92, off, s[0:3], 0 offset:72
	buffer_load_dword v93, off, s[0:3], 0 offset:76
	v_mov_b32_e32 v94, 0
	buffer_store_dword v94, off, s[0:3], 0 offset:72
	buffer_store_dword v94, off, s[0:3], 0 offset:76
	s_waitcnt vmcnt(0)
	ds_write_b64 v91, v[92:93]
.LBB108_261:
	s_or_b32 exec_lo, exec_lo, s4
	s_waitcnt lgkmcnt(0)
	s_waitcnt_vscnt null, 0x0
	s_barrier
	buffer_gl0_inv
	s_clause 0x1c
	buffer_load_dword v101, off, s[0:3], 0 offset:80
	buffer_load_dword v102, off, s[0:3], 0 offset:84
	;; [unrolled: 1-line block ×29, first 2 shown]
	v_mov_b32_e32 v92, 0
	buffer_load_dword v126, off, s[0:3], 0 offset:196
	s_mov_b32 s4, exec_lo
	ds_read_b128 v[93:96], v92 offset:448
	ds_read_b128 v[97:100], v92 offset:464
	s_waitcnt vmcnt(28) lgkmcnt(1)
	v_fma_f64 v[93:94], v[101:102], v[93:94], 0
	s_clause 0x7
	buffer_load_dword v102, off, s[0:3], 0 offset:204
	buffer_load_dword v131, off, s[0:3], 0 offset:224
	buffer_load_dword v133, off, s[0:3], 0 offset:216
	buffer_load_dword v135, off, s[0:3], 0 offset:208
	buffer_load_dword v101, off, s[0:3], 0 offset:200
	buffer_load_dword v136, off, s[0:3], 0 offset:212
	buffer_load_dword v134, off, s[0:3], 0 offset:220
	buffer_load_dword v132, off, s[0:3], 0 offset:228
	s_waitcnt vmcnt(34)
	v_fma_f64 v[93:94], v[103:104], v[95:96], v[93:94]
	s_waitcnt vmcnt(32) lgkmcnt(0)
	v_fma_f64 v[93:94], v[105:106], v[97:98], v[93:94]
	s_waitcnt vmcnt(30)
	v_fma_f64 v[103:104], v[107:108], v[99:100], v[93:94]
	ds_read_b128 v[93:96], v92 offset:480
	ds_read_b128 v[97:100], v92 offset:496
	s_waitcnt vmcnt(28) lgkmcnt(1)
	v_fma_f64 v[93:94], v[109:110], v[93:94], v[103:104]
	s_clause 0x7
	buffer_load_dword v104, off, s[0:3], 0 offset:236
	buffer_load_dword v105, off, s[0:3], 0 offset:256
	buffer_load_dword v107, off, s[0:3], 0 offset:248
	buffer_load_dword v109, off, s[0:3], 0 offset:240
	buffer_load_dword v103, off, s[0:3], 0 offset:232
	buffer_load_dword v110, off, s[0:3], 0 offset:244
	buffer_load_dword v108, off, s[0:3], 0 offset:252
	buffer_load_dword v106, off, s[0:3], 0 offset:260
	s_waitcnt vmcnt(34)
	v_fma_f64 v[93:94], v[111:112], v[95:96], v[93:94]
	s_waitcnt vmcnt(32) lgkmcnt(0)
	v_fma_f64 v[93:94], v[113:114], v[97:98], v[93:94]
	s_waitcnt vmcnt(27)
	v_fma_f64 v[111:112], v[115:116], v[99:100], v[93:94]
	;; [unrolled: 19-line block ×5, first 2 shown]
	ds_read_b128 v[93:96], v92 offset:608
	ds_read_b128 v[97:100], v92 offset:624
	s_waitcnt vmcnt(26) lgkmcnt(1)
	v_fma_f64 v[93:94], v[109:110], v[93:94], v[103:104]
	s_clause 0x1
	buffer_load_dword v103, off, s[0:3], 0 offset:72
	buffer_load_dword v104, off, s[0:3], 0 offset:76
	s_waitcnt vmcnt(27)
	v_fma_f64 v[93:94], v[107:108], v[95:96], v[93:94]
	s_waitcnt vmcnt(26) lgkmcnt(0)
	v_fma_f64 v[93:94], v[105:106], v[97:98], v[93:94]
	s_waitcnt vmcnt(21)
	v_fma_f64 v[105:106], v[111:112], v[99:100], v[93:94]
	ds_read_b128 v[93:96], v92 offset:640
	ds_read_b128 v[97:100], v92 offset:656
	s_waitcnt vmcnt(20) lgkmcnt(1)
	v_fma_f64 v[93:94], v[121:122], v[93:94], v[105:106]
	s_waitcnt vmcnt(19)
	v_fma_f64 v[93:94], v[115:116], v[95:96], v[93:94]
	s_waitcnt vmcnt(18) lgkmcnt(0)
	v_fma_f64 v[93:94], v[113:114], v[97:98], v[93:94]
	s_waitcnt vmcnt(13)
	v_fma_f64 v[105:106], v[117:118], v[99:100], v[93:94]
	ds_read_b128 v[93:96], v92 offset:672
	ds_read_b128 v[97:100], v92 offset:688
	s_waitcnt vmcnt(12) lgkmcnt(1)
	v_fma_f64 v[93:94], v[129:130], v[93:94], v[105:106]
	s_waitcnt vmcnt(11)
	v_fma_f64 v[93:94], v[123:124], v[95:96], v[93:94]
	s_waitcnt vmcnt(10) lgkmcnt(0)
	v_fma_f64 v[93:94], v[119:120], v[97:98], v[93:94]
	s_waitcnt vmcnt(5)
	v_fma_f64 v[97:98], v[101:102], v[99:100], v[93:94]
	ds_read_b128 v[93:96], v92 offset:704
	ds_read_b64 v[99:100], v92 offset:720
	s_waitcnt vmcnt(4) lgkmcnt(1)
	v_fma_f64 v[93:94], v[135:136], v[93:94], v[97:98]
	s_waitcnt vmcnt(3)
	v_fma_f64 v[93:94], v[127:128], v[95:96], v[93:94]
	s_waitcnt vmcnt(2) lgkmcnt(0)
	v_fma_f64 v[93:94], v[125:126], v[99:100], v[93:94]
	s_waitcnt vmcnt(0)
	v_add_f64 v[93:94], v[103:104], -v[93:94]
	buffer_store_dword v94, off, s[0:3], 0 offset:76
	buffer_store_dword v93, off, s[0:3], 0 offset:72
	v_cmpx_lt_u32_e32 8, v0
	s_cbranch_execz .LBB108_263
; %bb.262:
	s_clause 0x1
	buffer_load_dword v93, off, s[0:3], 0 offset:64
	buffer_load_dword v94, off, s[0:3], 0 offset:68
	buffer_store_dword v92, off, s[0:3], 0 offset:64
	buffer_store_dword v92, off, s[0:3], 0 offset:68
	s_waitcnt vmcnt(0)
	ds_write_b64 v91, v[93:94]
.LBB108_263:
	s_or_b32 exec_lo, exec_lo, s4
	s_waitcnt lgkmcnt(0)
	s_waitcnt_vscnt null, 0x0
	s_barrier
	buffer_gl0_inv
	s_clause 0x1c
	buffer_load_dword v101, off, s[0:3], 0 offset:72
	buffer_load_dword v102, off, s[0:3], 0 offset:76
	;; [unrolled: 1-line block ×29, first 2 shown]
	ds_read2_b64 v[93:96], v92 offset0:55 offset1:56
	ds_read2_b64 v[97:100], v92 offset0:57 offset1:58
	buffer_load_dword v126, off, s[0:3], 0 offset:188
	s_mov_b32 s4, exec_lo
	s_waitcnt vmcnt(28) lgkmcnt(1)
	v_fma_f64 v[93:94], v[101:102], v[93:94], 0
	s_clause 0x7
	buffer_load_dword v102, off, s[0:3], 0 offset:196
	buffer_load_dword v131, off, s[0:3], 0 offset:216
	buffer_load_dword v133, off, s[0:3], 0 offset:208
	buffer_load_dword v135, off, s[0:3], 0 offset:200
	buffer_load_dword v101, off, s[0:3], 0 offset:192
	buffer_load_dword v136, off, s[0:3], 0 offset:204
	buffer_load_dword v134, off, s[0:3], 0 offset:212
	buffer_load_dword v132, off, s[0:3], 0 offset:220
	s_waitcnt vmcnt(34)
	v_fma_f64 v[93:94], v[103:104], v[95:96], v[93:94]
	s_waitcnt vmcnt(32) lgkmcnt(0)
	v_fma_f64 v[93:94], v[105:106], v[97:98], v[93:94]
	s_waitcnt vmcnt(30)
	v_fma_f64 v[103:104], v[107:108], v[99:100], v[93:94]
	ds_read2_b64 v[93:96], v92 offset0:59 offset1:60
	ds_read2_b64 v[97:100], v92 offset0:61 offset1:62
	s_waitcnt vmcnt(28) lgkmcnt(1)
	v_fma_f64 v[93:94], v[109:110], v[93:94], v[103:104]
	s_clause 0x7
	buffer_load_dword v104, off, s[0:3], 0 offset:228
	buffer_load_dword v105, off, s[0:3], 0 offset:248
	buffer_load_dword v107, off, s[0:3], 0 offset:240
	buffer_load_dword v109, off, s[0:3], 0 offset:232
	buffer_load_dword v103, off, s[0:3], 0 offset:224
	buffer_load_dword v110, off, s[0:3], 0 offset:236
	buffer_load_dword v108, off, s[0:3], 0 offset:244
	buffer_load_dword v106, off, s[0:3], 0 offset:252
	s_waitcnt vmcnt(34)
	v_fma_f64 v[93:94], v[111:112], v[95:96], v[93:94]
	s_waitcnt vmcnt(32) lgkmcnt(0)
	v_fma_f64 v[93:94], v[113:114], v[97:98], v[93:94]
	s_waitcnt vmcnt(27)
	v_fma_f64 v[111:112], v[115:116], v[99:100], v[93:94]
	ds_read2_b64 v[93:96], v92 offset0:63 offset1:64
	ds_read2_b64 v[97:100], v92 offset0:65 offset1:66
	;; [unrolled: 19-line block ×5, first 2 shown]
	s_waitcnt vmcnt(26) lgkmcnt(1)
	v_fma_f64 v[93:94], v[109:110], v[93:94], v[103:104]
	s_clause 0x1
	buffer_load_dword v104, off, s[0:3], 0 offset:356
	buffer_load_dword v103, off, s[0:3], 0 offset:352
	s_waitcnt vmcnt(27)
	v_fma_f64 v[93:94], v[107:108], v[95:96], v[93:94]
	s_clause 0x1
	buffer_load_dword v107, off, s[0:3], 0 offset:64
	buffer_load_dword v108, off, s[0:3], 0 offset:68
	s_waitcnt vmcnt(28) lgkmcnt(0)
	v_fma_f64 v[93:94], v[105:106], v[97:98], v[93:94]
	s_waitcnt vmcnt(23)
	v_fma_f64 v[105:106], v[111:112], v[99:100], v[93:94]
	ds_read2_b64 v[93:96], v92 offset0:79 offset1:80
	ds_read2_b64 v[97:100], v92 offset0:81 offset1:82
	s_waitcnt vmcnt(22) lgkmcnt(1)
	v_fma_f64 v[93:94], v[121:122], v[93:94], v[105:106]
	s_waitcnt vmcnt(21)
	v_fma_f64 v[93:94], v[115:116], v[95:96], v[93:94]
	s_waitcnt vmcnt(20) lgkmcnt(0)
	v_fma_f64 v[93:94], v[113:114], v[97:98], v[93:94]
	s_waitcnt vmcnt(15)
	v_fma_f64 v[105:106], v[117:118], v[99:100], v[93:94]
	ds_read2_b64 v[93:96], v92 offset0:83 offset1:84
	ds_read2_b64 v[97:100], v92 offset0:85 offset1:86
	s_waitcnt vmcnt(14) lgkmcnt(1)
	v_fma_f64 v[93:94], v[129:130], v[93:94], v[105:106]
	s_waitcnt vmcnt(13)
	v_fma_f64 v[93:94], v[123:124], v[95:96], v[93:94]
	s_waitcnt vmcnt(12) lgkmcnt(0)
	v_fma_f64 v[93:94], v[119:120], v[97:98], v[93:94]
	s_waitcnt vmcnt(7)
	v_fma_f64 v[101:102], v[101:102], v[99:100], v[93:94]
	ds_read2_b64 v[93:96], v92 offset0:87 offset1:88
	ds_read2_b64 v[97:100], v92 offset0:89 offset1:90
	s_waitcnt vmcnt(6) lgkmcnt(1)
	v_fma_f64 v[92:93], v[135:136], v[93:94], v[101:102]
	s_waitcnt vmcnt(5)
	v_fma_f64 v[92:93], v[127:128], v[95:96], v[92:93]
	s_waitcnt vmcnt(4) lgkmcnt(0)
	v_fma_f64 v[92:93], v[125:126], v[97:98], v[92:93]
	s_waitcnt vmcnt(2)
	v_fma_f64 v[92:93], v[103:104], v[99:100], v[92:93]
	s_waitcnt vmcnt(0)
	v_add_f64 v[92:93], v[107:108], -v[92:93]
	buffer_store_dword v93, off, s[0:3], 0 offset:68
	buffer_store_dword v92, off, s[0:3], 0 offset:64
	v_cmpx_lt_u32_e32 7, v0
	s_cbranch_execz .LBB108_265
; %bb.264:
	s_clause 0x1
	buffer_load_dword v92, off, s[0:3], 0 offset:56
	buffer_load_dword v93, off, s[0:3], 0 offset:60
	v_mov_b32_e32 v94, 0
	buffer_store_dword v94, off, s[0:3], 0 offset:56
	buffer_store_dword v94, off, s[0:3], 0 offset:60
	s_waitcnt vmcnt(0)
	ds_write_b64 v91, v[92:93]
.LBB108_265:
	s_or_b32 exec_lo, exec_lo, s4
	s_waitcnt lgkmcnt(0)
	s_waitcnt_vscnt null, 0x0
	s_barrier
	buffer_gl0_inv
	s_clause 0x1c
	buffer_load_dword v101, off, s[0:3], 0 offset:64
	buffer_load_dword v102, off, s[0:3], 0 offset:68
	;; [unrolled: 1-line block ×29, first 2 shown]
	v_mov_b32_e32 v92, 0
	buffer_load_dword v126, off, s[0:3], 0 offset:180
	s_mov_b32 s4, exec_lo
	ds_read_b128 v[93:96], v92 offset:432
	ds_read_b128 v[97:100], v92 offset:448
	s_waitcnt vmcnt(28) lgkmcnt(1)
	v_fma_f64 v[93:94], v[101:102], v[93:94], 0
	s_clause 0x7
	buffer_load_dword v102, off, s[0:3], 0 offset:188
	buffer_load_dword v131, off, s[0:3], 0 offset:208
	buffer_load_dword v133, off, s[0:3], 0 offset:200
	buffer_load_dword v135, off, s[0:3], 0 offset:192
	buffer_load_dword v101, off, s[0:3], 0 offset:184
	buffer_load_dword v136, off, s[0:3], 0 offset:196
	buffer_load_dword v134, off, s[0:3], 0 offset:204
	buffer_load_dword v132, off, s[0:3], 0 offset:212
	s_waitcnt vmcnt(34)
	v_fma_f64 v[93:94], v[103:104], v[95:96], v[93:94]
	s_waitcnt vmcnt(32) lgkmcnt(0)
	v_fma_f64 v[93:94], v[105:106], v[97:98], v[93:94]
	s_waitcnt vmcnt(30)
	v_fma_f64 v[103:104], v[107:108], v[99:100], v[93:94]
	ds_read_b128 v[93:96], v92 offset:464
	ds_read_b128 v[97:100], v92 offset:480
	s_waitcnt vmcnt(28) lgkmcnt(1)
	v_fma_f64 v[93:94], v[109:110], v[93:94], v[103:104]
	s_clause 0x7
	buffer_load_dword v104, off, s[0:3], 0 offset:220
	buffer_load_dword v105, off, s[0:3], 0 offset:240
	buffer_load_dword v107, off, s[0:3], 0 offset:232
	buffer_load_dword v109, off, s[0:3], 0 offset:224
	buffer_load_dword v103, off, s[0:3], 0 offset:216
	buffer_load_dword v110, off, s[0:3], 0 offset:228
	buffer_load_dword v108, off, s[0:3], 0 offset:236
	buffer_load_dword v106, off, s[0:3], 0 offset:244
	s_waitcnt vmcnt(34)
	v_fma_f64 v[93:94], v[111:112], v[95:96], v[93:94]
	s_waitcnt vmcnt(32) lgkmcnt(0)
	v_fma_f64 v[93:94], v[113:114], v[97:98], v[93:94]
	s_waitcnt vmcnt(27)
	v_fma_f64 v[111:112], v[115:116], v[99:100], v[93:94]
	ds_read_b128 v[93:96], v92 offset:496
	ds_read_b128 v[97:100], v92 offset:512
	s_waitcnt vmcnt(26) lgkmcnt(1)
	v_fma_f64 v[93:94], v[121:122], v[93:94], v[111:112]
	s_clause 0x7
	buffer_load_dword v112, off, s[0:3], 0 offset:252
	buffer_load_dword v113, off, s[0:3], 0 offset:272
	buffer_load_dword v115, off, s[0:3], 0 offset:264
	buffer_load_dword v121, off, s[0:3], 0 offset:256
	buffer_load_dword v111, off, s[0:3], 0 offset:248
	buffer_load_dword v122, off, s[0:3], 0 offset:260
	buffer_load_dword v116, off, s[0:3], 0 offset:268
	buffer_load_dword v114, off, s[0:3], 0 offset:276
	s_waitcnt vmcnt(33)
	v_fma_f64 v[93:94], v[119:120], v[95:96], v[93:94]
	s_waitcnt vmcnt(32) lgkmcnt(0)
	v_fma_f64 v[93:94], v[117:118], v[97:98], v[93:94]
	s_waitcnt vmcnt(27)
	v_fma_f64 v[117:118], v[123:124], v[99:100], v[93:94]
	ds_read_b128 v[93:96], v92 offset:528
	ds_read_b128 v[97:100], v92 offset:544
	s_waitcnt vmcnt(26) lgkmcnt(1)
	v_fma_f64 v[93:94], v[129:130], v[93:94], v[117:118]
	s_clause 0x7
	buffer_load_dword v118, off, s[0:3], 0 offset:284
	buffer_load_dword v119, off, s[0:3], 0 offset:304
	buffer_load_dword v123, off, s[0:3], 0 offset:296
	buffer_load_dword v129, off, s[0:3], 0 offset:288
	buffer_load_dword v117, off, s[0:3], 0 offset:280
	buffer_load_dword v130, off, s[0:3], 0 offset:292
	buffer_load_dword v124, off, s[0:3], 0 offset:300
	buffer_load_dword v120, off, s[0:3], 0 offset:308
	s_waitcnt vmcnt(33)
	v_fma_f64 v[93:94], v[127:128], v[95:96], v[93:94]
	s_waitcnt vmcnt(32) lgkmcnt(0)
	v_fma_f64 v[93:94], v[125:126], v[97:98], v[93:94]
	s_waitcnt vmcnt(27)
	v_fma_f64 v[101:102], v[101:102], v[99:100], v[93:94]
	ds_read_b128 v[93:96], v92 offset:560
	ds_read_b128 v[97:100], v92 offset:576
	s_waitcnt vmcnt(26) lgkmcnt(1)
	v_fma_f64 v[93:94], v[135:136], v[93:94], v[101:102]
	s_clause 0x7
	buffer_load_dword v102, off, s[0:3], 0 offset:316
	buffer_load_dword v125, off, s[0:3], 0 offset:336
	buffer_load_dword v127, off, s[0:3], 0 offset:328
	buffer_load_dword v135, off, s[0:3], 0 offset:320
	buffer_load_dword v101, off, s[0:3], 0 offset:312
	buffer_load_dword v136, off, s[0:3], 0 offset:324
	buffer_load_dword v128, off, s[0:3], 0 offset:332
	buffer_load_dword v126, off, s[0:3], 0 offset:340
	s_waitcnt vmcnt(33)
	v_fma_f64 v[93:94], v[133:134], v[95:96], v[93:94]
	s_waitcnt vmcnt(32) lgkmcnt(0)
	v_fma_f64 v[93:94], v[131:132], v[97:98], v[93:94]
	s_waitcnt vmcnt(27)
	v_fma_f64 v[103:104], v[103:104], v[99:100], v[93:94]
	ds_read_b128 v[93:96], v92 offset:592
	ds_read_b128 v[97:100], v92 offset:608
	s_waitcnt vmcnt(26) lgkmcnt(1)
	v_fma_f64 v[93:94], v[109:110], v[93:94], v[103:104]
	s_clause 0x3
	buffer_load_dword v104, off, s[0:3], 0 offset:348
	buffer_load_dword v109, off, s[0:3], 0 offset:352
	;; [unrolled: 1-line block ×4, first 2 shown]
	s_waitcnt vmcnt(29)
	v_fma_f64 v[93:94], v[107:108], v[95:96], v[93:94]
	s_waitcnt vmcnt(28) lgkmcnt(0)
	v_fma_f64 v[93:94], v[105:106], v[97:98], v[93:94]
	s_clause 0x1
	buffer_load_dword v105, off, s[0:3], 0 offset:56
	buffer_load_dword v106, off, s[0:3], 0 offset:60
	s_waitcnt vmcnt(25)
	v_fma_f64 v[107:108], v[111:112], v[99:100], v[93:94]
	ds_read_b128 v[93:96], v92 offset:624
	ds_read_b128 v[97:100], v92 offset:640
	s_waitcnt vmcnt(24) lgkmcnt(1)
	v_fma_f64 v[93:94], v[121:122], v[93:94], v[107:108]
	s_waitcnt vmcnt(23)
	v_fma_f64 v[93:94], v[115:116], v[95:96], v[93:94]
	s_waitcnt vmcnt(22) lgkmcnt(0)
	v_fma_f64 v[93:94], v[113:114], v[97:98], v[93:94]
	s_waitcnt vmcnt(17)
	v_fma_f64 v[107:108], v[117:118], v[99:100], v[93:94]
	ds_read_b128 v[93:96], v92 offset:656
	ds_read_b128 v[97:100], v92 offset:672
	s_waitcnt vmcnt(16) lgkmcnt(1)
	v_fma_f64 v[93:94], v[129:130], v[93:94], v[107:108]
	s_waitcnt vmcnt(15)
	v_fma_f64 v[93:94], v[123:124], v[95:96], v[93:94]
	s_waitcnt vmcnt(14) lgkmcnt(0)
	v_fma_f64 v[93:94], v[119:120], v[97:98], v[93:94]
	s_waitcnt vmcnt(9)
	v_fma_f64 v[101:102], v[101:102], v[99:100], v[93:94]
	ds_read_b128 v[93:96], v92 offset:688
	ds_read_b128 v[97:100], v92 offset:704
	s_waitcnt vmcnt(8) lgkmcnt(1)
	v_fma_f64 v[93:94], v[135:136], v[93:94], v[101:102]
	s_waitcnt vmcnt(7)
	v_fma_f64 v[93:94], v[127:128], v[95:96], v[93:94]
	ds_read_b64 v[95:96], v92 offset:720
	s_waitcnt vmcnt(6) lgkmcnt(1)
	v_fma_f64 v[93:94], v[125:126], v[97:98], v[93:94]
	s_waitcnt vmcnt(3)
	v_fma_f64 v[93:94], v[103:104], v[99:100], v[93:94]
	s_waitcnt vmcnt(2) lgkmcnt(0)
	v_fma_f64 v[93:94], v[109:110], v[95:96], v[93:94]
	s_waitcnt vmcnt(0)
	v_add_f64 v[93:94], v[105:106], -v[93:94]
	buffer_store_dword v94, off, s[0:3], 0 offset:60
	buffer_store_dword v93, off, s[0:3], 0 offset:56
	v_cmpx_lt_u32_e32 6, v0
	s_cbranch_execz .LBB108_267
; %bb.266:
	s_clause 0x1
	buffer_load_dword v93, off, s[0:3], 0 offset:48
	buffer_load_dword v94, off, s[0:3], 0 offset:52
	buffer_store_dword v92, off, s[0:3], 0 offset:48
	buffer_store_dword v92, off, s[0:3], 0 offset:52
	s_waitcnt vmcnt(0)
	ds_write_b64 v91, v[93:94]
.LBB108_267:
	s_or_b32 exec_lo, exec_lo, s4
	s_waitcnt lgkmcnt(0)
	s_waitcnt_vscnt null, 0x0
	s_barrier
	buffer_gl0_inv
	s_clause 0x1c
	buffer_load_dword v101, off, s[0:3], 0 offset:56
	buffer_load_dword v102, off, s[0:3], 0 offset:60
	;; [unrolled: 1-line block ×29, first 2 shown]
	ds_read2_b64 v[93:96], v92 offset0:53 offset1:54
	ds_read2_b64 v[97:100], v92 offset0:55 offset1:56
	buffer_load_dword v126, off, s[0:3], 0 offset:172
	s_mov_b32 s4, exec_lo
	s_waitcnt vmcnt(28) lgkmcnt(1)
	v_fma_f64 v[93:94], v[101:102], v[93:94], 0
	s_clause 0x7
	buffer_load_dword v102, off, s[0:3], 0 offset:180
	buffer_load_dword v131, off, s[0:3], 0 offset:200
	buffer_load_dword v133, off, s[0:3], 0 offset:192
	buffer_load_dword v135, off, s[0:3], 0 offset:184
	buffer_load_dword v101, off, s[0:3], 0 offset:176
	buffer_load_dword v136, off, s[0:3], 0 offset:188
	buffer_load_dword v134, off, s[0:3], 0 offset:196
	buffer_load_dword v132, off, s[0:3], 0 offset:204
	s_waitcnt vmcnt(34)
	v_fma_f64 v[93:94], v[103:104], v[95:96], v[93:94]
	s_waitcnt vmcnt(32) lgkmcnt(0)
	v_fma_f64 v[93:94], v[105:106], v[97:98], v[93:94]
	s_waitcnt vmcnt(30)
	v_fma_f64 v[103:104], v[107:108], v[99:100], v[93:94]
	ds_read2_b64 v[93:96], v92 offset0:57 offset1:58
	ds_read2_b64 v[97:100], v92 offset0:59 offset1:60
	s_waitcnt vmcnt(28) lgkmcnt(1)
	v_fma_f64 v[93:94], v[109:110], v[93:94], v[103:104]
	s_clause 0x7
	buffer_load_dword v104, off, s[0:3], 0 offset:212
	buffer_load_dword v105, off, s[0:3], 0 offset:232
	buffer_load_dword v107, off, s[0:3], 0 offset:224
	buffer_load_dword v109, off, s[0:3], 0 offset:216
	buffer_load_dword v103, off, s[0:3], 0 offset:208
	buffer_load_dword v110, off, s[0:3], 0 offset:220
	buffer_load_dword v108, off, s[0:3], 0 offset:228
	buffer_load_dword v106, off, s[0:3], 0 offset:236
	s_waitcnt vmcnt(34)
	v_fma_f64 v[93:94], v[111:112], v[95:96], v[93:94]
	s_waitcnt vmcnt(32) lgkmcnt(0)
	v_fma_f64 v[93:94], v[113:114], v[97:98], v[93:94]
	s_waitcnt vmcnt(27)
	v_fma_f64 v[111:112], v[115:116], v[99:100], v[93:94]
	ds_read2_b64 v[93:96], v92 offset0:61 offset1:62
	ds_read2_b64 v[97:100], v92 offset0:63 offset1:64
	;; [unrolled: 19-line block ×5, first 2 shown]
	s_waitcnt vmcnt(26) lgkmcnt(1)
	v_fma_f64 v[93:94], v[109:110], v[93:94], v[103:104]
	s_clause 0x5
	buffer_load_dword v104, off, s[0:3], 0 offset:340
	buffer_load_dword v109, off, s[0:3], 0 offset:352
	;; [unrolled: 1-line block ×6, first 2 shown]
	s_waitcnt vmcnt(31)
	v_fma_f64 v[93:94], v[107:108], v[95:96], v[93:94]
	s_waitcnt vmcnt(30) lgkmcnt(0)
	v_fma_f64 v[93:94], v[105:106], v[97:98], v[93:94]
	s_waitcnt vmcnt(25)
	v_fma_f64 v[105:106], v[111:112], v[99:100], v[93:94]
	ds_read2_b64 v[93:96], v92 offset0:77 offset1:78
	s_clause 0x1
	buffer_load_dword v107, off, s[0:3], 0 offset:48
	buffer_load_dword v108, off, s[0:3], 0 offset:52
	ds_read2_b64 v[97:100], v92 offset0:79 offset1:80
	s_waitcnt vmcnt(26) lgkmcnt(1)
	v_fma_f64 v[93:94], v[121:122], v[93:94], v[105:106]
	s_waitcnt vmcnt(25)
	v_fma_f64 v[93:94], v[115:116], v[95:96], v[93:94]
	s_waitcnt vmcnt(24) lgkmcnt(0)
	v_fma_f64 v[93:94], v[113:114], v[97:98], v[93:94]
	s_waitcnt vmcnt(19)
	v_fma_f64 v[105:106], v[117:118], v[99:100], v[93:94]
	ds_read2_b64 v[93:96], v92 offset0:81 offset1:82
	ds_read2_b64 v[97:100], v92 offset0:83 offset1:84
	s_waitcnt vmcnt(18) lgkmcnt(1)
	v_fma_f64 v[93:94], v[129:130], v[93:94], v[105:106]
	s_waitcnt vmcnt(17)
	v_fma_f64 v[93:94], v[123:124], v[95:96], v[93:94]
	s_waitcnt vmcnt(16) lgkmcnt(0)
	v_fma_f64 v[93:94], v[119:120], v[97:98], v[93:94]
	s_waitcnt vmcnt(11)
	v_fma_f64 v[101:102], v[101:102], v[99:100], v[93:94]
	ds_read2_b64 v[93:96], v92 offset0:85 offset1:86
	;; [unrolled: 10-line block ×3, first 2 shown]
	s_waitcnt vmcnt(3) lgkmcnt(0)
	v_fma_f64 v[92:93], v[131:132], v[92:93], v[96:97]
	s_waitcnt vmcnt(2)
	v_fma_f64 v[92:93], v[109:110], v[94:95], v[92:93]
	s_waitcnt vmcnt(0)
	v_add_f64 v[92:93], v[107:108], -v[92:93]
	buffer_store_dword v93, off, s[0:3], 0 offset:52
	buffer_store_dword v92, off, s[0:3], 0 offset:48
	v_cmpx_lt_u32_e32 5, v0
	s_cbranch_execz .LBB108_269
; %bb.268:
	s_clause 0x1
	buffer_load_dword v92, off, s[0:3], 0 offset:40
	buffer_load_dword v93, off, s[0:3], 0 offset:44
	v_mov_b32_e32 v94, 0
	buffer_store_dword v94, off, s[0:3], 0 offset:40
	buffer_store_dword v94, off, s[0:3], 0 offset:44
	s_waitcnt vmcnt(0)
	ds_write_b64 v91, v[92:93]
.LBB108_269:
	s_or_b32 exec_lo, exec_lo, s4
	s_waitcnt lgkmcnt(0)
	s_waitcnt_vscnt null, 0x0
	s_barrier
	buffer_gl0_inv
	s_clause 0x1c
	buffer_load_dword v101, off, s[0:3], 0 offset:48
	buffer_load_dword v102, off, s[0:3], 0 offset:52
	buffer_load_dword v103, off, s[0:3], 0 offset:56
	buffer_load_dword v104, off, s[0:3], 0 offset:60
	buffer_load_dword v105, off, s[0:3], 0 offset:64
	buffer_load_dword v106, off, s[0:3], 0 offset:68
	buffer_load_dword v107, off, s[0:3], 0 offset:72
	buffer_load_dword v108, off, s[0:3], 0 offset:76
	buffer_load_dword v109, off, s[0:3], 0 offset:80
	buffer_load_dword v110, off, s[0:3], 0 offset:84
	buffer_load_dword v111, off, s[0:3], 0 offset:88
	buffer_load_dword v112, off, s[0:3], 0 offset:92
	buffer_load_dword v113, off, s[0:3], 0 offset:96
	buffer_load_dword v114, off, s[0:3], 0 offset:100
	buffer_load_dword v116, off, s[0:3], 0 offset:108
	buffer_load_dword v117, off, s[0:3], 0 offset:128
	buffer_load_dword v119, off, s[0:3], 0 offset:120
	buffer_load_dword v121, off, s[0:3], 0 offset:112
	buffer_load_dword v115, off, s[0:3], 0 offset:104
	buffer_load_dword v122, off, s[0:3], 0 offset:116
	buffer_load_dword v120, off, s[0:3], 0 offset:124
	buffer_load_dword v118, off, s[0:3], 0 offset:132
	buffer_load_dword v124, off, s[0:3], 0 offset:140
	buffer_load_dword v125, off, s[0:3], 0 offset:160
	buffer_load_dword v127, off, s[0:3], 0 offset:152
	buffer_load_dword v129, off, s[0:3], 0 offset:144
	buffer_load_dword v123, off, s[0:3], 0 offset:136
	buffer_load_dword v130, off, s[0:3], 0 offset:148
	buffer_load_dword v128, off, s[0:3], 0 offset:156
	v_mov_b32_e32 v92, 0
	buffer_load_dword v126, off, s[0:3], 0 offset:164
	s_mov_b32 s4, exec_lo
	ds_read_b128 v[93:96], v92 offset:416
	ds_read_b128 v[97:100], v92 offset:432
	s_waitcnt vmcnt(28) lgkmcnt(1)
	v_fma_f64 v[93:94], v[101:102], v[93:94], 0
	s_clause 0x7
	buffer_load_dword v102, off, s[0:3], 0 offset:172
	buffer_load_dword v131, off, s[0:3], 0 offset:192
	buffer_load_dword v133, off, s[0:3], 0 offset:184
	buffer_load_dword v135, off, s[0:3], 0 offset:176
	buffer_load_dword v101, off, s[0:3], 0 offset:168
	buffer_load_dword v136, off, s[0:3], 0 offset:180
	buffer_load_dword v134, off, s[0:3], 0 offset:188
	buffer_load_dword v132, off, s[0:3], 0 offset:196
	s_waitcnt vmcnt(34)
	v_fma_f64 v[93:94], v[103:104], v[95:96], v[93:94]
	s_waitcnt vmcnt(32) lgkmcnt(0)
	v_fma_f64 v[93:94], v[105:106], v[97:98], v[93:94]
	s_waitcnt vmcnt(30)
	v_fma_f64 v[103:104], v[107:108], v[99:100], v[93:94]
	ds_read_b128 v[93:96], v92 offset:448
	ds_read_b128 v[97:100], v92 offset:464
	s_waitcnt vmcnt(28) lgkmcnt(1)
	v_fma_f64 v[93:94], v[109:110], v[93:94], v[103:104]
	s_clause 0x7
	buffer_load_dword v104, off, s[0:3], 0 offset:204
	buffer_load_dword v105, off, s[0:3], 0 offset:224
	buffer_load_dword v107, off, s[0:3], 0 offset:216
	buffer_load_dword v109, off, s[0:3], 0 offset:208
	buffer_load_dword v103, off, s[0:3], 0 offset:200
	buffer_load_dword v110, off, s[0:3], 0 offset:212
	buffer_load_dword v108, off, s[0:3], 0 offset:220
	buffer_load_dword v106, off, s[0:3], 0 offset:228
	s_waitcnt vmcnt(34)
	v_fma_f64 v[93:94], v[111:112], v[95:96], v[93:94]
	s_waitcnt vmcnt(32) lgkmcnt(0)
	v_fma_f64 v[93:94], v[113:114], v[97:98], v[93:94]
	s_waitcnt vmcnt(27)
	v_fma_f64 v[111:112], v[115:116], v[99:100], v[93:94]
	ds_read_b128 v[93:96], v92 offset:480
	ds_read_b128 v[97:100], v92 offset:496
	s_waitcnt vmcnt(26) lgkmcnt(1)
	v_fma_f64 v[93:94], v[121:122], v[93:94], v[111:112]
	s_clause 0x7
	buffer_load_dword v112, off, s[0:3], 0 offset:236
	buffer_load_dword v113, off, s[0:3], 0 offset:256
	buffer_load_dword v115, off, s[0:3], 0 offset:248
	buffer_load_dword v121, off, s[0:3], 0 offset:240
	buffer_load_dword v111, off, s[0:3], 0 offset:232
	buffer_load_dword v122, off, s[0:3], 0 offset:244
	buffer_load_dword v116, off, s[0:3], 0 offset:252
	buffer_load_dword v114, off, s[0:3], 0 offset:260
	s_waitcnt vmcnt(33)
	v_fma_f64 v[93:94], v[119:120], v[95:96], v[93:94]
	s_waitcnt vmcnt(32) lgkmcnt(0)
	v_fma_f64 v[93:94], v[117:118], v[97:98], v[93:94]
	s_waitcnt vmcnt(27)
	v_fma_f64 v[117:118], v[123:124], v[99:100], v[93:94]
	ds_read_b128 v[93:96], v92 offset:512
	ds_read_b128 v[97:100], v92 offset:528
	s_waitcnt vmcnt(26) lgkmcnt(1)
	v_fma_f64 v[93:94], v[129:130], v[93:94], v[117:118]
	s_clause 0x7
	buffer_load_dword v118, off, s[0:3], 0 offset:268
	buffer_load_dword v119, off, s[0:3], 0 offset:288
	buffer_load_dword v123, off, s[0:3], 0 offset:280
	buffer_load_dword v129, off, s[0:3], 0 offset:272
	buffer_load_dword v117, off, s[0:3], 0 offset:264
	buffer_load_dword v130, off, s[0:3], 0 offset:276
	buffer_load_dword v124, off, s[0:3], 0 offset:284
	buffer_load_dword v120, off, s[0:3], 0 offset:292
	s_waitcnt vmcnt(33)
	v_fma_f64 v[93:94], v[127:128], v[95:96], v[93:94]
	s_waitcnt vmcnt(32) lgkmcnt(0)
	v_fma_f64 v[93:94], v[125:126], v[97:98], v[93:94]
	s_waitcnt vmcnt(27)
	v_fma_f64 v[101:102], v[101:102], v[99:100], v[93:94]
	ds_read_b128 v[93:96], v92 offset:544
	ds_read_b128 v[97:100], v92 offset:560
	s_waitcnt vmcnt(26) lgkmcnt(1)
	v_fma_f64 v[93:94], v[135:136], v[93:94], v[101:102]
	s_clause 0x7
	buffer_load_dword v102, off, s[0:3], 0 offset:300
	buffer_load_dword v125, off, s[0:3], 0 offset:320
	buffer_load_dword v127, off, s[0:3], 0 offset:312
	buffer_load_dword v135, off, s[0:3], 0 offset:304
	buffer_load_dword v101, off, s[0:3], 0 offset:296
	buffer_load_dword v136, off, s[0:3], 0 offset:308
	buffer_load_dword v128, off, s[0:3], 0 offset:316
	buffer_load_dword v126, off, s[0:3], 0 offset:324
	s_waitcnt vmcnt(33)
	v_fma_f64 v[93:94], v[133:134], v[95:96], v[93:94]
	s_waitcnt vmcnt(32) lgkmcnt(0)
	v_fma_f64 v[93:94], v[131:132], v[97:98], v[93:94]
	s_waitcnt vmcnt(27)
	v_fma_f64 v[103:104], v[103:104], v[99:100], v[93:94]
	ds_read_b128 v[93:96], v92 offset:576
	ds_read_b128 v[97:100], v92 offset:592
	s_waitcnt vmcnt(26) lgkmcnt(1)
	v_fma_f64 v[93:94], v[109:110], v[93:94], v[103:104]
	s_clause 0x7
	buffer_load_dword v104, off, s[0:3], 0 offset:332
	buffer_load_dword v109, off, s[0:3], 0 offset:352
	buffer_load_dword v131, off, s[0:3], 0 offset:344
	buffer_load_dword v133, off, s[0:3], 0 offset:336
	buffer_load_dword v103, off, s[0:3], 0 offset:328
	buffer_load_dword v134, off, s[0:3], 0 offset:340
	buffer_load_dword v132, off, s[0:3], 0 offset:348
	buffer_load_dword v110, off, s[0:3], 0 offset:356
	s_waitcnt vmcnt(33)
	v_fma_f64 v[93:94], v[107:108], v[95:96], v[93:94]
	s_waitcnt vmcnt(32) lgkmcnt(0)
	v_fma_f64 v[93:94], v[105:106], v[97:98], v[93:94]
	s_waitcnt vmcnt(27)
	v_fma_f64 v[105:106], v[111:112], v[99:100], v[93:94]
	ds_read_b128 v[93:96], v92 offset:608
	ds_read_b128 v[97:100], v92 offset:624
	s_waitcnt vmcnt(26) lgkmcnt(1)
	v_fma_f64 v[93:94], v[121:122], v[93:94], v[105:106]
	s_clause 0x1
	buffer_load_dword v105, off, s[0:3], 0 offset:40
	buffer_load_dword v106, off, s[0:3], 0 offset:44
	s_waitcnt vmcnt(27)
	v_fma_f64 v[93:94], v[115:116], v[95:96], v[93:94]
	s_waitcnt vmcnt(26) lgkmcnt(0)
	v_fma_f64 v[93:94], v[113:114], v[97:98], v[93:94]
	s_waitcnt vmcnt(21)
	v_fma_f64 v[107:108], v[117:118], v[99:100], v[93:94]
	ds_read_b128 v[93:96], v92 offset:640
	ds_read_b128 v[97:100], v92 offset:656
	s_waitcnt vmcnt(20) lgkmcnt(1)
	v_fma_f64 v[93:94], v[129:130], v[93:94], v[107:108]
	s_waitcnt vmcnt(19)
	v_fma_f64 v[93:94], v[123:124], v[95:96], v[93:94]
	s_waitcnt vmcnt(18) lgkmcnt(0)
	v_fma_f64 v[93:94], v[119:120], v[97:98], v[93:94]
	s_waitcnt vmcnt(13)
	v_fma_f64 v[101:102], v[101:102], v[99:100], v[93:94]
	ds_read_b128 v[93:96], v92 offset:672
	ds_read_b128 v[97:100], v92 offset:688
	s_waitcnt vmcnt(12) lgkmcnt(1)
	v_fma_f64 v[93:94], v[135:136], v[93:94], v[101:102]
	s_waitcnt vmcnt(11)
	v_fma_f64 v[93:94], v[127:128], v[95:96], v[93:94]
	s_waitcnt vmcnt(10) lgkmcnt(0)
	v_fma_f64 v[93:94], v[125:126], v[97:98], v[93:94]
	s_waitcnt vmcnt(5)
	v_fma_f64 v[97:98], v[103:104], v[99:100], v[93:94]
	ds_read_b128 v[93:96], v92 offset:704
	ds_read_b64 v[99:100], v92 offset:720
	s_waitcnt vmcnt(4) lgkmcnt(1)
	v_fma_f64 v[93:94], v[133:134], v[93:94], v[97:98]
	s_waitcnt vmcnt(3)
	v_fma_f64 v[93:94], v[131:132], v[95:96], v[93:94]
	s_waitcnt vmcnt(2) lgkmcnt(0)
	v_fma_f64 v[93:94], v[109:110], v[99:100], v[93:94]
	s_waitcnt vmcnt(0)
	v_add_f64 v[93:94], v[105:106], -v[93:94]
	buffer_store_dword v94, off, s[0:3], 0 offset:44
	buffer_store_dword v93, off, s[0:3], 0 offset:40
	v_cmpx_lt_u32_e32 4, v0
	s_cbranch_execz .LBB108_271
; %bb.270:
	s_clause 0x1
	buffer_load_dword v93, off, s[0:3], 0 offset:32
	buffer_load_dword v94, off, s[0:3], 0 offset:36
	buffer_store_dword v92, off, s[0:3], 0 offset:32
	buffer_store_dword v92, off, s[0:3], 0 offset:36
	s_waitcnt vmcnt(0)
	ds_write_b64 v91, v[93:94]
.LBB108_271:
	s_or_b32 exec_lo, exec_lo, s4
	s_waitcnt lgkmcnt(0)
	s_waitcnt_vscnt null, 0x0
	s_barrier
	buffer_gl0_inv
	s_clause 0x1c
	buffer_load_dword v101, off, s[0:3], 0 offset:40
	buffer_load_dword v102, off, s[0:3], 0 offset:44
	;; [unrolled: 1-line block ×29, first 2 shown]
	ds_read2_b64 v[93:96], v92 offset0:51 offset1:52
	ds_read2_b64 v[97:100], v92 offset0:53 offset1:54
	buffer_load_dword v126, off, s[0:3], 0 offset:156
	s_mov_b32 s4, exec_lo
	s_waitcnt vmcnt(28) lgkmcnt(1)
	v_fma_f64 v[93:94], v[101:102], v[93:94], 0
	s_clause 0x7
	buffer_load_dword v102, off, s[0:3], 0 offset:164
	buffer_load_dword v131, off, s[0:3], 0 offset:184
	buffer_load_dword v133, off, s[0:3], 0 offset:176
	buffer_load_dword v135, off, s[0:3], 0 offset:168
	buffer_load_dword v101, off, s[0:3], 0 offset:160
	buffer_load_dword v136, off, s[0:3], 0 offset:172
	buffer_load_dword v134, off, s[0:3], 0 offset:180
	buffer_load_dword v132, off, s[0:3], 0 offset:188
	s_waitcnt vmcnt(34)
	v_fma_f64 v[93:94], v[103:104], v[95:96], v[93:94]
	s_waitcnt vmcnt(32) lgkmcnt(0)
	v_fma_f64 v[93:94], v[105:106], v[97:98], v[93:94]
	s_waitcnt vmcnt(30)
	v_fma_f64 v[103:104], v[107:108], v[99:100], v[93:94]
	ds_read2_b64 v[93:96], v92 offset0:55 offset1:56
	ds_read2_b64 v[97:100], v92 offset0:57 offset1:58
	s_waitcnt vmcnt(28) lgkmcnt(1)
	v_fma_f64 v[93:94], v[109:110], v[93:94], v[103:104]
	s_clause 0x7
	buffer_load_dword v104, off, s[0:3], 0 offset:196
	buffer_load_dword v105, off, s[0:3], 0 offset:216
	buffer_load_dword v107, off, s[0:3], 0 offset:208
	buffer_load_dword v109, off, s[0:3], 0 offset:200
	buffer_load_dword v103, off, s[0:3], 0 offset:192
	buffer_load_dword v110, off, s[0:3], 0 offset:204
	buffer_load_dword v108, off, s[0:3], 0 offset:212
	buffer_load_dword v106, off, s[0:3], 0 offset:220
	s_waitcnt vmcnt(34)
	v_fma_f64 v[93:94], v[111:112], v[95:96], v[93:94]
	s_waitcnt vmcnt(32) lgkmcnt(0)
	v_fma_f64 v[93:94], v[113:114], v[97:98], v[93:94]
	s_waitcnt vmcnt(27)
	v_fma_f64 v[111:112], v[115:116], v[99:100], v[93:94]
	ds_read2_b64 v[93:96], v92 offset0:59 offset1:60
	ds_read2_b64 v[97:100], v92 offset0:61 offset1:62
	;; [unrolled: 19-line block ×6, first 2 shown]
	s_waitcnt vmcnt(26) lgkmcnt(1)
	v_fma_f64 v[93:94], v[121:122], v[93:94], v[105:106]
	s_clause 0x3
	buffer_load_dword v106, off, s[0:3], 0 offset:356
	buffer_load_dword v105, off, s[0:3], 0 offset:352
	;; [unrolled: 1-line block ×4, first 2 shown]
	s_waitcnt vmcnt(29)
	v_fma_f64 v[93:94], v[115:116], v[95:96], v[93:94]
	s_waitcnt vmcnt(28) lgkmcnt(0)
	v_fma_f64 v[93:94], v[113:114], v[97:98], v[93:94]
	s_waitcnt vmcnt(23)
	v_fma_f64 v[111:112], v[117:118], v[99:100], v[93:94]
	ds_read2_b64 v[93:96], v92 offset0:79 offset1:80
	ds_read2_b64 v[97:100], v92 offset0:81 offset1:82
	s_waitcnt vmcnt(22) lgkmcnt(1)
	v_fma_f64 v[93:94], v[129:130], v[93:94], v[111:112]
	s_waitcnt vmcnt(21)
	v_fma_f64 v[93:94], v[123:124], v[95:96], v[93:94]
	s_waitcnt vmcnt(20) lgkmcnt(0)
	v_fma_f64 v[93:94], v[119:120], v[97:98], v[93:94]
	s_waitcnt vmcnt(15)
	v_fma_f64 v[101:102], v[101:102], v[99:100], v[93:94]
	ds_read2_b64 v[93:96], v92 offset0:83 offset1:84
	ds_read2_b64 v[97:100], v92 offset0:85 offset1:86
	s_waitcnt vmcnt(14) lgkmcnt(1)
	v_fma_f64 v[93:94], v[135:136], v[93:94], v[101:102]
	;; [unrolled: 10-line block ×3, first 2 shown]
	s_waitcnt vmcnt(5)
	v_fma_f64 v[92:93], v[131:132], v[95:96], v[92:93]
	s_waitcnt vmcnt(4) lgkmcnt(0)
	v_fma_f64 v[92:93], v[109:110], v[97:98], v[92:93]
	s_waitcnt vmcnt(2)
	v_fma_f64 v[92:93], v[105:106], v[99:100], v[92:93]
	s_waitcnt vmcnt(0)
	v_add_f64 v[92:93], v[107:108], -v[92:93]
	buffer_store_dword v93, off, s[0:3], 0 offset:36
	buffer_store_dword v92, off, s[0:3], 0 offset:32
	v_cmpx_lt_u32_e32 3, v0
	s_cbranch_execz .LBB108_273
; %bb.272:
	s_clause 0x1
	buffer_load_dword v92, off, s[0:3], 0 offset:24
	buffer_load_dword v93, off, s[0:3], 0 offset:28
	v_mov_b32_e32 v94, 0
	buffer_store_dword v94, off, s[0:3], 0 offset:24
	buffer_store_dword v94, off, s[0:3], 0 offset:28
	s_waitcnt vmcnt(0)
	ds_write_b64 v91, v[92:93]
.LBB108_273:
	s_or_b32 exec_lo, exec_lo, s4
	s_waitcnt lgkmcnt(0)
	s_waitcnt_vscnt null, 0x0
	s_barrier
	buffer_gl0_inv
	s_clause 0x1c
	buffer_load_dword v101, off, s[0:3], 0 offset:32
	buffer_load_dword v102, off, s[0:3], 0 offset:36
	;; [unrolled: 1-line block ×29, first 2 shown]
	v_mov_b32_e32 v92, 0
	buffer_load_dword v126, off, s[0:3], 0 offset:148
	s_mov_b32 s4, exec_lo
	ds_read_b128 v[93:96], v92 offset:400
	ds_read_b128 v[97:100], v92 offset:416
	s_waitcnt vmcnt(28) lgkmcnt(1)
	v_fma_f64 v[93:94], v[101:102], v[93:94], 0
	s_clause 0x7
	buffer_load_dword v102, off, s[0:3], 0 offset:156
	buffer_load_dword v131, off, s[0:3], 0 offset:176
	buffer_load_dword v133, off, s[0:3], 0 offset:168
	buffer_load_dword v135, off, s[0:3], 0 offset:160
	buffer_load_dword v101, off, s[0:3], 0 offset:152
	buffer_load_dword v136, off, s[0:3], 0 offset:164
	buffer_load_dword v134, off, s[0:3], 0 offset:172
	buffer_load_dword v132, off, s[0:3], 0 offset:180
	s_waitcnt vmcnt(34)
	v_fma_f64 v[93:94], v[103:104], v[95:96], v[93:94]
	s_waitcnt vmcnt(32) lgkmcnt(0)
	v_fma_f64 v[93:94], v[105:106], v[97:98], v[93:94]
	s_waitcnt vmcnt(30)
	v_fma_f64 v[103:104], v[107:108], v[99:100], v[93:94]
	ds_read_b128 v[93:96], v92 offset:432
	ds_read_b128 v[97:100], v92 offset:448
	s_waitcnt vmcnt(28) lgkmcnt(1)
	v_fma_f64 v[93:94], v[109:110], v[93:94], v[103:104]
	s_clause 0x7
	buffer_load_dword v104, off, s[0:3], 0 offset:188
	buffer_load_dword v105, off, s[0:3], 0 offset:208
	buffer_load_dword v107, off, s[0:3], 0 offset:200
	buffer_load_dword v109, off, s[0:3], 0 offset:192
	buffer_load_dword v103, off, s[0:3], 0 offset:184
	buffer_load_dword v110, off, s[0:3], 0 offset:196
	buffer_load_dword v108, off, s[0:3], 0 offset:204
	buffer_load_dword v106, off, s[0:3], 0 offset:212
	s_waitcnt vmcnt(34)
	v_fma_f64 v[93:94], v[111:112], v[95:96], v[93:94]
	s_waitcnt vmcnt(32) lgkmcnt(0)
	v_fma_f64 v[93:94], v[113:114], v[97:98], v[93:94]
	s_waitcnt vmcnt(27)
	v_fma_f64 v[111:112], v[115:116], v[99:100], v[93:94]
	;; [unrolled: 19-line block ×6, first 2 shown]
	ds_read_b128 v[93:96], v92 offset:592
	ds_read_b128 v[97:100], v92 offset:608
	s_waitcnt vmcnt(26) lgkmcnt(1)
	v_fma_f64 v[93:94], v[121:122], v[93:94], v[105:106]
	s_clause 0x5
	buffer_load_dword v106, off, s[0:3], 0 offset:348
	buffer_load_dword v107, off, s[0:3], 0 offset:352
	;; [unrolled: 1-line block ×6, first 2 shown]
	s_waitcnt vmcnt(31)
	v_fma_f64 v[93:94], v[115:116], v[95:96], v[93:94]
	s_waitcnt vmcnt(30) lgkmcnt(0)
	v_fma_f64 v[93:94], v[113:114], v[97:98], v[93:94]
	s_waitcnt vmcnt(25)
	v_fma_f64 v[113:114], v[117:118], v[99:100], v[93:94]
	ds_read_b128 v[93:96], v92 offset:624
	ds_read_b128 v[97:100], v92 offset:640
	s_waitcnt vmcnt(24) lgkmcnt(1)
	v_fma_f64 v[93:94], v[129:130], v[93:94], v[113:114]
	s_waitcnt vmcnt(23)
	v_fma_f64 v[93:94], v[123:124], v[95:96], v[93:94]
	s_waitcnt vmcnt(22) lgkmcnt(0)
	v_fma_f64 v[93:94], v[119:120], v[97:98], v[93:94]
	s_waitcnt vmcnt(17)
	v_fma_f64 v[101:102], v[101:102], v[99:100], v[93:94]
	ds_read_b128 v[93:96], v92 offset:656
	ds_read_b128 v[97:100], v92 offset:672
	s_waitcnt vmcnt(16) lgkmcnt(1)
	v_fma_f64 v[93:94], v[135:136], v[93:94], v[101:102]
	;; [unrolled: 10-line block ×3, first 2 shown]
	s_waitcnt vmcnt(7)
	v_fma_f64 v[93:94], v[131:132], v[95:96], v[93:94]
	ds_read_b64 v[95:96], v92 offset:720
	s_waitcnt vmcnt(6) lgkmcnt(1)
	v_fma_f64 v[93:94], v[109:110], v[97:98], v[93:94]
	s_waitcnt vmcnt(3)
	v_fma_f64 v[93:94], v[105:106], v[99:100], v[93:94]
	s_waitcnt vmcnt(2) lgkmcnt(0)
	v_fma_f64 v[93:94], v[107:108], v[95:96], v[93:94]
	s_waitcnt vmcnt(0)
	v_add_f64 v[93:94], v[111:112], -v[93:94]
	buffer_store_dword v94, off, s[0:3], 0 offset:28
	buffer_store_dword v93, off, s[0:3], 0 offset:24
	v_cmpx_lt_u32_e32 2, v0
	s_cbranch_execz .LBB108_275
; %bb.274:
	s_clause 0x1
	buffer_load_dword v93, off, s[0:3], 0 offset:16
	buffer_load_dword v94, off, s[0:3], 0 offset:20
	buffer_store_dword v92, off, s[0:3], 0 offset:16
	buffer_store_dword v92, off, s[0:3], 0 offset:20
	s_waitcnt vmcnt(0)
	ds_write_b64 v91, v[93:94]
.LBB108_275:
	s_or_b32 exec_lo, exec_lo, s4
	s_waitcnt lgkmcnt(0)
	s_waitcnt_vscnt null, 0x0
	s_barrier
	buffer_gl0_inv
	s_clause 0x1c
	buffer_load_dword v101, off, s[0:3], 0 offset:24
	buffer_load_dword v102, off, s[0:3], 0 offset:28
	;; [unrolled: 1-line block ×29, first 2 shown]
	ds_read2_b64 v[93:96], v92 offset0:49 offset1:50
	ds_read2_b64 v[97:100], v92 offset0:51 offset1:52
	buffer_load_dword v126, off, s[0:3], 0 offset:140
	s_mov_b32 s4, exec_lo
	s_waitcnt vmcnt(28) lgkmcnt(1)
	v_fma_f64 v[93:94], v[101:102], v[93:94], 0
	s_clause 0x7
	buffer_load_dword v102, off, s[0:3], 0 offset:148
	buffer_load_dword v131, off, s[0:3], 0 offset:168
	buffer_load_dword v133, off, s[0:3], 0 offset:160
	buffer_load_dword v135, off, s[0:3], 0 offset:152
	buffer_load_dword v101, off, s[0:3], 0 offset:144
	buffer_load_dword v136, off, s[0:3], 0 offset:156
	buffer_load_dword v134, off, s[0:3], 0 offset:164
	buffer_load_dword v132, off, s[0:3], 0 offset:172
	s_waitcnt vmcnt(34)
	v_fma_f64 v[93:94], v[103:104], v[95:96], v[93:94]
	s_waitcnt vmcnt(32) lgkmcnt(0)
	v_fma_f64 v[93:94], v[105:106], v[97:98], v[93:94]
	s_waitcnt vmcnt(30)
	v_fma_f64 v[103:104], v[107:108], v[99:100], v[93:94]
	ds_read2_b64 v[93:96], v92 offset0:53 offset1:54
	ds_read2_b64 v[97:100], v92 offset0:55 offset1:56
	s_waitcnt vmcnt(28) lgkmcnt(1)
	v_fma_f64 v[93:94], v[109:110], v[93:94], v[103:104]
	s_clause 0x7
	buffer_load_dword v104, off, s[0:3], 0 offset:180
	buffer_load_dword v105, off, s[0:3], 0 offset:200
	buffer_load_dword v107, off, s[0:3], 0 offset:192
	buffer_load_dword v109, off, s[0:3], 0 offset:184
	buffer_load_dword v103, off, s[0:3], 0 offset:176
	buffer_load_dword v110, off, s[0:3], 0 offset:188
	buffer_load_dword v108, off, s[0:3], 0 offset:196
	buffer_load_dword v106, off, s[0:3], 0 offset:204
	s_waitcnt vmcnt(34)
	v_fma_f64 v[93:94], v[111:112], v[95:96], v[93:94]
	s_waitcnt vmcnt(32) lgkmcnt(0)
	v_fma_f64 v[93:94], v[113:114], v[97:98], v[93:94]
	s_waitcnt vmcnt(27)
	v_fma_f64 v[111:112], v[115:116], v[99:100], v[93:94]
	ds_read2_b64 v[93:96], v92 offset0:57 offset1:58
	ds_read2_b64 v[97:100], v92 offset0:59 offset1:60
	;; [unrolled: 19-line block ×6, first 2 shown]
	s_waitcnt vmcnt(26) lgkmcnt(1)
	v_fma_f64 v[93:94], v[121:122], v[93:94], v[105:106]
	s_clause 0x5
	buffer_load_dword v106, off, s[0:3], 0 offset:340
	buffer_load_dword v107, off, s[0:3], 0 offset:352
	;; [unrolled: 1-line block ×6, first 2 shown]
	s_waitcnt vmcnt(31)
	v_fma_f64 v[93:94], v[115:116], v[95:96], v[93:94]
	s_waitcnt vmcnt(30) lgkmcnt(0)
	v_fma_f64 v[93:94], v[113:114], v[97:98], v[93:94]
	s_waitcnt vmcnt(25)
	v_fma_f64 v[113:114], v[117:118], v[99:100], v[93:94]
	ds_read2_b64 v[93:96], v92 offset0:77 offset1:78
	s_clause 0x1
	buffer_load_dword v115, off, s[0:3], 0 offset:16
	buffer_load_dword v116, off, s[0:3], 0 offset:20
	ds_read2_b64 v[97:100], v92 offset0:79 offset1:80
	s_waitcnt vmcnt(26) lgkmcnt(1)
	v_fma_f64 v[93:94], v[129:130], v[93:94], v[113:114]
	s_waitcnt vmcnt(25)
	v_fma_f64 v[93:94], v[123:124], v[95:96], v[93:94]
	s_waitcnt vmcnt(24) lgkmcnt(0)
	v_fma_f64 v[93:94], v[119:120], v[97:98], v[93:94]
	s_waitcnt vmcnt(19)
	v_fma_f64 v[101:102], v[101:102], v[99:100], v[93:94]
	ds_read2_b64 v[93:96], v92 offset0:81 offset1:82
	ds_read2_b64 v[97:100], v92 offset0:83 offset1:84
	s_waitcnt vmcnt(18) lgkmcnt(1)
	v_fma_f64 v[93:94], v[135:136], v[93:94], v[101:102]
	s_waitcnt vmcnt(17)
	v_fma_f64 v[93:94], v[127:128], v[95:96], v[93:94]
	s_waitcnt vmcnt(16) lgkmcnt(0)
	v_fma_f64 v[93:94], v[125:126], v[97:98], v[93:94]
	s_waitcnt vmcnt(11)
	v_fma_f64 v[101:102], v[103:104], v[99:100], v[93:94]
	ds_read2_b64 v[93:96], v92 offset0:85 offset1:86
	;; [unrolled: 10-line block ×3, first 2 shown]
	s_waitcnt vmcnt(3) lgkmcnt(0)
	v_fma_f64 v[92:93], v[111:112], v[92:93], v[96:97]
	s_waitcnt vmcnt(2)
	v_fma_f64 v[92:93], v[107:108], v[94:95], v[92:93]
	s_waitcnt vmcnt(0)
	v_add_f64 v[92:93], v[115:116], -v[92:93]
	buffer_store_dword v93, off, s[0:3], 0 offset:20
	buffer_store_dword v92, off, s[0:3], 0 offset:16
	v_cmpx_lt_u32_e32 1, v0
	s_cbranch_execz .LBB108_277
; %bb.276:
	s_clause 0x1
	buffer_load_dword v92, off, s[0:3], 0 offset:8
	buffer_load_dword v93, off, s[0:3], 0 offset:12
	v_mov_b32_e32 v94, 0
	buffer_store_dword v94, off, s[0:3], 0 offset:8
	buffer_store_dword v94, off, s[0:3], 0 offset:12
	s_waitcnt vmcnt(0)
	ds_write_b64 v91, v[92:93]
.LBB108_277:
	s_or_b32 exec_lo, exec_lo, s4
	s_waitcnt lgkmcnt(0)
	s_waitcnt_vscnt null, 0x0
	s_barrier
	buffer_gl0_inv
	s_clause 0x1c
	buffer_load_dword v102, off, s[0:3], 0 offset:16
	buffer_load_dword v103, off, s[0:3], 0 offset:20
	;; [unrolled: 1-line block ×29, first 2 shown]
	v_mov_b32_e32 v93, 0
	buffer_load_dword v127, off, s[0:3], 0 offset:132
	s_mov_b32 s4, exec_lo
	ds_read_b128 v[94:97], v93 offset:384
	ds_read_b128 v[98:101], v93 offset:400
	s_waitcnt vmcnt(28) lgkmcnt(1)
	v_fma_f64 v[94:95], v[102:103], v[94:95], 0
	s_clause 0x7
	buffer_load_dword v103, off, s[0:3], 0 offset:140
	buffer_load_dword v132, off, s[0:3], 0 offset:160
	buffer_load_dword v134, off, s[0:3], 0 offset:152
	buffer_load_dword v136, off, s[0:3], 0 offset:144
	buffer_load_dword v102, off, s[0:3], 0 offset:136
	buffer_load_dword v137, off, s[0:3], 0 offset:148
	buffer_load_dword v135, off, s[0:3], 0 offset:156
	buffer_load_dword v133, off, s[0:3], 0 offset:164
	s_waitcnt vmcnt(34)
	v_fma_f64 v[94:95], v[104:105], v[96:97], v[94:95]
	s_waitcnt vmcnt(32) lgkmcnt(0)
	v_fma_f64 v[94:95], v[106:107], v[98:99], v[94:95]
	s_waitcnt vmcnt(30)
	v_fma_f64 v[104:105], v[108:109], v[100:101], v[94:95]
	ds_read_b128 v[94:97], v93 offset:416
	ds_read_b128 v[98:101], v93 offset:432
	s_waitcnt vmcnt(28) lgkmcnt(1)
	v_fma_f64 v[94:95], v[110:111], v[94:95], v[104:105]
	s_clause 0x7
	buffer_load_dword v105, off, s[0:3], 0 offset:172
	buffer_load_dword v106, off, s[0:3], 0 offset:192
	buffer_load_dword v108, off, s[0:3], 0 offset:184
	buffer_load_dword v110, off, s[0:3], 0 offset:176
	buffer_load_dword v104, off, s[0:3], 0 offset:168
	buffer_load_dword v111, off, s[0:3], 0 offset:180
	buffer_load_dword v109, off, s[0:3], 0 offset:188
	buffer_load_dword v107, off, s[0:3], 0 offset:196
	s_waitcnt vmcnt(34)
	v_fma_f64 v[94:95], v[112:113], v[96:97], v[94:95]
	s_waitcnt vmcnt(32) lgkmcnt(0)
	v_fma_f64 v[94:95], v[114:115], v[98:99], v[94:95]
	s_waitcnt vmcnt(27)
	v_fma_f64 v[112:113], v[116:117], v[100:101], v[94:95]
	;; [unrolled: 19-line block ×7, first 2 shown]
	ds_read_b128 v[94:97], v93 offset:608
	ds_read_b128 v[98:101], v93 offset:624
	s_waitcnt vmcnt(26) lgkmcnt(1)
	v_fma_f64 v[94:95], v[130:131], v[94:95], v[114:115]
	s_clause 0x1
	buffer_load_dword v114, off, s[0:3], 0 offset:8
	buffer_load_dword v115, off, s[0:3], 0 offset:12
	s_waitcnt vmcnt(27)
	v_fma_f64 v[94:95], v[124:125], v[96:97], v[94:95]
	s_waitcnt vmcnt(26) lgkmcnt(0)
	v_fma_f64 v[94:95], v[120:121], v[98:99], v[94:95]
	s_waitcnt vmcnt(21)
	v_fma_f64 v[102:103], v[102:103], v[100:101], v[94:95]
	ds_read_b128 v[94:97], v93 offset:640
	ds_read_b128 v[98:101], v93 offset:656
	s_waitcnt vmcnt(20) lgkmcnt(1)
	v_fma_f64 v[94:95], v[136:137], v[94:95], v[102:103]
	s_waitcnt vmcnt(19)
	v_fma_f64 v[94:95], v[128:129], v[96:97], v[94:95]
	s_waitcnt vmcnt(18) lgkmcnt(0)
	v_fma_f64 v[94:95], v[126:127], v[98:99], v[94:95]
	s_waitcnt vmcnt(13)
	v_fma_f64 v[102:103], v[104:105], v[100:101], v[94:95]
	ds_read_b128 v[94:97], v93 offset:672
	ds_read_b128 v[98:101], v93 offset:688
	s_waitcnt vmcnt(12) lgkmcnt(1)
	v_fma_f64 v[94:95], v[134:135], v[94:95], v[102:103]
	s_waitcnt vmcnt(11)
	v_fma_f64 v[94:95], v[132:133], v[96:97], v[94:95]
	s_waitcnt vmcnt(10) lgkmcnt(0)
	v_fma_f64 v[94:95], v[110:111], v[98:99], v[94:95]
	s_waitcnt vmcnt(5)
	v_fma_f64 v[98:99], v[106:107], v[100:101], v[94:95]
	ds_read_b128 v[94:97], v93 offset:704
	ds_read_b64 v[100:101], v93 offset:720
	s_waitcnt vmcnt(4) lgkmcnt(1)
	v_fma_f64 v[94:95], v[122:123], v[94:95], v[98:99]
	s_waitcnt vmcnt(3)
	v_fma_f64 v[94:95], v[112:113], v[96:97], v[94:95]
	s_waitcnt vmcnt(2) lgkmcnt(0)
	v_fma_f64 v[94:95], v[108:109], v[100:101], v[94:95]
	s_waitcnt vmcnt(0)
	v_add_f64 v[94:95], v[114:115], -v[94:95]
	buffer_store_dword v95, off, s[0:3], 0 offset:12
	buffer_store_dword v94, off, s[0:3], 0 offset:8
	v_cmpx_ne_u32_e32 0, v0
	s_cbranch_execz .LBB108_279
; %bb.278:
	s_clause 0x1
	buffer_load_dword v94, off, s[0:3], 0
	buffer_load_dword v95, off, s[0:3], 0 offset:4
	buffer_store_dword v93, off, s[0:3], 0
	buffer_store_dword v93, off, s[0:3], 0 offset:4
	s_waitcnt vmcnt(0)
	ds_write_b64 v91, v[94:95]
.LBB108_279:
	s_or_b32 exec_lo, exec_lo, s4
	s_waitcnt lgkmcnt(0)
	s_waitcnt_vscnt null, 0x0
	s_barrier
	buffer_gl0_inv
	s_clause 0x1c
	buffer_load_dword v91, off, s[0:3], 0 offset:8
	buffer_load_dword v92, off, s[0:3], 0 offset:12
	;; [unrolled: 1-line block ×29, first 2 shown]
	ds_read2_b64 v[94:97], v93 offset0:47 offset1:48
	ds_read2_b64 v[98:101], v93 offset0:49 offset1:50
	s_clause 0x8
	buffer_load_dword v125, off, s[0:3], 0 offset:124
	buffer_load_dword v131, off, s[0:3], 0 offset:132
	;; [unrolled: 1-line block ×9, first 2 shown]
	s_and_b32 vcc_lo, exec_lo, s16
	s_waitcnt vmcnt(36) lgkmcnt(1)
	v_fma_f64 v[91:92], v[91:92], v[94:95], 0
	s_waitcnt vmcnt(34)
	v_fma_f64 v[91:92], v[102:103], v[96:97], v[91:92]
	ds_read2_b64 v[94:97], v93 offset0:51 offset1:52
	s_waitcnt vmcnt(32) lgkmcnt(1)
	v_fma_f64 v[91:92], v[104:105], v[98:99], v[91:92]
	s_waitcnt vmcnt(30)
	v_fma_f64 v[91:92], v[106:107], v[100:101], v[91:92]
	ds_read2_b64 v[98:101], v93 offset0:53 offset1:54
	s_waitcnt vmcnt(28) lgkmcnt(1)
	v_fma_f64 v[91:92], v[108:109], v[94:95], v[91:92]
	s_clause 0x7
	buffer_load_dword v103, off, s[0:3], 0 offset:164
	buffer_load_dword v104, off, s[0:3], 0 offset:184
	buffer_load_dword v106, off, s[0:3], 0 offset:176
	buffer_load_dword v108, off, s[0:3], 0 offset:168
	buffer_load_dword v102, off, s[0:3], 0 offset:160
	buffer_load_dword v109, off, s[0:3], 0 offset:172
	buffer_load_dword v107, off, s[0:3], 0 offset:180
	buffer_load_dword v105, off, s[0:3], 0 offset:188
	s_waitcnt vmcnt(34)
	v_fma_f64 v[91:92], v[110:111], v[96:97], v[91:92]
	ds_read2_b64 v[94:97], v93 offset0:55 offset1:56
	s_waitcnt vmcnt(32) lgkmcnt(1)
	v_fma_f64 v[91:92], v[112:113], v[98:99], v[91:92]
	s_waitcnt vmcnt(27)
	v_fma_f64 v[91:92], v[114:115], v[100:101], v[91:92]
	ds_read2_b64 v[98:101], v93 offset0:57 offset1:58
	s_waitcnt vmcnt(26) lgkmcnt(1)
	v_fma_f64 v[91:92], v[120:121], v[94:95], v[91:92]
	s_clause 0x7
	buffer_load_dword v111, off, s[0:3], 0 offset:196
	buffer_load_dword v112, off, s[0:3], 0 offset:216
	buffer_load_dword v114, off, s[0:3], 0 offset:208
	buffer_load_dword v120, off, s[0:3], 0 offset:200
	buffer_load_dword v110, off, s[0:3], 0 offset:192
	buffer_load_dword v121, off, s[0:3], 0 offset:204
	buffer_load_dword v115, off, s[0:3], 0 offset:212
	buffer_load_dword v113, off, s[0:3], 0 offset:220
	;; [unrolled: 19-line block ×6, first 2 shown]
	s_waitcnt vmcnt(33)
	v_fma_f64 v[94:95], v[114:115], v[96:97], v[94:95]
	s_waitcnt vmcnt(32) lgkmcnt(0)
	v_fma_f64 v[94:95], v[112:113], v[98:99], v[94:95]
	s_waitcnt vmcnt(27)
	v_fma_f64 v[112:113], v[116:117], v[100:101], v[94:95]
	ds_read2_b64 v[94:97], v93 offset0:75 offset1:76
	ds_read2_b64 v[98:101], v93 offset0:77 offset1:78
	s_waitcnt vmcnt(26) lgkmcnt(1)
	v_fma_f64 v[94:95], v[128:129], v[94:95], v[112:113]
	s_clause 0x3
	buffer_load_dword v113, off, s[0:3], 0 offset:356
	buffer_load_dword v112, off, s[0:3], 0 offset:352
	buffer_load_dword v114, off, s[0:3], 0
	buffer_load_dword v115, off, s[0:3], 0 offset:4
	s_waitcnt vmcnt(29)
	v_fma_f64 v[94:95], v[122:123], v[96:97], v[94:95]
	s_waitcnt vmcnt(28) lgkmcnt(0)
	v_fma_f64 v[94:95], v[118:119], v[98:99], v[94:95]
	s_waitcnt vmcnt(23)
	v_fma_f64 v[116:117], v[124:125], v[100:101], v[94:95]
	ds_read2_b64 v[94:97], v93 offset0:79 offset1:80
	ds_read2_b64 v[98:101], v93 offset0:81 offset1:82
	s_waitcnt vmcnt(22) lgkmcnt(1)
	v_fma_f64 v[94:95], v[136:137], v[94:95], v[116:117]
	s_waitcnt vmcnt(21)
	v_fma_f64 v[94:95], v[130:131], v[96:97], v[94:95]
	s_waitcnt vmcnt(20) lgkmcnt(0)
	v_fma_f64 v[94:95], v[126:127], v[98:99], v[94:95]
	s_waitcnt vmcnt(15)
	v_fma_f64 v[102:103], v[102:103], v[100:101], v[94:95]
	ds_read2_b64 v[94:97], v93 offset0:83 offset1:84
	ds_read2_b64 v[98:101], v93 offset0:85 offset1:86
	s_waitcnt vmcnt(14) lgkmcnt(1)
	v_fma_f64 v[94:95], v[134:135], v[94:95], v[102:103]
	;; [unrolled: 10-line block ×3, first 2 shown]
	s_waitcnt vmcnt(5)
	v_fma_f64 v[93:94], v[106:107], v[96:97], v[93:94]
	s_waitcnt vmcnt(4) lgkmcnt(0)
	v_fma_f64 v[93:94], v[91:92], v[98:99], v[93:94]
	s_waitcnt vmcnt(2)
	v_fma_f64 v[93:94], v[112:113], v[100:101], v[93:94]
	s_waitcnt vmcnt(0)
	v_add_f64 v[93:94], v[114:115], -v[93:94]
	buffer_store_dword v94, off, s[0:3], 0 offset:4
	buffer_store_dword v93, off, s[0:3], 0
	s_cbranch_vccz .LBB108_368
; %bb.280:
	v_mov_b32_e32 v0, 0
	global_load_dword v93, v0, s[12:13] offset:172
	s_waitcnt vmcnt(0)
	v_add_nc_u32_e32 v93, -1, v93
	v_cmp_ne_u32_e32 vcc_lo, 43, v93
	s_cbranch_vccz .LBB108_282
; %bb.281:
	v_lshlrev_b32_e32 v93, 3, v93
	s_clause 0x1
	buffer_load_dword v94, v93, s[0:3], 0 offen
	buffer_load_dword v95, v93, s[0:3], 0 offen offset:4
	s_waitcnt vmcnt(1)
	buffer_store_dword v94, off, s[0:3], 0 offset:344
	s_waitcnt vmcnt(0)
	buffer_store_dword v95, off, s[0:3], 0 offset:348
	buffer_store_dword v91, v93, s[0:3], 0 offen
	buffer_store_dword v92, v93, s[0:3], 0 offen offset:4
.LBB108_282:
	global_load_dword v0, v0, s[12:13] offset:168
	s_waitcnt vmcnt(0)
	v_add_nc_u32_e32 v0, -1, v0
	v_cmp_eq_u32_e32 vcc_lo, 42, v0
	s_cbranch_vccnz .LBB108_284
; %bb.283:
	v_lshlrev_b32_e32 v0, 3, v0
	s_clause 0x3
	buffer_load_dword v91, v0, s[0:3], 0 offen
	buffer_load_dword v92, v0, s[0:3], 0 offen offset:4
	buffer_load_dword v93, off, s[0:3], 0 offset:340
	buffer_load_dword v94, off, s[0:3], 0 offset:336
	s_waitcnt vmcnt(3)
	buffer_store_dword v91, off, s[0:3], 0 offset:336
	s_waitcnt vmcnt(2)
	buffer_store_dword v92, off, s[0:3], 0 offset:340
	s_waitcnt vmcnt(1)
	buffer_store_dword v93, v0, s[0:3], 0 offen offset:4
	s_waitcnt vmcnt(0)
	buffer_store_dword v94, v0, s[0:3], 0 offen
.LBB108_284:
	v_mov_b32_e32 v0, 0
	global_load_dword v91, v0, s[12:13] offset:164
	s_waitcnt vmcnt(0)
	v_add_nc_u32_e32 v91, -1, v91
	v_cmp_eq_u32_e32 vcc_lo, 41, v91
	s_cbranch_vccnz .LBB108_286
; %bb.285:
	v_lshlrev_b32_e32 v91, 3, v91
	s_clause 0x3
	buffer_load_dword v92, v91, s[0:3], 0 offen
	buffer_load_dword v93, v91, s[0:3], 0 offen offset:4
	buffer_load_dword v94, off, s[0:3], 0 offset:328
	buffer_load_dword v95, off, s[0:3], 0 offset:332
	s_waitcnt vmcnt(3)
	buffer_store_dword v92, off, s[0:3], 0 offset:328
	s_waitcnt vmcnt(2)
	buffer_store_dword v93, off, s[0:3], 0 offset:332
	s_waitcnt vmcnt(1)
	buffer_store_dword v94, v91, s[0:3], 0 offen
	s_waitcnt vmcnt(0)
	buffer_store_dword v95, v91, s[0:3], 0 offen offset:4
.LBB108_286:
	global_load_dword v0, v0, s[12:13] offset:160
	s_waitcnt vmcnt(0)
	v_add_nc_u32_e32 v0, -1, v0
	v_cmp_eq_u32_e32 vcc_lo, 40, v0
	s_cbranch_vccnz .LBB108_288
; %bb.287:
	v_lshlrev_b32_e32 v0, 3, v0
	s_clause 0x3
	buffer_load_dword v91, v0, s[0:3], 0 offen
	buffer_load_dword v92, v0, s[0:3], 0 offen offset:4
	buffer_load_dword v93, off, s[0:3], 0 offset:324
	buffer_load_dword v94, off, s[0:3], 0 offset:320
	s_waitcnt vmcnt(3)
	buffer_store_dword v91, off, s[0:3], 0 offset:320
	s_waitcnt vmcnt(2)
	buffer_store_dword v92, off, s[0:3], 0 offset:324
	s_waitcnt vmcnt(1)
	buffer_store_dword v93, v0, s[0:3], 0 offen offset:4
	s_waitcnt vmcnt(0)
	buffer_store_dword v94, v0, s[0:3], 0 offen
.LBB108_288:
	v_mov_b32_e32 v0, 0
	global_load_dword v91, v0, s[12:13] offset:156
	s_waitcnt vmcnt(0)
	v_add_nc_u32_e32 v91, -1, v91
	v_cmp_eq_u32_e32 vcc_lo, 39, v91
	s_cbranch_vccnz .LBB108_290
; %bb.289:
	v_lshlrev_b32_e32 v91, 3, v91
	s_clause 0x3
	buffer_load_dword v92, v91, s[0:3], 0 offen
	buffer_load_dword v93, v91, s[0:3], 0 offen offset:4
	buffer_load_dword v94, off, s[0:3], 0 offset:312
	buffer_load_dword v95, off, s[0:3], 0 offset:316
	s_waitcnt vmcnt(3)
	buffer_store_dword v92, off, s[0:3], 0 offset:312
	s_waitcnt vmcnt(2)
	buffer_store_dword v93, off, s[0:3], 0 offset:316
	s_waitcnt vmcnt(1)
	buffer_store_dword v94, v91, s[0:3], 0 offen
	s_waitcnt vmcnt(0)
	buffer_store_dword v95, v91, s[0:3], 0 offen offset:4
.LBB108_290:
	global_load_dword v0, v0, s[12:13] offset:152
	s_waitcnt vmcnt(0)
	v_add_nc_u32_e32 v0, -1, v0
	v_cmp_eq_u32_e32 vcc_lo, 38, v0
	s_cbranch_vccnz .LBB108_292
; %bb.291:
	v_lshlrev_b32_e32 v0, 3, v0
	s_clause 0x3
	buffer_load_dword v91, v0, s[0:3], 0 offen
	buffer_load_dword v92, v0, s[0:3], 0 offen offset:4
	buffer_load_dword v93, off, s[0:3], 0 offset:308
	buffer_load_dword v94, off, s[0:3], 0 offset:304
	s_waitcnt vmcnt(3)
	buffer_store_dword v91, off, s[0:3], 0 offset:304
	s_waitcnt vmcnt(2)
	buffer_store_dword v92, off, s[0:3], 0 offset:308
	s_waitcnt vmcnt(1)
	buffer_store_dword v93, v0, s[0:3], 0 offen offset:4
	s_waitcnt vmcnt(0)
	buffer_store_dword v94, v0, s[0:3], 0 offen
.LBB108_292:
	v_mov_b32_e32 v0, 0
	global_load_dword v91, v0, s[12:13] offset:148
	s_waitcnt vmcnt(0)
	v_add_nc_u32_e32 v91, -1, v91
	v_cmp_eq_u32_e32 vcc_lo, 37, v91
	s_cbranch_vccnz .LBB108_294
; %bb.293:
	v_lshlrev_b32_e32 v91, 3, v91
	s_clause 0x3
	buffer_load_dword v92, v91, s[0:3], 0 offen
	buffer_load_dword v93, v91, s[0:3], 0 offen offset:4
	buffer_load_dword v94, off, s[0:3], 0 offset:296
	buffer_load_dword v95, off, s[0:3], 0 offset:300
	s_waitcnt vmcnt(3)
	buffer_store_dword v92, off, s[0:3], 0 offset:296
	s_waitcnt vmcnt(2)
	buffer_store_dword v93, off, s[0:3], 0 offset:300
	s_waitcnt vmcnt(1)
	buffer_store_dword v94, v91, s[0:3], 0 offen
	s_waitcnt vmcnt(0)
	buffer_store_dword v95, v91, s[0:3], 0 offen offset:4
.LBB108_294:
	global_load_dword v0, v0, s[12:13] offset:144
	s_waitcnt vmcnt(0)
	v_add_nc_u32_e32 v0, -1, v0
	v_cmp_eq_u32_e32 vcc_lo, 36, v0
	s_cbranch_vccnz .LBB108_296
; %bb.295:
	v_lshlrev_b32_e32 v0, 3, v0
	s_clause 0x3
	buffer_load_dword v91, v0, s[0:3], 0 offen
	buffer_load_dword v92, v0, s[0:3], 0 offen offset:4
	buffer_load_dword v93, off, s[0:3], 0 offset:292
	buffer_load_dword v94, off, s[0:3], 0 offset:288
	s_waitcnt vmcnt(3)
	buffer_store_dword v91, off, s[0:3], 0 offset:288
	s_waitcnt vmcnt(2)
	buffer_store_dword v92, off, s[0:3], 0 offset:292
	s_waitcnt vmcnt(1)
	buffer_store_dword v93, v0, s[0:3], 0 offen offset:4
	s_waitcnt vmcnt(0)
	buffer_store_dword v94, v0, s[0:3], 0 offen
.LBB108_296:
	v_mov_b32_e32 v0, 0
	global_load_dword v91, v0, s[12:13] offset:140
	s_waitcnt vmcnt(0)
	v_add_nc_u32_e32 v91, -1, v91
	v_cmp_eq_u32_e32 vcc_lo, 35, v91
	s_cbranch_vccnz .LBB108_298
; %bb.297:
	v_lshlrev_b32_e32 v91, 3, v91
	s_clause 0x3
	buffer_load_dword v92, v91, s[0:3], 0 offen
	buffer_load_dword v93, v91, s[0:3], 0 offen offset:4
	buffer_load_dword v94, off, s[0:3], 0 offset:280
	buffer_load_dword v95, off, s[0:3], 0 offset:284
	s_waitcnt vmcnt(3)
	buffer_store_dword v92, off, s[0:3], 0 offset:280
	s_waitcnt vmcnt(2)
	buffer_store_dword v93, off, s[0:3], 0 offset:284
	s_waitcnt vmcnt(1)
	buffer_store_dword v94, v91, s[0:3], 0 offen
	s_waitcnt vmcnt(0)
	buffer_store_dword v95, v91, s[0:3], 0 offen offset:4
.LBB108_298:
	global_load_dword v0, v0, s[12:13] offset:136
	s_waitcnt vmcnt(0)
	v_add_nc_u32_e32 v0, -1, v0
	v_cmp_eq_u32_e32 vcc_lo, 34, v0
	s_cbranch_vccnz .LBB108_300
; %bb.299:
	v_lshlrev_b32_e32 v0, 3, v0
	s_clause 0x3
	buffer_load_dword v91, v0, s[0:3], 0 offen
	buffer_load_dword v92, v0, s[0:3], 0 offen offset:4
	buffer_load_dword v93, off, s[0:3], 0 offset:276
	buffer_load_dword v94, off, s[0:3], 0 offset:272
	s_waitcnt vmcnt(3)
	buffer_store_dword v91, off, s[0:3], 0 offset:272
	s_waitcnt vmcnt(2)
	buffer_store_dword v92, off, s[0:3], 0 offset:276
	s_waitcnt vmcnt(1)
	buffer_store_dword v93, v0, s[0:3], 0 offen offset:4
	s_waitcnt vmcnt(0)
	buffer_store_dword v94, v0, s[0:3], 0 offen
.LBB108_300:
	v_mov_b32_e32 v0, 0
	global_load_dword v91, v0, s[12:13] offset:132
	s_waitcnt vmcnt(0)
	v_add_nc_u32_e32 v91, -1, v91
	v_cmp_eq_u32_e32 vcc_lo, 33, v91
	s_cbranch_vccnz .LBB108_302
; %bb.301:
	v_lshlrev_b32_e32 v91, 3, v91
	s_clause 0x3
	buffer_load_dword v92, v91, s[0:3], 0 offen
	buffer_load_dword v93, v91, s[0:3], 0 offen offset:4
	buffer_load_dword v94, off, s[0:3], 0 offset:264
	buffer_load_dword v95, off, s[0:3], 0 offset:268
	s_waitcnt vmcnt(3)
	buffer_store_dword v92, off, s[0:3], 0 offset:264
	s_waitcnt vmcnt(2)
	buffer_store_dword v93, off, s[0:3], 0 offset:268
	s_waitcnt vmcnt(1)
	buffer_store_dword v94, v91, s[0:3], 0 offen
	s_waitcnt vmcnt(0)
	buffer_store_dword v95, v91, s[0:3], 0 offen offset:4
.LBB108_302:
	global_load_dword v0, v0, s[12:13] offset:128
	s_waitcnt vmcnt(0)
	v_add_nc_u32_e32 v0, -1, v0
	v_cmp_eq_u32_e32 vcc_lo, 32, v0
	s_cbranch_vccnz .LBB108_304
; %bb.303:
	v_lshlrev_b32_e32 v0, 3, v0
	s_clause 0x3
	buffer_load_dword v91, v0, s[0:3], 0 offen
	buffer_load_dword v92, v0, s[0:3], 0 offen offset:4
	buffer_load_dword v93, off, s[0:3], 0 offset:260
	buffer_load_dword v94, off, s[0:3], 0 offset:256
	s_waitcnt vmcnt(3)
	buffer_store_dword v91, off, s[0:3], 0 offset:256
	s_waitcnt vmcnt(2)
	buffer_store_dword v92, off, s[0:3], 0 offset:260
	s_waitcnt vmcnt(1)
	buffer_store_dword v93, v0, s[0:3], 0 offen offset:4
	s_waitcnt vmcnt(0)
	buffer_store_dword v94, v0, s[0:3], 0 offen
.LBB108_304:
	v_mov_b32_e32 v0, 0
	global_load_dword v91, v0, s[12:13] offset:124
	s_waitcnt vmcnt(0)
	v_add_nc_u32_e32 v91, -1, v91
	v_cmp_eq_u32_e32 vcc_lo, 31, v91
	s_cbranch_vccnz .LBB108_306
; %bb.305:
	v_lshlrev_b32_e32 v91, 3, v91
	s_clause 0x3
	buffer_load_dword v92, v91, s[0:3], 0 offen
	buffer_load_dword v93, v91, s[0:3], 0 offen offset:4
	buffer_load_dword v94, off, s[0:3], 0 offset:248
	buffer_load_dword v95, off, s[0:3], 0 offset:252
	s_waitcnt vmcnt(3)
	buffer_store_dword v92, off, s[0:3], 0 offset:248
	s_waitcnt vmcnt(2)
	buffer_store_dword v93, off, s[0:3], 0 offset:252
	s_waitcnt vmcnt(1)
	buffer_store_dword v94, v91, s[0:3], 0 offen
	s_waitcnt vmcnt(0)
	buffer_store_dword v95, v91, s[0:3], 0 offen offset:4
.LBB108_306:
	global_load_dword v0, v0, s[12:13] offset:120
	s_waitcnt vmcnt(0)
	v_add_nc_u32_e32 v0, -1, v0
	v_cmp_eq_u32_e32 vcc_lo, 30, v0
	s_cbranch_vccnz .LBB108_308
; %bb.307:
	v_lshlrev_b32_e32 v0, 3, v0
	s_clause 0x3
	buffer_load_dword v91, v0, s[0:3], 0 offen
	buffer_load_dword v92, v0, s[0:3], 0 offen offset:4
	buffer_load_dword v93, off, s[0:3], 0 offset:244
	buffer_load_dword v94, off, s[0:3], 0 offset:240
	s_waitcnt vmcnt(3)
	buffer_store_dword v91, off, s[0:3], 0 offset:240
	s_waitcnt vmcnt(2)
	buffer_store_dword v92, off, s[0:3], 0 offset:244
	s_waitcnt vmcnt(1)
	buffer_store_dword v93, v0, s[0:3], 0 offen offset:4
	s_waitcnt vmcnt(0)
	buffer_store_dword v94, v0, s[0:3], 0 offen
.LBB108_308:
	v_mov_b32_e32 v0, 0
	global_load_dword v91, v0, s[12:13] offset:116
	s_waitcnt vmcnt(0)
	v_add_nc_u32_e32 v91, -1, v91
	v_cmp_eq_u32_e32 vcc_lo, 29, v91
	s_cbranch_vccnz .LBB108_310
; %bb.309:
	v_lshlrev_b32_e32 v91, 3, v91
	s_clause 0x3
	buffer_load_dword v92, v91, s[0:3], 0 offen
	buffer_load_dword v93, v91, s[0:3], 0 offen offset:4
	buffer_load_dword v94, off, s[0:3], 0 offset:232
	buffer_load_dword v95, off, s[0:3], 0 offset:236
	s_waitcnt vmcnt(3)
	buffer_store_dword v92, off, s[0:3], 0 offset:232
	s_waitcnt vmcnt(2)
	buffer_store_dword v93, off, s[0:3], 0 offset:236
	s_waitcnt vmcnt(1)
	buffer_store_dword v94, v91, s[0:3], 0 offen
	s_waitcnt vmcnt(0)
	buffer_store_dword v95, v91, s[0:3], 0 offen offset:4
.LBB108_310:
	global_load_dword v0, v0, s[12:13] offset:112
	s_waitcnt vmcnt(0)
	v_add_nc_u32_e32 v0, -1, v0
	v_cmp_eq_u32_e32 vcc_lo, 28, v0
	s_cbranch_vccnz .LBB108_312
; %bb.311:
	v_lshlrev_b32_e32 v0, 3, v0
	s_clause 0x3
	buffer_load_dword v91, v0, s[0:3], 0 offen
	buffer_load_dword v92, v0, s[0:3], 0 offen offset:4
	buffer_load_dword v93, off, s[0:3], 0 offset:228
	buffer_load_dword v94, off, s[0:3], 0 offset:224
	s_waitcnt vmcnt(3)
	buffer_store_dword v91, off, s[0:3], 0 offset:224
	s_waitcnt vmcnt(2)
	buffer_store_dword v92, off, s[0:3], 0 offset:228
	s_waitcnt vmcnt(1)
	buffer_store_dword v93, v0, s[0:3], 0 offen offset:4
	s_waitcnt vmcnt(0)
	buffer_store_dword v94, v0, s[0:3], 0 offen
.LBB108_312:
	v_mov_b32_e32 v0, 0
	global_load_dword v91, v0, s[12:13] offset:108
	s_waitcnt vmcnt(0)
	v_add_nc_u32_e32 v91, -1, v91
	v_cmp_eq_u32_e32 vcc_lo, 27, v91
	s_cbranch_vccnz .LBB108_314
; %bb.313:
	v_lshlrev_b32_e32 v91, 3, v91
	s_clause 0x3
	buffer_load_dword v92, v91, s[0:3], 0 offen
	buffer_load_dword v93, v91, s[0:3], 0 offen offset:4
	buffer_load_dword v94, off, s[0:3], 0 offset:216
	buffer_load_dword v95, off, s[0:3], 0 offset:220
	s_waitcnt vmcnt(3)
	buffer_store_dword v92, off, s[0:3], 0 offset:216
	s_waitcnt vmcnt(2)
	buffer_store_dword v93, off, s[0:3], 0 offset:220
	s_waitcnt vmcnt(1)
	buffer_store_dword v94, v91, s[0:3], 0 offen
	s_waitcnt vmcnt(0)
	buffer_store_dword v95, v91, s[0:3], 0 offen offset:4
.LBB108_314:
	global_load_dword v0, v0, s[12:13] offset:104
	s_waitcnt vmcnt(0)
	v_add_nc_u32_e32 v0, -1, v0
	v_cmp_eq_u32_e32 vcc_lo, 26, v0
	s_cbranch_vccnz .LBB108_316
; %bb.315:
	v_lshlrev_b32_e32 v0, 3, v0
	s_clause 0x3
	buffer_load_dword v91, v0, s[0:3], 0 offen
	buffer_load_dword v92, v0, s[0:3], 0 offen offset:4
	buffer_load_dword v93, off, s[0:3], 0 offset:212
	buffer_load_dword v94, off, s[0:3], 0 offset:208
	s_waitcnt vmcnt(3)
	buffer_store_dword v91, off, s[0:3], 0 offset:208
	s_waitcnt vmcnt(2)
	buffer_store_dword v92, off, s[0:3], 0 offset:212
	s_waitcnt vmcnt(1)
	buffer_store_dword v93, v0, s[0:3], 0 offen offset:4
	s_waitcnt vmcnt(0)
	buffer_store_dword v94, v0, s[0:3], 0 offen
.LBB108_316:
	v_mov_b32_e32 v0, 0
	global_load_dword v91, v0, s[12:13] offset:100
	s_waitcnt vmcnt(0)
	v_add_nc_u32_e32 v91, -1, v91
	v_cmp_eq_u32_e32 vcc_lo, 25, v91
	s_cbranch_vccnz .LBB108_318
; %bb.317:
	v_lshlrev_b32_e32 v91, 3, v91
	s_clause 0x3
	buffer_load_dword v92, v91, s[0:3], 0 offen
	buffer_load_dword v93, v91, s[0:3], 0 offen offset:4
	buffer_load_dword v94, off, s[0:3], 0 offset:200
	buffer_load_dword v95, off, s[0:3], 0 offset:204
	s_waitcnt vmcnt(3)
	buffer_store_dword v92, off, s[0:3], 0 offset:200
	s_waitcnt vmcnt(2)
	buffer_store_dword v93, off, s[0:3], 0 offset:204
	s_waitcnt vmcnt(1)
	buffer_store_dword v94, v91, s[0:3], 0 offen
	s_waitcnt vmcnt(0)
	buffer_store_dword v95, v91, s[0:3], 0 offen offset:4
.LBB108_318:
	global_load_dword v0, v0, s[12:13] offset:96
	s_waitcnt vmcnt(0)
	v_add_nc_u32_e32 v0, -1, v0
	v_cmp_eq_u32_e32 vcc_lo, 24, v0
	s_cbranch_vccnz .LBB108_320
; %bb.319:
	v_lshlrev_b32_e32 v0, 3, v0
	s_clause 0x3
	buffer_load_dword v91, v0, s[0:3], 0 offen
	buffer_load_dword v92, v0, s[0:3], 0 offen offset:4
	buffer_load_dword v93, off, s[0:3], 0 offset:196
	buffer_load_dword v94, off, s[0:3], 0 offset:192
	s_waitcnt vmcnt(3)
	buffer_store_dword v91, off, s[0:3], 0 offset:192
	s_waitcnt vmcnt(2)
	buffer_store_dword v92, off, s[0:3], 0 offset:196
	s_waitcnt vmcnt(1)
	buffer_store_dword v93, v0, s[0:3], 0 offen offset:4
	s_waitcnt vmcnt(0)
	buffer_store_dword v94, v0, s[0:3], 0 offen
.LBB108_320:
	v_mov_b32_e32 v0, 0
	global_load_dword v91, v0, s[12:13] offset:92
	s_waitcnt vmcnt(0)
	v_add_nc_u32_e32 v91, -1, v91
	v_cmp_eq_u32_e32 vcc_lo, 23, v91
	s_cbranch_vccnz .LBB108_322
; %bb.321:
	v_lshlrev_b32_e32 v91, 3, v91
	s_clause 0x3
	buffer_load_dword v92, v91, s[0:3], 0 offen
	buffer_load_dword v93, v91, s[0:3], 0 offen offset:4
	buffer_load_dword v94, off, s[0:3], 0 offset:184
	buffer_load_dword v95, off, s[0:3], 0 offset:188
	s_waitcnt vmcnt(3)
	buffer_store_dword v92, off, s[0:3], 0 offset:184
	s_waitcnt vmcnt(2)
	buffer_store_dword v93, off, s[0:3], 0 offset:188
	s_waitcnt vmcnt(1)
	buffer_store_dword v94, v91, s[0:3], 0 offen
	s_waitcnt vmcnt(0)
	buffer_store_dword v95, v91, s[0:3], 0 offen offset:4
.LBB108_322:
	global_load_dword v0, v0, s[12:13] offset:88
	s_waitcnt vmcnt(0)
	v_add_nc_u32_e32 v0, -1, v0
	v_cmp_eq_u32_e32 vcc_lo, 22, v0
	s_cbranch_vccnz .LBB108_324
; %bb.323:
	v_lshlrev_b32_e32 v0, 3, v0
	s_clause 0x3
	buffer_load_dword v91, v0, s[0:3], 0 offen
	buffer_load_dword v92, v0, s[0:3], 0 offen offset:4
	buffer_load_dword v93, off, s[0:3], 0 offset:180
	buffer_load_dword v94, off, s[0:3], 0 offset:176
	s_waitcnt vmcnt(3)
	buffer_store_dword v91, off, s[0:3], 0 offset:176
	s_waitcnt vmcnt(2)
	buffer_store_dword v92, off, s[0:3], 0 offset:180
	s_waitcnt vmcnt(1)
	buffer_store_dword v93, v0, s[0:3], 0 offen offset:4
	s_waitcnt vmcnt(0)
	buffer_store_dword v94, v0, s[0:3], 0 offen
.LBB108_324:
	v_mov_b32_e32 v0, 0
	global_load_dword v91, v0, s[12:13] offset:84
	s_waitcnt vmcnt(0)
	v_add_nc_u32_e32 v91, -1, v91
	v_cmp_eq_u32_e32 vcc_lo, 21, v91
	s_cbranch_vccnz .LBB108_326
; %bb.325:
	v_lshlrev_b32_e32 v91, 3, v91
	s_clause 0x3
	buffer_load_dword v92, v91, s[0:3], 0 offen
	buffer_load_dword v93, v91, s[0:3], 0 offen offset:4
	buffer_load_dword v94, off, s[0:3], 0 offset:168
	buffer_load_dword v95, off, s[0:3], 0 offset:172
	s_waitcnt vmcnt(3)
	buffer_store_dword v92, off, s[0:3], 0 offset:168
	s_waitcnt vmcnt(2)
	buffer_store_dword v93, off, s[0:3], 0 offset:172
	s_waitcnt vmcnt(1)
	buffer_store_dword v94, v91, s[0:3], 0 offen
	s_waitcnt vmcnt(0)
	buffer_store_dword v95, v91, s[0:3], 0 offen offset:4
.LBB108_326:
	global_load_dword v0, v0, s[12:13] offset:80
	s_waitcnt vmcnt(0)
	v_add_nc_u32_e32 v0, -1, v0
	v_cmp_eq_u32_e32 vcc_lo, 20, v0
	s_cbranch_vccnz .LBB108_328
; %bb.327:
	v_lshlrev_b32_e32 v0, 3, v0
	s_clause 0x3
	buffer_load_dword v91, v0, s[0:3], 0 offen
	buffer_load_dword v92, v0, s[0:3], 0 offen offset:4
	buffer_load_dword v93, off, s[0:3], 0 offset:164
	buffer_load_dword v94, off, s[0:3], 0 offset:160
	s_waitcnt vmcnt(3)
	buffer_store_dword v91, off, s[0:3], 0 offset:160
	s_waitcnt vmcnt(2)
	buffer_store_dword v92, off, s[0:3], 0 offset:164
	s_waitcnt vmcnt(1)
	buffer_store_dword v93, v0, s[0:3], 0 offen offset:4
	s_waitcnt vmcnt(0)
	buffer_store_dword v94, v0, s[0:3], 0 offen
.LBB108_328:
	v_mov_b32_e32 v0, 0
	global_load_dword v91, v0, s[12:13] offset:76
	s_waitcnt vmcnt(0)
	v_add_nc_u32_e32 v91, -1, v91
	v_cmp_eq_u32_e32 vcc_lo, 19, v91
	s_cbranch_vccnz .LBB108_330
; %bb.329:
	v_lshlrev_b32_e32 v91, 3, v91
	s_clause 0x3
	buffer_load_dword v92, v91, s[0:3], 0 offen
	buffer_load_dword v93, v91, s[0:3], 0 offen offset:4
	buffer_load_dword v94, off, s[0:3], 0 offset:152
	buffer_load_dword v95, off, s[0:3], 0 offset:156
	s_waitcnt vmcnt(3)
	buffer_store_dword v92, off, s[0:3], 0 offset:152
	s_waitcnt vmcnt(2)
	buffer_store_dword v93, off, s[0:3], 0 offset:156
	s_waitcnt vmcnt(1)
	buffer_store_dword v94, v91, s[0:3], 0 offen
	s_waitcnt vmcnt(0)
	buffer_store_dword v95, v91, s[0:3], 0 offen offset:4
.LBB108_330:
	global_load_dword v0, v0, s[12:13] offset:72
	s_waitcnt vmcnt(0)
	v_add_nc_u32_e32 v0, -1, v0
	v_cmp_eq_u32_e32 vcc_lo, 18, v0
	s_cbranch_vccnz .LBB108_332
; %bb.331:
	v_lshlrev_b32_e32 v0, 3, v0
	s_clause 0x3
	buffer_load_dword v91, v0, s[0:3], 0 offen
	buffer_load_dword v92, v0, s[0:3], 0 offen offset:4
	buffer_load_dword v93, off, s[0:3], 0 offset:148
	buffer_load_dword v94, off, s[0:3], 0 offset:144
	s_waitcnt vmcnt(3)
	buffer_store_dword v91, off, s[0:3], 0 offset:144
	s_waitcnt vmcnt(2)
	buffer_store_dword v92, off, s[0:3], 0 offset:148
	s_waitcnt vmcnt(1)
	buffer_store_dword v93, v0, s[0:3], 0 offen offset:4
	s_waitcnt vmcnt(0)
	buffer_store_dword v94, v0, s[0:3], 0 offen
.LBB108_332:
	v_mov_b32_e32 v0, 0
	global_load_dword v91, v0, s[12:13] offset:68
	s_waitcnt vmcnt(0)
	v_add_nc_u32_e32 v91, -1, v91
	v_cmp_eq_u32_e32 vcc_lo, 17, v91
	s_cbranch_vccnz .LBB108_334
; %bb.333:
	v_lshlrev_b32_e32 v91, 3, v91
	s_clause 0x3
	buffer_load_dword v92, v91, s[0:3], 0 offen
	buffer_load_dword v93, v91, s[0:3], 0 offen offset:4
	buffer_load_dword v94, off, s[0:3], 0 offset:136
	buffer_load_dword v95, off, s[0:3], 0 offset:140
	s_waitcnt vmcnt(3)
	buffer_store_dword v92, off, s[0:3], 0 offset:136
	s_waitcnt vmcnt(2)
	buffer_store_dword v93, off, s[0:3], 0 offset:140
	s_waitcnt vmcnt(1)
	buffer_store_dword v94, v91, s[0:3], 0 offen
	s_waitcnt vmcnt(0)
	buffer_store_dword v95, v91, s[0:3], 0 offen offset:4
.LBB108_334:
	global_load_dword v0, v0, s[12:13] offset:64
	s_waitcnt vmcnt(0)
	v_add_nc_u32_e32 v0, -1, v0
	v_cmp_eq_u32_e32 vcc_lo, 16, v0
	s_cbranch_vccnz .LBB108_336
; %bb.335:
	v_lshlrev_b32_e32 v0, 3, v0
	s_clause 0x3
	buffer_load_dword v91, v0, s[0:3], 0 offen
	buffer_load_dword v92, v0, s[0:3], 0 offen offset:4
	buffer_load_dword v93, off, s[0:3], 0 offset:132
	buffer_load_dword v94, off, s[0:3], 0 offset:128
	s_waitcnt vmcnt(3)
	buffer_store_dword v91, off, s[0:3], 0 offset:128
	s_waitcnt vmcnt(2)
	buffer_store_dword v92, off, s[0:3], 0 offset:132
	s_waitcnt vmcnt(1)
	buffer_store_dword v93, v0, s[0:3], 0 offen offset:4
	s_waitcnt vmcnt(0)
	buffer_store_dword v94, v0, s[0:3], 0 offen
.LBB108_336:
	v_mov_b32_e32 v0, 0
	global_load_dword v91, v0, s[12:13] offset:60
	s_waitcnt vmcnt(0)
	v_add_nc_u32_e32 v91, -1, v91
	v_cmp_eq_u32_e32 vcc_lo, 15, v91
	s_cbranch_vccnz .LBB108_338
; %bb.337:
	v_lshlrev_b32_e32 v91, 3, v91
	s_clause 0x3
	buffer_load_dword v92, v91, s[0:3], 0 offen
	buffer_load_dword v93, v91, s[0:3], 0 offen offset:4
	buffer_load_dword v94, off, s[0:3], 0 offset:120
	buffer_load_dword v95, off, s[0:3], 0 offset:124
	s_waitcnt vmcnt(3)
	buffer_store_dword v92, off, s[0:3], 0 offset:120
	s_waitcnt vmcnt(2)
	buffer_store_dword v93, off, s[0:3], 0 offset:124
	s_waitcnt vmcnt(1)
	buffer_store_dword v94, v91, s[0:3], 0 offen
	s_waitcnt vmcnt(0)
	buffer_store_dword v95, v91, s[0:3], 0 offen offset:4
.LBB108_338:
	global_load_dword v0, v0, s[12:13] offset:56
	s_waitcnt vmcnt(0)
	v_add_nc_u32_e32 v0, -1, v0
	v_cmp_eq_u32_e32 vcc_lo, 14, v0
	s_cbranch_vccnz .LBB108_340
; %bb.339:
	v_lshlrev_b32_e32 v0, 3, v0
	s_clause 0x3
	buffer_load_dword v91, v0, s[0:3], 0 offen
	buffer_load_dword v92, v0, s[0:3], 0 offen offset:4
	buffer_load_dword v93, off, s[0:3], 0 offset:116
	buffer_load_dword v94, off, s[0:3], 0 offset:112
	s_waitcnt vmcnt(3)
	buffer_store_dword v91, off, s[0:3], 0 offset:112
	s_waitcnt vmcnt(2)
	buffer_store_dword v92, off, s[0:3], 0 offset:116
	s_waitcnt vmcnt(1)
	buffer_store_dword v93, v0, s[0:3], 0 offen offset:4
	s_waitcnt vmcnt(0)
	buffer_store_dword v94, v0, s[0:3], 0 offen
.LBB108_340:
	v_mov_b32_e32 v0, 0
	global_load_dword v91, v0, s[12:13] offset:52
	s_waitcnt vmcnt(0)
	v_add_nc_u32_e32 v91, -1, v91
	v_cmp_eq_u32_e32 vcc_lo, 13, v91
	s_cbranch_vccnz .LBB108_342
; %bb.341:
	v_lshlrev_b32_e32 v91, 3, v91
	s_clause 0x3
	buffer_load_dword v92, v91, s[0:3], 0 offen
	buffer_load_dword v93, v91, s[0:3], 0 offen offset:4
	buffer_load_dword v94, off, s[0:3], 0 offset:104
	buffer_load_dword v95, off, s[0:3], 0 offset:108
	s_waitcnt vmcnt(3)
	buffer_store_dword v92, off, s[0:3], 0 offset:104
	s_waitcnt vmcnt(2)
	buffer_store_dword v93, off, s[0:3], 0 offset:108
	s_waitcnt vmcnt(1)
	buffer_store_dword v94, v91, s[0:3], 0 offen
	s_waitcnt vmcnt(0)
	buffer_store_dword v95, v91, s[0:3], 0 offen offset:4
.LBB108_342:
	global_load_dword v0, v0, s[12:13] offset:48
	s_waitcnt vmcnt(0)
	v_add_nc_u32_e32 v0, -1, v0
	v_cmp_eq_u32_e32 vcc_lo, 12, v0
	s_cbranch_vccnz .LBB108_344
; %bb.343:
	v_lshlrev_b32_e32 v0, 3, v0
	s_clause 0x3
	buffer_load_dword v91, v0, s[0:3], 0 offen
	buffer_load_dword v92, v0, s[0:3], 0 offen offset:4
	buffer_load_dword v93, off, s[0:3], 0 offset:100
	buffer_load_dword v94, off, s[0:3], 0 offset:96
	s_waitcnt vmcnt(3)
	buffer_store_dword v91, off, s[0:3], 0 offset:96
	s_waitcnt vmcnt(2)
	buffer_store_dword v92, off, s[0:3], 0 offset:100
	s_waitcnt vmcnt(1)
	buffer_store_dword v93, v0, s[0:3], 0 offen offset:4
	s_waitcnt vmcnt(0)
	buffer_store_dword v94, v0, s[0:3], 0 offen
.LBB108_344:
	v_mov_b32_e32 v0, 0
	global_load_dword v91, v0, s[12:13] offset:44
	s_waitcnt vmcnt(0)
	v_add_nc_u32_e32 v91, -1, v91
	v_cmp_eq_u32_e32 vcc_lo, 11, v91
	s_cbranch_vccnz .LBB108_346
; %bb.345:
	v_lshlrev_b32_e32 v91, 3, v91
	s_clause 0x3
	buffer_load_dword v92, v91, s[0:3], 0 offen
	buffer_load_dword v93, v91, s[0:3], 0 offen offset:4
	buffer_load_dword v94, off, s[0:3], 0 offset:88
	buffer_load_dword v95, off, s[0:3], 0 offset:92
	s_waitcnt vmcnt(3)
	buffer_store_dword v92, off, s[0:3], 0 offset:88
	s_waitcnt vmcnt(2)
	buffer_store_dword v93, off, s[0:3], 0 offset:92
	s_waitcnt vmcnt(1)
	buffer_store_dword v94, v91, s[0:3], 0 offen
	s_waitcnt vmcnt(0)
	buffer_store_dword v95, v91, s[0:3], 0 offen offset:4
.LBB108_346:
	global_load_dword v0, v0, s[12:13] offset:40
	s_waitcnt vmcnt(0)
	v_add_nc_u32_e32 v0, -1, v0
	v_cmp_eq_u32_e32 vcc_lo, 10, v0
	s_cbranch_vccnz .LBB108_348
; %bb.347:
	v_lshlrev_b32_e32 v0, 3, v0
	s_clause 0x3
	buffer_load_dword v91, v0, s[0:3], 0 offen
	buffer_load_dword v92, v0, s[0:3], 0 offen offset:4
	buffer_load_dword v93, off, s[0:3], 0 offset:84
	buffer_load_dword v94, off, s[0:3], 0 offset:80
	s_waitcnt vmcnt(3)
	buffer_store_dword v91, off, s[0:3], 0 offset:80
	s_waitcnt vmcnt(2)
	buffer_store_dword v92, off, s[0:3], 0 offset:84
	s_waitcnt vmcnt(1)
	buffer_store_dword v93, v0, s[0:3], 0 offen offset:4
	s_waitcnt vmcnt(0)
	buffer_store_dword v94, v0, s[0:3], 0 offen
.LBB108_348:
	v_mov_b32_e32 v0, 0
	global_load_dword v91, v0, s[12:13] offset:36
	s_waitcnt vmcnt(0)
	v_add_nc_u32_e32 v91, -1, v91
	v_cmp_eq_u32_e32 vcc_lo, 9, v91
	s_cbranch_vccnz .LBB108_350
; %bb.349:
	v_lshlrev_b32_e32 v91, 3, v91
	s_clause 0x3
	buffer_load_dword v92, v91, s[0:3], 0 offen
	buffer_load_dword v93, v91, s[0:3], 0 offen offset:4
	buffer_load_dword v94, off, s[0:3], 0 offset:72
	buffer_load_dword v95, off, s[0:3], 0 offset:76
	s_waitcnt vmcnt(3)
	buffer_store_dword v92, off, s[0:3], 0 offset:72
	s_waitcnt vmcnt(2)
	buffer_store_dword v93, off, s[0:3], 0 offset:76
	s_waitcnt vmcnt(1)
	buffer_store_dword v94, v91, s[0:3], 0 offen
	s_waitcnt vmcnt(0)
	buffer_store_dword v95, v91, s[0:3], 0 offen offset:4
.LBB108_350:
	global_load_dword v0, v0, s[12:13] offset:32
	s_waitcnt vmcnt(0)
	v_add_nc_u32_e32 v0, -1, v0
	v_cmp_eq_u32_e32 vcc_lo, 8, v0
	s_cbranch_vccnz .LBB108_352
; %bb.351:
	v_lshlrev_b32_e32 v0, 3, v0
	s_clause 0x3
	buffer_load_dword v91, v0, s[0:3], 0 offen
	buffer_load_dword v92, v0, s[0:3], 0 offen offset:4
	buffer_load_dword v93, off, s[0:3], 0 offset:68
	buffer_load_dword v94, off, s[0:3], 0 offset:64
	s_waitcnt vmcnt(3)
	buffer_store_dword v91, off, s[0:3], 0 offset:64
	s_waitcnt vmcnt(2)
	buffer_store_dword v92, off, s[0:3], 0 offset:68
	s_waitcnt vmcnt(1)
	buffer_store_dword v93, v0, s[0:3], 0 offen offset:4
	s_waitcnt vmcnt(0)
	buffer_store_dword v94, v0, s[0:3], 0 offen
.LBB108_352:
	v_mov_b32_e32 v0, 0
	global_load_dword v91, v0, s[12:13] offset:28
	s_waitcnt vmcnt(0)
	v_add_nc_u32_e32 v91, -1, v91
	v_cmp_eq_u32_e32 vcc_lo, 7, v91
	s_cbranch_vccnz .LBB108_354
; %bb.353:
	v_lshlrev_b32_e32 v91, 3, v91
	s_clause 0x3
	buffer_load_dword v92, v91, s[0:3], 0 offen
	buffer_load_dword v93, v91, s[0:3], 0 offen offset:4
	buffer_load_dword v94, off, s[0:3], 0 offset:56
	buffer_load_dword v95, off, s[0:3], 0 offset:60
	s_waitcnt vmcnt(3)
	buffer_store_dword v92, off, s[0:3], 0 offset:56
	s_waitcnt vmcnt(2)
	buffer_store_dword v93, off, s[0:3], 0 offset:60
	s_waitcnt vmcnt(1)
	buffer_store_dword v94, v91, s[0:3], 0 offen
	s_waitcnt vmcnt(0)
	buffer_store_dword v95, v91, s[0:3], 0 offen offset:4
.LBB108_354:
	global_load_dword v0, v0, s[12:13] offset:24
	s_waitcnt vmcnt(0)
	v_add_nc_u32_e32 v0, -1, v0
	v_cmp_eq_u32_e32 vcc_lo, 6, v0
	s_cbranch_vccnz .LBB108_356
; %bb.355:
	v_lshlrev_b32_e32 v0, 3, v0
	s_clause 0x3
	buffer_load_dword v91, v0, s[0:3], 0 offen
	buffer_load_dword v92, v0, s[0:3], 0 offen offset:4
	buffer_load_dword v93, off, s[0:3], 0 offset:52
	buffer_load_dword v94, off, s[0:3], 0 offset:48
	s_waitcnt vmcnt(3)
	buffer_store_dword v91, off, s[0:3], 0 offset:48
	s_waitcnt vmcnt(2)
	buffer_store_dword v92, off, s[0:3], 0 offset:52
	s_waitcnt vmcnt(1)
	buffer_store_dword v93, v0, s[0:3], 0 offen offset:4
	s_waitcnt vmcnt(0)
	buffer_store_dword v94, v0, s[0:3], 0 offen
.LBB108_356:
	v_mov_b32_e32 v0, 0
	global_load_dword v91, v0, s[12:13] offset:20
	s_waitcnt vmcnt(0)
	v_add_nc_u32_e32 v91, -1, v91
	v_cmp_eq_u32_e32 vcc_lo, 5, v91
	s_cbranch_vccnz .LBB108_358
; %bb.357:
	v_lshlrev_b32_e32 v91, 3, v91
	s_clause 0x3
	buffer_load_dword v92, v91, s[0:3], 0 offen
	buffer_load_dword v93, v91, s[0:3], 0 offen offset:4
	buffer_load_dword v94, off, s[0:3], 0 offset:40
	buffer_load_dword v95, off, s[0:3], 0 offset:44
	s_waitcnt vmcnt(3)
	buffer_store_dword v92, off, s[0:3], 0 offset:40
	s_waitcnt vmcnt(2)
	buffer_store_dword v93, off, s[0:3], 0 offset:44
	s_waitcnt vmcnt(1)
	buffer_store_dword v94, v91, s[0:3], 0 offen
	s_waitcnt vmcnt(0)
	buffer_store_dword v95, v91, s[0:3], 0 offen offset:4
.LBB108_358:
	global_load_dword v0, v0, s[12:13] offset:16
	s_waitcnt vmcnt(0)
	v_add_nc_u32_e32 v0, -1, v0
	v_cmp_eq_u32_e32 vcc_lo, 4, v0
	s_cbranch_vccnz .LBB108_360
; %bb.359:
	v_lshlrev_b32_e32 v0, 3, v0
	s_clause 0x3
	buffer_load_dword v91, v0, s[0:3], 0 offen
	buffer_load_dword v92, v0, s[0:3], 0 offen offset:4
	buffer_load_dword v93, off, s[0:3], 0 offset:36
	buffer_load_dword v94, off, s[0:3], 0 offset:32
	s_waitcnt vmcnt(3)
	buffer_store_dword v91, off, s[0:3], 0 offset:32
	s_waitcnt vmcnt(2)
	buffer_store_dword v92, off, s[0:3], 0 offset:36
	s_waitcnt vmcnt(1)
	buffer_store_dword v93, v0, s[0:3], 0 offen offset:4
	s_waitcnt vmcnt(0)
	buffer_store_dword v94, v0, s[0:3], 0 offen
.LBB108_360:
	v_mov_b32_e32 v0, 0
	global_load_dword v91, v0, s[12:13] offset:12
	s_waitcnt vmcnt(0)
	v_add_nc_u32_e32 v91, -1, v91
	v_cmp_eq_u32_e32 vcc_lo, 3, v91
	s_cbranch_vccnz .LBB108_362
; %bb.361:
	v_lshlrev_b32_e32 v91, 3, v91
	s_clause 0x3
	buffer_load_dword v92, v91, s[0:3], 0 offen
	buffer_load_dword v93, v91, s[0:3], 0 offen offset:4
	buffer_load_dword v94, off, s[0:3], 0 offset:24
	buffer_load_dword v95, off, s[0:3], 0 offset:28
	s_waitcnt vmcnt(3)
	buffer_store_dword v92, off, s[0:3], 0 offset:24
	s_waitcnt vmcnt(2)
	buffer_store_dword v93, off, s[0:3], 0 offset:28
	s_waitcnt vmcnt(1)
	buffer_store_dword v94, v91, s[0:3], 0 offen
	s_waitcnt vmcnt(0)
	buffer_store_dword v95, v91, s[0:3], 0 offen offset:4
.LBB108_362:
	global_load_dword v0, v0, s[12:13] offset:8
	s_waitcnt vmcnt(0)
	v_add_nc_u32_e32 v0, -1, v0
	v_cmp_eq_u32_e32 vcc_lo, 2, v0
	s_cbranch_vccnz .LBB108_364
; %bb.363:
	v_lshlrev_b32_e32 v0, 3, v0
	s_clause 0x3
	buffer_load_dword v91, v0, s[0:3], 0 offen
	buffer_load_dword v92, v0, s[0:3], 0 offen offset:4
	buffer_load_dword v93, off, s[0:3], 0 offset:20
	buffer_load_dword v94, off, s[0:3], 0 offset:16
	s_waitcnt vmcnt(3)
	buffer_store_dword v91, off, s[0:3], 0 offset:16
	s_waitcnt vmcnt(2)
	buffer_store_dword v92, off, s[0:3], 0 offset:20
	s_waitcnt vmcnt(1)
	buffer_store_dword v93, v0, s[0:3], 0 offen offset:4
	s_waitcnt vmcnt(0)
	buffer_store_dword v94, v0, s[0:3], 0 offen
.LBB108_364:
	v_mov_b32_e32 v0, 0
	global_load_dword v91, v0, s[12:13] offset:4
	s_waitcnt vmcnt(0)
	v_add_nc_u32_e32 v91, -1, v91
	v_cmp_eq_u32_e32 vcc_lo, 1, v91
	s_cbranch_vccnz .LBB108_366
; %bb.365:
	v_lshlrev_b32_e32 v91, 3, v91
	s_clause 0x3
	buffer_load_dword v92, v91, s[0:3], 0 offen
	buffer_load_dword v93, v91, s[0:3], 0 offen offset:4
	buffer_load_dword v94, off, s[0:3], 0 offset:8
	buffer_load_dword v95, off, s[0:3], 0 offset:12
	s_waitcnt vmcnt(3)
	buffer_store_dword v92, off, s[0:3], 0 offset:8
	s_waitcnt vmcnt(2)
	buffer_store_dword v93, off, s[0:3], 0 offset:12
	s_waitcnt vmcnt(1)
	buffer_store_dword v94, v91, s[0:3], 0 offen
	s_waitcnt vmcnt(0)
	buffer_store_dword v95, v91, s[0:3], 0 offen offset:4
.LBB108_366:
	global_load_dword v0, v0, s[12:13]
	s_clause 0x1
	buffer_load_dword v93, off, s[0:3], 0
	buffer_load_dword v94, off, s[0:3], 0 offset:4
	s_waitcnt vmcnt(2)
	v_add_nc_u32_e32 v0, -1, v0
	v_cmp_eq_u32_e32 vcc_lo, 0, v0
	s_cbranch_vccnz .LBB108_368
; %bb.367:
	v_lshlrev_b32_e32 v0, 3, v0
	s_clause 0x1
	buffer_load_dword v91, v0, s[0:3], 0 offen offset:4
	buffer_load_dword v92, v0, s[0:3], 0 offen
	s_waitcnt vmcnt(1)
	buffer_store_dword v91, off, s[0:3], 0 offset:4
	s_waitcnt vmcnt(0)
	buffer_store_dword v92, off, s[0:3], 0
	buffer_store_dword v94, v0, s[0:3], 0 offen offset:4
	buffer_store_dword v93, v0, s[0:3], 0 offen
	s_clause 0x1
	buffer_load_dword v93, off, s[0:3], 0
	buffer_load_dword v94, off, s[0:3], 0 offset:4
.LBB108_368:
	s_waitcnt vmcnt(0)
	flat_store_dwordx2 v[1:2], v[93:94]
	s_clause 0x1
	buffer_load_dword v0, off, s[0:3], 0 offset:8
	buffer_load_dword v1, off, s[0:3], 0 offset:12
	s_waitcnt vmcnt(0)
	flat_store_dwordx2 v[3:4], v[0:1]
	s_clause 0x1
	buffer_load_dword v0, off, s[0:3], 0 offset:16
	buffer_load_dword v1, off, s[0:3], 0 offset:20
	s_waitcnt vmcnt(0)
	flat_store_dwordx2 v[5:6], v[0:1]
	s_clause 0x1
	buffer_load_dword v0, off, s[0:3], 0 offset:24
	buffer_load_dword v1, off, s[0:3], 0 offset:28
	s_waitcnt vmcnt(0)
	flat_store_dwordx2 v[7:8], v[0:1]
	s_clause 0x1
	buffer_load_dword v0, off, s[0:3], 0 offset:32
	buffer_load_dword v1, off, s[0:3], 0 offset:36
	s_waitcnt vmcnt(0)
	flat_store_dwordx2 v[9:10], v[0:1]
	s_clause 0x1
	buffer_load_dword v0, off, s[0:3], 0 offset:40
	buffer_load_dword v1, off, s[0:3], 0 offset:44
	s_waitcnt vmcnt(0)
	flat_store_dwordx2 v[11:12], v[0:1]
	s_clause 0x1
	buffer_load_dword v0, off, s[0:3], 0 offset:48
	buffer_load_dword v1, off, s[0:3], 0 offset:52
	s_waitcnt vmcnt(0)
	flat_store_dwordx2 v[13:14], v[0:1]
	s_clause 0x1
	buffer_load_dword v0, off, s[0:3], 0 offset:56
	buffer_load_dword v1, off, s[0:3], 0 offset:60
	s_waitcnt vmcnt(0)
	flat_store_dwordx2 v[15:16], v[0:1]
	s_clause 0x1
	buffer_load_dword v0, off, s[0:3], 0 offset:64
	buffer_load_dword v1, off, s[0:3], 0 offset:68
	s_waitcnt vmcnt(0)
	flat_store_dwordx2 v[17:18], v[0:1]
	s_clause 0x1
	buffer_load_dword v0, off, s[0:3], 0 offset:72
	buffer_load_dword v1, off, s[0:3], 0 offset:76
	s_waitcnt vmcnt(0)
	flat_store_dwordx2 v[19:20], v[0:1]
	s_clause 0x1
	buffer_load_dword v0, off, s[0:3], 0 offset:80
	buffer_load_dword v1, off, s[0:3], 0 offset:84
	s_waitcnt vmcnt(0)
	flat_store_dwordx2 v[21:22], v[0:1]
	s_clause 0x1
	buffer_load_dword v0, off, s[0:3], 0 offset:88
	buffer_load_dword v1, off, s[0:3], 0 offset:92
	s_waitcnt vmcnt(0)
	flat_store_dwordx2 v[23:24], v[0:1]
	s_clause 0x1
	buffer_load_dword v0, off, s[0:3], 0 offset:96
	buffer_load_dword v1, off, s[0:3], 0 offset:100
	s_waitcnt vmcnt(0)
	flat_store_dwordx2 v[25:26], v[0:1]
	s_clause 0x1
	buffer_load_dword v0, off, s[0:3], 0 offset:104
	buffer_load_dword v1, off, s[0:3], 0 offset:108
	s_waitcnt vmcnt(0)
	flat_store_dwordx2 v[27:28], v[0:1]
	s_clause 0x1
	buffer_load_dword v0, off, s[0:3], 0 offset:112
	buffer_load_dword v1, off, s[0:3], 0 offset:116
	s_waitcnt vmcnt(0)
	flat_store_dwordx2 v[29:30], v[0:1]
	s_clause 0x1
	buffer_load_dword v0, off, s[0:3], 0 offset:120
	buffer_load_dword v1, off, s[0:3], 0 offset:124
	s_waitcnt vmcnt(0)
	flat_store_dwordx2 v[31:32], v[0:1]
	s_clause 0x1
	buffer_load_dword v0, off, s[0:3], 0 offset:128
	buffer_load_dword v1, off, s[0:3], 0 offset:132
	s_waitcnt vmcnt(0)
	flat_store_dwordx2 v[33:34], v[0:1]
	s_clause 0x1
	buffer_load_dword v0, off, s[0:3], 0 offset:136
	buffer_load_dword v1, off, s[0:3], 0 offset:140
	s_waitcnt vmcnt(0)
	flat_store_dwordx2 v[35:36], v[0:1]
	s_clause 0x1
	buffer_load_dword v0, off, s[0:3], 0 offset:144
	buffer_load_dword v1, off, s[0:3], 0 offset:148
	s_waitcnt vmcnt(0)
	flat_store_dwordx2 v[37:38], v[0:1]
	s_clause 0x1
	buffer_load_dword v0, off, s[0:3], 0 offset:152
	buffer_load_dword v1, off, s[0:3], 0 offset:156
	s_waitcnt vmcnt(0)
	flat_store_dwordx2 v[39:40], v[0:1]
	s_clause 0x1
	buffer_load_dword v0, off, s[0:3], 0 offset:160
	buffer_load_dword v1, off, s[0:3], 0 offset:164
	s_waitcnt vmcnt(0)
	flat_store_dwordx2 v[41:42], v[0:1]
	s_clause 0x1
	buffer_load_dword v0, off, s[0:3], 0 offset:168
	buffer_load_dword v1, off, s[0:3], 0 offset:172
	s_waitcnt vmcnt(0)
	flat_store_dwordx2 v[43:44], v[0:1]
	s_clause 0x1
	buffer_load_dword v0, off, s[0:3], 0 offset:176
	buffer_load_dword v1, off, s[0:3], 0 offset:180
	s_waitcnt vmcnt(0)
	flat_store_dwordx2 v[45:46], v[0:1]
	s_clause 0x1
	buffer_load_dword v0, off, s[0:3], 0 offset:184
	buffer_load_dword v1, off, s[0:3], 0 offset:188
	s_waitcnt vmcnt(0)
	flat_store_dwordx2 v[47:48], v[0:1]
	s_clause 0x1
	buffer_load_dword v0, off, s[0:3], 0 offset:192
	buffer_load_dword v1, off, s[0:3], 0 offset:196
	s_waitcnt vmcnt(0)
	flat_store_dwordx2 v[49:50], v[0:1]
	s_clause 0x1
	buffer_load_dword v0, off, s[0:3], 0 offset:200
	buffer_load_dword v1, off, s[0:3], 0 offset:204
	s_waitcnt vmcnt(0)
	flat_store_dwordx2 v[51:52], v[0:1]
	s_clause 0x1
	buffer_load_dword v0, off, s[0:3], 0 offset:208
	buffer_load_dword v1, off, s[0:3], 0 offset:212
	s_waitcnt vmcnt(0)
	flat_store_dwordx2 v[53:54], v[0:1]
	s_clause 0x1
	buffer_load_dword v0, off, s[0:3], 0 offset:216
	buffer_load_dword v1, off, s[0:3], 0 offset:220
	s_waitcnt vmcnt(0)
	flat_store_dwordx2 v[55:56], v[0:1]
	s_clause 0x1
	buffer_load_dword v0, off, s[0:3], 0 offset:224
	buffer_load_dword v1, off, s[0:3], 0 offset:228
	s_waitcnt vmcnt(0)
	flat_store_dwordx2 v[57:58], v[0:1]
	s_clause 0x1
	buffer_load_dword v0, off, s[0:3], 0 offset:232
	buffer_load_dword v1, off, s[0:3], 0 offset:236
	s_waitcnt vmcnt(0)
	flat_store_dwordx2 v[59:60], v[0:1]
	s_clause 0x1
	buffer_load_dword v0, off, s[0:3], 0 offset:240
	buffer_load_dword v1, off, s[0:3], 0 offset:244
	s_waitcnt vmcnt(0)
	flat_store_dwordx2 v[61:62], v[0:1]
	s_clause 0x1
	buffer_load_dword v0, off, s[0:3], 0 offset:248
	buffer_load_dword v1, off, s[0:3], 0 offset:252
	s_waitcnt vmcnt(0)
	flat_store_dwordx2 v[63:64], v[0:1]
	s_clause 0x1
	buffer_load_dword v0, off, s[0:3], 0 offset:256
	buffer_load_dword v1, off, s[0:3], 0 offset:260
	s_waitcnt vmcnt(0)
	flat_store_dwordx2 v[65:66], v[0:1]
	s_clause 0x1
	buffer_load_dword v0, off, s[0:3], 0 offset:264
	buffer_load_dword v1, off, s[0:3], 0 offset:268
	s_waitcnt vmcnt(0)
	flat_store_dwordx2 v[67:68], v[0:1]
	s_clause 0x1
	buffer_load_dword v0, off, s[0:3], 0 offset:272
	buffer_load_dword v1, off, s[0:3], 0 offset:276
	s_waitcnt vmcnt(0)
	flat_store_dwordx2 v[69:70], v[0:1]
	s_clause 0x1
	buffer_load_dword v0, off, s[0:3], 0 offset:280
	buffer_load_dword v1, off, s[0:3], 0 offset:284
	s_waitcnt vmcnt(0)
	flat_store_dwordx2 v[71:72], v[0:1]
	s_clause 0x1
	buffer_load_dword v0, off, s[0:3], 0 offset:288
	buffer_load_dword v1, off, s[0:3], 0 offset:292
	s_waitcnt vmcnt(0)
	flat_store_dwordx2 v[73:74], v[0:1]
	s_clause 0x1
	buffer_load_dword v0, off, s[0:3], 0 offset:296
	buffer_load_dword v1, off, s[0:3], 0 offset:300
	s_waitcnt vmcnt(0)
	flat_store_dwordx2 v[75:76], v[0:1]
	s_clause 0x1
	buffer_load_dword v0, off, s[0:3], 0 offset:304
	buffer_load_dword v1, off, s[0:3], 0 offset:308
	s_waitcnt vmcnt(0)
	flat_store_dwordx2 v[77:78], v[0:1]
	s_clause 0x1
	buffer_load_dword v0, off, s[0:3], 0 offset:312
	buffer_load_dword v1, off, s[0:3], 0 offset:316
	s_waitcnt vmcnt(0)
	flat_store_dwordx2 v[79:80], v[0:1]
	s_clause 0x1
	buffer_load_dword v0, off, s[0:3], 0 offset:320
	buffer_load_dword v1, off, s[0:3], 0 offset:324
	s_waitcnt vmcnt(0)
	flat_store_dwordx2 v[81:82], v[0:1]
	s_clause 0x1
	buffer_load_dword v0, off, s[0:3], 0 offset:328
	buffer_load_dword v1, off, s[0:3], 0 offset:332
	s_waitcnt vmcnt(0)
	flat_store_dwordx2 v[83:84], v[0:1]
	s_clause 0x1
	buffer_load_dword v0, off, s[0:3], 0 offset:336
	buffer_load_dword v1, off, s[0:3], 0 offset:340
	s_waitcnt vmcnt(0)
	flat_store_dwordx2 v[85:86], v[0:1]
	s_clause 0x1
	buffer_load_dword v0, off, s[0:3], 0 offset:344
	buffer_load_dword v1, off, s[0:3], 0 offset:348
	s_waitcnt vmcnt(0)
	flat_store_dwordx2 v[87:88], v[0:1]
	s_clause 0x1
	buffer_load_dword v0, off, s[0:3], 0 offset:352
	buffer_load_dword v1, off, s[0:3], 0 offset:356
	s_waitcnt vmcnt(0)
	flat_store_dwordx2 v[89:90], v[0:1]
	s_endpgm
	.section	.rodata,"a",@progbits
	.p2align	6, 0x0
	.amdhsa_kernel _ZN9rocsolver6v33100L18getri_kernel_smallILi45EdPKPdEEvT1_iilPiilS6_bb
		.amdhsa_group_segment_fixed_size 728
		.amdhsa_private_segment_fixed_size 368
		.amdhsa_kernarg_size 60
		.amdhsa_user_sgpr_count 6
		.amdhsa_user_sgpr_private_segment_buffer 1
		.amdhsa_user_sgpr_dispatch_ptr 0
		.amdhsa_user_sgpr_queue_ptr 0
		.amdhsa_user_sgpr_kernarg_segment_ptr 1
		.amdhsa_user_sgpr_dispatch_id 0
		.amdhsa_user_sgpr_flat_scratch_init 0
		.amdhsa_user_sgpr_private_segment_size 0
		.amdhsa_wavefront_size32 1
		.amdhsa_uses_dynamic_stack 0
		.amdhsa_system_sgpr_private_segment_wavefront_offset 1
		.amdhsa_system_sgpr_workgroup_id_x 1
		.amdhsa_system_sgpr_workgroup_id_y 0
		.amdhsa_system_sgpr_workgroup_id_z 0
		.amdhsa_system_sgpr_workgroup_info 0
		.amdhsa_system_vgpr_workitem_id 0
		.amdhsa_next_free_vgpr 138
		.amdhsa_next_free_sgpr 20
		.amdhsa_reserve_vcc 1
		.amdhsa_reserve_flat_scratch 0
		.amdhsa_float_round_mode_32 0
		.amdhsa_float_round_mode_16_64 0
		.amdhsa_float_denorm_mode_32 3
		.amdhsa_float_denorm_mode_16_64 3
		.amdhsa_dx10_clamp 1
		.amdhsa_ieee_mode 1
		.amdhsa_fp16_overflow 0
		.amdhsa_workgroup_processor_mode 1
		.amdhsa_memory_ordered 1
		.amdhsa_forward_progress 1
		.amdhsa_shared_vgpr_count 0
		.amdhsa_exception_fp_ieee_invalid_op 0
		.amdhsa_exception_fp_denorm_src 0
		.amdhsa_exception_fp_ieee_div_zero 0
		.amdhsa_exception_fp_ieee_overflow 0
		.amdhsa_exception_fp_ieee_underflow 0
		.amdhsa_exception_fp_ieee_inexact 0
		.amdhsa_exception_int_div_zero 0
	.end_amdhsa_kernel
	.section	.text._ZN9rocsolver6v33100L18getri_kernel_smallILi45EdPKPdEEvT1_iilPiilS6_bb,"axG",@progbits,_ZN9rocsolver6v33100L18getri_kernel_smallILi45EdPKPdEEvT1_iilPiilS6_bb,comdat
.Lfunc_end108:
	.size	_ZN9rocsolver6v33100L18getri_kernel_smallILi45EdPKPdEEvT1_iilPiilS6_bb, .Lfunc_end108-_ZN9rocsolver6v33100L18getri_kernel_smallILi45EdPKPdEEvT1_iilPiilS6_bb
                                        ; -- End function
	.set _ZN9rocsolver6v33100L18getri_kernel_smallILi45EdPKPdEEvT1_iilPiilS6_bb.num_vgpr, 138
	.set _ZN9rocsolver6v33100L18getri_kernel_smallILi45EdPKPdEEvT1_iilPiilS6_bb.num_agpr, 0
	.set _ZN9rocsolver6v33100L18getri_kernel_smallILi45EdPKPdEEvT1_iilPiilS6_bb.numbered_sgpr, 20
	.set _ZN9rocsolver6v33100L18getri_kernel_smallILi45EdPKPdEEvT1_iilPiilS6_bb.num_named_barrier, 0
	.set _ZN9rocsolver6v33100L18getri_kernel_smallILi45EdPKPdEEvT1_iilPiilS6_bb.private_seg_size, 368
	.set _ZN9rocsolver6v33100L18getri_kernel_smallILi45EdPKPdEEvT1_iilPiilS6_bb.uses_vcc, 1
	.set _ZN9rocsolver6v33100L18getri_kernel_smallILi45EdPKPdEEvT1_iilPiilS6_bb.uses_flat_scratch, 0
	.set _ZN9rocsolver6v33100L18getri_kernel_smallILi45EdPKPdEEvT1_iilPiilS6_bb.has_dyn_sized_stack, 0
	.set _ZN9rocsolver6v33100L18getri_kernel_smallILi45EdPKPdEEvT1_iilPiilS6_bb.has_recursion, 0
	.set _ZN9rocsolver6v33100L18getri_kernel_smallILi45EdPKPdEEvT1_iilPiilS6_bb.has_indirect_call, 0
	.section	.AMDGPU.csdata,"",@progbits
; Kernel info:
; codeLenInByte = 57752
; TotalNumSgprs: 22
; NumVgprs: 138
; ScratchSize: 368
; MemoryBound: 1
; FloatMode: 240
; IeeeMode: 1
; LDSByteSize: 728 bytes/workgroup (compile time only)
; SGPRBlocks: 0
; VGPRBlocks: 17
; NumSGPRsForWavesPerEU: 22
; NumVGPRsForWavesPerEU: 138
; Occupancy: 7
; WaveLimiterHint : 1
; COMPUTE_PGM_RSRC2:SCRATCH_EN: 1
; COMPUTE_PGM_RSRC2:USER_SGPR: 6
; COMPUTE_PGM_RSRC2:TRAP_HANDLER: 0
; COMPUTE_PGM_RSRC2:TGID_X_EN: 1
; COMPUTE_PGM_RSRC2:TGID_Y_EN: 0
; COMPUTE_PGM_RSRC2:TGID_Z_EN: 0
; COMPUTE_PGM_RSRC2:TIDIG_COMP_CNT: 0
	.section	.text._ZN9rocsolver6v33100L18getri_kernel_smallILi46EdPKPdEEvT1_iilPiilS6_bb,"axG",@progbits,_ZN9rocsolver6v33100L18getri_kernel_smallILi46EdPKPdEEvT1_iilPiilS6_bb,comdat
	.globl	_ZN9rocsolver6v33100L18getri_kernel_smallILi46EdPKPdEEvT1_iilPiilS6_bb ; -- Begin function _ZN9rocsolver6v33100L18getri_kernel_smallILi46EdPKPdEEvT1_iilPiilS6_bb
	.p2align	8
	.type	_ZN9rocsolver6v33100L18getri_kernel_smallILi46EdPKPdEEvT1_iilPiilS6_bb,@function
_ZN9rocsolver6v33100L18getri_kernel_smallILi46EdPKPdEEvT1_iilPiilS6_bb: ; @_ZN9rocsolver6v33100L18getri_kernel_smallILi46EdPKPdEEvT1_iilPiilS6_bb
; %bb.0:
	s_add_u32 s0, s0, s7
	s_addc_u32 s1, s1, 0
	s_mov_b32 s7, exec_lo
	v_cmpx_gt_u32_e32 46, v0
	s_cbranch_execz .LBB109_194
; %bb.1:
	s_clause 0x2
	s_load_dword s17, s[4:5], 0x38
	s_load_dwordx2 s[12:13], s[4:5], 0x0
	s_load_dwordx4 s[8:11], s[4:5], 0x28
	s_waitcnt lgkmcnt(0)
	s_bitcmp1_b32 s17, 8
	s_cselect_b32 s16, -1, 0
	s_ashr_i32 s7, s6, 31
	s_lshl_b64 s[14:15], s[6:7], 3
	s_add_u32 s12, s12, s14
	s_addc_u32 s13, s13, s15
	s_load_dwordx2 s[14:15], s[12:13], 0x0
	s_bfe_u32 s12, s17, 0x10008
	s_cmp_eq_u32 s12, 0
                                        ; implicit-def: $sgpr12_sgpr13
	s_cbranch_scc1 .LBB109_3
; %bb.2:
	s_clause 0x1
	s_load_dword s12, s[4:5], 0x20
	s_load_dwordx2 s[18:19], s[4:5], 0x18
	s_mul_i32 s13, s8, s7
	s_mul_hi_u32 s17, s8, s6
	s_mul_i32 s9, s9, s6
	s_add_i32 s13, s17, s13
	s_mul_i32 s8, s8, s6
	s_add_i32 s9, s13, s9
	s_lshl_b64 s[8:9], s[8:9], 2
	s_waitcnt lgkmcnt(0)
	s_ashr_i32 s13, s12, 31
	s_add_u32 s17, s18, s8
	s_addc_u32 s18, s19, s9
	s_lshl_b64 s[8:9], s[12:13], 2
	s_add_u32 s12, s17, s8
	s_addc_u32 s13, s18, s9
.LBB109_3:
	s_clause 0x1
	s_load_dwordx2 s[8:9], s[4:5], 0x8
	s_load_dword s17, s[4:5], 0x38
	v_lshlrev_b32_e32 v95, 3, v0
	s_waitcnt lgkmcnt(0)
	s_ashr_i32 s5, s8, 31
	s_mov_b32 s4, s8
	v_add3_u32 v9, s9, s9, v0
	s_lshl_b64 s[4:5], s[4:5], 3
	s_add_u32 s4, s14, s4
	s_addc_u32 s5, s15, s5
	v_add_co_u32 v1, s8, s4, v95
	v_add_co_ci_u32_e64 v2, null, s5, 0, s8
	s_mov_b32 s14, s9
	s_ashr_i32 s15, s9, 31
	v_ashrrev_i32_e32 v10, 31, v9
	flat_load_dwordx2 v[5:6], v[1:2]
	s_lshl_b64 s[14:15], s[14:15], 3
	v_add_nc_u32_e32 v12, s9, v9
	v_add_co_u32 v3, vcc_lo, v1, s14
	v_add_co_ci_u32_e64 v4, null, s15, v2, vcc_lo
	v_ashrrev_i32_e32 v13, 31, v12
	s_bitcmp0_b32 s17, 0
	s_waitcnt vmcnt(0) lgkmcnt(0)
	buffer_store_dword v6, off, s[0:3], 0 offset:4
	buffer_store_dword v5, off, s[0:3], 0
	flat_load_dwordx2 v[7:8], v[3:4]
	v_lshlrev_b64 v[5:6], 3, v[9:10]
	s_waitcnt vmcnt(0) lgkmcnt(0)
	buffer_store_dword v8, off, s[0:3], 0 offset:12
	buffer_store_dword v7, off, s[0:3], 0 offset:8
	v_add_co_u32 v5, vcc_lo, s4, v5
	v_add_co_ci_u32_e64 v6, null, s5, v6, vcc_lo
	v_lshlrev_b64 v[7:8], 3, v[12:13]
	flat_load_dwordx2 v[10:11], v[5:6]
	s_waitcnt vmcnt(0) lgkmcnt(0)
	buffer_store_dword v11, off, s[0:3], 0 offset:20
	buffer_store_dword v10, off, s[0:3], 0 offset:16
	v_add_co_u32 v7, vcc_lo, s4, v7
	v_add_co_ci_u32_e64 v8, null, s5, v8, vcc_lo
	v_add_nc_u32_e32 v11, s9, v12
	flat_load_dwordx2 v[13:14], v[7:8]
	s_waitcnt vmcnt(0) lgkmcnt(0)
	buffer_store_dword v14, off, s[0:3], 0 offset:28
	buffer_store_dword v13, off, s[0:3], 0 offset:24
	v_ashrrev_i32_e32 v12, 31, v11
	v_add_nc_u32_e32 v15, s9, v11
	v_lshlrev_b64 v[9:10], 3, v[11:12]
	v_ashrrev_i32_e32 v16, 31, v15
	v_add_nc_u32_e32 v18, s9, v15
	v_add_co_u32 v9, vcc_lo, s4, v9
	v_add_co_ci_u32_e64 v10, null, s5, v10, vcc_lo
	v_lshlrev_b64 v[11:12], 3, v[15:16]
	v_ashrrev_i32_e32 v19, 31, v18
	flat_load_dwordx2 v[13:14], v[9:10]
	s_waitcnt vmcnt(0) lgkmcnt(0)
	buffer_store_dword v14, off, s[0:3], 0 offset:36
	buffer_store_dword v13, off, s[0:3], 0 offset:32
	v_add_co_u32 v11, vcc_lo, s4, v11
	v_add_co_ci_u32_e64 v12, null, s5, v12, vcc_lo
	v_lshlrev_b64 v[13:14], 3, v[18:19]
	flat_load_dwordx2 v[16:17], v[11:12]
	s_waitcnt vmcnt(0) lgkmcnt(0)
	buffer_store_dword v17, off, s[0:3], 0 offset:44
	buffer_store_dword v16, off, s[0:3], 0 offset:40
	v_add_co_u32 v13, vcc_lo, s4, v13
	v_add_co_ci_u32_e64 v14, null, s5, v14, vcc_lo
	v_add_nc_u32_e32 v17, s9, v18
	flat_load_dwordx2 v[19:20], v[13:14]
	s_waitcnt vmcnt(0) lgkmcnt(0)
	buffer_store_dword v20, off, s[0:3], 0 offset:52
	buffer_store_dword v19, off, s[0:3], 0 offset:48
	v_ashrrev_i32_e32 v18, 31, v17
	v_add_nc_u32_e32 v21, s9, v17
	v_lshlrev_b64 v[15:16], 3, v[17:18]
	v_ashrrev_i32_e32 v22, 31, v21
	v_add_nc_u32_e32 v24, s9, v21
	v_add_co_u32 v15, vcc_lo, s4, v15
	v_add_co_ci_u32_e64 v16, null, s5, v16, vcc_lo
	v_lshlrev_b64 v[17:18], 3, v[21:22]
	v_ashrrev_i32_e32 v25, 31, v24
	flat_load_dwordx2 v[19:20], v[15:16]
	;; [unrolled: 27-line block ×13, first 2 shown]
	s_waitcnt vmcnt(0) lgkmcnt(0)
	buffer_store_dword v86, off, s[0:3], 0 offset:324
	buffer_store_dword v85, off, s[0:3], 0 offset:320
	v_add_co_u32 v83, vcc_lo, s4, v83
	v_add_co_ci_u32_e64 v84, null, s5, v84, vcc_lo
	v_lshlrev_b64 v[85:86], 3, v[90:91]
	flat_load_dwordx2 v[88:89], v[83:84]
	s_waitcnt vmcnt(0) lgkmcnt(0)
	buffer_store_dword v89, off, s[0:3], 0 offset:332
	buffer_store_dword v88, off, s[0:3], 0 offset:328
	v_add_co_u32 v85, vcc_lo, s4, v85
	v_add_co_ci_u32_e64 v86, null, s5, v86, vcc_lo
	v_add_nc_u32_e32 v89, s9, v90
	flat_load_dwordx2 v[91:92], v[85:86]
	s_waitcnt vmcnt(0) lgkmcnt(0)
	buffer_store_dword v92, off, s[0:3], 0 offset:340
	buffer_store_dword v91, off, s[0:3], 0 offset:336
	v_ashrrev_i32_e32 v90, 31, v89
	v_add_nc_u32_e32 v93, s9, v89
	v_lshlrev_b64 v[87:88], 3, v[89:90]
	v_ashrrev_i32_e32 v94, 31, v93
	v_add_co_u32 v87, vcc_lo, s4, v87
	v_add_co_ci_u32_e64 v88, null, s5, v88, vcc_lo
	v_lshlrev_b64 v[89:90], 3, v[93:94]
	flat_load_dwordx2 v[91:92], v[87:88]
	s_waitcnt vmcnt(0) lgkmcnt(0)
	buffer_store_dword v92, off, s[0:3], 0 offset:348
	buffer_store_dword v91, off, s[0:3], 0 offset:344
	v_add_co_u32 v89, vcc_lo, s4, v89
	v_add_co_ci_u32_e64 v90, null, s5, v90, vcc_lo
	v_add_nc_u32_e32 v91, s9, v93
	flat_load_dwordx2 v[96:97], v[89:90]
	s_waitcnt vmcnt(0) lgkmcnt(0)
	buffer_store_dword v97, off, s[0:3], 0 offset:356
	buffer_store_dword v96, off, s[0:3], 0 offset:352
	v_ashrrev_i32_e32 v92, 31, v91
	v_lshlrev_b64 v[91:92], 3, v[91:92]
	v_add_co_u32 v91, vcc_lo, s4, v91
	v_add_co_ci_u32_e64 v92, null, s5, v92, vcc_lo
	s_mov_b32 s5, -1
	flat_load_dwordx2 v[93:94], v[91:92]
	s_waitcnt vmcnt(0) lgkmcnt(0)
	buffer_store_dword v94, off, s[0:3], 0 offset:364
	buffer_store_dword v93, off, s[0:3], 0 offset:360
	s_cbranch_scc1 .LBB109_192
; %bb.4:
	v_cmp_eq_u32_e64 s4, 0, v0
	s_and_saveexec_b32 s5, s4
; %bb.5:
	v_mov_b32_e32 v93, 0
	ds_write_b32 v93, v93 offset:736
; %bb.6:
	s_or_b32 exec_lo, exec_lo, s5
	v_lshl_add_u32 v93, v0, 3, 0
	s_waitcnt lgkmcnt(0)
	s_waitcnt_vscnt null, 0x0
	s_barrier
	buffer_gl0_inv
	s_mov_b32 s8, exec_lo
	s_clause 0x1
	buffer_load_dword v96, v93, s[0:3], 0 offen
	buffer_load_dword v97, v93, s[0:3], 0 offen offset:4
	s_waitcnt vmcnt(0)
	v_cmpx_eq_f64_e32 0, v[96:97]
	s_cbranch_execz .LBB109_10
; %bb.7:
	v_mov_b32_e32 v94, 0
	s_mov_b32 s9, 0
	ds_read_b32 v96, v94 offset:736
	s_waitcnt lgkmcnt(0)
	v_readfirstlane_b32 s5, v96
	v_add_nc_u32_e32 v96, 1, v0
	s_cmp_eq_u32 s5, 0
	v_cmp_gt_i32_e32 vcc_lo, s5, v96
	s_cselect_b32 s14, -1, 0
	s_or_b32 s14, s14, vcc_lo
	s_and_b32 exec_lo, exec_lo, s14
	s_cbranch_execz .LBB109_10
; %bb.8:
	v_mov_b32_e32 v97, s5
.LBB109_9:                              ; =>This Inner Loop Header: Depth=1
	ds_cmpst_rtn_b32 v97, v94, v97, v96 offset:736
	s_waitcnt lgkmcnt(0)
	v_cmp_ne_u32_e32 vcc_lo, 0, v97
	v_cmp_le_i32_e64 s5, v97, v96
	s_and_b32 s5, vcc_lo, s5
	s_and_b32 s5, exec_lo, s5
	s_or_b32 s9, s5, s9
	s_andn2_b32 exec_lo, exec_lo, s9
	s_cbranch_execnz .LBB109_9
.LBB109_10:
	s_or_b32 exec_lo, exec_lo, s8
	v_mov_b32_e32 v94, 0
	s_barrier
	buffer_gl0_inv
	ds_read_b32 v96, v94 offset:736
	s_and_saveexec_b32 s5, s4
	s_cbranch_execz .LBB109_12
; %bb.11:
	s_lshl_b64 s[8:9], s[6:7], 2
	s_add_u32 s8, s10, s8
	s_addc_u32 s9, s11, s9
	s_waitcnt lgkmcnt(0)
	global_store_dword v94, v96, s[8:9]
.LBB109_12:
	s_or_b32 exec_lo, exec_lo, s5
	s_waitcnt lgkmcnt(0)
	v_cmp_ne_u32_e32 vcc_lo, 0, v96
	s_mov_b32 s5, 0
	s_cbranch_vccnz .LBB109_192
; %bb.13:
	s_clause 0x1
	buffer_load_dword v96, v93, s[0:3], 0 offen
	buffer_load_dword v97, v93, s[0:3], 0 offen offset:4
	s_waitcnt vmcnt(0)
	v_div_scale_f64 v[98:99], null, v[96:97], v[96:97], 1.0
	v_div_scale_f64 v[104:105], vcc_lo, 1.0, v[96:97], 1.0
	v_rcp_f64_e32 v[100:101], v[98:99]
	v_fma_f64 v[102:103], -v[98:99], v[100:101], 1.0
	v_fma_f64 v[100:101], v[100:101], v[102:103], v[100:101]
	v_fma_f64 v[102:103], -v[98:99], v[100:101], 1.0
	v_fma_f64 v[100:101], v[100:101], v[102:103], v[100:101]
	v_mul_f64 v[102:103], v[104:105], v[100:101]
	v_fma_f64 v[98:99], -v[98:99], v[102:103], v[104:105]
	v_div_fmas_f64 v[98:99], v[98:99], v[100:101], v[102:103]
	v_div_fixup_f64 v[97:98], v[98:99], v[96:97], 1.0
	v_add_nc_u32_e32 v96, 0x170, v95
	buffer_store_dword v98, v93, s[0:3], 0 offen offset:4
	buffer_store_dword v97, v93, s[0:3], 0 offen
	s_clause 0x1
	buffer_load_dword v100, off, s[0:3], 0 offset:12
	buffer_load_dword v99, off, s[0:3], 0 offset:8
	v_xor_b32_e32 v98, 0x80000000, v98
	s_waitcnt vmcnt(0)
	ds_write2_b64 v95, v[97:98], v[99:100] offset1:46
	s_waitcnt lgkmcnt(0)
	s_waitcnt_vscnt null, 0x0
	s_barrier
	buffer_gl0_inv
	s_and_saveexec_b32 s5, s4
	s_cbranch_execz .LBB109_15
; %bb.14:
	s_clause 0x1
	buffer_load_dword v97, v93, s[0:3], 0 offen
	buffer_load_dword v98, v93, s[0:3], 0 offen offset:4
	ds_read_b64 v[99:100], v96
	v_mov_b32_e32 v94, 0
	ds_read_b64 v[101:102], v94 offset:8
	s_waitcnt vmcnt(0) lgkmcnt(1)
	v_fma_f64 v[97:98], v[97:98], v[99:100], 0
	s_waitcnt lgkmcnt(0)
	v_mul_f64 v[97:98], v[97:98], v[101:102]
	buffer_store_dword v97, off, s[0:3], 0 offset:8
	buffer_store_dword v98, off, s[0:3], 0 offset:12
.LBB109_15:
	s_or_b32 exec_lo, exec_lo, s5
	s_waitcnt_vscnt null, 0x0
	s_barrier
	buffer_gl0_inv
	s_clause 0x1
	buffer_load_dword v97, off, s[0:3], 0 offset:16
	buffer_load_dword v98, off, s[0:3], 0 offset:20
	s_mov_b32 s5, exec_lo
	s_waitcnt vmcnt(0)
	ds_write_b64 v96, v[97:98]
	s_waitcnt lgkmcnt(0)
	s_barrier
	buffer_gl0_inv
	v_cmpx_gt_u32_e32 2, v0
	s_cbranch_execz .LBB109_19
; %bb.16:
	s_clause 0x1
	buffer_load_dword v97, v93, s[0:3], 0 offen
	buffer_load_dword v98, v93, s[0:3], 0 offen offset:4
	ds_read_b64 v[93:94], v96
	s_waitcnt vmcnt(0) lgkmcnt(0)
	v_fma_f64 v[93:94], v[97:98], v[93:94], 0
	s_and_saveexec_b32 s8, s4
	s_cbranch_execz .LBB109_18
; %bb.17:
	s_clause 0x1
	buffer_load_dword v97, off, s[0:3], 0 offset:8
	buffer_load_dword v98, off, s[0:3], 0 offset:12
	v_mov_b32_e32 v99, 0
	ds_read_b64 v[99:100], v99 offset:376
	s_waitcnt vmcnt(0) lgkmcnt(0)
	v_fma_f64 v[93:94], v[97:98], v[99:100], v[93:94]
.LBB109_18:
	s_or_b32 exec_lo, exec_lo, s8
	v_mov_b32_e32 v97, 0
	ds_read_b64 v[97:98], v97 offset:16
	s_waitcnt lgkmcnt(0)
	v_mul_f64 v[93:94], v[93:94], v[97:98]
	buffer_store_dword v94, off, s[0:3], 0 offset:20
	buffer_store_dword v93, off, s[0:3], 0 offset:16
.LBB109_19:
	s_or_b32 exec_lo, exec_lo, s5
	s_waitcnt_vscnt null, 0x0
	s_barrier
	buffer_gl0_inv
	s_clause 0x1
	buffer_load_dword v93, off, s[0:3], 0 offset:24
	buffer_load_dword v94, off, s[0:3], 0 offset:28
	v_add_nc_u32_e32 v97, -1, v0
	s_mov_b32 s4, exec_lo
	s_waitcnt vmcnt(0)
	ds_write_b64 v96, v[93:94]
	s_waitcnt lgkmcnt(0)
	s_barrier
	buffer_gl0_inv
	v_cmpx_gt_u32_e32 3, v0
	s_cbranch_execz .LBB109_23
; %bb.20:
	v_mov_b32_e32 v93, 0
	v_add_nc_u32_e32 v98, -1, v0
	v_add_nc_u32_e32 v99, 0x170, v95
	v_mov_b32_e32 v94, 0
	v_mov_b32_e32 v100, v95
	s_mov_b32 s5, 0
.LBB109_21:                             ; =>This Inner Loop Header: Depth=1
	s_clause 0x1
	buffer_load_dword v101, v100, s[0:3], 0 offen
	buffer_load_dword v102, v100, s[0:3], 0 offen offset:4
	ds_read_b64 v[103:104], v99
	v_add_nc_u32_e32 v98, 1, v98
	v_add_nc_u32_e32 v99, 8, v99
	v_add_nc_u32_e32 v100, 8, v100
	v_cmp_lt_u32_e32 vcc_lo, 1, v98
	s_or_b32 s5, vcc_lo, s5
	s_waitcnt vmcnt(0) lgkmcnt(0)
	v_fma_f64 v[93:94], v[101:102], v[103:104], v[93:94]
	s_andn2_b32 exec_lo, exec_lo, s5
	s_cbranch_execnz .LBB109_21
; %bb.22:
	s_or_b32 exec_lo, exec_lo, s5
	v_mov_b32_e32 v98, 0
	ds_read_b64 v[98:99], v98 offset:24
	s_waitcnt lgkmcnt(0)
	v_mul_f64 v[93:94], v[93:94], v[98:99]
	buffer_store_dword v94, off, s[0:3], 0 offset:28
	buffer_store_dword v93, off, s[0:3], 0 offset:24
.LBB109_23:
	s_or_b32 exec_lo, exec_lo, s4
	s_waitcnt_vscnt null, 0x0
	s_barrier
	buffer_gl0_inv
	s_clause 0x1
	buffer_load_dword v93, off, s[0:3], 0 offset:32
	buffer_load_dword v94, off, s[0:3], 0 offset:36
	s_mov_b32 s4, exec_lo
	s_waitcnt vmcnt(0)
	ds_write_b64 v96, v[93:94]
	s_waitcnt lgkmcnt(0)
	s_barrier
	buffer_gl0_inv
	v_cmpx_gt_u32_e32 4, v0
	s_cbranch_execz .LBB109_27
; %bb.24:
	v_mov_b32_e32 v93, 0
	v_add_nc_u32_e32 v98, -1, v0
	v_add_nc_u32_e32 v99, 0x170, v95
	v_mov_b32_e32 v94, 0
	v_mov_b32_e32 v100, v95
	s_mov_b32 s5, 0
.LBB109_25:                             ; =>This Inner Loop Header: Depth=1
	s_clause 0x1
	buffer_load_dword v101, v100, s[0:3], 0 offen
	buffer_load_dword v102, v100, s[0:3], 0 offen offset:4
	ds_read_b64 v[103:104], v99
	v_add_nc_u32_e32 v98, 1, v98
	v_add_nc_u32_e32 v99, 8, v99
	v_add_nc_u32_e32 v100, 8, v100
	v_cmp_lt_u32_e32 vcc_lo, 2, v98
	s_or_b32 s5, vcc_lo, s5
	s_waitcnt vmcnt(0) lgkmcnt(0)
	v_fma_f64 v[93:94], v[101:102], v[103:104], v[93:94]
	s_andn2_b32 exec_lo, exec_lo, s5
	s_cbranch_execnz .LBB109_25
; %bb.26:
	s_or_b32 exec_lo, exec_lo, s5
	v_mov_b32_e32 v98, 0
	ds_read_b64 v[98:99], v98 offset:32
	s_waitcnt lgkmcnt(0)
	v_mul_f64 v[93:94], v[93:94], v[98:99]
	buffer_store_dword v94, off, s[0:3], 0 offset:36
	buffer_store_dword v93, off, s[0:3], 0 offset:32
.LBB109_27:
	s_or_b32 exec_lo, exec_lo, s4
	s_waitcnt_vscnt null, 0x0
	s_barrier
	buffer_gl0_inv
	s_clause 0x1
	buffer_load_dword v93, off, s[0:3], 0 offset:40
	buffer_load_dword v94, off, s[0:3], 0 offset:44
	;; [unrolled: 45-line block ×20, first 2 shown]
	s_mov_b32 s4, exec_lo
	s_waitcnt vmcnt(0)
	ds_write_b64 v96, v[93:94]
	s_waitcnt lgkmcnt(0)
	s_barrier
	buffer_gl0_inv
	v_cmpx_gt_u32_e32 23, v0
	s_cbranch_execz .LBB109_103
; %bb.100:
	v_mov_b32_e32 v93, 0
	v_add_nc_u32_e32 v98, -1, v0
	v_add_nc_u32_e32 v99, 0x170, v95
	v_mov_b32_e32 v94, 0
	v_mov_b32_e32 v100, v95
	s_mov_b32 s5, 0
.LBB109_101:                            ; =>This Inner Loop Header: Depth=1
	s_clause 0x1
	buffer_load_dword v101, v100, s[0:3], 0 offen
	buffer_load_dword v102, v100, s[0:3], 0 offen offset:4
	ds_read_b64 v[103:104], v99
	v_add_nc_u32_e32 v98, 1, v98
	v_add_nc_u32_e32 v99, 8, v99
	v_add_nc_u32_e32 v100, 8, v100
	v_cmp_lt_u32_e32 vcc_lo, 21, v98
	s_or_b32 s5, vcc_lo, s5
	s_waitcnt vmcnt(0) lgkmcnt(0)
	v_fma_f64 v[93:94], v[101:102], v[103:104], v[93:94]
	s_andn2_b32 exec_lo, exec_lo, s5
	s_cbranch_execnz .LBB109_101
; %bb.102:
	s_or_b32 exec_lo, exec_lo, s5
	v_mov_b32_e32 v98, 0
	ds_read_b64 v[98:99], v98 offset:184
	s_waitcnt lgkmcnt(0)
	v_mul_f64 v[93:94], v[93:94], v[98:99]
	buffer_store_dword v94, off, s[0:3], 0 offset:188
	buffer_store_dword v93, off, s[0:3], 0 offset:184
.LBB109_103:
	s_or_b32 exec_lo, exec_lo, s4
	s_waitcnt_vscnt null, 0x0
	s_barrier
	buffer_gl0_inv
	s_clause 0x1
	buffer_load_dword v93, off, s[0:3], 0 offset:192
	buffer_load_dword v94, off, s[0:3], 0 offset:196
	s_mov_b32 s4, exec_lo
	s_waitcnt vmcnt(0)
	ds_write_b64 v96, v[93:94]
	s_waitcnt lgkmcnt(0)
	s_barrier
	buffer_gl0_inv
	v_cmpx_gt_u32_e32 24, v0
	s_cbranch_execz .LBB109_107
; %bb.104:
	v_mov_b32_e32 v93, 0
	v_add_nc_u32_e32 v98, -1, v0
	v_add_nc_u32_e32 v99, 0x170, v95
	v_mov_b32_e32 v94, 0
	v_mov_b32_e32 v100, v95
	s_mov_b32 s5, 0
.LBB109_105:                            ; =>This Inner Loop Header: Depth=1
	s_clause 0x1
	buffer_load_dword v101, v100, s[0:3], 0 offen
	buffer_load_dword v102, v100, s[0:3], 0 offen offset:4
	ds_read_b64 v[103:104], v99
	v_add_nc_u32_e32 v98, 1, v98
	v_add_nc_u32_e32 v99, 8, v99
	v_add_nc_u32_e32 v100, 8, v100
	v_cmp_lt_u32_e32 vcc_lo, 22, v98
	s_or_b32 s5, vcc_lo, s5
	s_waitcnt vmcnt(0) lgkmcnt(0)
	v_fma_f64 v[93:94], v[101:102], v[103:104], v[93:94]
	s_andn2_b32 exec_lo, exec_lo, s5
	s_cbranch_execnz .LBB109_105
; %bb.106:
	s_or_b32 exec_lo, exec_lo, s5
	v_mov_b32_e32 v98, 0
	ds_read_b64 v[98:99], v98 offset:192
	s_waitcnt lgkmcnt(0)
	v_mul_f64 v[93:94], v[93:94], v[98:99]
	buffer_store_dword v94, off, s[0:3], 0 offset:196
	buffer_store_dword v93, off, s[0:3], 0 offset:192
.LBB109_107:
	s_or_b32 exec_lo, exec_lo, s4
	s_waitcnt_vscnt null, 0x0
	s_barrier
	buffer_gl0_inv
	s_clause 0x1
	buffer_load_dword v93, off, s[0:3], 0 offset:200
	buffer_load_dword v94, off, s[0:3], 0 offset:204
	;; [unrolled: 45-line block ×22, first 2 shown]
	s_mov_b32 s4, exec_lo
	s_waitcnt vmcnt(0)
	ds_write_b64 v96, v[93:94]
	s_waitcnt lgkmcnt(0)
	s_barrier
	buffer_gl0_inv
	v_cmpx_ne_u32_e32 45, v0
	s_cbranch_execz .LBB109_191
; %bb.188:
	v_mov_b32_e32 v93, 0
	v_mov_b32_e32 v94, 0
	s_mov_b32 s5, 0
.LBB109_189:                            ; =>This Inner Loop Header: Depth=1
	s_clause 0x1
	buffer_load_dword v98, v95, s[0:3], 0 offen
	buffer_load_dword v99, v95, s[0:3], 0 offen offset:4
	ds_read_b64 v[100:101], v96
	v_add_nc_u32_e32 v97, 1, v97
	v_add_nc_u32_e32 v96, 8, v96
	v_add_nc_u32_e32 v95, 8, v95
	v_cmp_lt_u32_e32 vcc_lo, 43, v97
	s_or_b32 s5, vcc_lo, s5
	s_waitcnt vmcnt(0) lgkmcnt(0)
	v_fma_f64 v[93:94], v[98:99], v[100:101], v[93:94]
	s_andn2_b32 exec_lo, exec_lo, s5
	s_cbranch_execnz .LBB109_189
; %bb.190:
	s_or_b32 exec_lo, exec_lo, s5
	v_mov_b32_e32 v95, 0
	ds_read_b64 v[95:96], v95 offset:360
	s_waitcnt lgkmcnt(0)
	v_mul_f64 v[93:94], v[93:94], v[95:96]
	buffer_store_dword v94, off, s[0:3], 0 offset:364
	buffer_store_dword v93, off, s[0:3], 0 offset:360
.LBB109_191:
	s_or_b32 exec_lo, exec_lo, s4
	s_mov_b32 s5, -1
	s_waitcnt_vscnt null, 0x0
	s_barrier
	buffer_gl0_inv
.LBB109_192:
	s_and_b32 vcc_lo, exec_lo, s5
	s_cbranch_vccz .LBB109_194
; %bb.193:
	s_lshl_b64 s[4:5], s[6:7], 2
	v_mov_b32_e32 v93, 0
	s_add_u32 s4, s10, s4
	s_addc_u32 s5, s11, s5
	global_load_dword v93, v93, s[4:5]
	s_waitcnt vmcnt(0)
	v_cmp_ne_u32_e32 vcc_lo, 0, v93
	s_cbranch_vccz .LBB109_195
.LBB109_194:
	s_endpgm
.LBB109_195:
	v_lshl_add_u32 v93, v0, 3, 0x170
	s_mov_b32 s4, exec_lo
	v_cmpx_eq_u32_e32 45, v0
	s_cbranch_execz .LBB109_197
; %bb.196:
	s_clause 0x1
	buffer_load_dword v94, off, s[0:3], 0 offset:352
	buffer_load_dword v95, off, s[0:3], 0 offset:356
	v_mov_b32_e32 v96, 0
	buffer_store_dword v96, off, s[0:3], 0 offset:352
	buffer_store_dword v96, off, s[0:3], 0 offset:356
	s_waitcnt vmcnt(0)
	ds_write_b64 v93, v[94:95]
.LBB109_197:
	s_or_b32 exec_lo, exec_lo, s4
	s_waitcnt lgkmcnt(0)
	s_waitcnt_vscnt null, 0x0
	s_barrier
	buffer_gl0_inv
	s_clause 0x3
	buffer_load_dword v95, off, s[0:3], 0 offset:360
	buffer_load_dword v96, off, s[0:3], 0 offset:364
	;; [unrolled: 1-line block ×4, first 2 shown]
	v_mov_b32_e32 v94, 0
	s_mov_b32 s4, exec_lo
	ds_read_b64 v[99:100], v94 offset:728
	s_waitcnt vmcnt(2) lgkmcnt(0)
	v_fma_f64 v[95:96], v[95:96], v[99:100], 0
	s_waitcnt vmcnt(0)
	v_add_f64 v[95:96], v[97:98], -v[95:96]
	buffer_store_dword v95, off, s[0:3], 0 offset:352
	buffer_store_dword v96, off, s[0:3], 0 offset:356
	v_cmpx_lt_u32_e32 43, v0
	s_cbranch_execz .LBB109_199
; %bb.198:
	s_clause 0x1
	buffer_load_dword v95, off, s[0:3], 0 offset:344
	buffer_load_dword v96, off, s[0:3], 0 offset:348
	buffer_store_dword v94, off, s[0:3], 0 offset:344
	buffer_store_dword v94, off, s[0:3], 0 offset:348
	s_waitcnt vmcnt(0)
	ds_write_b64 v93, v[95:96]
.LBB109_199:
	s_or_b32 exec_lo, exec_lo, s4
	s_waitcnt lgkmcnt(0)
	s_waitcnt_vscnt null, 0x0
	s_barrier
	buffer_gl0_inv
	s_clause 0x5
	buffer_load_dword v98, off, s[0:3], 0 offset:352
	buffer_load_dword v99, off, s[0:3], 0 offset:356
	;; [unrolled: 1-line block ×6, first 2 shown]
	ds_read_b128 v[94:97], v94 offset:720
	s_mov_b32 s4, exec_lo
	s_waitcnt vmcnt(4) lgkmcnt(0)
	v_fma_f64 v[94:95], v[98:99], v[94:95], 0
	s_waitcnt vmcnt(2)
	v_fma_f64 v[94:95], v[100:101], v[96:97], v[94:95]
	s_waitcnt vmcnt(0)
	v_add_f64 v[94:95], v[102:103], -v[94:95]
	buffer_store_dword v94, off, s[0:3], 0 offset:344
	buffer_store_dword v95, off, s[0:3], 0 offset:348
	v_cmpx_lt_u32_e32 42, v0
	s_cbranch_execz .LBB109_201
; %bb.200:
	s_clause 0x1
	buffer_load_dword v94, off, s[0:3], 0 offset:336
	buffer_load_dword v95, off, s[0:3], 0 offset:340
	v_mov_b32_e32 v96, 0
	buffer_store_dword v96, off, s[0:3], 0 offset:336
	buffer_store_dword v96, off, s[0:3], 0 offset:340
	s_waitcnt vmcnt(0)
	ds_write_b64 v93, v[94:95]
.LBB109_201:
	s_or_b32 exec_lo, exec_lo, s4
	s_waitcnt lgkmcnt(0)
	s_waitcnt_vscnt null, 0x0
	s_barrier
	buffer_gl0_inv
	s_clause 0x7
	buffer_load_dword v99, off, s[0:3], 0 offset:344
	buffer_load_dword v100, off, s[0:3], 0 offset:348
	;; [unrolled: 1-line block ×8, first 2 shown]
	v_mov_b32_e32 v94, 0
	ds_read2_b64 v[95:98], v94 offset0:89 offset1:90
	ds_read_b64 v[107:108], v94 offset:728
	s_mov_b32 s4, exec_lo
	s_waitcnt vmcnt(6) lgkmcnt(1)
	v_fma_f64 v[95:96], v[99:100], v[95:96], 0
	s_waitcnt vmcnt(4)
	v_fma_f64 v[95:96], v[101:102], v[97:98], v[95:96]
	s_waitcnt vmcnt(2) lgkmcnt(0)
	v_fma_f64 v[95:96], v[103:104], v[107:108], v[95:96]
	s_waitcnt vmcnt(0)
	v_add_f64 v[95:96], v[105:106], -v[95:96]
	buffer_store_dword v95, off, s[0:3], 0 offset:336
	buffer_store_dword v96, off, s[0:3], 0 offset:340
	v_cmpx_lt_u32_e32 41, v0
	s_cbranch_execz .LBB109_203
; %bb.202:
	s_clause 0x1
	buffer_load_dword v95, off, s[0:3], 0 offset:328
	buffer_load_dword v96, off, s[0:3], 0 offset:332
	buffer_store_dword v94, off, s[0:3], 0 offset:328
	buffer_store_dword v94, off, s[0:3], 0 offset:332
	s_waitcnt vmcnt(0)
	ds_write_b64 v93, v[95:96]
.LBB109_203:
	s_or_b32 exec_lo, exec_lo, s4
	s_waitcnt lgkmcnt(0)
	s_waitcnt_vscnt null, 0x0
	s_barrier
	buffer_gl0_inv
	s_clause 0x9
	buffer_load_dword v103, off, s[0:3], 0 offset:336
	buffer_load_dword v104, off, s[0:3], 0 offset:340
	;; [unrolled: 1-line block ×10, first 2 shown]
	ds_read_b128 v[95:98], v94 offset:704
	ds_read_b128 v[99:102], v94 offset:720
	s_mov_b32 s4, exec_lo
	s_waitcnt vmcnt(8) lgkmcnt(1)
	v_fma_f64 v[94:95], v[103:104], v[95:96], 0
	s_waitcnt vmcnt(6)
	v_fma_f64 v[94:95], v[105:106], v[97:98], v[94:95]
	s_waitcnt vmcnt(4) lgkmcnt(0)
	v_fma_f64 v[94:95], v[107:108], v[99:100], v[94:95]
	s_waitcnt vmcnt(2)
	v_fma_f64 v[94:95], v[109:110], v[101:102], v[94:95]
	s_waitcnt vmcnt(0)
	v_add_f64 v[94:95], v[111:112], -v[94:95]
	buffer_store_dword v94, off, s[0:3], 0 offset:328
	buffer_store_dword v95, off, s[0:3], 0 offset:332
	v_cmpx_lt_u32_e32 40, v0
	s_cbranch_execz .LBB109_205
; %bb.204:
	s_clause 0x1
	buffer_load_dword v94, off, s[0:3], 0 offset:320
	buffer_load_dword v95, off, s[0:3], 0 offset:324
	v_mov_b32_e32 v96, 0
	buffer_store_dword v96, off, s[0:3], 0 offset:320
	buffer_store_dword v96, off, s[0:3], 0 offset:324
	s_waitcnt vmcnt(0)
	ds_write_b64 v93, v[94:95]
.LBB109_205:
	s_or_b32 exec_lo, exec_lo, s4
	s_waitcnt lgkmcnt(0)
	s_waitcnt_vscnt null, 0x0
	s_barrier
	buffer_gl0_inv
	s_clause 0xb
	buffer_load_dword v103, off, s[0:3], 0 offset:328
	buffer_load_dword v104, off, s[0:3], 0 offset:332
	;; [unrolled: 1-line block ×12, first 2 shown]
	v_mov_b32_e32 v94, 0
	ds_read2_b64 v[95:98], v94 offset0:87 offset1:88
	ds_read2_b64 v[99:102], v94 offset0:89 offset1:90
	s_mov_b32 s4, exec_lo
	s_waitcnt vmcnt(10) lgkmcnt(1)
	v_fma_f64 v[95:96], v[103:104], v[95:96], 0
	s_waitcnt vmcnt(8)
	v_fma_f64 v[95:96], v[105:106], v[97:98], v[95:96]
	ds_read_b64 v[97:98], v94 offset:728
	s_waitcnt vmcnt(6) lgkmcnt(1)
	v_fma_f64 v[95:96], v[107:108], v[99:100], v[95:96]
	s_waitcnt vmcnt(4)
	v_fma_f64 v[95:96], v[109:110], v[101:102], v[95:96]
	s_waitcnt vmcnt(2) lgkmcnt(0)
	v_fma_f64 v[95:96], v[111:112], v[97:98], v[95:96]
	s_waitcnt vmcnt(0)
	v_add_f64 v[95:96], v[113:114], -v[95:96]
	buffer_store_dword v95, off, s[0:3], 0 offset:320
	buffer_store_dword v96, off, s[0:3], 0 offset:324
	v_cmpx_lt_u32_e32 39, v0
	s_cbranch_execz .LBB109_207
; %bb.206:
	s_clause 0x1
	buffer_load_dword v95, off, s[0:3], 0 offset:312
	buffer_load_dword v96, off, s[0:3], 0 offset:316
	buffer_store_dword v94, off, s[0:3], 0 offset:312
	buffer_store_dword v94, off, s[0:3], 0 offset:316
	s_waitcnt vmcnt(0)
	ds_write_b64 v93, v[95:96]
.LBB109_207:
	s_or_b32 exec_lo, exec_lo, s4
	s_waitcnt lgkmcnt(0)
	s_waitcnt_vscnt null, 0x0
	s_barrier
	buffer_gl0_inv
	s_clause 0xd
	buffer_load_dword v103, off, s[0:3], 0 offset:320
	buffer_load_dword v104, off, s[0:3], 0 offset:324
	;; [unrolled: 1-line block ×14, first 2 shown]
	ds_read_b128 v[95:98], v94 offset:688
	ds_read_b128 v[99:102], v94 offset:704
	s_mov_b32 s4, exec_lo
	s_waitcnt vmcnt(12) lgkmcnt(1)
	v_fma_f64 v[95:96], v[103:104], v[95:96], 0
	s_waitcnt vmcnt(10)
	v_fma_f64 v[95:96], v[105:106], v[97:98], v[95:96]
	s_waitcnt vmcnt(8) lgkmcnt(0)
	v_fma_f64 v[95:96], v[107:108], v[99:100], v[95:96]
	s_waitcnt vmcnt(6)
	v_fma_f64 v[98:99], v[109:110], v[101:102], v[95:96]
	ds_read_b128 v[94:97], v94 offset:720
	s_waitcnt vmcnt(4) lgkmcnt(0)
	v_fma_f64 v[94:95], v[111:112], v[94:95], v[98:99]
	s_waitcnt vmcnt(2)
	v_fma_f64 v[94:95], v[113:114], v[96:97], v[94:95]
	s_waitcnt vmcnt(0)
	v_add_f64 v[94:95], v[115:116], -v[94:95]
	buffer_store_dword v94, off, s[0:3], 0 offset:312
	buffer_store_dword v95, off, s[0:3], 0 offset:316
	v_cmpx_lt_u32_e32 38, v0
	s_cbranch_execz .LBB109_209
; %bb.208:
	s_clause 0x1
	buffer_load_dword v94, off, s[0:3], 0 offset:304
	buffer_load_dword v95, off, s[0:3], 0 offset:308
	v_mov_b32_e32 v96, 0
	buffer_store_dword v96, off, s[0:3], 0 offset:304
	buffer_store_dword v96, off, s[0:3], 0 offset:308
	s_waitcnt vmcnt(0)
	ds_write_b64 v93, v[94:95]
.LBB109_209:
	s_or_b32 exec_lo, exec_lo, s4
	s_waitcnt lgkmcnt(0)
	s_waitcnt_vscnt null, 0x0
	s_barrier
	buffer_gl0_inv
	s_clause 0xf
	buffer_load_dword v103, off, s[0:3], 0 offset:312
	buffer_load_dword v104, off, s[0:3], 0 offset:316
	;; [unrolled: 1-line block ×16, first 2 shown]
	v_mov_b32_e32 v94, 0
	ds_read2_b64 v[95:98], v94 offset0:85 offset1:86
	ds_read2_b64 v[99:102], v94 offset0:87 offset1:88
	s_mov_b32 s4, exec_lo
	s_waitcnt vmcnt(14) lgkmcnt(1)
	v_fma_f64 v[95:96], v[103:104], v[95:96], 0
	s_waitcnt vmcnt(12)
	v_fma_f64 v[95:96], v[105:106], v[97:98], v[95:96]
	s_waitcnt vmcnt(10) lgkmcnt(0)
	v_fma_f64 v[95:96], v[107:108], v[99:100], v[95:96]
	s_waitcnt vmcnt(8)
	v_fma_f64 v[99:100], v[109:110], v[101:102], v[95:96]
	ds_read2_b64 v[95:98], v94 offset0:89 offset1:90
	ds_read_b64 v[101:102], v94 offset:728
	s_waitcnt vmcnt(6) lgkmcnt(1)
	v_fma_f64 v[95:96], v[111:112], v[95:96], v[99:100]
	s_waitcnt vmcnt(4)
	v_fma_f64 v[95:96], v[113:114], v[97:98], v[95:96]
	s_waitcnt vmcnt(2) lgkmcnt(0)
	v_fma_f64 v[95:96], v[115:116], v[101:102], v[95:96]
	s_waitcnt vmcnt(0)
	v_add_f64 v[95:96], v[117:118], -v[95:96]
	buffer_store_dword v95, off, s[0:3], 0 offset:304
	buffer_store_dword v96, off, s[0:3], 0 offset:308
	v_cmpx_lt_u32_e32 37, v0
	s_cbranch_execz .LBB109_211
; %bb.210:
	s_clause 0x1
	buffer_load_dword v95, off, s[0:3], 0 offset:296
	buffer_load_dword v96, off, s[0:3], 0 offset:300
	buffer_store_dword v94, off, s[0:3], 0 offset:296
	buffer_store_dword v94, off, s[0:3], 0 offset:300
	s_waitcnt vmcnt(0)
	ds_write_b64 v93, v[95:96]
.LBB109_211:
	s_or_b32 exec_lo, exec_lo, s4
	s_waitcnt lgkmcnt(0)
	s_waitcnt_vscnt null, 0x0
	s_barrier
	buffer_gl0_inv
	s_clause 0x11
	buffer_load_dword v103, off, s[0:3], 0 offset:304
	buffer_load_dword v104, off, s[0:3], 0 offset:308
	buffer_load_dword v105, off, s[0:3], 0 offset:312
	buffer_load_dword v106, off, s[0:3], 0 offset:316
	buffer_load_dword v107, off, s[0:3], 0 offset:320
	buffer_load_dword v108, off, s[0:3], 0 offset:324
	buffer_load_dword v109, off, s[0:3], 0 offset:328
	buffer_load_dword v110, off, s[0:3], 0 offset:332
	buffer_load_dword v111, off, s[0:3], 0 offset:336
	buffer_load_dword v112, off, s[0:3], 0 offset:340
	buffer_load_dword v113, off, s[0:3], 0 offset:344
	buffer_load_dword v114, off, s[0:3], 0 offset:348
	buffer_load_dword v115, off, s[0:3], 0 offset:352
	buffer_load_dword v116, off, s[0:3], 0 offset:356
	buffer_load_dword v118, off, s[0:3], 0 offset:364
	buffer_load_dword v117, off, s[0:3], 0 offset:360
	buffer_load_dword v119, off, s[0:3], 0 offset:296
	buffer_load_dword v120, off, s[0:3], 0 offset:300
	ds_read_b128 v[95:98], v94 offset:672
	ds_read_b128 v[99:102], v94 offset:688
	s_mov_b32 s4, exec_lo
	s_waitcnt vmcnt(16) lgkmcnt(1)
	v_fma_f64 v[95:96], v[103:104], v[95:96], 0
	s_waitcnt vmcnt(14)
	v_fma_f64 v[95:96], v[105:106], v[97:98], v[95:96]
	s_waitcnt vmcnt(12) lgkmcnt(0)
	v_fma_f64 v[95:96], v[107:108], v[99:100], v[95:96]
	s_waitcnt vmcnt(10)
	v_fma_f64 v[103:104], v[109:110], v[101:102], v[95:96]
	ds_read_b128 v[95:98], v94 offset:704
	ds_read_b128 v[99:102], v94 offset:720
	s_waitcnt vmcnt(8) lgkmcnt(1)
	v_fma_f64 v[94:95], v[111:112], v[95:96], v[103:104]
	s_waitcnt vmcnt(6)
	v_fma_f64 v[94:95], v[113:114], v[97:98], v[94:95]
	s_waitcnt vmcnt(4) lgkmcnt(0)
	v_fma_f64 v[94:95], v[115:116], v[99:100], v[94:95]
	s_waitcnt vmcnt(2)
	v_fma_f64 v[94:95], v[117:118], v[101:102], v[94:95]
	s_waitcnt vmcnt(0)
	v_add_f64 v[94:95], v[119:120], -v[94:95]
	buffer_store_dword v94, off, s[0:3], 0 offset:296
	buffer_store_dword v95, off, s[0:3], 0 offset:300
	v_cmpx_lt_u32_e32 36, v0
	s_cbranch_execz .LBB109_213
; %bb.212:
	s_clause 0x1
	buffer_load_dword v94, off, s[0:3], 0 offset:288
	buffer_load_dword v95, off, s[0:3], 0 offset:292
	v_mov_b32_e32 v96, 0
	buffer_store_dword v96, off, s[0:3], 0 offset:288
	buffer_store_dword v96, off, s[0:3], 0 offset:292
	s_waitcnt vmcnt(0)
	ds_write_b64 v93, v[94:95]
.LBB109_213:
	s_or_b32 exec_lo, exec_lo, s4
	s_waitcnt lgkmcnt(0)
	s_waitcnt_vscnt null, 0x0
	s_barrier
	buffer_gl0_inv
	s_clause 0x13
	buffer_load_dword v103, off, s[0:3], 0 offset:296
	buffer_load_dword v104, off, s[0:3], 0 offset:300
	buffer_load_dword v105, off, s[0:3], 0 offset:304
	buffer_load_dword v106, off, s[0:3], 0 offset:308
	buffer_load_dword v107, off, s[0:3], 0 offset:312
	buffer_load_dword v108, off, s[0:3], 0 offset:316
	buffer_load_dword v109, off, s[0:3], 0 offset:320
	buffer_load_dword v110, off, s[0:3], 0 offset:324
	buffer_load_dword v111, off, s[0:3], 0 offset:328
	buffer_load_dword v112, off, s[0:3], 0 offset:332
	buffer_load_dword v113, off, s[0:3], 0 offset:336
	buffer_load_dword v114, off, s[0:3], 0 offset:340
	buffer_load_dword v115, off, s[0:3], 0 offset:344
	buffer_load_dword v116, off, s[0:3], 0 offset:348
	buffer_load_dword v118, off, s[0:3], 0 offset:356
	buffer_load_dword v119, off, s[0:3], 0 offset:360
	buffer_load_dword v117, off, s[0:3], 0 offset:352
	buffer_load_dword v120, off, s[0:3], 0 offset:364
	buffer_load_dword v121, off, s[0:3], 0 offset:288
	buffer_load_dword v122, off, s[0:3], 0 offset:292
	v_mov_b32_e32 v94, 0
	ds_read2_b64 v[95:98], v94 offset0:83 offset1:84
	ds_read2_b64 v[99:102], v94 offset0:85 offset1:86
	s_mov_b32 s4, exec_lo
	s_waitcnt vmcnt(18) lgkmcnt(1)
	v_fma_f64 v[95:96], v[103:104], v[95:96], 0
	s_waitcnt vmcnt(16)
	v_fma_f64 v[95:96], v[105:106], v[97:98], v[95:96]
	s_waitcnt vmcnt(14) lgkmcnt(0)
	v_fma_f64 v[95:96], v[107:108], v[99:100], v[95:96]
	s_waitcnt vmcnt(12)
	v_fma_f64 v[103:104], v[109:110], v[101:102], v[95:96]
	ds_read2_b64 v[95:98], v94 offset0:87 offset1:88
	ds_read2_b64 v[99:102], v94 offset0:89 offset1:90
	s_waitcnt vmcnt(10) lgkmcnt(1)
	v_fma_f64 v[95:96], v[111:112], v[95:96], v[103:104]
	s_waitcnt vmcnt(8)
	v_fma_f64 v[95:96], v[113:114], v[97:98], v[95:96]
	ds_read_b64 v[97:98], v94 offset:728
	s_waitcnt vmcnt(6) lgkmcnt(1)
	v_fma_f64 v[95:96], v[115:116], v[99:100], v[95:96]
	s_waitcnt vmcnt(3)
	v_fma_f64 v[95:96], v[117:118], v[101:102], v[95:96]
	s_waitcnt vmcnt(2) lgkmcnt(0)
	v_fma_f64 v[95:96], v[119:120], v[97:98], v[95:96]
	s_waitcnt vmcnt(0)
	v_add_f64 v[95:96], v[121:122], -v[95:96]
	buffer_store_dword v95, off, s[0:3], 0 offset:288
	buffer_store_dword v96, off, s[0:3], 0 offset:292
	v_cmpx_lt_u32_e32 35, v0
	s_cbranch_execz .LBB109_215
; %bb.214:
	s_clause 0x1
	buffer_load_dword v95, off, s[0:3], 0 offset:280
	buffer_load_dword v96, off, s[0:3], 0 offset:284
	buffer_store_dword v94, off, s[0:3], 0 offset:280
	buffer_store_dword v94, off, s[0:3], 0 offset:284
	s_waitcnt vmcnt(0)
	ds_write_b64 v93, v[95:96]
.LBB109_215:
	s_or_b32 exec_lo, exec_lo, s4
	s_waitcnt lgkmcnt(0)
	s_waitcnt_vscnt null, 0x0
	s_barrier
	buffer_gl0_inv
	s_clause 0x15
	buffer_load_dword v103, off, s[0:3], 0 offset:288
	buffer_load_dword v104, off, s[0:3], 0 offset:292
	;; [unrolled: 1-line block ×22, first 2 shown]
	ds_read_b128 v[95:98], v94 offset:656
	ds_read_b128 v[99:102], v94 offset:672
	s_mov_b32 s4, exec_lo
	s_waitcnt vmcnt(20) lgkmcnt(1)
	v_fma_f64 v[95:96], v[103:104], v[95:96], 0
	s_waitcnt vmcnt(18)
	v_fma_f64 v[95:96], v[105:106], v[97:98], v[95:96]
	s_waitcnt vmcnt(16) lgkmcnt(0)
	v_fma_f64 v[95:96], v[107:108], v[99:100], v[95:96]
	s_waitcnt vmcnt(14)
	v_fma_f64 v[103:104], v[109:110], v[101:102], v[95:96]
	ds_read_b128 v[95:98], v94 offset:688
	ds_read_b128 v[99:102], v94 offset:704
	s_waitcnt vmcnt(12) lgkmcnt(1)
	v_fma_f64 v[95:96], v[111:112], v[95:96], v[103:104]
	s_waitcnt vmcnt(10)
	v_fma_f64 v[95:96], v[113:114], v[97:98], v[95:96]
	s_waitcnt vmcnt(8) lgkmcnt(0)
	v_fma_f64 v[95:96], v[115:116], v[99:100], v[95:96]
	s_waitcnt vmcnt(4)
	v_fma_f64 v[98:99], v[117:118], v[101:102], v[95:96]
	ds_read_b128 v[94:97], v94 offset:720
	s_waitcnt vmcnt(3) lgkmcnt(0)
	v_fma_f64 v[94:95], v[121:122], v[94:95], v[98:99]
	s_waitcnt vmcnt(2)
	v_fma_f64 v[94:95], v[119:120], v[96:97], v[94:95]
	s_waitcnt vmcnt(0)
	v_add_f64 v[94:95], v[123:124], -v[94:95]
	buffer_store_dword v94, off, s[0:3], 0 offset:280
	buffer_store_dword v95, off, s[0:3], 0 offset:284
	v_cmpx_lt_u32_e32 34, v0
	s_cbranch_execz .LBB109_217
; %bb.216:
	s_clause 0x1
	buffer_load_dword v94, off, s[0:3], 0 offset:272
	buffer_load_dword v95, off, s[0:3], 0 offset:276
	v_mov_b32_e32 v96, 0
	buffer_store_dword v96, off, s[0:3], 0 offset:272
	buffer_store_dword v96, off, s[0:3], 0 offset:276
	s_waitcnt vmcnt(0)
	ds_write_b64 v93, v[94:95]
.LBB109_217:
	s_or_b32 exec_lo, exec_lo, s4
	s_waitcnt lgkmcnt(0)
	s_waitcnt_vscnt null, 0x0
	s_barrier
	buffer_gl0_inv
	s_clause 0x17
	buffer_load_dword v99, off, s[0:3], 0 offset:280
	buffer_load_dword v100, off, s[0:3], 0 offset:284
	;; [unrolled: 1-line block ×24, first 2 shown]
	v_mov_b32_e32 v94, 0
	s_mov_b32 s4, exec_lo
	ds_read2_b64 v[95:98], v94 offset0:81 offset1:82
	s_waitcnt vmcnt(22) lgkmcnt(0)
	v_fma_f64 v[95:96], v[99:100], v[95:96], 0
	s_waitcnt vmcnt(20)
	v_fma_f64 v[99:100], v[101:102], v[97:98], v[95:96]
	ds_read2_b64 v[95:98], v94 offset0:83 offset1:84
	s_waitcnt vmcnt(18) lgkmcnt(0)
	v_fma_f64 v[95:96], v[103:104], v[95:96], v[99:100]
	s_waitcnt vmcnt(16)
	v_fma_f64 v[99:100], v[105:106], v[97:98], v[95:96]
	;; [unrolled: 5-line block ×5, first 2 shown]
	ds_read_b64 v[97:98], v94 offset:728
	s_waitcnt vmcnt(2) lgkmcnt(0)
	v_fma_f64 v[95:96], v[119:120], v[97:98], v[95:96]
	s_waitcnt vmcnt(0)
	v_add_f64 v[95:96], v[121:122], -v[95:96]
	buffer_store_dword v96, off, s[0:3], 0 offset:276
	buffer_store_dword v95, off, s[0:3], 0 offset:272
	v_cmpx_lt_u32_e32 33, v0
	s_cbranch_execz .LBB109_219
; %bb.218:
	s_clause 0x1
	buffer_load_dword v95, off, s[0:3], 0 offset:264
	buffer_load_dword v96, off, s[0:3], 0 offset:268
	buffer_store_dword v94, off, s[0:3], 0 offset:264
	buffer_store_dword v94, off, s[0:3], 0 offset:268
	s_waitcnt vmcnt(0)
	ds_write_b64 v93, v[95:96]
.LBB109_219:
	s_or_b32 exec_lo, exec_lo, s4
	s_waitcnt lgkmcnt(0)
	s_waitcnt_vscnt null, 0x0
	s_barrier
	buffer_gl0_inv
	s_clause 0x19
	buffer_load_dword v99, off, s[0:3], 0 offset:272
	buffer_load_dword v100, off, s[0:3], 0 offset:276
	;; [unrolled: 1-line block ×26, first 2 shown]
	ds_read_b128 v[95:98], v94 offset:640
	s_mov_b32 s4, exec_lo
	s_waitcnt vmcnt(24) lgkmcnt(0)
	v_fma_f64 v[95:96], v[99:100], v[95:96], 0
	s_waitcnt vmcnt(22)
	v_fma_f64 v[99:100], v[101:102], v[97:98], v[95:96]
	ds_read_b128 v[95:98], v94 offset:656
	s_waitcnt vmcnt(20) lgkmcnt(0)
	v_fma_f64 v[95:96], v[103:104], v[95:96], v[99:100]
	s_waitcnt vmcnt(18)
	v_fma_f64 v[99:100], v[105:106], v[97:98], v[95:96]
	ds_read_b128 v[95:98], v94 offset:672
	;; [unrolled: 5-line block ×5, first 2 shown]
	s_waitcnt vmcnt(4) lgkmcnt(0)
	v_fma_f64 v[94:95], v[119:120], v[94:95], v[98:99]
	s_waitcnt vmcnt(2)
	v_fma_f64 v[94:95], v[121:122], v[96:97], v[94:95]
	s_waitcnt vmcnt(0)
	v_add_f64 v[94:95], v[123:124], -v[94:95]
	buffer_store_dword v95, off, s[0:3], 0 offset:268
	buffer_store_dword v94, off, s[0:3], 0 offset:264
	v_cmpx_lt_u32_e32 32, v0
	s_cbranch_execz .LBB109_221
; %bb.220:
	s_clause 0x1
	buffer_load_dword v94, off, s[0:3], 0 offset:256
	buffer_load_dword v95, off, s[0:3], 0 offset:260
	v_mov_b32_e32 v96, 0
	buffer_store_dword v96, off, s[0:3], 0 offset:256
	buffer_store_dword v96, off, s[0:3], 0 offset:260
	s_waitcnt vmcnt(0)
	ds_write_b64 v93, v[94:95]
.LBB109_221:
	s_or_b32 exec_lo, exec_lo, s4
	s_waitcnt lgkmcnt(0)
	s_waitcnt_vscnt null, 0x0
	s_barrier
	buffer_gl0_inv
	s_clause 0x1b
	buffer_load_dword v99, off, s[0:3], 0 offset:264
	buffer_load_dword v100, off, s[0:3], 0 offset:268
	;; [unrolled: 1-line block ×28, first 2 shown]
	v_mov_b32_e32 v94, 0
	s_mov_b32 s4, exec_lo
	ds_read2_b64 v[95:98], v94 offset0:79 offset1:80
	s_waitcnt vmcnt(26) lgkmcnt(0)
	v_fma_f64 v[95:96], v[99:100], v[95:96], 0
	s_waitcnt vmcnt(24)
	v_fma_f64 v[99:100], v[101:102], v[97:98], v[95:96]
	ds_read2_b64 v[95:98], v94 offset0:81 offset1:82
	s_waitcnt vmcnt(22) lgkmcnt(0)
	v_fma_f64 v[95:96], v[103:104], v[95:96], v[99:100]
	s_waitcnt vmcnt(20)
	v_fma_f64 v[99:100], v[105:106], v[97:98], v[95:96]
	;; [unrolled: 5-line block ×6, first 2 shown]
	ds_read_b64 v[97:98], v94 offset:728
	s_waitcnt vmcnt(2) lgkmcnt(0)
	v_fma_f64 v[95:96], v[123:124], v[97:98], v[95:96]
	s_waitcnt vmcnt(0)
	v_add_f64 v[95:96], v[125:126], -v[95:96]
	buffer_store_dword v96, off, s[0:3], 0 offset:260
	buffer_store_dword v95, off, s[0:3], 0 offset:256
	v_cmpx_lt_u32_e32 31, v0
	s_cbranch_execz .LBB109_223
; %bb.222:
	s_clause 0x1
	buffer_load_dword v95, off, s[0:3], 0 offset:248
	buffer_load_dword v96, off, s[0:3], 0 offset:252
	buffer_store_dword v94, off, s[0:3], 0 offset:248
	buffer_store_dword v94, off, s[0:3], 0 offset:252
	s_waitcnt vmcnt(0)
	ds_write_b64 v93, v[95:96]
.LBB109_223:
	s_or_b32 exec_lo, exec_lo, s4
	s_waitcnt lgkmcnt(0)
	s_waitcnt_vscnt null, 0x0
	s_barrier
	buffer_gl0_inv
	s_clause 0x1b
	buffer_load_dword v103, off, s[0:3], 0 offset:256
	buffer_load_dword v104, off, s[0:3], 0 offset:260
	;; [unrolled: 1-line block ×28, first 2 shown]
	ds_read_b128 v[95:98], v94 offset:624
	s_clause 0x1
	buffer_load_dword v131, off, s[0:3], 0 offset:248
	buffer_load_dword v132, off, s[0:3], 0 offset:252
	ds_read_b128 v[99:102], v94 offset:640
	s_mov_b32 s4, exec_lo
	s_waitcnt vmcnt(28) lgkmcnt(1)
	v_fma_f64 v[95:96], v[103:104], v[95:96], 0
	s_waitcnt vmcnt(26)
	v_fma_f64 v[95:96], v[105:106], v[97:98], v[95:96]
	s_waitcnt vmcnt(24) lgkmcnt(0)
	v_fma_f64 v[95:96], v[107:108], v[99:100], v[95:96]
	s_waitcnt vmcnt(22)
	v_fma_f64 v[103:104], v[109:110], v[101:102], v[95:96]
	ds_read_b128 v[95:98], v94 offset:656
	ds_read_b128 v[99:102], v94 offset:672
	s_waitcnt vmcnt(20) lgkmcnt(1)
	v_fma_f64 v[95:96], v[111:112], v[95:96], v[103:104]
	s_waitcnt vmcnt(18)
	v_fma_f64 v[95:96], v[113:114], v[97:98], v[95:96]
	s_waitcnt vmcnt(16) lgkmcnt(0)
	v_fma_f64 v[95:96], v[115:116], v[99:100], v[95:96]
	s_waitcnt vmcnt(11)
	v_fma_f64 v[103:104], v[117:118], v[101:102], v[95:96]
	ds_read_b128 v[95:98], v94 offset:688
	ds_read_b128 v[99:102], v94 offset:704
	s_waitcnt vmcnt(10) lgkmcnt(1)
	v_fma_f64 v[95:96], v[123:124], v[95:96], v[103:104]
	s_waitcnt vmcnt(9)
	v_fma_f64 v[95:96], v[121:122], v[97:98], v[95:96]
	s_waitcnt vmcnt(8) lgkmcnt(0)
	v_fma_f64 v[95:96], v[119:120], v[99:100], v[95:96]
	s_waitcnt vmcnt(4)
	v_fma_f64 v[98:99], v[125:126], v[101:102], v[95:96]
	ds_read_b128 v[94:97], v94 offset:720
	s_waitcnt vmcnt(3) lgkmcnt(0)
	v_fma_f64 v[94:95], v[129:130], v[94:95], v[98:99]
	s_waitcnt vmcnt(2)
	v_fma_f64 v[94:95], v[127:128], v[96:97], v[94:95]
	s_waitcnt vmcnt(0)
	v_add_f64 v[94:95], v[131:132], -v[94:95]
	buffer_store_dword v95, off, s[0:3], 0 offset:252
	buffer_store_dword v94, off, s[0:3], 0 offset:248
	v_cmpx_lt_u32_e32 30, v0
	s_cbranch_execz .LBB109_225
; %bb.224:
	s_clause 0x1
	buffer_load_dword v94, off, s[0:3], 0 offset:240
	buffer_load_dword v95, off, s[0:3], 0 offset:244
	v_mov_b32_e32 v96, 0
	buffer_store_dword v96, off, s[0:3], 0 offset:240
	buffer_store_dword v96, off, s[0:3], 0 offset:244
	s_waitcnt vmcnt(0)
	ds_write_b64 v93, v[94:95]
.LBB109_225:
	s_or_b32 exec_lo, exec_lo, s4
	s_waitcnt lgkmcnt(0)
	s_waitcnt_vscnt null, 0x0
	s_barrier
	buffer_gl0_inv
	s_clause 0x1c
	buffer_load_dword v103, off, s[0:3], 0 offset:248
	buffer_load_dword v104, off, s[0:3], 0 offset:252
	;; [unrolled: 1-line block ×29, first 2 shown]
	v_mov_b32_e32 v94, 0
	buffer_load_dword v128, off, s[0:3], 0 offset:364
	s_mov_b32 s4, exec_lo
	ds_read2_b64 v[95:98], v94 offset0:77 offset1:78
	ds_read2_b64 v[99:102], v94 offset0:79 offset1:80
	s_waitcnt vmcnt(28) lgkmcnt(1)
	v_fma_f64 v[95:96], v[103:104], v[95:96], 0
	s_clause 0x1
	buffer_load_dword v103, off, s[0:3], 0 offset:240
	buffer_load_dword v104, off, s[0:3], 0 offset:244
	s_waitcnt vmcnt(28)
	v_fma_f64 v[95:96], v[105:106], v[97:98], v[95:96]
	s_waitcnt vmcnt(26) lgkmcnt(0)
	v_fma_f64 v[95:96], v[107:108], v[99:100], v[95:96]
	s_waitcnt vmcnt(24)
	v_fma_f64 v[105:106], v[109:110], v[101:102], v[95:96]
	ds_read2_b64 v[95:98], v94 offset0:81 offset1:82
	ds_read2_b64 v[99:102], v94 offset0:83 offset1:84
	s_waitcnt vmcnt(22) lgkmcnt(1)
	v_fma_f64 v[95:96], v[111:112], v[95:96], v[105:106]
	s_waitcnt vmcnt(20)
	v_fma_f64 v[95:96], v[113:114], v[97:98], v[95:96]
	s_waitcnt vmcnt(18) lgkmcnt(0)
	v_fma_f64 v[95:96], v[115:116], v[99:100], v[95:96]
	s_waitcnt vmcnt(13)
	v_fma_f64 v[105:106], v[117:118], v[101:102], v[95:96]
	ds_read2_b64 v[95:98], v94 offset0:85 offset1:86
	ds_read2_b64 v[99:102], v94 offset0:87 offset1:88
	s_waitcnt vmcnt(12) lgkmcnt(1)
	v_fma_f64 v[95:96], v[123:124], v[95:96], v[105:106]
	s_waitcnt vmcnt(11)
	v_fma_f64 v[95:96], v[121:122], v[97:98], v[95:96]
	s_waitcnt vmcnt(10) lgkmcnt(0)
	v_fma_f64 v[95:96], v[119:120], v[99:100], v[95:96]
	s_waitcnt vmcnt(5)
	v_fma_f64 v[99:100], v[125:126], v[101:102], v[95:96]
	ds_read2_b64 v[95:98], v94 offset0:89 offset1:90
	ds_read_b64 v[101:102], v94 offset:728
	s_waitcnt vmcnt(4) lgkmcnt(1)
	v_fma_f64 v[95:96], v[131:132], v[95:96], v[99:100]
	s_waitcnt vmcnt(3)
	v_fma_f64 v[95:96], v[129:130], v[97:98], v[95:96]
	s_waitcnt vmcnt(2) lgkmcnt(0)
	v_fma_f64 v[95:96], v[127:128], v[101:102], v[95:96]
	s_waitcnt vmcnt(0)
	v_add_f64 v[95:96], v[103:104], -v[95:96]
	buffer_store_dword v96, off, s[0:3], 0 offset:244
	buffer_store_dword v95, off, s[0:3], 0 offset:240
	v_cmpx_lt_u32_e32 29, v0
	s_cbranch_execz .LBB109_227
; %bb.226:
	s_clause 0x1
	buffer_load_dword v95, off, s[0:3], 0 offset:232
	buffer_load_dword v96, off, s[0:3], 0 offset:236
	buffer_store_dword v94, off, s[0:3], 0 offset:232
	buffer_store_dword v94, off, s[0:3], 0 offset:236
	s_waitcnt vmcnt(0)
	ds_write_b64 v93, v[95:96]
.LBB109_227:
	s_or_b32 exec_lo, exec_lo, s4
	s_waitcnt lgkmcnt(0)
	s_waitcnt_vscnt null, 0x0
	s_barrier
	buffer_gl0_inv
	s_clause 0x1c
	buffer_load_dword v103, off, s[0:3], 0 offset:240
	buffer_load_dword v104, off, s[0:3], 0 offset:244
	;; [unrolled: 1-line block ×29, first 2 shown]
	ds_read_b128 v[95:98], v94 offset:608
	ds_read_b128 v[99:102], v94 offset:624
	buffer_load_dword v128, off, s[0:3], 0 offset:356
	s_mov_b32 s4, exec_lo
	s_waitcnt vmcnt(28) lgkmcnt(1)
	v_fma_f64 v[95:96], v[103:104], v[95:96], 0
	s_clause 0x1
	buffer_load_dword v104, off, s[0:3], 0 offset:364
	buffer_load_dword v103, off, s[0:3], 0 offset:360
	s_waitcnt vmcnt(28)
	v_fma_f64 v[95:96], v[105:106], v[97:98], v[95:96]
	s_clause 0x1
	buffer_load_dword v105, off, s[0:3], 0 offset:232
	buffer_load_dword v106, off, s[0:3], 0 offset:236
	s_waitcnt vmcnt(28) lgkmcnt(0)
	v_fma_f64 v[95:96], v[107:108], v[99:100], v[95:96]
	s_waitcnt vmcnt(26)
	v_fma_f64 v[107:108], v[109:110], v[101:102], v[95:96]
	ds_read_b128 v[95:98], v94 offset:640
	ds_read_b128 v[99:102], v94 offset:656
	s_waitcnt vmcnt(24) lgkmcnt(1)
	v_fma_f64 v[95:96], v[111:112], v[95:96], v[107:108]
	s_waitcnt vmcnt(22)
	v_fma_f64 v[95:96], v[113:114], v[97:98], v[95:96]
	s_waitcnt vmcnt(20) lgkmcnt(0)
	v_fma_f64 v[95:96], v[115:116], v[99:100], v[95:96]
	s_waitcnt vmcnt(15)
	v_fma_f64 v[107:108], v[117:118], v[101:102], v[95:96]
	ds_read_b128 v[95:98], v94 offset:672
	ds_read_b128 v[99:102], v94 offset:688
	s_waitcnt vmcnt(14) lgkmcnt(1)
	v_fma_f64 v[95:96], v[123:124], v[95:96], v[107:108]
	s_waitcnt vmcnt(13)
	v_fma_f64 v[95:96], v[121:122], v[97:98], v[95:96]
	;; [unrolled: 10-line block ×3, first 2 shown]
	s_waitcnt vmcnt(4) lgkmcnt(0)
	v_fma_f64 v[94:95], v[127:128], v[99:100], v[94:95]
	s_waitcnt vmcnt(2)
	v_fma_f64 v[94:95], v[103:104], v[101:102], v[94:95]
	s_waitcnt vmcnt(0)
	v_add_f64 v[94:95], v[105:106], -v[94:95]
	buffer_store_dword v95, off, s[0:3], 0 offset:236
	buffer_store_dword v94, off, s[0:3], 0 offset:232
	v_cmpx_lt_u32_e32 28, v0
	s_cbranch_execz .LBB109_229
; %bb.228:
	s_clause 0x1
	buffer_load_dword v94, off, s[0:3], 0 offset:224
	buffer_load_dword v95, off, s[0:3], 0 offset:228
	v_mov_b32_e32 v96, 0
	buffer_store_dword v96, off, s[0:3], 0 offset:224
	buffer_store_dword v96, off, s[0:3], 0 offset:228
	s_waitcnt vmcnt(0)
	ds_write_b64 v93, v[94:95]
.LBB109_229:
	s_or_b32 exec_lo, exec_lo, s4
	s_waitcnt lgkmcnt(0)
	s_waitcnt_vscnt null, 0x0
	s_barrier
	buffer_gl0_inv
	s_clause 0x1c
	buffer_load_dword v103, off, s[0:3], 0 offset:232
	buffer_load_dword v104, off, s[0:3], 0 offset:236
	;; [unrolled: 1-line block ×29, first 2 shown]
	v_mov_b32_e32 v94, 0
	buffer_load_dword v128, off, s[0:3], 0 offset:348
	s_mov_b32 s4, exec_lo
	ds_read2_b64 v[95:98], v94 offset0:75 offset1:76
	ds_read2_b64 v[99:102], v94 offset0:77 offset1:78
	s_waitcnt vmcnt(28) lgkmcnt(1)
	v_fma_f64 v[95:96], v[103:104], v[95:96], 0
	s_clause 0x3
	buffer_load_dword v104, off, s[0:3], 0 offset:356
	buffer_load_dword v133, off, s[0:3], 0 offset:360
	;; [unrolled: 1-line block ×4, first 2 shown]
	s_waitcnt vmcnt(30)
	v_fma_f64 v[95:96], v[105:106], v[97:98], v[95:96]
	s_clause 0x1
	buffer_load_dword v105, off, s[0:3], 0 offset:224
	buffer_load_dword v106, off, s[0:3], 0 offset:228
	s_waitcnt vmcnt(30) lgkmcnt(0)
	v_fma_f64 v[95:96], v[107:108], v[99:100], v[95:96]
	s_waitcnt vmcnt(28)
	v_fma_f64 v[107:108], v[109:110], v[101:102], v[95:96]
	ds_read2_b64 v[95:98], v94 offset0:79 offset1:80
	ds_read2_b64 v[99:102], v94 offset0:81 offset1:82
	s_waitcnt vmcnt(26) lgkmcnt(1)
	v_fma_f64 v[95:96], v[111:112], v[95:96], v[107:108]
	s_waitcnt vmcnt(24)
	v_fma_f64 v[95:96], v[113:114], v[97:98], v[95:96]
	s_waitcnt vmcnt(22) lgkmcnt(0)
	v_fma_f64 v[95:96], v[115:116], v[99:100], v[95:96]
	s_waitcnt vmcnt(17)
	v_fma_f64 v[107:108], v[117:118], v[101:102], v[95:96]
	ds_read2_b64 v[95:98], v94 offset0:83 offset1:84
	ds_read2_b64 v[99:102], v94 offset0:85 offset1:86
	s_waitcnt vmcnt(16) lgkmcnt(1)
	v_fma_f64 v[95:96], v[123:124], v[95:96], v[107:108]
	s_waitcnt vmcnt(15)
	v_fma_f64 v[95:96], v[121:122], v[97:98], v[95:96]
	;; [unrolled: 10-line block ×3, first 2 shown]
	ds_read_b64 v[97:98], v94 offset:728
	s_waitcnt vmcnt(6) lgkmcnt(1)
	v_fma_f64 v[95:96], v[127:128], v[99:100], v[95:96]
	s_waitcnt vmcnt(3)
	v_fma_f64 v[95:96], v[103:104], v[101:102], v[95:96]
	s_waitcnt vmcnt(2) lgkmcnt(0)
	v_fma_f64 v[95:96], v[133:134], v[97:98], v[95:96]
	s_waitcnt vmcnt(0)
	v_add_f64 v[95:96], v[105:106], -v[95:96]
	buffer_store_dword v96, off, s[0:3], 0 offset:228
	buffer_store_dword v95, off, s[0:3], 0 offset:224
	v_cmpx_lt_u32_e32 27, v0
	s_cbranch_execz .LBB109_231
; %bb.230:
	s_clause 0x1
	buffer_load_dword v95, off, s[0:3], 0 offset:216
	buffer_load_dword v96, off, s[0:3], 0 offset:220
	buffer_store_dword v94, off, s[0:3], 0 offset:216
	buffer_store_dword v94, off, s[0:3], 0 offset:220
	s_waitcnt vmcnt(0)
	ds_write_b64 v93, v[95:96]
.LBB109_231:
	s_or_b32 exec_lo, exec_lo, s4
	s_waitcnt lgkmcnt(0)
	s_waitcnt_vscnt null, 0x0
	s_barrier
	buffer_gl0_inv
	s_clause 0x1c
	buffer_load_dword v103, off, s[0:3], 0 offset:224
	buffer_load_dword v104, off, s[0:3], 0 offset:228
	;; [unrolled: 1-line block ×29, first 2 shown]
	ds_read_b128 v[95:98], v94 offset:592
	ds_read_b128 v[99:102], v94 offset:608
	buffer_load_dword v128, off, s[0:3], 0 offset:340
	s_mov_b32 s4, exec_lo
	s_waitcnt vmcnt(28) lgkmcnt(1)
	v_fma_f64 v[95:96], v[103:104], v[95:96], 0
	s_clause 0x5
	buffer_load_dword v104, off, s[0:3], 0 offset:348
	buffer_load_dword v133, off, s[0:3], 0 offset:360
	;; [unrolled: 1-line block ×6, first 2 shown]
	s_waitcnt vmcnt(32)
	v_fma_f64 v[95:96], v[105:106], v[97:98], v[95:96]
	s_waitcnt vmcnt(30) lgkmcnt(0)
	v_fma_f64 v[95:96], v[107:108], v[99:100], v[95:96]
	s_waitcnt vmcnt(28)
	v_fma_f64 v[105:106], v[109:110], v[101:102], v[95:96]
	ds_read_b128 v[95:98], v94 offset:624
	s_clause 0x1
	buffer_load_dword v107, off, s[0:3], 0 offset:216
	buffer_load_dword v108, off, s[0:3], 0 offset:220
	ds_read_b128 v[99:102], v94 offset:640
	s_waitcnt vmcnt(28) lgkmcnt(1)
	v_fma_f64 v[95:96], v[111:112], v[95:96], v[105:106]
	s_waitcnt vmcnt(26)
	v_fma_f64 v[95:96], v[113:114], v[97:98], v[95:96]
	s_waitcnt vmcnt(24) lgkmcnt(0)
	v_fma_f64 v[95:96], v[115:116], v[99:100], v[95:96]
	s_waitcnt vmcnt(19)
	v_fma_f64 v[105:106], v[117:118], v[101:102], v[95:96]
	ds_read_b128 v[95:98], v94 offset:656
	ds_read_b128 v[99:102], v94 offset:672
	s_waitcnt vmcnt(18) lgkmcnt(1)
	v_fma_f64 v[95:96], v[123:124], v[95:96], v[105:106]
	s_waitcnt vmcnt(17)
	v_fma_f64 v[95:96], v[121:122], v[97:98], v[95:96]
	s_waitcnt vmcnt(16) lgkmcnt(0)
	v_fma_f64 v[95:96], v[119:120], v[99:100], v[95:96]
	s_waitcnt vmcnt(11)
	v_fma_f64 v[105:106], v[125:126], v[101:102], v[95:96]
	ds_read_b128 v[95:98], v94 offset:688
	;; [unrolled: 10-line block ×3, first 2 shown]
	s_waitcnt vmcnt(3) lgkmcnt(0)
	v_fma_f64 v[94:95], v[135:136], v[94:95], v[98:99]
	s_waitcnt vmcnt(2)
	v_fma_f64 v[94:95], v[133:134], v[96:97], v[94:95]
	s_waitcnt vmcnt(0)
	v_add_f64 v[94:95], v[107:108], -v[94:95]
	buffer_store_dword v95, off, s[0:3], 0 offset:220
	buffer_store_dword v94, off, s[0:3], 0 offset:216
	v_cmpx_lt_u32_e32 26, v0
	s_cbranch_execz .LBB109_233
; %bb.232:
	s_clause 0x1
	buffer_load_dword v94, off, s[0:3], 0 offset:208
	buffer_load_dword v95, off, s[0:3], 0 offset:212
	v_mov_b32_e32 v96, 0
	buffer_store_dword v96, off, s[0:3], 0 offset:208
	buffer_store_dword v96, off, s[0:3], 0 offset:212
	s_waitcnt vmcnt(0)
	ds_write_b64 v93, v[94:95]
.LBB109_233:
	s_or_b32 exec_lo, exec_lo, s4
	s_waitcnt lgkmcnt(0)
	s_waitcnt_vscnt null, 0x0
	s_barrier
	buffer_gl0_inv
	s_clause 0x1c
	buffer_load_dword v103, off, s[0:3], 0 offset:216
	buffer_load_dword v104, off, s[0:3], 0 offset:220
	;; [unrolled: 1-line block ×29, first 2 shown]
	v_mov_b32_e32 v94, 0
	buffer_load_dword v128, off, s[0:3], 0 offset:332
	s_mov_b32 s4, exec_lo
	ds_read2_b64 v[95:98], v94 offset0:73 offset1:74
	ds_read2_b64 v[99:102], v94 offset0:75 offset1:76
	s_waitcnt vmcnt(28) lgkmcnt(1)
	v_fma_f64 v[95:96], v[103:104], v[95:96], 0
	s_clause 0x7
	buffer_load_dword v104, off, s[0:3], 0 offset:340
	buffer_load_dword v133, off, s[0:3], 0 offset:360
	buffer_load_dword v135, off, s[0:3], 0 offset:352
	buffer_load_dword v137, off, s[0:3], 0 offset:344
	buffer_load_dword v103, off, s[0:3], 0 offset:336
	buffer_load_dword v138, off, s[0:3], 0 offset:348
	buffer_load_dword v136, off, s[0:3], 0 offset:356
	buffer_load_dword v134, off, s[0:3], 0 offset:364
	s_waitcnt vmcnt(34)
	v_fma_f64 v[95:96], v[105:106], v[97:98], v[95:96]
	s_waitcnt vmcnt(32) lgkmcnt(0)
	v_fma_f64 v[95:96], v[107:108], v[99:100], v[95:96]
	s_waitcnt vmcnt(30)
	v_fma_f64 v[105:106], v[109:110], v[101:102], v[95:96]
	ds_read2_b64 v[95:98], v94 offset0:77 offset1:78
	ds_read2_b64 v[99:102], v94 offset0:79 offset1:80
	s_waitcnt vmcnt(28) lgkmcnt(1)
	v_fma_f64 v[95:96], v[111:112], v[95:96], v[105:106]
	s_clause 0x1
	buffer_load_dword v105, off, s[0:3], 0 offset:208
	buffer_load_dword v106, off, s[0:3], 0 offset:212
	s_waitcnt vmcnt(28)
	v_fma_f64 v[95:96], v[113:114], v[97:98], v[95:96]
	s_waitcnt vmcnt(26) lgkmcnt(0)
	v_fma_f64 v[95:96], v[115:116], v[99:100], v[95:96]
	s_waitcnt vmcnt(21)
	v_fma_f64 v[107:108], v[117:118], v[101:102], v[95:96]
	ds_read2_b64 v[95:98], v94 offset0:81 offset1:82
	ds_read2_b64 v[99:102], v94 offset0:83 offset1:84
	s_waitcnt vmcnt(20) lgkmcnt(1)
	v_fma_f64 v[95:96], v[123:124], v[95:96], v[107:108]
	s_waitcnt vmcnt(19)
	v_fma_f64 v[95:96], v[121:122], v[97:98], v[95:96]
	s_waitcnt vmcnt(18) lgkmcnt(0)
	v_fma_f64 v[95:96], v[119:120], v[99:100], v[95:96]
	s_waitcnt vmcnt(13)
	v_fma_f64 v[107:108], v[125:126], v[101:102], v[95:96]
	ds_read2_b64 v[95:98], v94 offset0:85 offset1:86
	ds_read2_b64 v[99:102], v94 offset0:87 offset1:88
	s_waitcnt vmcnt(12) lgkmcnt(1)
	v_fma_f64 v[95:96], v[131:132], v[95:96], v[107:108]
	s_waitcnt vmcnt(11)
	v_fma_f64 v[95:96], v[129:130], v[97:98], v[95:96]
	s_waitcnt vmcnt(10) lgkmcnt(0)
	v_fma_f64 v[95:96], v[127:128], v[99:100], v[95:96]
	s_waitcnt vmcnt(5)
	v_fma_f64 v[99:100], v[103:104], v[101:102], v[95:96]
	ds_read2_b64 v[95:98], v94 offset0:89 offset1:90
	ds_read_b64 v[101:102], v94 offset:728
	s_waitcnt vmcnt(4) lgkmcnt(1)
	v_fma_f64 v[95:96], v[137:138], v[95:96], v[99:100]
	s_waitcnt vmcnt(3)
	v_fma_f64 v[95:96], v[135:136], v[97:98], v[95:96]
	s_waitcnt vmcnt(2) lgkmcnt(0)
	v_fma_f64 v[95:96], v[133:134], v[101:102], v[95:96]
	s_waitcnt vmcnt(0)
	v_add_f64 v[95:96], v[105:106], -v[95:96]
	buffer_store_dword v96, off, s[0:3], 0 offset:212
	buffer_store_dword v95, off, s[0:3], 0 offset:208
	v_cmpx_lt_u32_e32 25, v0
	s_cbranch_execz .LBB109_235
; %bb.234:
	s_clause 0x1
	buffer_load_dword v95, off, s[0:3], 0 offset:200
	buffer_load_dword v96, off, s[0:3], 0 offset:204
	buffer_store_dword v94, off, s[0:3], 0 offset:200
	buffer_store_dword v94, off, s[0:3], 0 offset:204
	s_waitcnt vmcnt(0)
	ds_write_b64 v93, v[95:96]
.LBB109_235:
	s_or_b32 exec_lo, exec_lo, s4
	s_waitcnt lgkmcnt(0)
	s_waitcnt_vscnt null, 0x0
	s_barrier
	buffer_gl0_inv
	s_clause 0x1c
	buffer_load_dword v103, off, s[0:3], 0 offset:208
	buffer_load_dword v104, off, s[0:3], 0 offset:212
	;; [unrolled: 1-line block ×29, first 2 shown]
	ds_read_b128 v[95:98], v94 offset:576
	ds_read_b128 v[99:102], v94 offset:592
	buffer_load_dword v128, off, s[0:3], 0 offset:324
	s_mov_b32 s4, exec_lo
	s_waitcnt vmcnt(28) lgkmcnt(1)
	v_fma_f64 v[95:96], v[103:104], v[95:96], 0
	s_clause 0x7
	buffer_load_dword v104, off, s[0:3], 0 offset:332
	buffer_load_dword v133, off, s[0:3], 0 offset:352
	buffer_load_dword v135, off, s[0:3], 0 offset:344
	buffer_load_dword v137, off, s[0:3], 0 offset:336
	buffer_load_dword v103, off, s[0:3], 0 offset:328
	buffer_load_dword v138, off, s[0:3], 0 offset:340
	buffer_load_dword v136, off, s[0:3], 0 offset:348
	buffer_load_dword v134, off, s[0:3], 0 offset:356
	s_waitcnt vmcnt(34)
	v_fma_f64 v[95:96], v[105:106], v[97:98], v[95:96]
	s_waitcnt vmcnt(32) lgkmcnt(0)
	v_fma_f64 v[95:96], v[107:108], v[99:100], v[95:96]
	s_waitcnt vmcnt(30)
	v_fma_f64 v[105:106], v[109:110], v[101:102], v[95:96]
	ds_read_b128 v[95:98], v94 offset:608
	ds_read_b128 v[99:102], v94 offset:624
	s_waitcnt vmcnt(28) lgkmcnt(1)
	v_fma_f64 v[95:96], v[111:112], v[95:96], v[105:106]
	s_clause 0x3
	buffer_load_dword v106, off, s[0:3], 0 offset:364
	buffer_load_dword v105, off, s[0:3], 0 offset:360
	;; [unrolled: 1-line block ×4, first 2 shown]
	s_waitcnt vmcnt(30)
	v_fma_f64 v[95:96], v[113:114], v[97:98], v[95:96]
	s_waitcnt vmcnt(28) lgkmcnt(0)
	v_fma_f64 v[95:96], v[115:116], v[99:100], v[95:96]
	s_waitcnt vmcnt(23)
	v_fma_f64 v[109:110], v[117:118], v[101:102], v[95:96]
	ds_read_b128 v[95:98], v94 offset:640
	ds_read_b128 v[99:102], v94 offset:656
	s_waitcnt vmcnt(22) lgkmcnt(1)
	v_fma_f64 v[95:96], v[123:124], v[95:96], v[109:110]
	s_waitcnt vmcnt(21)
	v_fma_f64 v[95:96], v[121:122], v[97:98], v[95:96]
	s_waitcnt vmcnt(20) lgkmcnt(0)
	v_fma_f64 v[95:96], v[119:120], v[99:100], v[95:96]
	s_waitcnt vmcnt(15)
	v_fma_f64 v[109:110], v[125:126], v[101:102], v[95:96]
	ds_read_b128 v[95:98], v94 offset:672
	ds_read_b128 v[99:102], v94 offset:688
	s_waitcnt vmcnt(14) lgkmcnt(1)
	v_fma_f64 v[95:96], v[131:132], v[95:96], v[109:110]
	;; [unrolled: 10-line block ×3, first 2 shown]
	s_waitcnt vmcnt(5)
	v_fma_f64 v[94:95], v[135:136], v[97:98], v[94:95]
	s_waitcnt vmcnt(4) lgkmcnt(0)
	v_fma_f64 v[94:95], v[133:134], v[99:100], v[94:95]
	s_waitcnt vmcnt(2)
	v_fma_f64 v[94:95], v[105:106], v[101:102], v[94:95]
	s_waitcnt vmcnt(0)
	v_add_f64 v[94:95], v[107:108], -v[94:95]
	buffer_store_dword v95, off, s[0:3], 0 offset:204
	buffer_store_dword v94, off, s[0:3], 0 offset:200
	v_cmpx_lt_u32_e32 24, v0
	s_cbranch_execz .LBB109_237
; %bb.236:
	s_clause 0x1
	buffer_load_dword v94, off, s[0:3], 0 offset:192
	buffer_load_dword v95, off, s[0:3], 0 offset:196
	v_mov_b32_e32 v96, 0
	buffer_store_dword v96, off, s[0:3], 0 offset:192
	buffer_store_dword v96, off, s[0:3], 0 offset:196
	s_waitcnt vmcnt(0)
	ds_write_b64 v93, v[94:95]
.LBB109_237:
	s_or_b32 exec_lo, exec_lo, s4
	s_waitcnt lgkmcnt(0)
	s_waitcnt_vscnt null, 0x0
	s_barrier
	buffer_gl0_inv
	s_clause 0x1c
	buffer_load_dword v103, off, s[0:3], 0 offset:200
	buffer_load_dword v104, off, s[0:3], 0 offset:204
	;; [unrolled: 1-line block ×29, first 2 shown]
	v_mov_b32_e32 v94, 0
	buffer_load_dword v128, off, s[0:3], 0 offset:316
	s_mov_b32 s4, exec_lo
	ds_read2_b64 v[95:98], v94 offset0:71 offset1:72
	ds_read2_b64 v[99:102], v94 offset0:73 offset1:74
	s_waitcnt vmcnt(28) lgkmcnt(1)
	v_fma_f64 v[95:96], v[103:104], v[95:96], 0
	s_clause 0x7
	buffer_load_dword v104, off, s[0:3], 0 offset:324
	buffer_load_dword v133, off, s[0:3], 0 offset:344
	;; [unrolled: 1-line block ×8, first 2 shown]
	s_waitcnt vmcnt(34)
	v_fma_f64 v[95:96], v[105:106], v[97:98], v[95:96]
	s_waitcnt vmcnt(32) lgkmcnt(0)
	v_fma_f64 v[95:96], v[107:108], v[99:100], v[95:96]
	s_waitcnt vmcnt(30)
	v_fma_f64 v[105:106], v[109:110], v[101:102], v[95:96]
	ds_read2_b64 v[95:98], v94 offset0:75 offset1:76
	ds_read2_b64 v[99:102], v94 offset0:77 offset1:78
	s_waitcnt vmcnt(28) lgkmcnt(1)
	v_fma_f64 v[95:96], v[111:112], v[95:96], v[105:106]
	s_clause 0x5
	buffer_load_dword v106, off, s[0:3], 0 offset:356
	buffer_load_dword v107, off, s[0:3], 0 offset:360
	;; [unrolled: 1-line block ×6, first 2 shown]
	s_waitcnt vmcnt(32)
	v_fma_f64 v[95:96], v[113:114], v[97:98], v[95:96]
	s_waitcnt vmcnt(30) lgkmcnt(0)
	v_fma_f64 v[95:96], v[115:116], v[99:100], v[95:96]
	s_waitcnt vmcnt(25)
	v_fma_f64 v[111:112], v[117:118], v[101:102], v[95:96]
	ds_read2_b64 v[95:98], v94 offset0:79 offset1:80
	ds_read2_b64 v[99:102], v94 offset0:81 offset1:82
	s_waitcnt vmcnt(24) lgkmcnt(1)
	v_fma_f64 v[95:96], v[123:124], v[95:96], v[111:112]
	s_waitcnt vmcnt(23)
	v_fma_f64 v[95:96], v[121:122], v[97:98], v[95:96]
	s_waitcnt vmcnt(22) lgkmcnt(0)
	v_fma_f64 v[95:96], v[119:120], v[99:100], v[95:96]
	s_waitcnt vmcnt(17)
	v_fma_f64 v[111:112], v[125:126], v[101:102], v[95:96]
	ds_read2_b64 v[95:98], v94 offset0:83 offset1:84
	ds_read2_b64 v[99:102], v94 offset0:85 offset1:86
	s_waitcnt vmcnt(16) lgkmcnt(1)
	v_fma_f64 v[95:96], v[131:132], v[95:96], v[111:112]
	;; [unrolled: 10-line block ×3, first 2 shown]
	s_waitcnt vmcnt(7)
	v_fma_f64 v[95:96], v[135:136], v[97:98], v[95:96]
	ds_read_b64 v[97:98], v94 offset:728
	s_waitcnt vmcnt(6) lgkmcnt(1)
	v_fma_f64 v[95:96], v[133:134], v[99:100], v[95:96]
	s_waitcnt vmcnt(3)
	v_fma_f64 v[95:96], v[105:106], v[101:102], v[95:96]
	s_waitcnt vmcnt(2) lgkmcnt(0)
	v_fma_f64 v[95:96], v[107:108], v[97:98], v[95:96]
	s_waitcnt vmcnt(0)
	v_add_f64 v[95:96], v[109:110], -v[95:96]
	buffer_store_dword v96, off, s[0:3], 0 offset:196
	buffer_store_dword v95, off, s[0:3], 0 offset:192
	v_cmpx_lt_u32_e32 23, v0
	s_cbranch_execz .LBB109_239
; %bb.238:
	s_clause 0x1
	buffer_load_dword v95, off, s[0:3], 0 offset:184
	buffer_load_dword v96, off, s[0:3], 0 offset:188
	buffer_store_dword v94, off, s[0:3], 0 offset:184
	buffer_store_dword v94, off, s[0:3], 0 offset:188
	s_waitcnt vmcnt(0)
	ds_write_b64 v93, v[95:96]
.LBB109_239:
	s_or_b32 exec_lo, exec_lo, s4
	s_waitcnt lgkmcnt(0)
	s_waitcnt_vscnt null, 0x0
	s_barrier
	buffer_gl0_inv
	s_clause 0x1c
	buffer_load_dword v103, off, s[0:3], 0 offset:192
	buffer_load_dword v104, off, s[0:3], 0 offset:196
	;; [unrolled: 1-line block ×29, first 2 shown]
	ds_read_b128 v[95:98], v94 offset:560
	ds_read_b128 v[99:102], v94 offset:576
	buffer_load_dword v128, off, s[0:3], 0 offset:308
	s_mov_b32 s4, exec_lo
	s_waitcnt vmcnt(28) lgkmcnt(1)
	v_fma_f64 v[95:96], v[103:104], v[95:96], 0
	s_clause 0x7
	buffer_load_dword v104, off, s[0:3], 0 offset:316
	buffer_load_dword v133, off, s[0:3], 0 offset:336
	;; [unrolled: 1-line block ×8, first 2 shown]
	s_waitcnt vmcnt(34)
	v_fma_f64 v[95:96], v[105:106], v[97:98], v[95:96]
	s_waitcnt vmcnt(32) lgkmcnt(0)
	v_fma_f64 v[95:96], v[107:108], v[99:100], v[95:96]
	s_waitcnt vmcnt(30)
	v_fma_f64 v[105:106], v[109:110], v[101:102], v[95:96]
	ds_read_b128 v[95:98], v94 offset:592
	ds_read_b128 v[99:102], v94 offset:608
	s_waitcnt vmcnt(28) lgkmcnt(1)
	v_fma_f64 v[95:96], v[111:112], v[95:96], v[105:106]
	s_clause 0x5
	buffer_load_dword v106, off, s[0:3], 0 offset:348
	buffer_load_dword v107, off, s[0:3], 0 offset:360
	;; [unrolled: 1-line block ×6, first 2 shown]
	s_waitcnt vmcnt(32)
	v_fma_f64 v[95:96], v[113:114], v[97:98], v[95:96]
	s_waitcnt vmcnt(30) lgkmcnt(0)
	v_fma_f64 v[95:96], v[115:116], v[99:100], v[95:96]
	s_waitcnt vmcnt(25)
	v_fma_f64 v[111:112], v[117:118], v[101:102], v[95:96]
	ds_read_b128 v[95:98], v94 offset:624
	s_clause 0x1
	buffer_load_dword v113, off, s[0:3], 0 offset:184
	buffer_load_dword v114, off, s[0:3], 0 offset:188
	ds_read_b128 v[99:102], v94 offset:640
	s_waitcnt vmcnt(26) lgkmcnt(1)
	v_fma_f64 v[95:96], v[123:124], v[95:96], v[111:112]
	s_waitcnt vmcnt(25)
	v_fma_f64 v[95:96], v[121:122], v[97:98], v[95:96]
	s_waitcnt vmcnt(24) lgkmcnt(0)
	v_fma_f64 v[95:96], v[119:120], v[99:100], v[95:96]
	s_waitcnt vmcnt(19)
	v_fma_f64 v[111:112], v[125:126], v[101:102], v[95:96]
	ds_read_b128 v[95:98], v94 offset:656
	ds_read_b128 v[99:102], v94 offset:672
	s_waitcnt vmcnt(18) lgkmcnt(1)
	v_fma_f64 v[95:96], v[131:132], v[95:96], v[111:112]
	s_waitcnt vmcnt(17)
	v_fma_f64 v[95:96], v[129:130], v[97:98], v[95:96]
	s_waitcnt vmcnt(16) lgkmcnt(0)
	v_fma_f64 v[95:96], v[127:128], v[99:100], v[95:96]
	s_waitcnt vmcnt(11)
	v_fma_f64 v[103:104], v[103:104], v[101:102], v[95:96]
	ds_read_b128 v[95:98], v94 offset:688
	;; [unrolled: 10-line block ×3, first 2 shown]
	s_waitcnt vmcnt(3) lgkmcnt(0)
	v_fma_f64 v[94:95], v[109:110], v[94:95], v[98:99]
	s_waitcnt vmcnt(2)
	v_fma_f64 v[94:95], v[107:108], v[96:97], v[94:95]
	s_waitcnt vmcnt(0)
	v_add_f64 v[94:95], v[113:114], -v[94:95]
	buffer_store_dword v95, off, s[0:3], 0 offset:188
	buffer_store_dword v94, off, s[0:3], 0 offset:184
	v_cmpx_lt_u32_e32 22, v0
	s_cbranch_execz .LBB109_241
; %bb.240:
	s_clause 0x1
	buffer_load_dword v94, off, s[0:3], 0 offset:176
	buffer_load_dword v95, off, s[0:3], 0 offset:180
	v_mov_b32_e32 v96, 0
	buffer_store_dword v96, off, s[0:3], 0 offset:176
	buffer_store_dword v96, off, s[0:3], 0 offset:180
	s_waitcnt vmcnt(0)
	ds_write_b64 v93, v[94:95]
.LBB109_241:
	s_or_b32 exec_lo, exec_lo, s4
	s_waitcnt lgkmcnt(0)
	s_waitcnt_vscnt null, 0x0
	s_barrier
	buffer_gl0_inv
	s_clause 0x1c
	buffer_load_dword v103, off, s[0:3], 0 offset:184
	buffer_load_dword v104, off, s[0:3], 0 offset:188
	;; [unrolled: 1-line block ×29, first 2 shown]
	v_mov_b32_e32 v94, 0
	buffer_load_dword v128, off, s[0:3], 0 offset:300
	s_mov_b32 s4, exec_lo
	ds_read2_b64 v[95:98], v94 offset0:69 offset1:70
	ds_read2_b64 v[99:102], v94 offset0:71 offset1:72
	s_waitcnt vmcnt(28) lgkmcnt(1)
	v_fma_f64 v[95:96], v[103:104], v[95:96], 0
	s_clause 0x7
	buffer_load_dword v104, off, s[0:3], 0 offset:308
	buffer_load_dword v133, off, s[0:3], 0 offset:328
	buffer_load_dword v135, off, s[0:3], 0 offset:320
	buffer_load_dword v137, off, s[0:3], 0 offset:312
	buffer_load_dword v103, off, s[0:3], 0 offset:304
	buffer_load_dword v138, off, s[0:3], 0 offset:316
	buffer_load_dword v136, off, s[0:3], 0 offset:324
	buffer_load_dword v134, off, s[0:3], 0 offset:332
	s_waitcnt vmcnt(34)
	v_fma_f64 v[95:96], v[105:106], v[97:98], v[95:96]
	s_waitcnt vmcnt(32) lgkmcnt(0)
	v_fma_f64 v[95:96], v[107:108], v[99:100], v[95:96]
	s_waitcnt vmcnt(30)
	v_fma_f64 v[105:106], v[109:110], v[101:102], v[95:96]
	ds_read2_b64 v[95:98], v94 offset0:73 offset1:74
	ds_read2_b64 v[99:102], v94 offset0:75 offset1:76
	s_waitcnt vmcnt(28) lgkmcnt(1)
	v_fma_f64 v[95:96], v[111:112], v[95:96], v[105:106]
	s_clause 0x7
	buffer_load_dword v106, off, s[0:3], 0 offset:340
	buffer_load_dword v107, off, s[0:3], 0 offset:360
	;; [unrolled: 1-line block ×8, first 2 shown]
	s_waitcnt vmcnt(34)
	v_fma_f64 v[95:96], v[113:114], v[97:98], v[95:96]
	s_waitcnt vmcnt(32) lgkmcnt(0)
	v_fma_f64 v[95:96], v[115:116], v[99:100], v[95:96]
	s_waitcnt vmcnt(27)
	v_fma_f64 v[113:114], v[117:118], v[101:102], v[95:96]
	ds_read2_b64 v[95:98], v94 offset0:77 offset1:78
	ds_read2_b64 v[99:102], v94 offset0:79 offset1:80
	s_waitcnt vmcnt(26) lgkmcnt(1)
	v_fma_f64 v[95:96], v[123:124], v[95:96], v[113:114]
	s_clause 0x1
	buffer_load_dword v113, off, s[0:3], 0 offset:176
	buffer_load_dword v114, off, s[0:3], 0 offset:180
	s_waitcnt vmcnt(27)
	v_fma_f64 v[95:96], v[121:122], v[97:98], v[95:96]
	s_waitcnt vmcnt(26) lgkmcnt(0)
	v_fma_f64 v[95:96], v[119:120], v[99:100], v[95:96]
	s_waitcnt vmcnt(21)
	v_fma_f64 v[115:116], v[125:126], v[101:102], v[95:96]
	ds_read2_b64 v[95:98], v94 offset0:81 offset1:82
	ds_read2_b64 v[99:102], v94 offset0:83 offset1:84
	s_waitcnt vmcnt(20) lgkmcnt(1)
	v_fma_f64 v[95:96], v[131:132], v[95:96], v[115:116]
	s_waitcnt vmcnt(19)
	v_fma_f64 v[95:96], v[129:130], v[97:98], v[95:96]
	s_waitcnt vmcnt(18) lgkmcnt(0)
	v_fma_f64 v[95:96], v[127:128], v[99:100], v[95:96]
	s_waitcnt vmcnt(13)
	v_fma_f64 v[103:104], v[103:104], v[101:102], v[95:96]
	ds_read2_b64 v[95:98], v94 offset0:85 offset1:86
	ds_read2_b64 v[99:102], v94 offset0:87 offset1:88
	s_waitcnt vmcnt(12) lgkmcnt(1)
	v_fma_f64 v[95:96], v[137:138], v[95:96], v[103:104]
	s_waitcnt vmcnt(11)
	v_fma_f64 v[95:96], v[135:136], v[97:98], v[95:96]
	s_waitcnt vmcnt(10) lgkmcnt(0)
	v_fma_f64 v[95:96], v[133:134], v[99:100], v[95:96]
	s_waitcnt vmcnt(5)
	v_fma_f64 v[99:100], v[105:106], v[101:102], v[95:96]
	ds_read2_b64 v[95:98], v94 offset0:89 offset1:90
	ds_read_b64 v[101:102], v94 offset:728
	s_waitcnt vmcnt(4) lgkmcnt(1)
	v_fma_f64 v[95:96], v[111:112], v[95:96], v[99:100]
	s_waitcnt vmcnt(3)
	v_fma_f64 v[95:96], v[109:110], v[97:98], v[95:96]
	s_waitcnt vmcnt(2) lgkmcnt(0)
	v_fma_f64 v[95:96], v[107:108], v[101:102], v[95:96]
	s_waitcnt vmcnt(0)
	v_add_f64 v[95:96], v[113:114], -v[95:96]
	buffer_store_dword v96, off, s[0:3], 0 offset:180
	buffer_store_dword v95, off, s[0:3], 0 offset:176
	v_cmpx_lt_u32_e32 21, v0
	s_cbranch_execz .LBB109_243
; %bb.242:
	s_clause 0x1
	buffer_load_dword v95, off, s[0:3], 0 offset:168
	buffer_load_dword v96, off, s[0:3], 0 offset:172
	buffer_store_dword v94, off, s[0:3], 0 offset:168
	buffer_store_dword v94, off, s[0:3], 0 offset:172
	s_waitcnt vmcnt(0)
	ds_write_b64 v93, v[95:96]
.LBB109_243:
	s_or_b32 exec_lo, exec_lo, s4
	s_waitcnt lgkmcnt(0)
	s_waitcnt_vscnt null, 0x0
	s_barrier
	buffer_gl0_inv
	s_clause 0x1c
	buffer_load_dword v103, off, s[0:3], 0 offset:176
	buffer_load_dword v104, off, s[0:3], 0 offset:180
	;; [unrolled: 1-line block ×29, first 2 shown]
	ds_read_b128 v[95:98], v94 offset:544
	ds_read_b128 v[99:102], v94 offset:560
	buffer_load_dword v128, off, s[0:3], 0 offset:292
	s_mov_b32 s4, exec_lo
	s_waitcnt vmcnt(28) lgkmcnt(1)
	v_fma_f64 v[95:96], v[103:104], v[95:96], 0
	s_clause 0x7
	buffer_load_dword v104, off, s[0:3], 0 offset:300
	buffer_load_dword v133, off, s[0:3], 0 offset:320
	;; [unrolled: 1-line block ×8, first 2 shown]
	s_waitcnt vmcnt(34)
	v_fma_f64 v[95:96], v[105:106], v[97:98], v[95:96]
	s_waitcnt vmcnt(32) lgkmcnt(0)
	v_fma_f64 v[95:96], v[107:108], v[99:100], v[95:96]
	s_waitcnt vmcnt(30)
	v_fma_f64 v[105:106], v[109:110], v[101:102], v[95:96]
	ds_read_b128 v[95:98], v94 offset:576
	ds_read_b128 v[99:102], v94 offset:592
	s_waitcnt vmcnt(28) lgkmcnt(1)
	v_fma_f64 v[95:96], v[111:112], v[95:96], v[105:106]
	s_clause 0x7
	buffer_load_dword v106, off, s[0:3], 0 offset:332
	buffer_load_dword v107, off, s[0:3], 0 offset:352
	;; [unrolled: 1-line block ×8, first 2 shown]
	s_waitcnt vmcnt(34)
	v_fma_f64 v[95:96], v[113:114], v[97:98], v[95:96]
	s_waitcnt vmcnt(32) lgkmcnt(0)
	v_fma_f64 v[95:96], v[115:116], v[99:100], v[95:96]
	s_waitcnt vmcnt(27)
	v_fma_f64 v[113:114], v[117:118], v[101:102], v[95:96]
	ds_read_b128 v[95:98], v94 offset:608
	ds_read_b128 v[99:102], v94 offset:624
	s_waitcnt vmcnt(26) lgkmcnt(1)
	v_fma_f64 v[95:96], v[123:124], v[95:96], v[113:114]
	s_clause 0x3
	buffer_load_dword v114, off, s[0:3], 0 offset:364
	buffer_load_dword v113, off, s[0:3], 0 offset:360
	buffer_load_dword v115, off, s[0:3], 0 offset:168
	buffer_load_dword v116, off, s[0:3], 0 offset:172
	s_waitcnt vmcnt(29)
	v_fma_f64 v[95:96], v[121:122], v[97:98], v[95:96]
	s_waitcnt vmcnt(28) lgkmcnt(0)
	v_fma_f64 v[95:96], v[119:120], v[99:100], v[95:96]
	s_waitcnt vmcnt(23)
	v_fma_f64 v[117:118], v[125:126], v[101:102], v[95:96]
	ds_read_b128 v[95:98], v94 offset:640
	ds_read_b128 v[99:102], v94 offset:656
	s_waitcnt vmcnt(22) lgkmcnt(1)
	v_fma_f64 v[95:96], v[131:132], v[95:96], v[117:118]
	s_waitcnt vmcnt(21)
	v_fma_f64 v[95:96], v[129:130], v[97:98], v[95:96]
	s_waitcnt vmcnt(20) lgkmcnt(0)
	v_fma_f64 v[95:96], v[127:128], v[99:100], v[95:96]
	s_waitcnt vmcnt(15)
	v_fma_f64 v[103:104], v[103:104], v[101:102], v[95:96]
	ds_read_b128 v[95:98], v94 offset:672
	ds_read_b128 v[99:102], v94 offset:688
	s_waitcnt vmcnt(14) lgkmcnt(1)
	v_fma_f64 v[95:96], v[137:138], v[95:96], v[103:104]
	;; [unrolled: 10-line block ×3, first 2 shown]
	s_waitcnt vmcnt(5)
	v_fma_f64 v[94:95], v[109:110], v[97:98], v[94:95]
	s_waitcnt vmcnt(4) lgkmcnt(0)
	v_fma_f64 v[94:95], v[107:108], v[99:100], v[94:95]
	s_waitcnt vmcnt(2)
	v_fma_f64 v[94:95], v[113:114], v[101:102], v[94:95]
	s_waitcnt vmcnt(0)
	v_add_f64 v[94:95], v[115:116], -v[94:95]
	buffer_store_dword v95, off, s[0:3], 0 offset:172
	buffer_store_dword v94, off, s[0:3], 0 offset:168
	v_cmpx_lt_u32_e32 20, v0
	s_cbranch_execz .LBB109_245
; %bb.244:
	s_clause 0x1
	buffer_load_dword v94, off, s[0:3], 0 offset:160
	buffer_load_dword v95, off, s[0:3], 0 offset:164
	v_mov_b32_e32 v96, 0
	buffer_store_dword v96, off, s[0:3], 0 offset:160
	buffer_store_dword v96, off, s[0:3], 0 offset:164
	s_waitcnt vmcnt(0)
	ds_write_b64 v93, v[94:95]
.LBB109_245:
	s_or_b32 exec_lo, exec_lo, s4
	s_waitcnt lgkmcnt(0)
	s_waitcnt_vscnt null, 0x0
	s_barrier
	buffer_gl0_inv
	s_clause 0x1c
	buffer_load_dword v103, off, s[0:3], 0 offset:168
	buffer_load_dword v104, off, s[0:3], 0 offset:172
	;; [unrolled: 1-line block ×29, first 2 shown]
	v_mov_b32_e32 v94, 0
	buffer_load_dword v128, off, s[0:3], 0 offset:284
	s_mov_b32 s4, exec_lo
	ds_read2_b64 v[95:98], v94 offset0:67 offset1:68
	ds_read2_b64 v[99:102], v94 offset0:69 offset1:70
	s_waitcnt vmcnt(28) lgkmcnt(1)
	v_fma_f64 v[95:96], v[103:104], v[95:96], 0
	s_clause 0x7
	buffer_load_dword v104, off, s[0:3], 0 offset:292
	buffer_load_dword v133, off, s[0:3], 0 offset:312
	;; [unrolled: 1-line block ×8, first 2 shown]
	s_waitcnt vmcnt(34)
	v_fma_f64 v[95:96], v[105:106], v[97:98], v[95:96]
	s_waitcnt vmcnt(32) lgkmcnt(0)
	v_fma_f64 v[95:96], v[107:108], v[99:100], v[95:96]
	s_waitcnt vmcnt(30)
	v_fma_f64 v[105:106], v[109:110], v[101:102], v[95:96]
	ds_read2_b64 v[95:98], v94 offset0:71 offset1:72
	ds_read2_b64 v[99:102], v94 offset0:73 offset1:74
	s_waitcnt vmcnt(28) lgkmcnt(1)
	v_fma_f64 v[95:96], v[111:112], v[95:96], v[105:106]
	s_clause 0x7
	buffer_load_dword v106, off, s[0:3], 0 offset:324
	buffer_load_dword v107, off, s[0:3], 0 offset:344
	;; [unrolled: 1-line block ×8, first 2 shown]
	s_waitcnt vmcnt(34)
	v_fma_f64 v[95:96], v[113:114], v[97:98], v[95:96]
	s_waitcnt vmcnt(32) lgkmcnt(0)
	v_fma_f64 v[95:96], v[115:116], v[99:100], v[95:96]
	s_waitcnt vmcnt(27)
	v_fma_f64 v[113:114], v[117:118], v[101:102], v[95:96]
	ds_read2_b64 v[95:98], v94 offset0:75 offset1:76
	ds_read2_b64 v[99:102], v94 offset0:77 offset1:78
	s_waitcnt vmcnt(26) lgkmcnt(1)
	v_fma_f64 v[95:96], v[123:124], v[95:96], v[113:114]
	s_clause 0x5
	buffer_load_dword v114, off, s[0:3], 0 offset:356
	buffer_load_dword v115, off, s[0:3], 0 offset:360
	;; [unrolled: 1-line block ×6, first 2 shown]
	s_waitcnt vmcnt(31)
	v_fma_f64 v[95:96], v[121:122], v[97:98], v[95:96]
	s_waitcnt vmcnt(30) lgkmcnt(0)
	v_fma_f64 v[95:96], v[119:120], v[99:100], v[95:96]
	s_waitcnt vmcnt(25)
	v_fma_f64 v[119:120], v[125:126], v[101:102], v[95:96]
	ds_read2_b64 v[95:98], v94 offset0:79 offset1:80
	ds_read2_b64 v[99:102], v94 offset0:81 offset1:82
	s_waitcnt vmcnt(24) lgkmcnt(1)
	v_fma_f64 v[95:96], v[131:132], v[95:96], v[119:120]
	s_waitcnt vmcnt(23)
	v_fma_f64 v[95:96], v[129:130], v[97:98], v[95:96]
	s_waitcnt vmcnt(22) lgkmcnt(0)
	v_fma_f64 v[95:96], v[127:128], v[99:100], v[95:96]
	s_waitcnt vmcnt(17)
	v_fma_f64 v[103:104], v[103:104], v[101:102], v[95:96]
	ds_read2_b64 v[95:98], v94 offset0:83 offset1:84
	ds_read2_b64 v[99:102], v94 offset0:85 offset1:86
	s_waitcnt vmcnt(16) lgkmcnt(1)
	v_fma_f64 v[95:96], v[137:138], v[95:96], v[103:104]
	;; [unrolled: 10-line block ×3, first 2 shown]
	s_waitcnt vmcnt(7)
	v_fma_f64 v[95:96], v[109:110], v[97:98], v[95:96]
	ds_read_b64 v[97:98], v94 offset:728
	s_waitcnt vmcnt(6) lgkmcnt(1)
	v_fma_f64 v[95:96], v[107:108], v[99:100], v[95:96]
	s_waitcnt vmcnt(3)
	v_fma_f64 v[95:96], v[113:114], v[101:102], v[95:96]
	s_waitcnt vmcnt(2) lgkmcnt(0)
	v_fma_f64 v[95:96], v[115:116], v[97:98], v[95:96]
	s_waitcnt vmcnt(0)
	v_add_f64 v[95:96], v[117:118], -v[95:96]
	buffer_store_dword v96, off, s[0:3], 0 offset:164
	buffer_store_dword v95, off, s[0:3], 0 offset:160
	v_cmpx_lt_u32_e32 19, v0
	s_cbranch_execz .LBB109_247
; %bb.246:
	s_clause 0x1
	buffer_load_dword v95, off, s[0:3], 0 offset:152
	buffer_load_dword v96, off, s[0:3], 0 offset:156
	buffer_store_dword v94, off, s[0:3], 0 offset:152
	buffer_store_dword v94, off, s[0:3], 0 offset:156
	s_waitcnt vmcnt(0)
	ds_write_b64 v93, v[95:96]
.LBB109_247:
	s_or_b32 exec_lo, exec_lo, s4
	s_waitcnt lgkmcnt(0)
	s_waitcnt_vscnt null, 0x0
	s_barrier
	buffer_gl0_inv
	s_clause 0x1c
	buffer_load_dword v103, off, s[0:3], 0 offset:160
	buffer_load_dword v104, off, s[0:3], 0 offset:164
	;; [unrolled: 1-line block ×29, first 2 shown]
	ds_read_b128 v[95:98], v94 offset:528
	ds_read_b128 v[99:102], v94 offset:544
	buffer_load_dword v128, off, s[0:3], 0 offset:276
	s_mov_b32 s4, exec_lo
	s_waitcnt vmcnt(28) lgkmcnt(1)
	v_fma_f64 v[95:96], v[103:104], v[95:96], 0
	s_clause 0x7
	buffer_load_dword v104, off, s[0:3], 0 offset:284
	buffer_load_dword v133, off, s[0:3], 0 offset:304
	;; [unrolled: 1-line block ×8, first 2 shown]
	s_waitcnt vmcnt(34)
	v_fma_f64 v[95:96], v[105:106], v[97:98], v[95:96]
	s_waitcnt vmcnt(32) lgkmcnt(0)
	v_fma_f64 v[95:96], v[107:108], v[99:100], v[95:96]
	s_waitcnt vmcnt(30)
	v_fma_f64 v[105:106], v[109:110], v[101:102], v[95:96]
	ds_read_b128 v[95:98], v94 offset:560
	ds_read_b128 v[99:102], v94 offset:576
	s_waitcnt vmcnt(28) lgkmcnt(1)
	v_fma_f64 v[95:96], v[111:112], v[95:96], v[105:106]
	s_clause 0x7
	buffer_load_dword v106, off, s[0:3], 0 offset:316
	buffer_load_dword v107, off, s[0:3], 0 offset:336
	;; [unrolled: 1-line block ×8, first 2 shown]
	s_waitcnt vmcnt(34)
	v_fma_f64 v[95:96], v[113:114], v[97:98], v[95:96]
	s_waitcnt vmcnt(32) lgkmcnt(0)
	v_fma_f64 v[95:96], v[115:116], v[99:100], v[95:96]
	s_waitcnt vmcnt(27)
	v_fma_f64 v[113:114], v[117:118], v[101:102], v[95:96]
	ds_read_b128 v[95:98], v94 offset:592
	ds_read_b128 v[99:102], v94 offset:608
	s_waitcnt vmcnt(26) lgkmcnt(1)
	v_fma_f64 v[95:96], v[123:124], v[95:96], v[113:114]
	s_clause 0x5
	buffer_load_dword v114, off, s[0:3], 0 offset:348
	buffer_load_dword v115, off, s[0:3], 0 offset:360
	;; [unrolled: 1-line block ×6, first 2 shown]
	s_waitcnt vmcnt(31)
	v_fma_f64 v[95:96], v[121:122], v[97:98], v[95:96]
	s_waitcnt vmcnt(30) lgkmcnt(0)
	v_fma_f64 v[95:96], v[119:120], v[99:100], v[95:96]
	s_waitcnt vmcnt(25)
	v_fma_f64 v[119:120], v[125:126], v[101:102], v[95:96]
	ds_read_b128 v[95:98], v94 offset:624
	s_clause 0x1
	buffer_load_dword v121, off, s[0:3], 0 offset:152
	buffer_load_dword v122, off, s[0:3], 0 offset:156
	ds_read_b128 v[99:102], v94 offset:640
	s_waitcnt vmcnt(26) lgkmcnt(1)
	v_fma_f64 v[95:96], v[131:132], v[95:96], v[119:120]
	s_waitcnt vmcnt(25)
	v_fma_f64 v[95:96], v[129:130], v[97:98], v[95:96]
	s_waitcnt vmcnt(24) lgkmcnt(0)
	v_fma_f64 v[95:96], v[127:128], v[99:100], v[95:96]
	s_waitcnt vmcnt(19)
	v_fma_f64 v[103:104], v[103:104], v[101:102], v[95:96]
	ds_read_b128 v[95:98], v94 offset:656
	ds_read_b128 v[99:102], v94 offset:672
	s_waitcnt vmcnt(18) lgkmcnt(1)
	v_fma_f64 v[95:96], v[137:138], v[95:96], v[103:104]
	s_waitcnt vmcnt(17)
	v_fma_f64 v[95:96], v[135:136], v[97:98], v[95:96]
	s_waitcnt vmcnt(16) lgkmcnt(0)
	v_fma_f64 v[95:96], v[133:134], v[99:100], v[95:96]
	s_waitcnt vmcnt(11)
	v_fma_f64 v[103:104], v[105:106], v[101:102], v[95:96]
	ds_read_b128 v[95:98], v94 offset:688
	;; [unrolled: 10-line block ×3, first 2 shown]
	s_waitcnt vmcnt(3) lgkmcnt(0)
	v_fma_f64 v[94:95], v[117:118], v[94:95], v[98:99]
	s_waitcnt vmcnt(2)
	v_fma_f64 v[94:95], v[115:116], v[96:97], v[94:95]
	s_waitcnt vmcnt(0)
	v_add_f64 v[94:95], v[121:122], -v[94:95]
	buffer_store_dword v95, off, s[0:3], 0 offset:156
	buffer_store_dword v94, off, s[0:3], 0 offset:152
	v_cmpx_lt_u32_e32 18, v0
	s_cbranch_execz .LBB109_249
; %bb.248:
	s_clause 0x1
	buffer_load_dword v94, off, s[0:3], 0 offset:144
	buffer_load_dword v95, off, s[0:3], 0 offset:148
	v_mov_b32_e32 v96, 0
	buffer_store_dword v96, off, s[0:3], 0 offset:144
	buffer_store_dword v96, off, s[0:3], 0 offset:148
	s_waitcnt vmcnt(0)
	ds_write_b64 v93, v[94:95]
.LBB109_249:
	s_or_b32 exec_lo, exec_lo, s4
	s_waitcnt lgkmcnt(0)
	s_waitcnt_vscnt null, 0x0
	s_barrier
	buffer_gl0_inv
	s_clause 0x1c
	buffer_load_dword v103, off, s[0:3], 0 offset:152
	buffer_load_dword v104, off, s[0:3], 0 offset:156
	buffer_load_dword v105, off, s[0:3], 0 offset:160
	buffer_load_dword v106, off, s[0:3], 0 offset:164
	buffer_load_dword v107, off, s[0:3], 0 offset:168
	buffer_load_dword v108, off, s[0:3], 0 offset:172
	buffer_load_dword v109, off, s[0:3], 0 offset:176
	buffer_load_dword v110, off, s[0:3], 0 offset:180
	buffer_load_dword v111, off, s[0:3], 0 offset:184
	buffer_load_dword v112, off, s[0:3], 0 offset:188
	buffer_load_dword v113, off, s[0:3], 0 offset:192
	buffer_load_dword v114, off, s[0:3], 0 offset:196
	buffer_load_dword v115, off, s[0:3], 0 offset:200
	buffer_load_dword v116, off, s[0:3], 0 offset:204
	buffer_load_dword v118, off, s[0:3], 0 offset:212
	buffer_load_dword v119, off, s[0:3], 0 offset:232
	buffer_load_dword v121, off, s[0:3], 0 offset:224
	buffer_load_dword v123, off, s[0:3], 0 offset:216
	buffer_load_dword v117, off, s[0:3], 0 offset:208
	buffer_load_dword v124, off, s[0:3], 0 offset:220
	buffer_load_dword v122, off, s[0:3], 0 offset:228
	buffer_load_dword v120, off, s[0:3], 0 offset:236
	buffer_load_dword v126, off, s[0:3], 0 offset:244
	buffer_load_dword v127, off, s[0:3], 0 offset:264
	buffer_load_dword v129, off, s[0:3], 0 offset:256
	buffer_load_dword v131, off, s[0:3], 0 offset:248
	buffer_load_dword v125, off, s[0:3], 0 offset:240
	buffer_load_dword v132, off, s[0:3], 0 offset:252
	buffer_load_dword v130, off, s[0:3], 0 offset:260
	v_mov_b32_e32 v94, 0
	buffer_load_dword v128, off, s[0:3], 0 offset:268
	s_mov_b32 s4, exec_lo
	ds_read2_b64 v[95:98], v94 offset0:65 offset1:66
	ds_read2_b64 v[99:102], v94 offset0:67 offset1:68
	s_waitcnt vmcnt(28) lgkmcnt(1)
	v_fma_f64 v[95:96], v[103:104], v[95:96], 0
	s_clause 0x7
	buffer_load_dword v104, off, s[0:3], 0 offset:276
	buffer_load_dword v133, off, s[0:3], 0 offset:296
	buffer_load_dword v135, off, s[0:3], 0 offset:288
	buffer_load_dword v137, off, s[0:3], 0 offset:280
	buffer_load_dword v103, off, s[0:3], 0 offset:272
	buffer_load_dword v138, off, s[0:3], 0 offset:284
	buffer_load_dword v136, off, s[0:3], 0 offset:292
	buffer_load_dword v134, off, s[0:3], 0 offset:300
	s_waitcnt vmcnt(34)
	v_fma_f64 v[95:96], v[105:106], v[97:98], v[95:96]
	s_waitcnt vmcnt(32) lgkmcnt(0)
	v_fma_f64 v[95:96], v[107:108], v[99:100], v[95:96]
	s_waitcnt vmcnt(30)
	v_fma_f64 v[105:106], v[109:110], v[101:102], v[95:96]
	ds_read2_b64 v[95:98], v94 offset0:69 offset1:70
	ds_read2_b64 v[99:102], v94 offset0:71 offset1:72
	s_waitcnt vmcnt(28) lgkmcnt(1)
	v_fma_f64 v[95:96], v[111:112], v[95:96], v[105:106]
	s_clause 0x7
	buffer_load_dword v106, off, s[0:3], 0 offset:308
	buffer_load_dword v107, off, s[0:3], 0 offset:328
	buffer_load_dword v109, off, s[0:3], 0 offset:320
	buffer_load_dword v111, off, s[0:3], 0 offset:312
	buffer_load_dword v105, off, s[0:3], 0 offset:304
	buffer_load_dword v112, off, s[0:3], 0 offset:316
	buffer_load_dword v110, off, s[0:3], 0 offset:324
	buffer_load_dword v108, off, s[0:3], 0 offset:332
	s_waitcnt vmcnt(34)
	v_fma_f64 v[95:96], v[113:114], v[97:98], v[95:96]
	s_waitcnt vmcnt(32) lgkmcnt(0)
	v_fma_f64 v[95:96], v[115:116], v[99:100], v[95:96]
	s_waitcnt vmcnt(27)
	v_fma_f64 v[113:114], v[117:118], v[101:102], v[95:96]
	;; [unrolled: 19-line block ×3, first 2 shown]
	ds_read2_b64 v[95:98], v94 offset0:77 offset1:78
	ds_read2_b64 v[99:102], v94 offset0:79 offset1:80
	s_waitcnt vmcnt(26) lgkmcnt(1)
	v_fma_f64 v[95:96], v[131:132], v[95:96], v[119:120]
	s_clause 0x1
	buffer_load_dword v119, off, s[0:3], 0 offset:144
	buffer_load_dword v120, off, s[0:3], 0 offset:148
	s_waitcnt vmcnt(27)
	v_fma_f64 v[95:96], v[129:130], v[97:98], v[95:96]
	s_waitcnt vmcnt(26) lgkmcnt(0)
	v_fma_f64 v[95:96], v[127:128], v[99:100], v[95:96]
	s_waitcnt vmcnt(21)
	v_fma_f64 v[103:104], v[103:104], v[101:102], v[95:96]
	ds_read2_b64 v[95:98], v94 offset0:81 offset1:82
	ds_read2_b64 v[99:102], v94 offset0:83 offset1:84
	s_waitcnt vmcnt(20) lgkmcnt(1)
	v_fma_f64 v[95:96], v[137:138], v[95:96], v[103:104]
	s_waitcnt vmcnt(19)
	v_fma_f64 v[95:96], v[135:136], v[97:98], v[95:96]
	s_waitcnt vmcnt(18) lgkmcnt(0)
	v_fma_f64 v[95:96], v[133:134], v[99:100], v[95:96]
	s_waitcnt vmcnt(13)
	v_fma_f64 v[103:104], v[105:106], v[101:102], v[95:96]
	ds_read2_b64 v[95:98], v94 offset0:85 offset1:86
	ds_read2_b64 v[99:102], v94 offset0:87 offset1:88
	s_waitcnt vmcnt(12) lgkmcnt(1)
	v_fma_f64 v[95:96], v[111:112], v[95:96], v[103:104]
	s_waitcnt vmcnt(11)
	v_fma_f64 v[95:96], v[109:110], v[97:98], v[95:96]
	s_waitcnt vmcnt(10) lgkmcnt(0)
	v_fma_f64 v[95:96], v[107:108], v[99:100], v[95:96]
	s_waitcnt vmcnt(5)
	v_fma_f64 v[99:100], v[113:114], v[101:102], v[95:96]
	ds_read2_b64 v[95:98], v94 offset0:89 offset1:90
	ds_read_b64 v[101:102], v94 offset:728
	s_waitcnt vmcnt(4) lgkmcnt(1)
	v_fma_f64 v[95:96], v[123:124], v[95:96], v[99:100]
	s_waitcnt vmcnt(3)
	v_fma_f64 v[95:96], v[117:118], v[97:98], v[95:96]
	s_waitcnt vmcnt(2) lgkmcnt(0)
	v_fma_f64 v[95:96], v[115:116], v[101:102], v[95:96]
	s_waitcnt vmcnt(0)
	v_add_f64 v[95:96], v[119:120], -v[95:96]
	buffer_store_dword v96, off, s[0:3], 0 offset:148
	buffer_store_dword v95, off, s[0:3], 0 offset:144
	v_cmpx_lt_u32_e32 17, v0
	s_cbranch_execz .LBB109_251
; %bb.250:
	s_clause 0x1
	buffer_load_dword v95, off, s[0:3], 0 offset:136
	buffer_load_dword v96, off, s[0:3], 0 offset:140
	buffer_store_dword v94, off, s[0:3], 0 offset:136
	buffer_store_dword v94, off, s[0:3], 0 offset:140
	s_waitcnt vmcnt(0)
	ds_write_b64 v93, v[95:96]
.LBB109_251:
	s_or_b32 exec_lo, exec_lo, s4
	s_waitcnt lgkmcnt(0)
	s_waitcnt_vscnt null, 0x0
	s_barrier
	buffer_gl0_inv
	s_clause 0x1c
	buffer_load_dword v103, off, s[0:3], 0 offset:144
	buffer_load_dword v104, off, s[0:3], 0 offset:148
	buffer_load_dword v105, off, s[0:3], 0 offset:152
	buffer_load_dword v106, off, s[0:3], 0 offset:156
	buffer_load_dword v107, off, s[0:3], 0 offset:160
	buffer_load_dword v108, off, s[0:3], 0 offset:164
	buffer_load_dword v109, off, s[0:3], 0 offset:168
	buffer_load_dword v110, off, s[0:3], 0 offset:172
	buffer_load_dword v111, off, s[0:3], 0 offset:176
	buffer_load_dword v112, off, s[0:3], 0 offset:180
	buffer_load_dword v113, off, s[0:3], 0 offset:184
	buffer_load_dword v114, off, s[0:3], 0 offset:188
	buffer_load_dword v115, off, s[0:3], 0 offset:192
	buffer_load_dword v116, off, s[0:3], 0 offset:196
	buffer_load_dword v118, off, s[0:3], 0 offset:204
	buffer_load_dword v119, off, s[0:3], 0 offset:224
	buffer_load_dword v121, off, s[0:3], 0 offset:216
	buffer_load_dword v123, off, s[0:3], 0 offset:208
	buffer_load_dword v117, off, s[0:3], 0 offset:200
	buffer_load_dword v124, off, s[0:3], 0 offset:212
	buffer_load_dword v122, off, s[0:3], 0 offset:220
	buffer_load_dword v120, off, s[0:3], 0 offset:228
	buffer_load_dword v126, off, s[0:3], 0 offset:236
	buffer_load_dword v127, off, s[0:3], 0 offset:256
	buffer_load_dword v129, off, s[0:3], 0 offset:248
	buffer_load_dword v131, off, s[0:3], 0 offset:240
	buffer_load_dword v125, off, s[0:3], 0 offset:232
	buffer_load_dword v132, off, s[0:3], 0 offset:244
	buffer_load_dword v130, off, s[0:3], 0 offset:252
	ds_read_b128 v[95:98], v94 offset:512
	ds_read_b128 v[99:102], v94 offset:528
	buffer_load_dword v128, off, s[0:3], 0 offset:260
	s_mov_b32 s4, exec_lo
	s_waitcnt vmcnt(28) lgkmcnt(1)
	v_fma_f64 v[95:96], v[103:104], v[95:96], 0
	s_clause 0x7
	buffer_load_dword v104, off, s[0:3], 0 offset:268
	buffer_load_dword v133, off, s[0:3], 0 offset:288
	buffer_load_dword v135, off, s[0:3], 0 offset:280
	buffer_load_dword v137, off, s[0:3], 0 offset:272
	buffer_load_dword v103, off, s[0:3], 0 offset:264
	buffer_load_dword v138, off, s[0:3], 0 offset:276
	buffer_load_dword v136, off, s[0:3], 0 offset:284
	buffer_load_dword v134, off, s[0:3], 0 offset:292
	s_waitcnt vmcnt(34)
	v_fma_f64 v[95:96], v[105:106], v[97:98], v[95:96]
	s_waitcnt vmcnt(32) lgkmcnt(0)
	v_fma_f64 v[95:96], v[107:108], v[99:100], v[95:96]
	s_waitcnt vmcnt(30)
	v_fma_f64 v[105:106], v[109:110], v[101:102], v[95:96]
	ds_read_b128 v[95:98], v94 offset:544
	ds_read_b128 v[99:102], v94 offset:560
	s_waitcnt vmcnt(28) lgkmcnt(1)
	v_fma_f64 v[95:96], v[111:112], v[95:96], v[105:106]
	s_clause 0x7
	buffer_load_dword v106, off, s[0:3], 0 offset:300
	buffer_load_dword v107, off, s[0:3], 0 offset:320
	buffer_load_dword v109, off, s[0:3], 0 offset:312
	buffer_load_dword v111, off, s[0:3], 0 offset:304
	buffer_load_dword v105, off, s[0:3], 0 offset:296
	buffer_load_dword v112, off, s[0:3], 0 offset:308
	buffer_load_dword v110, off, s[0:3], 0 offset:316
	buffer_load_dword v108, off, s[0:3], 0 offset:324
	s_waitcnt vmcnt(34)
	v_fma_f64 v[95:96], v[113:114], v[97:98], v[95:96]
	s_waitcnt vmcnt(32) lgkmcnt(0)
	v_fma_f64 v[95:96], v[115:116], v[99:100], v[95:96]
	s_waitcnt vmcnt(27)
	v_fma_f64 v[113:114], v[117:118], v[101:102], v[95:96]
	ds_read_b128 v[95:98], v94 offset:576
	ds_read_b128 v[99:102], v94 offset:592
	s_waitcnt vmcnt(26) lgkmcnt(1)
	v_fma_f64 v[95:96], v[123:124], v[95:96], v[113:114]
	s_clause 0x7
	buffer_load_dword v114, off, s[0:3], 0 offset:332
	buffer_load_dword v115, off, s[0:3], 0 offset:352
	buffer_load_dword v117, off, s[0:3], 0 offset:344
	buffer_load_dword v123, off, s[0:3], 0 offset:336
	buffer_load_dword v113, off, s[0:3], 0 offset:328
	buffer_load_dword v124, off, s[0:3], 0 offset:340
	buffer_load_dword v118, off, s[0:3], 0 offset:348
	buffer_load_dword v116, off, s[0:3], 0 offset:356
	s_waitcnt vmcnt(33)
	v_fma_f64 v[95:96], v[121:122], v[97:98], v[95:96]
	s_waitcnt vmcnt(32) lgkmcnt(0)
	v_fma_f64 v[95:96], v[119:120], v[99:100], v[95:96]
	s_waitcnt vmcnt(27)
	v_fma_f64 v[119:120], v[125:126], v[101:102], v[95:96]
	ds_read_b128 v[95:98], v94 offset:608
	ds_read_b128 v[99:102], v94 offset:624
	s_waitcnt vmcnt(26) lgkmcnt(1)
	v_fma_f64 v[95:96], v[131:132], v[95:96], v[119:120]
	s_clause 0x3
	buffer_load_dword v120, off, s[0:3], 0 offset:364
	buffer_load_dword v119, off, s[0:3], 0 offset:360
	;; [unrolled: 1-line block ×4, first 2 shown]
	s_waitcnt vmcnt(29)
	v_fma_f64 v[95:96], v[129:130], v[97:98], v[95:96]
	s_waitcnt vmcnt(28) lgkmcnt(0)
	v_fma_f64 v[95:96], v[127:128], v[99:100], v[95:96]
	s_waitcnt vmcnt(23)
	v_fma_f64 v[103:104], v[103:104], v[101:102], v[95:96]
	ds_read_b128 v[95:98], v94 offset:640
	ds_read_b128 v[99:102], v94 offset:656
	s_waitcnt vmcnt(22) lgkmcnt(1)
	v_fma_f64 v[95:96], v[137:138], v[95:96], v[103:104]
	s_waitcnt vmcnt(21)
	v_fma_f64 v[95:96], v[135:136], v[97:98], v[95:96]
	s_waitcnt vmcnt(20) lgkmcnt(0)
	v_fma_f64 v[95:96], v[133:134], v[99:100], v[95:96]
	s_waitcnt vmcnt(15)
	v_fma_f64 v[103:104], v[105:106], v[101:102], v[95:96]
	ds_read_b128 v[95:98], v94 offset:672
	ds_read_b128 v[99:102], v94 offset:688
	s_waitcnt vmcnt(14) lgkmcnt(1)
	v_fma_f64 v[95:96], v[111:112], v[95:96], v[103:104]
	;; [unrolled: 10-line block ×3, first 2 shown]
	s_waitcnt vmcnt(5)
	v_fma_f64 v[94:95], v[117:118], v[97:98], v[94:95]
	s_waitcnt vmcnt(4) lgkmcnt(0)
	v_fma_f64 v[94:95], v[115:116], v[99:100], v[94:95]
	s_waitcnt vmcnt(2)
	v_fma_f64 v[94:95], v[119:120], v[101:102], v[94:95]
	s_waitcnt vmcnt(0)
	v_add_f64 v[94:95], v[121:122], -v[94:95]
	buffer_store_dword v95, off, s[0:3], 0 offset:140
	buffer_store_dword v94, off, s[0:3], 0 offset:136
	v_cmpx_lt_u32_e32 16, v0
	s_cbranch_execz .LBB109_253
; %bb.252:
	s_clause 0x1
	buffer_load_dword v94, off, s[0:3], 0 offset:128
	buffer_load_dword v95, off, s[0:3], 0 offset:132
	v_mov_b32_e32 v96, 0
	buffer_store_dword v96, off, s[0:3], 0 offset:128
	buffer_store_dword v96, off, s[0:3], 0 offset:132
	s_waitcnt vmcnt(0)
	ds_write_b64 v93, v[94:95]
.LBB109_253:
	s_or_b32 exec_lo, exec_lo, s4
	s_waitcnt lgkmcnt(0)
	s_waitcnt_vscnt null, 0x0
	s_barrier
	buffer_gl0_inv
	s_clause 0x1c
	buffer_load_dword v103, off, s[0:3], 0 offset:136
	buffer_load_dword v104, off, s[0:3], 0 offset:140
	buffer_load_dword v105, off, s[0:3], 0 offset:144
	buffer_load_dword v106, off, s[0:3], 0 offset:148
	buffer_load_dword v107, off, s[0:3], 0 offset:152
	buffer_load_dword v108, off, s[0:3], 0 offset:156
	buffer_load_dword v109, off, s[0:3], 0 offset:160
	buffer_load_dword v110, off, s[0:3], 0 offset:164
	buffer_load_dword v111, off, s[0:3], 0 offset:168
	buffer_load_dword v112, off, s[0:3], 0 offset:172
	buffer_load_dword v113, off, s[0:3], 0 offset:176
	buffer_load_dword v114, off, s[0:3], 0 offset:180
	buffer_load_dword v115, off, s[0:3], 0 offset:184
	buffer_load_dword v116, off, s[0:3], 0 offset:188
	buffer_load_dword v118, off, s[0:3], 0 offset:196
	buffer_load_dword v119, off, s[0:3], 0 offset:216
	buffer_load_dword v121, off, s[0:3], 0 offset:208
	buffer_load_dword v123, off, s[0:3], 0 offset:200
	buffer_load_dword v117, off, s[0:3], 0 offset:192
	buffer_load_dword v124, off, s[0:3], 0 offset:204
	buffer_load_dword v122, off, s[0:3], 0 offset:212
	buffer_load_dword v120, off, s[0:3], 0 offset:220
	buffer_load_dword v126, off, s[0:3], 0 offset:228
	buffer_load_dword v127, off, s[0:3], 0 offset:248
	buffer_load_dword v129, off, s[0:3], 0 offset:240
	buffer_load_dword v131, off, s[0:3], 0 offset:232
	buffer_load_dword v125, off, s[0:3], 0 offset:224
	buffer_load_dword v132, off, s[0:3], 0 offset:236
	buffer_load_dword v130, off, s[0:3], 0 offset:244
	v_mov_b32_e32 v94, 0
	buffer_load_dword v128, off, s[0:3], 0 offset:252
	s_mov_b32 s4, exec_lo
	ds_read2_b64 v[95:98], v94 offset0:63 offset1:64
	ds_read2_b64 v[99:102], v94 offset0:65 offset1:66
	s_waitcnt vmcnt(28) lgkmcnt(1)
	v_fma_f64 v[95:96], v[103:104], v[95:96], 0
	s_clause 0x7
	buffer_load_dword v104, off, s[0:3], 0 offset:260
	buffer_load_dword v133, off, s[0:3], 0 offset:280
	buffer_load_dword v135, off, s[0:3], 0 offset:272
	buffer_load_dword v137, off, s[0:3], 0 offset:264
	buffer_load_dword v103, off, s[0:3], 0 offset:256
	buffer_load_dword v138, off, s[0:3], 0 offset:268
	buffer_load_dword v136, off, s[0:3], 0 offset:276
	buffer_load_dword v134, off, s[0:3], 0 offset:284
	s_waitcnt vmcnt(34)
	v_fma_f64 v[95:96], v[105:106], v[97:98], v[95:96]
	s_waitcnt vmcnt(32) lgkmcnt(0)
	v_fma_f64 v[95:96], v[107:108], v[99:100], v[95:96]
	s_waitcnt vmcnt(30)
	v_fma_f64 v[105:106], v[109:110], v[101:102], v[95:96]
	ds_read2_b64 v[95:98], v94 offset0:67 offset1:68
	ds_read2_b64 v[99:102], v94 offset0:69 offset1:70
	s_waitcnt vmcnt(28) lgkmcnt(1)
	v_fma_f64 v[95:96], v[111:112], v[95:96], v[105:106]
	s_clause 0x7
	buffer_load_dword v106, off, s[0:3], 0 offset:292
	buffer_load_dword v107, off, s[0:3], 0 offset:312
	buffer_load_dword v109, off, s[0:3], 0 offset:304
	buffer_load_dword v111, off, s[0:3], 0 offset:296
	buffer_load_dword v105, off, s[0:3], 0 offset:288
	buffer_load_dword v112, off, s[0:3], 0 offset:300
	buffer_load_dword v110, off, s[0:3], 0 offset:308
	buffer_load_dword v108, off, s[0:3], 0 offset:316
	s_waitcnt vmcnt(34)
	v_fma_f64 v[95:96], v[113:114], v[97:98], v[95:96]
	s_waitcnt vmcnt(32) lgkmcnt(0)
	v_fma_f64 v[95:96], v[115:116], v[99:100], v[95:96]
	s_waitcnt vmcnt(27)
	v_fma_f64 v[113:114], v[117:118], v[101:102], v[95:96]
	;; [unrolled: 19-line block ×3, first 2 shown]
	ds_read2_b64 v[95:98], v94 offset0:75 offset1:76
	ds_read2_b64 v[99:102], v94 offset0:77 offset1:78
	s_waitcnt vmcnt(26) lgkmcnt(1)
	v_fma_f64 v[95:96], v[131:132], v[95:96], v[119:120]
	s_clause 0x5
	buffer_load_dword v120, off, s[0:3], 0 offset:356
	buffer_load_dword v121, off, s[0:3], 0 offset:360
	;; [unrolled: 1-line block ×6, first 2 shown]
	s_waitcnt vmcnt(31)
	v_fma_f64 v[95:96], v[129:130], v[97:98], v[95:96]
	s_waitcnt vmcnt(30) lgkmcnt(0)
	v_fma_f64 v[95:96], v[127:128], v[99:100], v[95:96]
	s_waitcnt vmcnt(25)
	v_fma_f64 v[103:104], v[103:104], v[101:102], v[95:96]
	ds_read2_b64 v[95:98], v94 offset0:79 offset1:80
	ds_read2_b64 v[99:102], v94 offset0:81 offset1:82
	s_waitcnt vmcnt(24) lgkmcnt(1)
	v_fma_f64 v[95:96], v[137:138], v[95:96], v[103:104]
	s_waitcnt vmcnt(23)
	v_fma_f64 v[95:96], v[135:136], v[97:98], v[95:96]
	s_waitcnt vmcnt(22) lgkmcnt(0)
	v_fma_f64 v[95:96], v[133:134], v[99:100], v[95:96]
	s_waitcnt vmcnt(17)
	v_fma_f64 v[103:104], v[105:106], v[101:102], v[95:96]
	ds_read2_b64 v[95:98], v94 offset0:83 offset1:84
	ds_read2_b64 v[99:102], v94 offset0:85 offset1:86
	s_waitcnt vmcnt(16) lgkmcnt(1)
	v_fma_f64 v[95:96], v[111:112], v[95:96], v[103:104]
	;; [unrolled: 10-line block ×3, first 2 shown]
	s_waitcnt vmcnt(7)
	v_fma_f64 v[95:96], v[117:118], v[97:98], v[95:96]
	ds_read_b64 v[97:98], v94 offset:728
	s_waitcnt vmcnt(6) lgkmcnt(1)
	v_fma_f64 v[95:96], v[115:116], v[99:100], v[95:96]
	s_waitcnt vmcnt(3)
	v_fma_f64 v[95:96], v[119:120], v[101:102], v[95:96]
	s_waitcnt vmcnt(2) lgkmcnt(0)
	v_fma_f64 v[95:96], v[121:122], v[97:98], v[95:96]
	s_waitcnt vmcnt(0)
	v_add_f64 v[95:96], v[125:126], -v[95:96]
	buffer_store_dword v96, off, s[0:3], 0 offset:132
	buffer_store_dword v95, off, s[0:3], 0 offset:128
	v_cmpx_lt_u32_e32 15, v0
	s_cbranch_execz .LBB109_255
; %bb.254:
	s_clause 0x1
	buffer_load_dword v95, off, s[0:3], 0 offset:120
	buffer_load_dword v96, off, s[0:3], 0 offset:124
	buffer_store_dword v94, off, s[0:3], 0 offset:120
	buffer_store_dword v94, off, s[0:3], 0 offset:124
	s_waitcnt vmcnt(0)
	ds_write_b64 v93, v[95:96]
.LBB109_255:
	s_or_b32 exec_lo, exec_lo, s4
	s_waitcnt lgkmcnt(0)
	s_waitcnt_vscnt null, 0x0
	s_barrier
	buffer_gl0_inv
	s_clause 0x1c
	buffer_load_dword v103, off, s[0:3], 0 offset:128
	buffer_load_dword v104, off, s[0:3], 0 offset:132
	;; [unrolled: 1-line block ×29, first 2 shown]
	ds_read_b128 v[95:98], v94 offset:496
	ds_read_b128 v[99:102], v94 offset:512
	buffer_load_dword v128, off, s[0:3], 0 offset:244
	s_mov_b32 s4, exec_lo
	s_waitcnt vmcnt(28) lgkmcnt(1)
	v_fma_f64 v[95:96], v[103:104], v[95:96], 0
	s_clause 0x7
	buffer_load_dword v104, off, s[0:3], 0 offset:252
	buffer_load_dword v133, off, s[0:3], 0 offset:272
	buffer_load_dword v135, off, s[0:3], 0 offset:264
	buffer_load_dword v137, off, s[0:3], 0 offset:256
	buffer_load_dword v103, off, s[0:3], 0 offset:248
	buffer_load_dword v138, off, s[0:3], 0 offset:260
	buffer_load_dword v136, off, s[0:3], 0 offset:268
	buffer_load_dword v134, off, s[0:3], 0 offset:276
	s_waitcnt vmcnt(34)
	v_fma_f64 v[95:96], v[105:106], v[97:98], v[95:96]
	s_waitcnt vmcnt(32) lgkmcnt(0)
	v_fma_f64 v[95:96], v[107:108], v[99:100], v[95:96]
	s_waitcnt vmcnt(30)
	v_fma_f64 v[105:106], v[109:110], v[101:102], v[95:96]
	ds_read_b128 v[95:98], v94 offset:528
	ds_read_b128 v[99:102], v94 offset:544
	s_waitcnt vmcnt(28) lgkmcnt(1)
	v_fma_f64 v[95:96], v[111:112], v[95:96], v[105:106]
	s_clause 0x7
	buffer_load_dword v106, off, s[0:3], 0 offset:284
	buffer_load_dword v107, off, s[0:3], 0 offset:304
	buffer_load_dword v109, off, s[0:3], 0 offset:296
	buffer_load_dword v111, off, s[0:3], 0 offset:288
	buffer_load_dword v105, off, s[0:3], 0 offset:280
	buffer_load_dword v112, off, s[0:3], 0 offset:292
	buffer_load_dword v110, off, s[0:3], 0 offset:300
	buffer_load_dword v108, off, s[0:3], 0 offset:308
	s_waitcnt vmcnt(34)
	v_fma_f64 v[95:96], v[113:114], v[97:98], v[95:96]
	s_waitcnt vmcnt(32) lgkmcnt(0)
	v_fma_f64 v[95:96], v[115:116], v[99:100], v[95:96]
	s_waitcnt vmcnt(27)
	v_fma_f64 v[113:114], v[117:118], v[101:102], v[95:96]
	ds_read_b128 v[95:98], v94 offset:560
	ds_read_b128 v[99:102], v94 offset:576
	;; [unrolled: 19-line block ×3, first 2 shown]
	s_waitcnt vmcnt(26) lgkmcnt(1)
	v_fma_f64 v[95:96], v[131:132], v[95:96], v[119:120]
	s_clause 0x5
	buffer_load_dword v120, off, s[0:3], 0 offset:348
	buffer_load_dword v121, off, s[0:3], 0 offset:360
	buffer_load_dword v125, off, s[0:3], 0 offset:352
	buffer_load_dword v119, off, s[0:3], 0 offset:344
	buffer_load_dword v126, off, s[0:3], 0 offset:356
	buffer_load_dword v122, off, s[0:3], 0 offset:364
	s_waitcnt vmcnt(31)
	v_fma_f64 v[95:96], v[129:130], v[97:98], v[95:96]
	s_waitcnt vmcnt(30) lgkmcnt(0)
	v_fma_f64 v[95:96], v[127:128], v[99:100], v[95:96]
	s_waitcnt vmcnt(25)
	v_fma_f64 v[103:104], v[103:104], v[101:102], v[95:96]
	ds_read_b128 v[95:98], v94 offset:624
	s_clause 0x1
	buffer_load_dword v127, off, s[0:3], 0 offset:120
	buffer_load_dword v128, off, s[0:3], 0 offset:124
	ds_read_b128 v[99:102], v94 offset:640
	s_waitcnt vmcnt(26) lgkmcnt(1)
	v_fma_f64 v[95:96], v[137:138], v[95:96], v[103:104]
	s_waitcnt vmcnt(25)
	v_fma_f64 v[95:96], v[135:136], v[97:98], v[95:96]
	s_waitcnt vmcnt(24) lgkmcnt(0)
	v_fma_f64 v[95:96], v[133:134], v[99:100], v[95:96]
	s_waitcnt vmcnt(19)
	v_fma_f64 v[103:104], v[105:106], v[101:102], v[95:96]
	ds_read_b128 v[95:98], v94 offset:656
	ds_read_b128 v[99:102], v94 offset:672
	s_waitcnt vmcnt(18) lgkmcnt(1)
	v_fma_f64 v[95:96], v[111:112], v[95:96], v[103:104]
	s_waitcnt vmcnt(17)
	v_fma_f64 v[95:96], v[109:110], v[97:98], v[95:96]
	s_waitcnt vmcnt(16) lgkmcnt(0)
	v_fma_f64 v[95:96], v[107:108], v[99:100], v[95:96]
	s_waitcnt vmcnt(11)
	v_fma_f64 v[103:104], v[113:114], v[101:102], v[95:96]
	ds_read_b128 v[95:98], v94 offset:688
	;; [unrolled: 10-line block ×3, first 2 shown]
	s_waitcnt vmcnt(3) lgkmcnt(0)
	v_fma_f64 v[94:95], v[125:126], v[94:95], v[98:99]
	s_waitcnt vmcnt(2)
	v_fma_f64 v[94:95], v[121:122], v[96:97], v[94:95]
	s_waitcnt vmcnt(0)
	v_add_f64 v[94:95], v[127:128], -v[94:95]
	buffer_store_dword v95, off, s[0:3], 0 offset:124
	buffer_store_dword v94, off, s[0:3], 0 offset:120
	v_cmpx_lt_u32_e32 14, v0
	s_cbranch_execz .LBB109_257
; %bb.256:
	s_clause 0x1
	buffer_load_dword v94, off, s[0:3], 0 offset:112
	buffer_load_dword v95, off, s[0:3], 0 offset:116
	v_mov_b32_e32 v96, 0
	buffer_store_dword v96, off, s[0:3], 0 offset:112
	buffer_store_dword v96, off, s[0:3], 0 offset:116
	s_waitcnt vmcnt(0)
	ds_write_b64 v93, v[94:95]
.LBB109_257:
	s_or_b32 exec_lo, exec_lo, s4
	s_waitcnt lgkmcnt(0)
	s_waitcnt_vscnt null, 0x0
	s_barrier
	buffer_gl0_inv
	s_clause 0x1c
	buffer_load_dword v103, off, s[0:3], 0 offset:120
	buffer_load_dword v104, off, s[0:3], 0 offset:124
	;; [unrolled: 1-line block ×29, first 2 shown]
	v_mov_b32_e32 v94, 0
	buffer_load_dword v128, off, s[0:3], 0 offset:236
	s_mov_b32 s4, exec_lo
	ds_read2_b64 v[95:98], v94 offset0:61 offset1:62
	ds_read2_b64 v[99:102], v94 offset0:63 offset1:64
	s_waitcnt vmcnt(28) lgkmcnt(1)
	v_fma_f64 v[95:96], v[103:104], v[95:96], 0
	s_clause 0x7
	buffer_load_dword v104, off, s[0:3], 0 offset:244
	buffer_load_dword v133, off, s[0:3], 0 offset:264
	buffer_load_dword v135, off, s[0:3], 0 offset:256
	buffer_load_dword v137, off, s[0:3], 0 offset:248
	buffer_load_dword v103, off, s[0:3], 0 offset:240
	buffer_load_dword v138, off, s[0:3], 0 offset:252
	buffer_load_dword v136, off, s[0:3], 0 offset:260
	buffer_load_dword v134, off, s[0:3], 0 offset:268
	s_waitcnt vmcnt(34)
	v_fma_f64 v[95:96], v[105:106], v[97:98], v[95:96]
	s_waitcnt vmcnt(32) lgkmcnt(0)
	v_fma_f64 v[95:96], v[107:108], v[99:100], v[95:96]
	s_waitcnt vmcnt(30)
	v_fma_f64 v[105:106], v[109:110], v[101:102], v[95:96]
	ds_read2_b64 v[95:98], v94 offset0:65 offset1:66
	ds_read2_b64 v[99:102], v94 offset0:67 offset1:68
	s_waitcnt vmcnt(28) lgkmcnt(1)
	v_fma_f64 v[95:96], v[111:112], v[95:96], v[105:106]
	s_clause 0x7
	buffer_load_dword v106, off, s[0:3], 0 offset:276
	buffer_load_dword v107, off, s[0:3], 0 offset:296
	buffer_load_dword v109, off, s[0:3], 0 offset:288
	buffer_load_dword v111, off, s[0:3], 0 offset:280
	buffer_load_dword v105, off, s[0:3], 0 offset:272
	buffer_load_dword v112, off, s[0:3], 0 offset:284
	buffer_load_dword v110, off, s[0:3], 0 offset:292
	buffer_load_dword v108, off, s[0:3], 0 offset:300
	s_waitcnt vmcnt(34)
	v_fma_f64 v[95:96], v[113:114], v[97:98], v[95:96]
	s_waitcnt vmcnt(32) lgkmcnt(0)
	v_fma_f64 v[95:96], v[115:116], v[99:100], v[95:96]
	s_waitcnt vmcnt(27)
	v_fma_f64 v[113:114], v[117:118], v[101:102], v[95:96]
	;; [unrolled: 19-line block ×4, first 2 shown]
	ds_read2_b64 v[95:98], v94 offset0:77 offset1:78
	ds_read2_b64 v[99:102], v94 offset0:79 offset1:80
	s_waitcnt vmcnt(26) lgkmcnt(1)
	v_fma_f64 v[95:96], v[137:138], v[95:96], v[103:104]
	s_clause 0x1
	buffer_load_dword v103, off, s[0:3], 0 offset:112
	buffer_load_dword v104, off, s[0:3], 0 offset:116
	s_waitcnt vmcnt(27)
	v_fma_f64 v[95:96], v[135:136], v[97:98], v[95:96]
	s_waitcnt vmcnt(26) lgkmcnt(0)
	v_fma_f64 v[95:96], v[133:134], v[99:100], v[95:96]
	s_waitcnt vmcnt(21)
	v_fma_f64 v[105:106], v[105:106], v[101:102], v[95:96]
	ds_read2_b64 v[95:98], v94 offset0:81 offset1:82
	ds_read2_b64 v[99:102], v94 offset0:83 offset1:84
	s_waitcnt vmcnt(20) lgkmcnt(1)
	v_fma_f64 v[95:96], v[111:112], v[95:96], v[105:106]
	s_waitcnt vmcnt(19)
	v_fma_f64 v[95:96], v[109:110], v[97:98], v[95:96]
	s_waitcnt vmcnt(18) lgkmcnt(0)
	v_fma_f64 v[95:96], v[107:108], v[99:100], v[95:96]
	s_waitcnt vmcnt(13)
	v_fma_f64 v[105:106], v[113:114], v[101:102], v[95:96]
	ds_read2_b64 v[95:98], v94 offset0:85 offset1:86
	ds_read2_b64 v[99:102], v94 offset0:87 offset1:88
	s_waitcnt vmcnt(12) lgkmcnt(1)
	v_fma_f64 v[95:96], v[123:124], v[95:96], v[105:106]
	s_waitcnt vmcnt(11)
	v_fma_f64 v[95:96], v[117:118], v[97:98], v[95:96]
	s_waitcnt vmcnt(10) lgkmcnt(0)
	v_fma_f64 v[95:96], v[115:116], v[99:100], v[95:96]
	s_waitcnt vmcnt(5)
	v_fma_f64 v[99:100], v[119:120], v[101:102], v[95:96]
	ds_read2_b64 v[95:98], v94 offset0:89 offset1:90
	ds_read_b64 v[101:102], v94 offset:728
	s_waitcnt vmcnt(4) lgkmcnt(1)
	v_fma_f64 v[95:96], v[131:132], v[95:96], v[99:100]
	s_waitcnt vmcnt(3)
	v_fma_f64 v[95:96], v[125:126], v[97:98], v[95:96]
	s_waitcnt vmcnt(2) lgkmcnt(0)
	v_fma_f64 v[95:96], v[121:122], v[101:102], v[95:96]
	s_waitcnt vmcnt(0)
	v_add_f64 v[95:96], v[103:104], -v[95:96]
	buffer_store_dword v96, off, s[0:3], 0 offset:116
	buffer_store_dword v95, off, s[0:3], 0 offset:112
	v_cmpx_lt_u32_e32 13, v0
	s_cbranch_execz .LBB109_259
; %bb.258:
	s_clause 0x1
	buffer_load_dword v95, off, s[0:3], 0 offset:104
	buffer_load_dword v96, off, s[0:3], 0 offset:108
	buffer_store_dword v94, off, s[0:3], 0 offset:104
	buffer_store_dword v94, off, s[0:3], 0 offset:108
	s_waitcnt vmcnt(0)
	ds_write_b64 v93, v[95:96]
.LBB109_259:
	s_or_b32 exec_lo, exec_lo, s4
	s_waitcnt lgkmcnt(0)
	s_waitcnt_vscnt null, 0x0
	s_barrier
	buffer_gl0_inv
	s_clause 0x1c
	buffer_load_dword v103, off, s[0:3], 0 offset:112
	buffer_load_dword v104, off, s[0:3], 0 offset:116
	;; [unrolled: 1-line block ×29, first 2 shown]
	ds_read_b128 v[95:98], v94 offset:480
	ds_read_b128 v[99:102], v94 offset:496
	buffer_load_dword v128, off, s[0:3], 0 offset:228
	s_mov_b32 s4, exec_lo
	s_waitcnt vmcnt(28) lgkmcnt(1)
	v_fma_f64 v[95:96], v[103:104], v[95:96], 0
	s_clause 0x7
	buffer_load_dword v104, off, s[0:3], 0 offset:236
	buffer_load_dword v133, off, s[0:3], 0 offset:256
	buffer_load_dword v135, off, s[0:3], 0 offset:248
	buffer_load_dword v137, off, s[0:3], 0 offset:240
	buffer_load_dword v103, off, s[0:3], 0 offset:232
	buffer_load_dword v138, off, s[0:3], 0 offset:244
	buffer_load_dword v136, off, s[0:3], 0 offset:252
	buffer_load_dword v134, off, s[0:3], 0 offset:260
	s_waitcnt vmcnt(34)
	v_fma_f64 v[95:96], v[105:106], v[97:98], v[95:96]
	s_waitcnt vmcnt(32) lgkmcnt(0)
	v_fma_f64 v[95:96], v[107:108], v[99:100], v[95:96]
	s_waitcnt vmcnt(30)
	v_fma_f64 v[105:106], v[109:110], v[101:102], v[95:96]
	ds_read_b128 v[95:98], v94 offset:512
	ds_read_b128 v[99:102], v94 offset:528
	s_waitcnt vmcnt(28) lgkmcnt(1)
	v_fma_f64 v[95:96], v[111:112], v[95:96], v[105:106]
	s_clause 0x7
	buffer_load_dword v106, off, s[0:3], 0 offset:268
	buffer_load_dword v107, off, s[0:3], 0 offset:288
	buffer_load_dword v109, off, s[0:3], 0 offset:280
	buffer_load_dword v111, off, s[0:3], 0 offset:272
	buffer_load_dword v105, off, s[0:3], 0 offset:264
	buffer_load_dword v112, off, s[0:3], 0 offset:276
	buffer_load_dword v110, off, s[0:3], 0 offset:284
	buffer_load_dword v108, off, s[0:3], 0 offset:292
	s_waitcnt vmcnt(34)
	v_fma_f64 v[95:96], v[113:114], v[97:98], v[95:96]
	s_waitcnt vmcnt(32) lgkmcnt(0)
	v_fma_f64 v[95:96], v[115:116], v[99:100], v[95:96]
	s_waitcnt vmcnt(27)
	v_fma_f64 v[113:114], v[117:118], v[101:102], v[95:96]
	ds_read_b128 v[95:98], v94 offset:544
	ds_read_b128 v[99:102], v94 offset:560
	;; [unrolled: 19-line block ×4, first 2 shown]
	s_waitcnt vmcnt(26) lgkmcnt(1)
	v_fma_f64 v[95:96], v[137:138], v[95:96], v[103:104]
	s_clause 0x3
	buffer_load_dword v104, off, s[0:3], 0 offset:364
	buffer_load_dword v103, off, s[0:3], 0 offset:360
	;; [unrolled: 1-line block ×4, first 2 shown]
	s_waitcnt vmcnt(29)
	v_fma_f64 v[95:96], v[135:136], v[97:98], v[95:96]
	s_waitcnt vmcnt(28) lgkmcnt(0)
	v_fma_f64 v[95:96], v[133:134], v[99:100], v[95:96]
	s_waitcnt vmcnt(23)
	v_fma_f64 v[105:106], v[105:106], v[101:102], v[95:96]
	ds_read_b128 v[95:98], v94 offset:640
	ds_read_b128 v[99:102], v94 offset:656
	s_waitcnt vmcnt(22) lgkmcnt(1)
	v_fma_f64 v[95:96], v[111:112], v[95:96], v[105:106]
	s_waitcnt vmcnt(21)
	v_fma_f64 v[95:96], v[109:110], v[97:98], v[95:96]
	s_waitcnt vmcnt(20) lgkmcnt(0)
	v_fma_f64 v[95:96], v[107:108], v[99:100], v[95:96]
	s_waitcnt vmcnt(15)
	v_fma_f64 v[105:106], v[113:114], v[101:102], v[95:96]
	ds_read_b128 v[95:98], v94 offset:672
	ds_read_b128 v[99:102], v94 offset:688
	s_waitcnt vmcnt(14) lgkmcnt(1)
	v_fma_f64 v[95:96], v[123:124], v[95:96], v[105:106]
	;; [unrolled: 10-line block ×3, first 2 shown]
	s_waitcnt vmcnt(5)
	v_fma_f64 v[94:95], v[125:126], v[97:98], v[94:95]
	s_waitcnt vmcnt(4) lgkmcnt(0)
	v_fma_f64 v[94:95], v[121:122], v[99:100], v[94:95]
	s_waitcnt vmcnt(2)
	v_fma_f64 v[94:95], v[103:104], v[101:102], v[94:95]
	s_waitcnt vmcnt(0)
	v_add_f64 v[94:95], v[127:128], -v[94:95]
	buffer_store_dword v95, off, s[0:3], 0 offset:108
	buffer_store_dword v94, off, s[0:3], 0 offset:104
	v_cmpx_lt_u32_e32 12, v0
	s_cbranch_execz .LBB109_261
; %bb.260:
	s_clause 0x1
	buffer_load_dword v94, off, s[0:3], 0 offset:96
	buffer_load_dword v95, off, s[0:3], 0 offset:100
	v_mov_b32_e32 v96, 0
	buffer_store_dword v96, off, s[0:3], 0 offset:96
	buffer_store_dword v96, off, s[0:3], 0 offset:100
	s_waitcnt vmcnt(0)
	ds_write_b64 v93, v[94:95]
.LBB109_261:
	s_or_b32 exec_lo, exec_lo, s4
	s_waitcnt lgkmcnt(0)
	s_waitcnt_vscnt null, 0x0
	s_barrier
	buffer_gl0_inv
	s_clause 0x1c
	buffer_load_dword v103, off, s[0:3], 0 offset:104
	buffer_load_dword v104, off, s[0:3], 0 offset:108
	;; [unrolled: 1-line block ×29, first 2 shown]
	v_mov_b32_e32 v94, 0
	buffer_load_dword v128, off, s[0:3], 0 offset:220
	s_mov_b32 s4, exec_lo
	ds_read2_b64 v[95:98], v94 offset0:59 offset1:60
	ds_read2_b64 v[99:102], v94 offset0:61 offset1:62
	s_waitcnt vmcnt(28) lgkmcnt(1)
	v_fma_f64 v[95:96], v[103:104], v[95:96], 0
	s_clause 0x7
	buffer_load_dword v104, off, s[0:3], 0 offset:228
	buffer_load_dword v133, off, s[0:3], 0 offset:248
	buffer_load_dword v135, off, s[0:3], 0 offset:240
	buffer_load_dword v137, off, s[0:3], 0 offset:232
	buffer_load_dword v103, off, s[0:3], 0 offset:224
	buffer_load_dword v138, off, s[0:3], 0 offset:236
	buffer_load_dword v136, off, s[0:3], 0 offset:244
	buffer_load_dword v134, off, s[0:3], 0 offset:252
	s_waitcnt vmcnt(34)
	v_fma_f64 v[95:96], v[105:106], v[97:98], v[95:96]
	s_waitcnt vmcnt(32) lgkmcnt(0)
	v_fma_f64 v[95:96], v[107:108], v[99:100], v[95:96]
	s_waitcnt vmcnt(30)
	v_fma_f64 v[105:106], v[109:110], v[101:102], v[95:96]
	ds_read2_b64 v[95:98], v94 offset0:63 offset1:64
	ds_read2_b64 v[99:102], v94 offset0:65 offset1:66
	s_waitcnt vmcnt(28) lgkmcnt(1)
	v_fma_f64 v[95:96], v[111:112], v[95:96], v[105:106]
	s_clause 0x7
	buffer_load_dword v106, off, s[0:3], 0 offset:260
	buffer_load_dword v107, off, s[0:3], 0 offset:280
	buffer_load_dword v109, off, s[0:3], 0 offset:272
	buffer_load_dword v111, off, s[0:3], 0 offset:264
	buffer_load_dword v105, off, s[0:3], 0 offset:256
	buffer_load_dword v112, off, s[0:3], 0 offset:268
	buffer_load_dword v110, off, s[0:3], 0 offset:276
	buffer_load_dword v108, off, s[0:3], 0 offset:284
	s_waitcnt vmcnt(34)
	v_fma_f64 v[95:96], v[113:114], v[97:98], v[95:96]
	s_waitcnt vmcnt(32) lgkmcnt(0)
	v_fma_f64 v[95:96], v[115:116], v[99:100], v[95:96]
	s_waitcnt vmcnt(27)
	v_fma_f64 v[113:114], v[117:118], v[101:102], v[95:96]
	;; [unrolled: 19-line block ×4, first 2 shown]
	ds_read2_b64 v[95:98], v94 offset0:75 offset1:76
	ds_read2_b64 v[99:102], v94 offset0:77 offset1:78
	s_waitcnt vmcnt(26) lgkmcnt(1)
	v_fma_f64 v[95:96], v[137:138], v[95:96], v[103:104]
	s_clause 0x5
	buffer_load_dword v104, off, s[0:3], 0 offset:356
	buffer_load_dword v127, off, s[0:3], 0 offset:360
	;; [unrolled: 1-line block ×6, first 2 shown]
	s_waitcnt vmcnt(31)
	v_fma_f64 v[95:96], v[135:136], v[97:98], v[95:96]
	s_waitcnt vmcnt(30) lgkmcnt(0)
	v_fma_f64 v[95:96], v[133:134], v[99:100], v[95:96]
	s_waitcnt vmcnt(25)
	v_fma_f64 v[105:106], v[105:106], v[101:102], v[95:96]
	ds_read2_b64 v[95:98], v94 offset0:79 offset1:80
	ds_read2_b64 v[99:102], v94 offset0:81 offset1:82
	s_waitcnt vmcnt(24) lgkmcnt(1)
	v_fma_f64 v[95:96], v[111:112], v[95:96], v[105:106]
	s_waitcnt vmcnt(23)
	v_fma_f64 v[95:96], v[109:110], v[97:98], v[95:96]
	s_waitcnt vmcnt(22) lgkmcnt(0)
	v_fma_f64 v[95:96], v[107:108], v[99:100], v[95:96]
	s_waitcnt vmcnt(17)
	v_fma_f64 v[105:106], v[113:114], v[101:102], v[95:96]
	ds_read2_b64 v[95:98], v94 offset0:83 offset1:84
	ds_read2_b64 v[99:102], v94 offset0:85 offset1:86
	s_waitcnt vmcnt(16) lgkmcnt(1)
	v_fma_f64 v[95:96], v[123:124], v[95:96], v[105:106]
	;; [unrolled: 10-line block ×3, first 2 shown]
	s_waitcnt vmcnt(7)
	v_fma_f64 v[95:96], v[125:126], v[97:98], v[95:96]
	ds_read_b64 v[97:98], v94 offset:728
	s_waitcnt vmcnt(6) lgkmcnt(1)
	v_fma_f64 v[95:96], v[121:122], v[99:100], v[95:96]
	s_waitcnt vmcnt(3)
	v_fma_f64 v[95:96], v[103:104], v[101:102], v[95:96]
	s_waitcnt vmcnt(2) lgkmcnt(0)
	v_fma_f64 v[95:96], v[127:128], v[97:98], v[95:96]
	s_waitcnt vmcnt(0)
	v_add_f64 v[95:96], v[129:130], -v[95:96]
	buffer_store_dword v96, off, s[0:3], 0 offset:100
	buffer_store_dword v95, off, s[0:3], 0 offset:96
	v_cmpx_lt_u32_e32 11, v0
	s_cbranch_execz .LBB109_263
; %bb.262:
	s_clause 0x1
	buffer_load_dword v95, off, s[0:3], 0 offset:88
	buffer_load_dword v96, off, s[0:3], 0 offset:92
	buffer_store_dword v94, off, s[0:3], 0 offset:88
	buffer_store_dword v94, off, s[0:3], 0 offset:92
	s_waitcnt vmcnt(0)
	ds_write_b64 v93, v[95:96]
.LBB109_263:
	s_or_b32 exec_lo, exec_lo, s4
	s_waitcnt lgkmcnt(0)
	s_waitcnt_vscnt null, 0x0
	s_barrier
	buffer_gl0_inv
	s_clause 0x1c
	buffer_load_dword v103, off, s[0:3], 0 offset:96
	buffer_load_dword v104, off, s[0:3], 0 offset:100
	;; [unrolled: 1-line block ×29, first 2 shown]
	ds_read_b128 v[95:98], v94 offset:464
	ds_read_b128 v[99:102], v94 offset:480
	buffer_load_dword v128, off, s[0:3], 0 offset:212
	s_mov_b32 s4, exec_lo
	s_waitcnt vmcnt(28) lgkmcnt(1)
	v_fma_f64 v[95:96], v[103:104], v[95:96], 0
	s_clause 0x7
	buffer_load_dword v104, off, s[0:3], 0 offset:220
	buffer_load_dword v133, off, s[0:3], 0 offset:240
	buffer_load_dword v135, off, s[0:3], 0 offset:232
	buffer_load_dword v137, off, s[0:3], 0 offset:224
	buffer_load_dword v103, off, s[0:3], 0 offset:216
	buffer_load_dword v138, off, s[0:3], 0 offset:228
	buffer_load_dword v136, off, s[0:3], 0 offset:236
	buffer_load_dword v134, off, s[0:3], 0 offset:244
	s_waitcnt vmcnt(34)
	v_fma_f64 v[95:96], v[105:106], v[97:98], v[95:96]
	s_waitcnt vmcnt(32) lgkmcnt(0)
	v_fma_f64 v[95:96], v[107:108], v[99:100], v[95:96]
	s_waitcnt vmcnt(30)
	v_fma_f64 v[105:106], v[109:110], v[101:102], v[95:96]
	ds_read_b128 v[95:98], v94 offset:496
	ds_read_b128 v[99:102], v94 offset:512
	s_waitcnt vmcnt(28) lgkmcnt(1)
	v_fma_f64 v[95:96], v[111:112], v[95:96], v[105:106]
	s_clause 0x7
	buffer_load_dword v106, off, s[0:3], 0 offset:252
	buffer_load_dword v107, off, s[0:3], 0 offset:272
	buffer_load_dword v109, off, s[0:3], 0 offset:264
	buffer_load_dword v111, off, s[0:3], 0 offset:256
	buffer_load_dword v105, off, s[0:3], 0 offset:248
	buffer_load_dword v112, off, s[0:3], 0 offset:260
	buffer_load_dword v110, off, s[0:3], 0 offset:268
	buffer_load_dword v108, off, s[0:3], 0 offset:276
	s_waitcnt vmcnt(34)
	v_fma_f64 v[95:96], v[113:114], v[97:98], v[95:96]
	s_waitcnt vmcnt(32) lgkmcnt(0)
	v_fma_f64 v[95:96], v[115:116], v[99:100], v[95:96]
	s_waitcnt vmcnt(27)
	v_fma_f64 v[113:114], v[117:118], v[101:102], v[95:96]
	ds_read_b128 v[95:98], v94 offset:528
	ds_read_b128 v[99:102], v94 offset:544
	;; [unrolled: 19-line block ×4, first 2 shown]
	s_waitcnt vmcnt(26) lgkmcnt(1)
	v_fma_f64 v[95:96], v[137:138], v[95:96], v[103:104]
	s_clause 0x5
	buffer_load_dword v104, off, s[0:3], 0 offset:348
	buffer_load_dword v127, off, s[0:3], 0 offset:360
	;; [unrolled: 1-line block ×6, first 2 shown]
	s_waitcnt vmcnt(31)
	v_fma_f64 v[95:96], v[135:136], v[97:98], v[95:96]
	s_waitcnt vmcnt(30) lgkmcnt(0)
	v_fma_f64 v[95:96], v[133:134], v[99:100], v[95:96]
	s_waitcnt vmcnt(25)
	v_fma_f64 v[105:106], v[105:106], v[101:102], v[95:96]
	ds_read_b128 v[95:98], v94 offset:624
	s_clause 0x1
	buffer_load_dword v133, off, s[0:3], 0 offset:88
	buffer_load_dword v134, off, s[0:3], 0 offset:92
	ds_read_b128 v[99:102], v94 offset:640
	s_waitcnt vmcnt(26) lgkmcnt(1)
	v_fma_f64 v[95:96], v[111:112], v[95:96], v[105:106]
	s_waitcnt vmcnt(25)
	v_fma_f64 v[95:96], v[109:110], v[97:98], v[95:96]
	s_waitcnt vmcnt(24) lgkmcnt(0)
	v_fma_f64 v[95:96], v[107:108], v[99:100], v[95:96]
	s_waitcnt vmcnt(19)
	v_fma_f64 v[105:106], v[113:114], v[101:102], v[95:96]
	ds_read_b128 v[95:98], v94 offset:656
	ds_read_b128 v[99:102], v94 offset:672
	s_waitcnt vmcnt(18) lgkmcnt(1)
	v_fma_f64 v[95:96], v[123:124], v[95:96], v[105:106]
	s_waitcnt vmcnt(17)
	v_fma_f64 v[95:96], v[117:118], v[97:98], v[95:96]
	s_waitcnt vmcnt(16) lgkmcnt(0)
	v_fma_f64 v[95:96], v[115:116], v[99:100], v[95:96]
	s_waitcnt vmcnt(11)
	v_fma_f64 v[105:106], v[119:120], v[101:102], v[95:96]
	ds_read_b128 v[95:98], v94 offset:688
	;; [unrolled: 10-line block ×3, first 2 shown]
	s_waitcnt vmcnt(3) lgkmcnt(0)
	v_fma_f64 v[94:95], v[129:130], v[94:95], v[98:99]
	s_waitcnt vmcnt(2)
	v_fma_f64 v[94:95], v[127:128], v[96:97], v[94:95]
	s_waitcnt vmcnt(0)
	v_add_f64 v[94:95], v[133:134], -v[94:95]
	buffer_store_dword v95, off, s[0:3], 0 offset:92
	buffer_store_dword v94, off, s[0:3], 0 offset:88
	v_cmpx_lt_u32_e32 10, v0
	s_cbranch_execz .LBB109_265
; %bb.264:
	s_clause 0x1
	buffer_load_dword v94, off, s[0:3], 0 offset:80
	buffer_load_dword v95, off, s[0:3], 0 offset:84
	v_mov_b32_e32 v96, 0
	buffer_store_dword v96, off, s[0:3], 0 offset:80
	buffer_store_dword v96, off, s[0:3], 0 offset:84
	s_waitcnt vmcnt(0)
	ds_write_b64 v93, v[94:95]
.LBB109_265:
	s_or_b32 exec_lo, exec_lo, s4
	s_waitcnt lgkmcnt(0)
	s_waitcnt_vscnt null, 0x0
	s_barrier
	buffer_gl0_inv
	s_clause 0x1c
	buffer_load_dword v103, off, s[0:3], 0 offset:88
	buffer_load_dword v104, off, s[0:3], 0 offset:92
	;; [unrolled: 1-line block ×29, first 2 shown]
	v_mov_b32_e32 v94, 0
	buffer_load_dword v128, off, s[0:3], 0 offset:204
	s_mov_b32 s4, exec_lo
	ds_read2_b64 v[95:98], v94 offset0:57 offset1:58
	ds_read2_b64 v[99:102], v94 offset0:59 offset1:60
	s_waitcnt vmcnt(28) lgkmcnt(1)
	v_fma_f64 v[95:96], v[103:104], v[95:96], 0
	s_clause 0x7
	buffer_load_dword v104, off, s[0:3], 0 offset:212
	buffer_load_dword v133, off, s[0:3], 0 offset:232
	buffer_load_dword v135, off, s[0:3], 0 offset:224
	buffer_load_dword v137, off, s[0:3], 0 offset:216
	buffer_load_dword v103, off, s[0:3], 0 offset:208
	buffer_load_dword v138, off, s[0:3], 0 offset:220
	buffer_load_dword v136, off, s[0:3], 0 offset:228
	buffer_load_dword v134, off, s[0:3], 0 offset:236
	s_waitcnt vmcnt(34)
	v_fma_f64 v[95:96], v[105:106], v[97:98], v[95:96]
	s_waitcnt vmcnt(32) lgkmcnt(0)
	v_fma_f64 v[95:96], v[107:108], v[99:100], v[95:96]
	s_waitcnt vmcnt(30)
	v_fma_f64 v[105:106], v[109:110], v[101:102], v[95:96]
	ds_read2_b64 v[95:98], v94 offset0:61 offset1:62
	ds_read2_b64 v[99:102], v94 offset0:63 offset1:64
	s_waitcnt vmcnt(28) lgkmcnt(1)
	v_fma_f64 v[95:96], v[111:112], v[95:96], v[105:106]
	s_clause 0x7
	buffer_load_dword v106, off, s[0:3], 0 offset:244
	buffer_load_dword v107, off, s[0:3], 0 offset:264
	buffer_load_dword v109, off, s[0:3], 0 offset:256
	buffer_load_dword v111, off, s[0:3], 0 offset:248
	buffer_load_dword v105, off, s[0:3], 0 offset:240
	buffer_load_dword v112, off, s[0:3], 0 offset:252
	buffer_load_dword v110, off, s[0:3], 0 offset:260
	buffer_load_dword v108, off, s[0:3], 0 offset:268
	s_waitcnt vmcnt(34)
	v_fma_f64 v[95:96], v[113:114], v[97:98], v[95:96]
	s_waitcnt vmcnt(32) lgkmcnt(0)
	v_fma_f64 v[95:96], v[115:116], v[99:100], v[95:96]
	s_waitcnt vmcnt(27)
	v_fma_f64 v[113:114], v[117:118], v[101:102], v[95:96]
	;; [unrolled: 19-line block ×5, first 2 shown]
	ds_read2_b64 v[95:98], v94 offset0:77 offset1:78
	ds_read2_b64 v[99:102], v94 offset0:79 offset1:80
	s_waitcnt vmcnt(26) lgkmcnt(1)
	v_fma_f64 v[95:96], v[111:112], v[95:96], v[105:106]
	s_clause 0x1
	buffer_load_dword v105, off, s[0:3], 0 offset:80
	buffer_load_dword v106, off, s[0:3], 0 offset:84
	s_waitcnt vmcnt(27)
	v_fma_f64 v[95:96], v[109:110], v[97:98], v[95:96]
	s_waitcnt vmcnt(26) lgkmcnt(0)
	v_fma_f64 v[95:96], v[107:108], v[99:100], v[95:96]
	s_waitcnt vmcnt(21)
	v_fma_f64 v[107:108], v[113:114], v[101:102], v[95:96]
	ds_read2_b64 v[95:98], v94 offset0:81 offset1:82
	ds_read2_b64 v[99:102], v94 offset0:83 offset1:84
	s_waitcnt vmcnt(20) lgkmcnt(1)
	v_fma_f64 v[95:96], v[123:124], v[95:96], v[107:108]
	s_waitcnt vmcnt(19)
	v_fma_f64 v[95:96], v[117:118], v[97:98], v[95:96]
	s_waitcnt vmcnt(18) lgkmcnt(0)
	v_fma_f64 v[95:96], v[115:116], v[99:100], v[95:96]
	s_waitcnt vmcnt(13)
	v_fma_f64 v[107:108], v[119:120], v[101:102], v[95:96]
	ds_read2_b64 v[95:98], v94 offset0:85 offset1:86
	ds_read2_b64 v[99:102], v94 offset0:87 offset1:88
	s_waitcnt vmcnt(12) lgkmcnt(1)
	v_fma_f64 v[95:96], v[131:132], v[95:96], v[107:108]
	s_waitcnt vmcnt(11)
	v_fma_f64 v[95:96], v[125:126], v[97:98], v[95:96]
	s_waitcnt vmcnt(10) lgkmcnt(0)
	v_fma_f64 v[95:96], v[121:122], v[99:100], v[95:96]
	s_waitcnt vmcnt(5)
	v_fma_f64 v[99:100], v[103:104], v[101:102], v[95:96]
	ds_read2_b64 v[95:98], v94 offset0:89 offset1:90
	ds_read_b64 v[101:102], v94 offset:728
	s_waitcnt vmcnt(4) lgkmcnt(1)
	v_fma_f64 v[95:96], v[137:138], v[95:96], v[99:100]
	s_waitcnt vmcnt(3)
	v_fma_f64 v[95:96], v[129:130], v[97:98], v[95:96]
	s_waitcnt vmcnt(2) lgkmcnt(0)
	v_fma_f64 v[95:96], v[127:128], v[101:102], v[95:96]
	s_waitcnt vmcnt(0)
	v_add_f64 v[95:96], v[105:106], -v[95:96]
	buffer_store_dword v96, off, s[0:3], 0 offset:84
	buffer_store_dword v95, off, s[0:3], 0 offset:80
	v_cmpx_lt_u32_e32 9, v0
	s_cbranch_execz .LBB109_267
; %bb.266:
	s_clause 0x1
	buffer_load_dword v95, off, s[0:3], 0 offset:72
	buffer_load_dword v96, off, s[0:3], 0 offset:76
	buffer_store_dword v94, off, s[0:3], 0 offset:72
	buffer_store_dword v94, off, s[0:3], 0 offset:76
	s_waitcnt vmcnt(0)
	ds_write_b64 v93, v[95:96]
.LBB109_267:
	s_or_b32 exec_lo, exec_lo, s4
	s_waitcnt lgkmcnt(0)
	s_waitcnt_vscnt null, 0x0
	s_barrier
	buffer_gl0_inv
	s_clause 0x1c
	buffer_load_dword v103, off, s[0:3], 0 offset:80
	buffer_load_dword v104, off, s[0:3], 0 offset:84
	;; [unrolled: 1-line block ×29, first 2 shown]
	ds_read_b128 v[95:98], v94 offset:448
	ds_read_b128 v[99:102], v94 offset:464
	buffer_load_dword v128, off, s[0:3], 0 offset:196
	s_mov_b32 s4, exec_lo
	s_waitcnt vmcnt(28) lgkmcnt(1)
	v_fma_f64 v[95:96], v[103:104], v[95:96], 0
	s_clause 0x7
	buffer_load_dword v104, off, s[0:3], 0 offset:204
	buffer_load_dword v133, off, s[0:3], 0 offset:224
	buffer_load_dword v135, off, s[0:3], 0 offset:216
	buffer_load_dword v137, off, s[0:3], 0 offset:208
	buffer_load_dword v103, off, s[0:3], 0 offset:200
	buffer_load_dword v138, off, s[0:3], 0 offset:212
	buffer_load_dword v136, off, s[0:3], 0 offset:220
	buffer_load_dword v134, off, s[0:3], 0 offset:228
	s_waitcnt vmcnt(34)
	v_fma_f64 v[95:96], v[105:106], v[97:98], v[95:96]
	s_waitcnt vmcnt(32) lgkmcnt(0)
	v_fma_f64 v[95:96], v[107:108], v[99:100], v[95:96]
	s_waitcnt vmcnt(30)
	v_fma_f64 v[105:106], v[109:110], v[101:102], v[95:96]
	ds_read_b128 v[95:98], v94 offset:480
	ds_read_b128 v[99:102], v94 offset:496
	s_waitcnt vmcnt(28) lgkmcnt(1)
	v_fma_f64 v[95:96], v[111:112], v[95:96], v[105:106]
	s_clause 0x7
	buffer_load_dword v106, off, s[0:3], 0 offset:236
	buffer_load_dword v107, off, s[0:3], 0 offset:256
	buffer_load_dword v109, off, s[0:3], 0 offset:248
	buffer_load_dword v111, off, s[0:3], 0 offset:240
	buffer_load_dword v105, off, s[0:3], 0 offset:232
	buffer_load_dword v112, off, s[0:3], 0 offset:244
	buffer_load_dword v110, off, s[0:3], 0 offset:252
	buffer_load_dword v108, off, s[0:3], 0 offset:260
	s_waitcnt vmcnt(34)
	v_fma_f64 v[95:96], v[113:114], v[97:98], v[95:96]
	s_waitcnt vmcnt(32) lgkmcnt(0)
	v_fma_f64 v[95:96], v[115:116], v[99:100], v[95:96]
	s_waitcnt vmcnt(27)
	v_fma_f64 v[113:114], v[117:118], v[101:102], v[95:96]
	ds_read_b128 v[95:98], v94 offset:512
	ds_read_b128 v[99:102], v94 offset:528
	;; [unrolled: 19-line block ×5, first 2 shown]
	s_waitcnt vmcnt(26) lgkmcnt(1)
	v_fma_f64 v[95:96], v[111:112], v[95:96], v[105:106]
	s_clause 0x1
	buffer_load_dword v106, off, s[0:3], 0 offset:364
	buffer_load_dword v105, off, s[0:3], 0 offset:360
	s_waitcnt vmcnt(27)
	v_fma_f64 v[95:96], v[109:110], v[97:98], v[95:96]
	s_clause 0x1
	buffer_load_dword v109, off, s[0:3], 0 offset:72
	buffer_load_dword v110, off, s[0:3], 0 offset:76
	s_waitcnt vmcnt(28) lgkmcnt(0)
	v_fma_f64 v[95:96], v[107:108], v[99:100], v[95:96]
	s_waitcnt vmcnt(23)
	v_fma_f64 v[107:108], v[113:114], v[101:102], v[95:96]
	ds_read_b128 v[95:98], v94 offset:640
	ds_read_b128 v[99:102], v94 offset:656
	s_waitcnt vmcnt(22) lgkmcnt(1)
	v_fma_f64 v[95:96], v[123:124], v[95:96], v[107:108]
	s_waitcnt vmcnt(21)
	v_fma_f64 v[95:96], v[117:118], v[97:98], v[95:96]
	s_waitcnt vmcnt(20) lgkmcnt(0)
	v_fma_f64 v[95:96], v[115:116], v[99:100], v[95:96]
	s_waitcnt vmcnt(15)
	v_fma_f64 v[107:108], v[119:120], v[101:102], v[95:96]
	ds_read_b128 v[95:98], v94 offset:672
	ds_read_b128 v[99:102], v94 offset:688
	s_waitcnt vmcnt(14) lgkmcnt(1)
	v_fma_f64 v[95:96], v[131:132], v[95:96], v[107:108]
	s_waitcnt vmcnt(13)
	v_fma_f64 v[95:96], v[125:126], v[97:98], v[95:96]
	;; [unrolled: 10-line block ×3, first 2 shown]
	s_waitcnt vmcnt(4) lgkmcnt(0)
	v_fma_f64 v[94:95], v[127:128], v[99:100], v[94:95]
	s_waitcnt vmcnt(2)
	v_fma_f64 v[94:95], v[105:106], v[101:102], v[94:95]
	s_waitcnt vmcnt(0)
	v_add_f64 v[94:95], v[109:110], -v[94:95]
	buffer_store_dword v95, off, s[0:3], 0 offset:76
	buffer_store_dword v94, off, s[0:3], 0 offset:72
	v_cmpx_lt_u32_e32 8, v0
	s_cbranch_execz .LBB109_269
; %bb.268:
	s_clause 0x1
	buffer_load_dword v94, off, s[0:3], 0 offset:64
	buffer_load_dword v95, off, s[0:3], 0 offset:68
	v_mov_b32_e32 v96, 0
	buffer_store_dword v96, off, s[0:3], 0 offset:64
	buffer_store_dword v96, off, s[0:3], 0 offset:68
	s_waitcnt vmcnt(0)
	ds_write_b64 v93, v[94:95]
.LBB109_269:
	s_or_b32 exec_lo, exec_lo, s4
	s_waitcnt lgkmcnt(0)
	s_waitcnt_vscnt null, 0x0
	s_barrier
	buffer_gl0_inv
	s_clause 0x1c
	buffer_load_dword v103, off, s[0:3], 0 offset:72
	buffer_load_dword v104, off, s[0:3], 0 offset:76
	;; [unrolled: 1-line block ×29, first 2 shown]
	v_mov_b32_e32 v94, 0
	buffer_load_dword v128, off, s[0:3], 0 offset:188
	s_mov_b32 s4, exec_lo
	ds_read2_b64 v[95:98], v94 offset0:55 offset1:56
	ds_read2_b64 v[99:102], v94 offset0:57 offset1:58
	s_waitcnt vmcnt(28) lgkmcnt(1)
	v_fma_f64 v[95:96], v[103:104], v[95:96], 0
	s_clause 0x7
	buffer_load_dword v104, off, s[0:3], 0 offset:196
	buffer_load_dword v133, off, s[0:3], 0 offset:216
	buffer_load_dword v135, off, s[0:3], 0 offset:208
	buffer_load_dword v137, off, s[0:3], 0 offset:200
	buffer_load_dword v103, off, s[0:3], 0 offset:192
	buffer_load_dword v138, off, s[0:3], 0 offset:204
	buffer_load_dword v136, off, s[0:3], 0 offset:212
	buffer_load_dword v134, off, s[0:3], 0 offset:220
	s_waitcnt vmcnt(34)
	v_fma_f64 v[95:96], v[105:106], v[97:98], v[95:96]
	s_waitcnt vmcnt(32) lgkmcnt(0)
	v_fma_f64 v[95:96], v[107:108], v[99:100], v[95:96]
	s_waitcnt vmcnt(30)
	v_fma_f64 v[105:106], v[109:110], v[101:102], v[95:96]
	ds_read2_b64 v[95:98], v94 offset0:59 offset1:60
	ds_read2_b64 v[99:102], v94 offset0:61 offset1:62
	s_waitcnt vmcnt(28) lgkmcnt(1)
	v_fma_f64 v[95:96], v[111:112], v[95:96], v[105:106]
	s_clause 0x7
	buffer_load_dword v106, off, s[0:3], 0 offset:228
	buffer_load_dword v107, off, s[0:3], 0 offset:248
	buffer_load_dword v109, off, s[0:3], 0 offset:240
	buffer_load_dword v111, off, s[0:3], 0 offset:232
	buffer_load_dword v105, off, s[0:3], 0 offset:224
	buffer_load_dword v112, off, s[0:3], 0 offset:236
	buffer_load_dword v110, off, s[0:3], 0 offset:244
	buffer_load_dword v108, off, s[0:3], 0 offset:252
	s_waitcnt vmcnt(34)
	v_fma_f64 v[95:96], v[113:114], v[97:98], v[95:96]
	s_waitcnt vmcnt(32) lgkmcnt(0)
	v_fma_f64 v[95:96], v[115:116], v[99:100], v[95:96]
	s_waitcnt vmcnt(27)
	v_fma_f64 v[113:114], v[117:118], v[101:102], v[95:96]
	ds_read2_b64 v[95:98], v94 offset0:63 offset1:64
	ds_read2_b64 v[99:102], v94 offset0:65 offset1:66
	s_waitcnt vmcnt(26) lgkmcnt(1)
	v_fma_f64 v[95:96], v[123:124], v[95:96], v[113:114]
	s_clause 0x7
	buffer_load_dword v114, off, s[0:3], 0 offset:260
	buffer_load_dword v115, off, s[0:3], 0 offset:280
	buffer_load_dword v117, off, s[0:3], 0 offset:272
	buffer_load_dword v123, off, s[0:3], 0 offset:264
	buffer_load_dword v113, off, s[0:3], 0 offset:256
	buffer_load_dword v124, off, s[0:3], 0 offset:268
	buffer_load_dword v118, off, s[0:3], 0 offset:276
	buffer_load_dword v116, off, s[0:3], 0 offset:284
	s_waitcnt vmcnt(33)
	v_fma_f64 v[95:96], v[121:122], v[97:98], v[95:96]
	s_waitcnt vmcnt(32) lgkmcnt(0)
	v_fma_f64 v[95:96], v[119:120], v[99:100], v[95:96]
	s_waitcnt vmcnt(27)
	v_fma_f64 v[119:120], v[125:126], v[101:102], v[95:96]
	ds_read2_b64 v[95:98], v94 offset0:67 offset1:68
	ds_read2_b64 v[99:102], v94 offset0:69 offset1:70
	s_waitcnt vmcnt(26) lgkmcnt(1)
	v_fma_f64 v[95:96], v[131:132], v[95:96], v[119:120]
	s_clause 0x7
	buffer_load_dword v120, off, s[0:3], 0 offset:292
	buffer_load_dword v121, off, s[0:3], 0 offset:312
	buffer_load_dword v125, off, s[0:3], 0 offset:304
	buffer_load_dword v131, off, s[0:3], 0 offset:296
	buffer_load_dword v119, off, s[0:3], 0 offset:288
	buffer_load_dword v132, off, s[0:3], 0 offset:300
	buffer_load_dword v126, off, s[0:3], 0 offset:308
	buffer_load_dword v122, off, s[0:3], 0 offset:316
	s_waitcnt vmcnt(33)
	v_fma_f64 v[95:96], v[129:130], v[97:98], v[95:96]
	s_waitcnt vmcnt(32) lgkmcnt(0)
	v_fma_f64 v[95:96], v[127:128], v[99:100], v[95:96]
	s_waitcnt vmcnt(27)
	v_fma_f64 v[103:104], v[103:104], v[101:102], v[95:96]
	ds_read2_b64 v[95:98], v94 offset0:71 offset1:72
	ds_read2_b64 v[99:102], v94 offset0:73 offset1:74
	s_waitcnt vmcnt(26) lgkmcnt(1)
	v_fma_f64 v[95:96], v[137:138], v[95:96], v[103:104]
	s_clause 0x7
	buffer_load_dword v104, off, s[0:3], 0 offset:324
	buffer_load_dword v127, off, s[0:3], 0 offset:344
	buffer_load_dword v129, off, s[0:3], 0 offset:336
	buffer_load_dword v137, off, s[0:3], 0 offset:328
	buffer_load_dword v103, off, s[0:3], 0 offset:320
	buffer_load_dword v138, off, s[0:3], 0 offset:332
	buffer_load_dword v130, off, s[0:3], 0 offset:340
	buffer_load_dword v128, off, s[0:3], 0 offset:348
	s_waitcnt vmcnt(33)
	v_fma_f64 v[95:96], v[135:136], v[97:98], v[95:96]
	s_waitcnt vmcnt(32) lgkmcnt(0)
	v_fma_f64 v[95:96], v[133:134], v[99:100], v[95:96]
	s_waitcnt vmcnt(27)
	v_fma_f64 v[105:106], v[105:106], v[101:102], v[95:96]
	ds_read2_b64 v[95:98], v94 offset0:75 offset1:76
	ds_read2_b64 v[99:102], v94 offset0:77 offset1:78
	s_waitcnt vmcnt(26) lgkmcnt(1)
	v_fma_f64 v[95:96], v[111:112], v[95:96], v[105:106]
	s_clause 0x3
	buffer_load_dword v106, off, s[0:3], 0 offset:356
	buffer_load_dword v111, off, s[0:3], 0 offset:360
	;; [unrolled: 1-line block ×4, first 2 shown]
	s_waitcnt vmcnt(29)
	v_fma_f64 v[95:96], v[109:110], v[97:98], v[95:96]
	s_waitcnt vmcnt(28) lgkmcnt(0)
	v_fma_f64 v[95:96], v[107:108], v[99:100], v[95:96]
	s_clause 0x1
	buffer_load_dword v107, off, s[0:3], 0 offset:64
	buffer_load_dword v108, off, s[0:3], 0 offset:68
	s_waitcnt vmcnt(25)
	v_fma_f64 v[109:110], v[113:114], v[101:102], v[95:96]
	ds_read2_b64 v[95:98], v94 offset0:79 offset1:80
	ds_read2_b64 v[99:102], v94 offset0:81 offset1:82
	s_waitcnt vmcnt(24) lgkmcnt(1)
	v_fma_f64 v[95:96], v[123:124], v[95:96], v[109:110]
	s_waitcnt vmcnt(23)
	v_fma_f64 v[95:96], v[117:118], v[97:98], v[95:96]
	s_waitcnt vmcnt(22) lgkmcnt(0)
	v_fma_f64 v[95:96], v[115:116], v[99:100], v[95:96]
	s_waitcnt vmcnt(17)
	v_fma_f64 v[109:110], v[119:120], v[101:102], v[95:96]
	ds_read2_b64 v[95:98], v94 offset0:83 offset1:84
	ds_read2_b64 v[99:102], v94 offset0:85 offset1:86
	s_waitcnt vmcnt(16) lgkmcnt(1)
	v_fma_f64 v[95:96], v[131:132], v[95:96], v[109:110]
	s_waitcnt vmcnt(15)
	v_fma_f64 v[95:96], v[125:126], v[97:98], v[95:96]
	s_waitcnt vmcnt(14) lgkmcnt(0)
	v_fma_f64 v[95:96], v[121:122], v[99:100], v[95:96]
	s_waitcnt vmcnt(9)
	v_fma_f64 v[103:104], v[103:104], v[101:102], v[95:96]
	ds_read2_b64 v[95:98], v94 offset0:87 offset1:88
	ds_read2_b64 v[99:102], v94 offset0:89 offset1:90
	s_waitcnt vmcnt(8) lgkmcnt(1)
	v_fma_f64 v[95:96], v[137:138], v[95:96], v[103:104]
	s_waitcnt vmcnt(7)
	v_fma_f64 v[95:96], v[129:130], v[97:98], v[95:96]
	ds_read_b64 v[97:98], v94 offset:728
	s_waitcnt vmcnt(6) lgkmcnt(1)
	v_fma_f64 v[95:96], v[127:128], v[99:100], v[95:96]
	s_waitcnt vmcnt(3)
	v_fma_f64 v[95:96], v[105:106], v[101:102], v[95:96]
	s_waitcnt vmcnt(2) lgkmcnt(0)
	v_fma_f64 v[95:96], v[111:112], v[97:98], v[95:96]
	s_waitcnt vmcnt(0)
	v_add_f64 v[95:96], v[107:108], -v[95:96]
	buffer_store_dword v96, off, s[0:3], 0 offset:68
	buffer_store_dword v95, off, s[0:3], 0 offset:64
	v_cmpx_lt_u32_e32 7, v0
	s_cbranch_execz .LBB109_271
; %bb.270:
	s_clause 0x1
	buffer_load_dword v95, off, s[0:3], 0 offset:56
	buffer_load_dword v96, off, s[0:3], 0 offset:60
	buffer_store_dword v94, off, s[0:3], 0 offset:56
	buffer_store_dword v94, off, s[0:3], 0 offset:60
	s_waitcnt vmcnt(0)
	ds_write_b64 v93, v[95:96]
.LBB109_271:
	s_or_b32 exec_lo, exec_lo, s4
	s_waitcnt lgkmcnt(0)
	s_waitcnt_vscnt null, 0x0
	s_barrier
	buffer_gl0_inv
	s_clause 0x1c
	buffer_load_dword v103, off, s[0:3], 0 offset:64
	buffer_load_dword v104, off, s[0:3], 0 offset:68
	;; [unrolled: 1-line block ×29, first 2 shown]
	ds_read_b128 v[95:98], v94 offset:432
	ds_read_b128 v[99:102], v94 offset:448
	buffer_load_dword v128, off, s[0:3], 0 offset:180
	s_mov_b32 s4, exec_lo
	s_waitcnt vmcnt(28) lgkmcnt(1)
	v_fma_f64 v[95:96], v[103:104], v[95:96], 0
	s_clause 0x7
	buffer_load_dword v104, off, s[0:3], 0 offset:188
	buffer_load_dword v133, off, s[0:3], 0 offset:208
	buffer_load_dword v135, off, s[0:3], 0 offset:200
	buffer_load_dword v137, off, s[0:3], 0 offset:192
	buffer_load_dword v103, off, s[0:3], 0 offset:184
	buffer_load_dword v138, off, s[0:3], 0 offset:196
	buffer_load_dword v136, off, s[0:3], 0 offset:204
	buffer_load_dword v134, off, s[0:3], 0 offset:212
	s_waitcnt vmcnt(34)
	v_fma_f64 v[95:96], v[105:106], v[97:98], v[95:96]
	s_waitcnt vmcnt(32) lgkmcnt(0)
	v_fma_f64 v[95:96], v[107:108], v[99:100], v[95:96]
	s_waitcnt vmcnt(30)
	v_fma_f64 v[105:106], v[109:110], v[101:102], v[95:96]
	ds_read_b128 v[95:98], v94 offset:464
	ds_read_b128 v[99:102], v94 offset:480
	s_waitcnt vmcnt(28) lgkmcnt(1)
	v_fma_f64 v[95:96], v[111:112], v[95:96], v[105:106]
	s_clause 0x7
	buffer_load_dword v106, off, s[0:3], 0 offset:220
	buffer_load_dword v107, off, s[0:3], 0 offset:240
	buffer_load_dword v109, off, s[0:3], 0 offset:232
	buffer_load_dword v111, off, s[0:3], 0 offset:224
	buffer_load_dword v105, off, s[0:3], 0 offset:216
	buffer_load_dword v112, off, s[0:3], 0 offset:228
	buffer_load_dword v110, off, s[0:3], 0 offset:236
	buffer_load_dword v108, off, s[0:3], 0 offset:244
	s_waitcnt vmcnt(34)
	v_fma_f64 v[95:96], v[113:114], v[97:98], v[95:96]
	s_waitcnt vmcnt(32) lgkmcnt(0)
	v_fma_f64 v[95:96], v[115:116], v[99:100], v[95:96]
	s_waitcnt vmcnt(27)
	v_fma_f64 v[113:114], v[117:118], v[101:102], v[95:96]
	ds_read_b128 v[95:98], v94 offset:496
	ds_read_b128 v[99:102], v94 offset:512
	;; [unrolled: 19-line block ×5, first 2 shown]
	s_waitcnt vmcnt(26) lgkmcnt(1)
	v_fma_f64 v[95:96], v[111:112], v[95:96], v[105:106]
	s_clause 0x5
	buffer_load_dword v106, off, s[0:3], 0 offset:348
	buffer_load_dword v111, off, s[0:3], 0 offset:360
	;; [unrolled: 1-line block ×6, first 2 shown]
	s_waitcnt vmcnt(31)
	v_fma_f64 v[95:96], v[109:110], v[97:98], v[95:96]
	s_waitcnt vmcnt(30) lgkmcnt(0)
	v_fma_f64 v[95:96], v[107:108], v[99:100], v[95:96]
	s_waitcnt vmcnt(25)
	v_fma_f64 v[107:108], v[113:114], v[101:102], v[95:96]
	ds_read_b128 v[95:98], v94 offset:624
	s_clause 0x1
	buffer_load_dword v109, off, s[0:3], 0 offset:56
	buffer_load_dword v110, off, s[0:3], 0 offset:60
	ds_read_b128 v[99:102], v94 offset:640
	s_waitcnt vmcnt(26) lgkmcnt(1)
	v_fma_f64 v[95:96], v[123:124], v[95:96], v[107:108]
	s_waitcnt vmcnt(25)
	v_fma_f64 v[95:96], v[117:118], v[97:98], v[95:96]
	s_waitcnt vmcnt(24) lgkmcnt(0)
	v_fma_f64 v[95:96], v[115:116], v[99:100], v[95:96]
	s_waitcnt vmcnt(19)
	v_fma_f64 v[107:108], v[119:120], v[101:102], v[95:96]
	ds_read_b128 v[95:98], v94 offset:656
	ds_read_b128 v[99:102], v94 offset:672
	s_waitcnt vmcnt(18) lgkmcnt(1)
	v_fma_f64 v[95:96], v[131:132], v[95:96], v[107:108]
	s_waitcnt vmcnt(17)
	v_fma_f64 v[95:96], v[125:126], v[97:98], v[95:96]
	s_waitcnt vmcnt(16) lgkmcnt(0)
	v_fma_f64 v[95:96], v[121:122], v[99:100], v[95:96]
	s_waitcnt vmcnt(11)
	v_fma_f64 v[103:104], v[103:104], v[101:102], v[95:96]
	ds_read_b128 v[95:98], v94 offset:688
	;; [unrolled: 10-line block ×3, first 2 shown]
	s_waitcnt vmcnt(3) lgkmcnt(0)
	v_fma_f64 v[94:95], v[133:134], v[94:95], v[98:99]
	s_waitcnt vmcnt(2)
	v_fma_f64 v[94:95], v[111:112], v[96:97], v[94:95]
	s_waitcnt vmcnt(0)
	v_add_f64 v[94:95], v[109:110], -v[94:95]
	buffer_store_dword v95, off, s[0:3], 0 offset:60
	buffer_store_dword v94, off, s[0:3], 0 offset:56
	v_cmpx_lt_u32_e32 6, v0
	s_cbranch_execz .LBB109_273
; %bb.272:
	s_clause 0x1
	buffer_load_dword v94, off, s[0:3], 0 offset:48
	buffer_load_dword v95, off, s[0:3], 0 offset:52
	v_mov_b32_e32 v96, 0
	buffer_store_dword v96, off, s[0:3], 0 offset:48
	buffer_store_dword v96, off, s[0:3], 0 offset:52
	s_waitcnt vmcnt(0)
	ds_write_b64 v93, v[94:95]
.LBB109_273:
	s_or_b32 exec_lo, exec_lo, s4
	s_waitcnt lgkmcnt(0)
	s_waitcnt_vscnt null, 0x0
	s_barrier
	buffer_gl0_inv
	s_clause 0x1c
	buffer_load_dword v103, off, s[0:3], 0 offset:56
	buffer_load_dword v104, off, s[0:3], 0 offset:60
	;; [unrolled: 1-line block ×29, first 2 shown]
	v_mov_b32_e32 v94, 0
	buffer_load_dword v128, off, s[0:3], 0 offset:172
	s_mov_b32 s4, exec_lo
	ds_read2_b64 v[95:98], v94 offset0:53 offset1:54
	ds_read2_b64 v[99:102], v94 offset0:55 offset1:56
	s_waitcnt vmcnt(28) lgkmcnt(1)
	v_fma_f64 v[95:96], v[103:104], v[95:96], 0
	s_clause 0x7
	buffer_load_dword v104, off, s[0:3], 0 offset:180
	buffer_load_dword v133, off, s[0:3], 0 offset:200
	buffer_load_dword v135, off, s[0:3], 0 offset:192
	buffer_load_dword v137, off, s[0:3], 0 offset:184
	buffer_load_dword v103, off, s[0:3], 0 offset:176
	buffer_load_dword v138, off, s[0:3], 0 offset:188
	buffer_load_dword v136, off, s[0:3], 0 offset:196
	buffer_load_dword v134, off, s[0:3], 0 offset:204
	s_waitcnt vmcnt(34)
	v_fma_f64 v[95:96], v[105:106], v[97:98], v[95:96]
	s_waitcnt vmcnt(32) lgkmcnt(0)
	v_fma_f64 v[95:96], v[107:108], v[99:100], v[95:96]
	s_waitcnt vmcnt(30)
	v_fma_f64 v[105:106], v[109:110], v[101:102], v[95:96]
	ds_read2_b64 v[95:98], v94 offset0:57 offset1:58
	ds_read2_b64 v[99:102], v94 offset0:59 offset1:60
	s_waitcnt vmcnt(28) lgkmcnt(1)
	v_fma_f64 v[95:96], v[111:112], v[95:96], v[105:106]
	s_clause 0x7
	buffer_load_dword v106, off, s[0:3], 0 offset:212
	buffer_load_dword v107, off, s[0:3], 0 offset:232
	buffer_load_dword v109, off, s[0:3], 0 offset:224
	buffer_load_dword v111, off, s[0:3], 0 offset:216
	buffer_load_dword v105, off, s[0:3], 0 offset:208
	buffer_load_dword v112, off, s[0:3], 0 offset:220
	buffer_load_dword v110, off, s[0:3], 0 offset:228
	buffer_load_dword v108, off, s[0:3], 0 offset:236
	s_waitcnt vmcnt(34)
	v_fma_f64 v[95:96], v[113:114], v[97:98], v[95:96]
	s_waitcnt vmcnt(32) lgkmcnt(0)
	v_fma_f64 v[95:96], v[115:116], v[99:100], v[95:96]
	s_waitcnt vmcnt(27)
	v_fma_f64 v[113:114], v[117:118], v[101:102], v[95:96]
	;; [unrolled: 19-line block ×6, first 2 shown]
	ds_read2_b64 v[95:98], v94 offset0:77 offset1:78
	ds_read2_b64 v[99:102], v94 offset0:79 offset1:80
	s_waitcnt vmcnt(26) lgkmcnt(1)
	v_fma_f64 v[95:96], v[123:124], v[95:96], v[107:108]
	s_clause 0x1
	buffer_load_dword v107, off, s[0:3], 0 offset:48
	buffer_load_dword v108, off, s[0:3], 0 offset:52
	s_waitcnt vmcnt(27)
	v_fma_f64 v[95:96], v[117:118], v[97:98], v[95:96]
	s_waitcnt vmcnt(26) lgkmcnt(0)
	v_fma_f64 v[95:96], v[115:116], v[99:100], v[95:96]
	s_waitcnt vmcnt(21)
	v_fma_f64 v[109:110], v[119:120], v[101:102], v[95:96]
	ds_read2_b64 v[95:98], v94 offset0:81 offset1:82
	ds_read2_b64 v[99:102], v94 offset0:83 offset1:84
	s_waitcnt vmcnt(20) lgkmcnt(1)
	v_fma_f64 v[95:96], v[131:132], v[95:96], v[109:110]
	s_waitcnt vmcnt(19)
	v_fma_f64 v[95:96], v[125:126], v[97:98], v[95:96]
	s_waitcnt vmcnt(18) lgkmcnt(0)
	v_fma_f64 v[95:96], v[121:122], v[99:100], v[95:96]
	s_waitcnt vmcnt(13)
	v_fma_f64 v[103:104], v[103:104], v[101:102], v[95:96]
	ds_read2_b64 v[95:98], v94 offset0:85 offset1:86
	ds_read2_b64 v[99:102], v94 offset0:87 offset1:88
	s_waitcnt vmcnt(12) lgkmcnt(1)
	v_fma_f64 v[95:96], v[137:138], v[95:96], v[103:104]
	s_waitcnt vmcnt(11)
	v_fma_f64 v[95:96], v[129:130], v[97:98], v[95:96]
	s_waitcnt vmcnt(10) lgkmcnt(0)
	v_fma_f64 v[95:96], v[127:128], v[99:100], v[95:96]
	s_waitcnt vmcnt(5)
	v_fma_f64 v[99:100], v[105:106], v[101:102], v[95:96]
	ds_read2_b64 v[95:98], v94 offset0:89 offset1:90
	ds_read_b64 v[101:102], v94 offset:728
	s_waitcnt vmcnt(4) lgkmcnt(1)
	v_fma_f64 v[95:96], v[135:136], v[95:96], v[99:100]
	s_waitcnt vmcnt(3)
	v_fma_f64 v[95:96], v[133:134], v[97:98], v[95:96]
	s_waitcnt vmcnt(2) lgkmcnt(0)
	v_fma_f64 v[95:96], v[111:112], v[101:102], v[95:96]
	s_waitcnt vmcnt(0)
	v_add_f64 v[95:96], v[107:108], -v[95:96]
	buffer_store_dword v96, off, s[0:3], 0 offset:52
	buffer_store_dword v95, off, s[0:3], 0 offset:48
	v_cmpx_lt_u32_e32 5, v0
	s_cbranch_execz .LBB109_275
; %bb.274:
	s_clause 0x1
	buffer_load_dword v95, off, s[0:3], 0 offset:40
	buffer_load_dword v96, off, s[0:3], 0 offset:44
	buffer_store_dword v94, off, s[0:3], 0 offset:40
	buffer_store_dword v94, off, s[0:3], 0 offset:44
	s_waitcnt vmcnt(0)
	ds_write_b64 v93, v[95:96]
.LBB109_275:
	s_or_b32 exec_lo, exec_lo, s4
	s_waitcnt lgkmcnt(0)
	s_waitcnt_vscnt null, 0x0
	s_barrier
	buffer_gl0_inv
	s_clause 0x1c
	buffer_load_dword v103, off, s[0:3], 0 offset:48
	buffer_load_dword v104, off, s[0:3], 0 offset:52
	;; [unrolled: 1-line block ×29, first 2 shown]
	ds_read_b128 v[95:98], v94 offset:416
	ds_read_b128 v[99:102], v94 offset:432
	buffer_load_dword v128, off, s[0:3], 0 offset:164
	s_mov_b32 s4, exec_lo
	s_waitcnt vmcnt(28) lgkmcnt(1)
	v_fma_f64 v[95:96], v[103:104], v[95:96], 0
	s_clause 0x7
	buffer_load_dword v104, off, s[0:3], 0 offset:172
	buffer_load_dword v133, off, s[0:3], 0 offset:192
	buffer_load_dword v135, off, s[0:3], 0 offset:184
	buffer_load_dword v137, off, s[0:3], 0 offset:176
	buffer_load_dword v103, off, s[0:3], 0 offset:168
	buffer_load_dword v138, off, s[0:3], 0 offset:180
	buffer_load_dword v136, off, s[0:3], 0 offset:188
	buffer_load_dword v134, off, s[0:3], 0 offset:196
	s_waitcnt vmcnt(34)
	v_fma_f64 v[95:96], v[105:106], v[97:98], v[95:96]
	s_waitcnt vmcnt(32) lgkmcnt(0)
	v_fma_f64 v[95:96], v[107:108], v[99:100], v[95:96]
	s_waitcnt vmcnt(30)
	v_fma_f64 v[105:106], v[109:110], v[101:102], v[95:96]
	ds_read_b128 v[95:98], v94 offset:448
	ds_read_b128 v[99:102], v94 offset:464
	s_waitcnt vmcnt(28) lgkmcnt(1)
	v_fma_f64 v[95:96], v[111:112], v[95:96], v[105:106]
	s_clause 0x7
	buffer_load_dword v106, off, s[0:3], 0 offset:204
	buffer_load_dword v107, off, s[0:3], 0 offset:224
	buffer_load_dword v109, off, s[0:3], 0 offset:216
	buffer_load_dword v111, off, s[0:3], 0 offset:208
	buffer_load_dword v105, off, s[0:3], 0 offset:200
	buffer_load_dword v112, off, s[0:3], 0 offset:212
	buffer_load_dword v110, off, s[0:3], 0 offset:220
	buffer_load_dword v108, off, s[0:3], 0 offset:228
	s_waitcnt vmcnt(34)
	v_fma_f64 v[95:96], v[113:114], v[97:98], v[95:96]
	s_waitcnt vmcnt(32) lgkmcnt(0)
	v_fma_f64 v[95:96], v[115:116], v[99:100], v[95:96]
	s_waitcnt vmcnt(27)
	v_fma_f64 v[113:114], v[117:118], v[101:102], v[95:96]
	ds_read_b128 v[95:98], v94 offset:480
	ds_read_b128 v[99:102], v94 offset:496
	;; [unrolled: 19-line block ×6, first 2 shown]
	s_waitcnt vmcnt(26) lgkmcnt(1)
	v_fma_f64 v[95:96], v[123:124], v[95:96], v[107:108]
	s_clause 0x3
	buffer_load_dword v108, off, s[0:3], 0 offset:364
	buffer_load_dword v107, off, s[0:3], 0 offset:360
	;; [unrolled: 1-line block ×4, first 2 shown]
	s_waitcnt vmcnt(29)
	v_fma_f64 v[95:96], v[117:118], v[97:98], v[95:96]
	s_waitcnt vmcnt(28) lgkmcnt(0)
	v_fma_f64 v[95:96], v[115:116], v[99:100], v[95:96]
	s_waitcnt vmcnt(23)
	v_fma_f64 v[113:114], v[119:120], v[101:102], v[95:96]
	ds_read_b128 v[95:98], v94 offset:640
	ds_read_b128 v[99:102], v94 offset:656
	s_waitcnt vmcnt(22) lgkmcnt(1)
	v_fma_f64 v[95:96], v[131:132], v[95:96], v[113:114]
	s_waitcnt vmcnt(21)
	v_fma_f64 v[95:96], v[125:126], v[97:98], v[95:96]
	s_waitcnt vmcnt(20) lgkmcnt(0)
	v_fma_f64 v[95:96], v[121:122], v[99:100], v[95:96]
	s_waitcnt vmcnt(15)
	v_fma_f64 v[103:104], v[103:104], v[101:102], v[95:96]
	ds_read_b128 v[95:98], v94 offset:672
	ds_read_b128 v[99:102], v94 offset:688
	s_waitcnt vmcnt(14) lgkmcnt(1)
	v_fma_f64 v[95:96], v[137:138], v[95:96], v[103:104]
	;; [unrolled: 10-line block ×3, first 2 shown]
	s_waitcnt vmcnt(5)
	v_fma_f64 v[94:95], v[133:134], v[97:98], v[94:95]
	s_waitcnt vmcnt(4) lgkmcnt(0)
	v_fma_f64 v[94:95], v[111:112], v[99:100], v[94:95]
	s_waitcnt vmcnt(2)
	v_fma_f64 v[94:95], v[107:108], v[101:102], v[94:95]
	s_waitcnt vmcnt(0)
	v_add_f64 v[94:95], v[109:110], -v[94:95]
	buffer_store_dword v95, off, s[0:3], 0 offset:44
	buffer_store_dword v94, off, s[0:3], 0 offset:40
	v_cmpx_lt_u32_e32 4, v0
	s_cbranch_execz .LBB109_277
; %bb.276:
	s_clause 0x1
	buffer_load_dword v94, off, s[0:3], 0 offset:32
	buffer_load_dword v95, off, s[0:3], 0 offset:36
	v_mov_b32_e32 v96, 0
	buffer_store_dword v96, off, s[0:3], 0 offset:32
	buffer_store_dword v96, off, s[0:3], 0 offset:36
	s_waitcnt vmcnt(0)
	ds_write_b64 v93, v[94:95]
.LBB109_277:
	s_or_b32 exec_lo, exec_lo, s4
	s_waitcnt lgkmcnt(0)
	s_waitcnt_vscnt null, 0x0
	s_barrier
	buffer_gl0_inv
	s_clause 0x1c
	buffer_load_dword v103, off, s[0:3], 0 offset:40
	buffer_load_dword v104, off, s[0:3], 0 offset:44
	;; [unrolled: 1-line block ×29, first 2 shown]
	v_mov_b32_e32 v94, 0
	buffer_load_dword v128, off, s[0:3], 0 offset:156
	s_mov_b32 s4, exec_lo
	ds_read2_b64 v[95:98], v94 offset0:51 offset1:52
	ds_read2_b64 v[99:102], v94 offset0:53 offset1:54
	s_waitcnt vmcnt(28) lgkmcnt(1)
	v_fma_f64 v[95:96], v[103:104], v[95:96], 0
	s_clause 0x7
	buffer_load_dword v104, off, s[0:3], 0 offset:164
	buffer_load_dword v133, off, s[0:3], 0 offset:184
	buffer_load_dword v135, off, s[0:3], 0 offset:176
	buffer_load_dword v137, off, s[0:3], 0 offset:168
	buffer_load_dword v103, off, s[0:3], 0 offset:160
	buffer_load_dword v138, off, s[0:3], 0 offset:172
	buffer_load_dword v136, off, s[0:3], 0 offset:180
	buffer_load_dword v134, off, s[0:3], 0 offset:188
	s_waitcnt vmcnt(34)
	v_fma_f64 v[95:96], v[105:106], v[97:98], v[95:96]
	s_waitcnt vmcnt(32) lgkmcnt(0)
	v_fma_f64 v[95:96], v[107:108], v[99:100], v[95:96]
	s_waitcnt vmcnt(30)
	v_fma_f64 v[105:106], v[109:110], v[101:102], v[95:96]
	ds_read2_b64 v[95:98], v94 offset0:55 offset1:56
	ds_read2_b64 v[99:102], v94 offset0:57 offset1:58
	s_waitcnt vmcnt(28) lgkmcnt(1)
	v_fma_f64 v[95:96], v[111:112], v[95:96], v[105:106]
	s_clause 0x7
	buffer_load_dword v106, off, s[0:3], 0 offset:196
	buffer_load_dword v107, off, s[0:3], 0 offset:216
	buffer_load_dword v109, off, s[0:3], 0 offset:208
	buffer_load_dword v111, off, s[0:3], 0 offset:200
	buffer_load_dword v105, off, s[0:3], 0 offset:192
	buffer_load_dword v112, off, s[0:3], 0 offset:204
	buffer_load_dword v110, off, s[0:3], 0 offset:212
	buffer_load_dword v108, off, s[0:3], 0 offset:220
	s_waitcnt vmcnt(34)
	v_fma_f64 v[95:96], v[113:114], v[97:98], v[95:96]
	s_waitcnt vmcnt(32) lgkmcnt(0)
	v_fma_f64 v[95:96], v[115:116], v[99:100], v[95:96]
	s_waitcnt vmcnt(27)
	v_fma_f64 v[113:114], v[117:118], v[101:102], v[95:96]
	;; [unrolled: 19-line block ×6, first 2 shown]
	ds_read2_b64 v[95:98], v94 offset0:75 offset1:76
	ds_read2_b64 v[99:102], v94 offset0:77 offset1:78
	s_waitcnt vmcnt(26) lgkmcnt(1)
	v_fma_f64 v[95:96], v[123:124], v[95:96], v[107:108]
	s_clause 0x5
	buffer_load_dword v108, off, s[0:3], 0 offset:356
	buffer_load_dword v109, off, s[0:3], 0 offset:360
	;; [unrolled: 1-line block ×6, first 2 shown]
	s_waitcnt vmcnt(31)
	v_fma_f64 v[95:96], v[117:118], v[97:98], v[95:96]
	s_waitcnt vmcnt(30) lgkmcnt(0)
	v_fma_f64 v[95:96], v[115:116], v[99:100], v[95:96]
	s_waitcnt vmcnt(25)
	v_fma_f64 v[115:116], v[119:120], v[101:102], v[95:96]
	ds_read2_b64 v[95:98], v94 offset0:79 offset1:80
	ds_read2_b64 v[99:102], v94 offset0:81 offset1:82
	s_waitcnt vmcnt(24) lgkmcnt(1)
	v_fma_f64 v[95:96], v[131:132], v[95:96], v[115:116]
	s_waitcnt vmcnt(23)
	v_fma_f64 v[95:96], v[125:126], v[97:98], v[95:96]
	s_waitcnt vmcnt(22) lgkmcnt(0)
	v_fma_f64 v[95:96], v[121:122], v[99:100], v[95:96]
	s_waitcnt vmcnt(17)
	v_fma_f64 v[103:104], v[103:104], v[101:102], v[95:96]
	ds_read2_b64 v[95:98], v94 offset0:83 offset1:84
	ds_read2_b64 v[99:102], v94 offset0:85 offset1:86
	s_waitcnt vmcnt(16) lgkmcnt(1)
	v_fma_f64 v[95:96], v[137:138], v[95:96], v[103:104]
	;; [unrolled: 10-line block ×3, first 2 shown]
	s_waitcnt vmcnt(7)
	v_fma_f64 v[95:96], v[133:134], v[97:98], v[95:96]
	ds_read_b64 v[97:98], v94 offset:728
	s_waitcnt vmcnt(6) lgkmcnt(1)
	v_fma_f64 v[95:96], v[111:112], v[99:100], v[95:96]
	s_waitcnt vmcnt(3)
	v_fma_f64 v[95:96], v[107:108], v[101:102], v[95:96]
	s_waitcnt vmcnt(2) lgkmcnt(0)
	v_fma_f64 v[95:96], v[109:110], v[97:98], v[95:96]
	s_waitcnt vmcnt(0)
	v_add_f64 v[95:96], v[113:114], -v[95:96]
	buffer_store_dword v96, off, s[0:3], 0 offset:36
	buffer_store_dword v95, off, s[0:3], 0 offset:32
	v_cmpx_lt_u32_e32 3, v0
	s_cbranch_execz .LBB109_279
; %bb.278:
	s_clause 0x1
	buffer_load_dword v95, off, s[0:3], 0 offset:24
	buffer_load_dword v96, off, s[0:3], 0 offset:28
	buffer_store_dword v94, off, s[0:3], 0 offset:24
	buffer_store_dword v94, off, s[0:3], 0 offset:28
	s_waitcnt vmcnt(0)
	ds_write_b64 v93, v[95:96]
.LBB109_279:
	s_or_b32 exec_lo, exec_lo, s4
	s_waitcnt lgkmcnt(0)
	s_waitcnt_vscnt null, 0x0
	s_barrier
	buffer_gl0_inv
	s_clause 0x1c
	buffer_load_dword v103, off, s[0:3], 0 offset:32
	buffer_load_dword v104, off, s[0:3], 0 offset:36
	;; [unrolled: 1-line block ×29, first 2 shown]
	ds_read_b128 v[95:98], v94 offset:400
	ds_read_b128 v[99:102], v94 offset:416
	buffer_load_dword v128, off, s[0:3], 0 offset:148
	s_mov_b32 s4, exec_lo
	s_waitcnt vmcnt(28) lgkmcnt(1)
	v_fma_f64 v[95:96], v[103:104], v[95:96], 0
	s_clause 0x7
	buffer_load_dword v104, off, s[0:3], 0 offset:156
	buffer_load_dword v133, off, s[0:3], 0 offset:176
	buffer_load_dword v135, off, s[0:3], 0 offset:168
	buffer_load_dword v137, off, s[0:3], 0 offset:160
	buffer_load_dword v103, off, s[0:3], 0 offset:152
	buffer_load_dword v138, off, s[0:3], 0 offset:164
	buffer_load_dword v136, off, s[0:3], 0 offset:172
	buffer_load_dword v134, off, s[0:3], 0 offset:180
	s_waitcnt vmcnt(34)
	v_fma_f64 v[95:96], v[105:106], v[97:98], v[95:96]
	s_waitcnt vmcnt(32) lgkmcnt(0)
	v_fma_f64 v[95:96], v[107:108], v[99:100], v[95:96]
	s_waitcnt vmcnt(30)
	v_fma_f64 v[105:106], v[109:110], v[101:102], v[95:96]
	ds_read_b128 v[95:98], v94 offset:432
	ds_read_b128 v[99:102], v94 offset:448
	s_waitcnt vmcnt(28) lgkmcnt(1)
	v_fma_f64 v[95:96], v[111:112], v[95:96], v[105:106]
	s_clause 0x7
	buffer_load_dword v106, off, s[0:3], 0 offset:188
	buffer_load_dword v107, off, s[0:3], 0 offset:208
	buffer_load_dword v109, off, s[0:3], 0 offset:200
	buffer_load_dword v111, off, s[0:3], 0 offset:192
	buffer_load_dword v105, off, s[0:3], 0 offset:184
	buffer_load_dword v112, off, s[0:3], 0 offset:196
	buffer_load_dword v110, off, s[0:3], 0 offset:204
	buffer_load_dword v108, off, s[0:3], 0 offset:212
	s_waitcnt vmcnt(34)
	v_fma_f64 v[95:96], v[113:114], v[97:98], v[95:96]
	s_waitcnt vmcnt(32) lgkmcnt(0)
	v_fma_f64 v[95:96], v[115:116], v[99:100], v[95:96]
	s_waitcnt vmcnt(27)
	v_fma_f64 v[113:114], v[117:118], v[101:102], v[95:96]
	ds_read_b128 v[95:98], v94 offset:464
	ds_read_b128 v[99:102], v94 offset:480
	;; [unrolled: 19-line block ×6, first 2 shown]
	s_waitcnt vmcnt(26) lgkmcnt(1)
	v_fma_f64 v[95:96], v[123:124], v[95:96], v[107:108]
	s_clause 0x5
	buffer_load_dword v108, off, s[0:3], 0 offset:348
	buffer_load_dword v109, off, s[0:3], 0 offset:360
	;; [unrolled: 1-line block ×6, first 2 shown]
	s_waitcnt vmcnt(31)
	v_fma_f64 v[95:96], v[117:118], v[97:98], v[95:96]
	s_waitcnt vmcnt(30) lgkmcnt(0)
	v_fma_f64 v[95:96], v[115:116], v[99:100], v[95:96]
	s_waitcnt vmcnt(25)
	v_fma_f64 v[115:116], v[119:120], v[101:102], v[95:96]
	ds_read_b128 v[95:98], v94 offset:624
	s_clause 0x1
	buffer_load_dword v117, off, s[0:3], 0 offset:24
	buffer_load_dword v118, off, s[0:3], 0 offset:28
	ds_read_b128 v[99:102], v94 offset:640
	s_waitcnt vmcnt(26) lgkmcnt(1)
	v_fma_f64 v[95:96], v[131:132], v[95:96], v[115:116]
	s_waitcnt vmcnt(25)
	v_fma_f64 v[95:96], v[125:126], v[97:98], v[95:96]
	s_waitcnt vmcnt(24) lgkmcnt(0)
	v_fma_f64 v[95:96], v[121:122], v[99:100], v[95:96]
	s_waitcnt vmcnt(19)
	v_fma_f64 v[103:104], v[103:104], v[101:102], v[95:96]
	ds_read_b128 v[95:98], v94 offset:656
	ds_read_b128 v[99:102], v94 offset:672
	s_waitcnt vmcnt(18) lgkmcnt(1)
	v_fma_f64 v[95:96], v[137:138], v[95:96], v[103:104]
	s_waitcnt vmcnt(17)
	v_fma_f64 v[95:96], v[129:130], v[97:98], v[95:96]
	s_waitcnt vmcnt(16) lgkmcnt(0)
	v_fma_f64 v[95:96], v[127:128], v[99:100], v[95:96]
	s_waitcnt vmcnt(11)
	v_fma_f64 v[103:104], v[105:106], v[101:102], v[95:96]
	ds_read_b128 v[95:98], v94 offset:688
	;; [unrolled: 10-line block ×3, first 2 shown]
	s_waitcnt vmcnt(3) lgkmcnt(0)
	v_fma_f64 v[94:95], v[113:114], v[94:95], v[98:99]
	s_waitcnt vmcnt(2)
	v_fma_f64 v[94:95], v[109:110], v[96:97], v[94:95]
	s_waitcnt vmcnt(0)
	v_add_f64 v[94:95], v[117:118], -v[94:95]
	buffer_store_dword v95, off, s[0:3], 0 offset:28
	buffer_store_dword v94, off, s[0:3], 0 offset:24
	v_cmpx_lt_u32_e32 2, v0
	s_cbranch_execz .LBB109_281
; %bb.280:
	s_clause 0x1
	buffer_load_dword v94, off, s[0:3], 0 offset:16
	buffer_load_dword v95, off, s[0:3], 0 offset:20
	v_mov_b32_e32 v96, 0
	buffer_store_dword v96, off, s[0:3], 0 offset:16
	buffer_store_dword v96, off, s[0:3], 0 offset:20
	s_waitcnt vmcnt(0)
	ds_write_b64 v93, v[94:95]
.LBB109_281:
	s_or_b32 exec_lo, exec_lo, s4
	s_waitcnt lgkmcnt(0)
	s_waitcnt_vscnt null, 0x0
	s_barrier
	buffer_gl0_inv
	s_clause 0x1c
	buffer_load_dword v103, off, s[0:3], 0 offset:24
	buffer_load_dword v104, off, s[0:3], 0 offset:28
	;; [unrolled: 1-line block ×29, first 2 shown]
	v_mov_b32_e32 v94, 0
	buffer_load_dword v128, off, s[0:3], 0 offset:140
	s_mov_b32 s4, exec_lo
	ds_read2_b64 v[95:98], v94 offset0:49 offset1:50
	ds_read2_b64 v[99:102], v94 offset0:51 offset1:52
	s_waitcnt vmcnt(28) lgkmcnt(1)
	v_fma_f64 v[95:96], v[103:104], v[95:96], 0
	s_clause 0x7
	buffer_load_dword v104, off, s[0:3], 0 offset:148
	buffer_load_dword v133, off, s[0:3], 0 offset:168
	buffer_load_dword v135, off, s[0:3], 0 offset:160
	buffer_load_dword v137, off, s[0:3], 0 offset:152
	buffer_load_dword v103, off, s[0:3], 0 offset:144
	buffer_load_dword v138, off, s[0:3], 0 offset:156
	buffer_load_dword v136, off, s[0:3], 0 offset:164
	buffer_load_dword v134, off, s[0:3], 0 offset:172
	s_waitcnt vmcnt(34)
	v_fma_f64 v[95:96], v[105:106], v[97:98], v[95:96]
	s_waitcnt vmcnt(32) lgkmcnt(0)
	v_fma_f64 v[95:96], v[107:108], v[99:100], v[95:96]
	s_waitcnt vmcnt(30)
	v_fma_f64 v[105:106], v[109:110], v[101:102], v[95:96]
	ds_read2_b64 v[95:98], v94 offset0:53 offset1:54
	ds_read2_b64 v[99:102], v94 offset0:55 offset1:56
	s_waitcnt vmcnt(28) lgkmcnt(1)
	v_fma_f64 v[95:96], v[111:112], v[95:96], v[105:106]
	s_clause 0x7
	buffer_load_dword v106, off, s[0:3], 0 offset:180
	buffer_load_dword v107, off, s[0:3], 0 offset:200
	buffer_load_dword v109, off, s[0:3], 0 offset:192
	buffer_load_dword v111, off, s[0:3], 0 offset:184
	buffer_load_dword v105, off, s[0:3], 0 offset:176
	buffer_load_dword v112, off, s[0:3], 0 offset:188
	buffer_load_dword v110, off, s[0:3], 0 offset:196
	buffer_load_dword v108, off, s[0:3], 0 offset:204
	s_waitcnt vmcnt(34)
	v_fma_f64 v[95:96], v[113:114], v[97:98], v[95:96]
	s_waitcnt vmcnt(32) lgkmcnt(0)
	v_fma_f64 v[95:96], v[115:116], v[99:100], v[95:96]
	s_waitcnt vmcnt(27)
	v_fma_f64 v[113:114], v[117:118], v[101:102], v[95:96]
	;; [unrolled: 19-line block ×7, first 2 shown]
	ds_read2_b64 v[95:98], v94 offset0:77 offset1:78
	ds_read2_b64 v[99:102], v94 offset0:79 offset1:80
	s_waitcnt vmcnt(26) lgkmcnt(1)
	v_fma_f64 v[95:96], v[131:132], v[95:96], v[115:116]
	s_clause 0x1
	buffer_load_dword v115, off, s[0:3], 0 offset:16
	buffer_load_dword v116, off, s[0:3], 0 offset:20
	s_waitcnt vmcnt(27)
	v_fma_f64 v[95:96], v[125:126], v[97:98], v[95:96]
	s_waitcnt vmcnt(26) lgkmcnt(0)
	v_fma_f64 v[95:96], v[121:122], v[99:100], v[95:96]
	s_waitcnt vmcnt(21)
	v_fma_f64 v[103:104], v[103:104], v[101:102], v[95:96]
	ds_read2_b64 v[95:98], v94 offset0:81 offset1:82
	ds_read2_b64 v[99:102], v94 offset0:83 offset1:84
	s_waitcnt vmcnt(20) lgkmcnt(1)
	v_fma_f64 v[95:96], v[137:138], v[95:96], v[103:104]
	s_waitcnt vmcnt(19)
	v_fma_f64 v[95:96], v[129:130], v[97:98], v[95:96]
	s_waitcnt vmcnt(18) lgkmcnt(0)
	v_fma_f64 v[95:96], v[127:128], v[99:100], v[95:96]
	s_waitcnt vmcnt(13)
	v_fma_f64 v[103:104], v[105:106], v[101:102], v[95:96]
	ds_read2_b64 v[95:98], v94 offset0:85 offset1:86
	ds_read2_b64 v[99:102], v94 offset0:87 offset1:88
	s_waitcnt vmcnt(12) lgkmcnt(1)
	v_fma_f64 v[95:96], v[135:136], v[95:96], v[103:104]
	s_waitcnt vmcnt(11)
	v_fma_f64 v[95:96], v[133:134], v[97:98], v[95:96]
	s_waitcnt vmcnt(10) lgkmcnt(0)
	v_fma_f64 v[95:96], v[111:112], v[99:100], v[95:96]
	s_waitcnt vmcnt(5)
	v_fma_f64 v[99:100], v[107:108], v[101:102], v[95:96]
	ds_read2_b64 v[95:98], v94 offset0:89 offset1:90
	ds_read_b64 v[101:102], v94 offset:728
	s_waitcnt vmcnt(4) lgkmcnt(1)
	v_fma_f64 v[95:96], v[123:124], v[95:96], v[99:100]
	s_waitcnt vmcnt(3)
	v_fma_f64 v[95:96], v[113:114], v[97:98], v[95:96]
	s_waitcnt vmcnt(2) lgkmcnt(0)
	v_fma_f64 v[95:96], v[109:110], v[101:102], v[95:96]
	s_waitcnt vmcnt(0)
	v_add_f64 v[95:96], v[115:116], -v[95:96]
	buffer_store_dword v96, off, s[0:3], 0 offset:20
	buffer_store_dword v95, off, s[0:3], 0 offset:16
	v_cmpx_lt_u32_e32 1, v0
	s_cbranch_execz .LBB109_283
; %bb.282:
	s_clause 0x1
	buffer_load_dword v95, off, s[0:3], 0 offset:8
	buffer_load_dword v96, off, s[0:3], 0 offset:12
	buffer_store_dword v94, off, s[0:3], 0 offset:8
	buffer_store_dword v94, off, s[0:3], 0 offset:12
	s_waitcnt vmcnt(0)
	ds_write_b64 v93, v[95:96]
.LBB109_283:
	s_or_b32 exec_lo, exec_lo, s4
	s_waitcnt lgkmcnt(0)
	s_waitcnt_vscnt null, 0x0
	s_barrier
	buffer_gl0_inv
	s_clause 0x1c
	buffer_load_dword v103, off, s[0:3], 0 offset:16
	buffer_load_dword v104, off, s[0:3], 0 offset:20
	buffer_load_dword v105, off, s[0:3], 0 offset:24
	buffer_load_dword v106, off, s[0:3], 0 offset:28
	buffer_load_dword v107, off, s[0:3], 0 offset:32
	buffer_load_dword v108, off, s[0:3], 0 offset:36
	buffer_load_dword v109, off, s[0:3], 0 offset:40
	buffer_load_dword v110, off, s[0:3], 0 offset:44
	buffer_load_dword v111, off, s[0:3], 0 offset:48
	buffer_load_dword v112, off, s[0:3], 0 offset:52
	buffer_load_dword v113, off, s[0:3], 0 offset:56
	buffer_load_dword v114, off, s[0:3], 0 offset:60
	buffer_load_dword v115, off, s[0:3], 0 offset:64
	buffer_load_dword v116, off, s[0:3], 0 offset:68
	buffer_load_dword v118, off, s[0:3], 0 offset:76
	buffer_load_dword v119, off, s[0:3], 0 offset:96
	buffer_load_dword v121, off, s[0:3], 0 offset:88
	buffer_load_dword v123, off, s[0:3], 0 offset:80
	buffer_load_dword v117, off, s[0:3], 0 offset:72
	buffer_load_dword v124, off, s[0:3], 0 offset:84
	buffer_load_dword v122, off, s[0:3], 0 offset:92
	buffer_load_dword v120, off, s[0:3], 0 offset:100
	buffer_load_dword v126, off, s[0:3], 0 offset:108
	buffer_load_dword v127, off, s[0:3], 0 offset:128
	buffer_load_dword v129, off, s[0:3], 0 offset:120
	buffer_load_dword v131, off, s[0:3], 0 offset:112
	buffer_load_dword v125, off, s[0:3], 0 offset:104
	buffer_load_dword v132, off, s[0:3], 0 offset:116
	buffer_load_dword v130, off, s[0:3], 0 offset:124
	ds_read_b128 v[95:98], v94 offset:384
	ds_read_b128 v[99:102], v94 offset:400
	buffer_load_dword v128, off, s[0:3], 0 offset:132
	s_mov_b32 s4, exec_lo
	s_waitcnt vmcnt(28) lgkmcnt(1)
	v_fma_f64 v[95:96], v[103:104], v[95:96], 0
	s_clause 0x7
	buffer_load_dword v104, off, s[0:3], 0 offset:140
	buffer_load_dword v133, off, s[0:3], 0 offset:160
	buffer_load_dword v135, off, s[0:3], 0 offset:152
	buffer_load_dword v137, off, s[0:3], 0 offset:144
	buffer_load_dword v103, off, s[0:3], 0 offset:136
	buffer_load_dword v138, off, s[0:3], 0 offset:148
	buffer_load_dword v136, off, s[0:3], 0 offset:156
	buffer_load_dword v134, off, s[0:3], 0 offset:164
	s_waitcnt vmcnt(34)
	v_fma_f64 v[95:96], v[105:106], v[97:98], v[95:96]
	s_waitcnt vmcnt(32) lgkmcnt(0)
	v_fma_f64 v[95:96], v[107:108], v[99:100], v[95:96]
	s_waitcnt vmcnt(30)
	v_fma_f64 v[105:106], v[109:110], v[101:102], v[95:96]
	ds_read_b128 v[95:98], v94 offset:416
	ds_read_b128 v[99:102], v94 offset:432
	s_waitcnt vmcnt(28) lgkmcnt(1)
	v_fma_f64 v[95:96], v[111:112], v[95:96], v[105:106]
	s_clause 0x7
	buffer_load_dword v106, off, s[0:3], 0 offset:172
	buffer_load_dword v107, off, s[0:3], 0 offset:192
	buffer_load_dword v109, off, s[0:3], 0 offset:184
	buffer_load_dword v111, off, s[0:3], 0 offset:176
	buffer_load_dword v105, off, s[0:3], 0 offset:168
	buffer_load_dword v112, off, s[0:3], 0 offset:180
	buffer_load_dword v110, off, s[0:3], 0 offset:188
	buffer_load_dword v108, off, s[0:3], 0 offset:196
	s_waitcnt vmcnt(34)
	v_fma_f64 v[95:96], v[113:114], v[97:98], v[95:96]
	s_waitcnt vmcnt(32) lgkmcnt(0)
	v_fma_f64 v[95:96], v[115:116], v[99:100], v[95:96]
	s_waitcnt vmcnt(27)
	v_fma_f64 v[113:114], v[117:118], v[101:102], v[95:96]
	ds_read_b128 v[95:98], v94 offset:448
	ds_read_b128 v[99:102], v94 offset:464
	;; [unrolled: 19-line block ×7, first 2 shown]
	s_waitcnt vmcnt(26) lgkmcnt(1)
	v_fma_f64 v[95:96], v[131:132], v[95:96], v[115:116]
	s_clause 0x3
	buffer_load_dword v116, off, s[0:3], 0 offset:364
	buffer_load_dword v115, off, s[0:3], 0 offset:360
	;; [unrolled: 1-line block ×4, first 2 shown]
	s_waitcnt vmcnt(29)
	v_fma_f64 v[95:96], v[125:126], v[97:98], v[95:96]
	s_waitcnt vmcnt(28) lgkmcnt(0)
	v_fma_f64 v[95:96], v[121:122], v[99:100], v[95:96]
	s_waitcnt vmcnt(23)
	v_fma_f64 v[103:104], v[103:104], v[101:102], v[95:96]
	ds_read_b128 v[95:98], v94 offset:640
	ds_read_b128 v[99:102], v94 offset:656
	s_waitcnt vmcnt(22) lgkmcnt(1)
	v_fma_f64 v[95:96], v[137:138], v[95:96], v[103:104]
	s_waitcnt vmcnt(21)
	v_fma_f64 v[95:96], v[129:130], v[97:98], v[95:96]
	s_waitcnt vmcnt(20) lgkmcnt(0)
	v_fma_f64 v[95:96], v[127:128], v[99:100], v[95:96]
	s_waitcnt vmcnt(15)
	v_fma_f64 v[103:104], v[105:106], v[101:102], v[95:96]
	ds_read_b128 v[95:98], v94 offset:672
	ds_read_b128 v[99:102], v94 offset:688
	s_waitcnt vmcnt(14) lgkmcnt(1)
	v_fma_f64 v[95:96], v[135:136], v[95:96], v[103:104]
	;; [unrolled: 10-line block ×3, first 2 shown]
	s_waitcnt vmcnt(5)
	v_fma_f64 v[94:95], v[113:114], v[97:98], v[94:95]
	s_waitcnt vmcnt(4) lgkmcnt(0)
	v_fma_f64 v[94:95], v[109:110], v[99:100], v[94:95]
	s_waitcnt vmcnt(2)
	v_fma_f64 v[94:95], v[115:116], v[101:102], v[94:95]
	s_waitcnt vmcnt(0)
	v_add_f64 v[94:95], v[117:118], -v[94:95]
	buffer_store_dword v95, off, s[0:3], 0 offset:12
	buffer_store_dword v94, off, s[0:3], 0 offset:8
	v_cmpx_ne_u32_e32 0, v0
	s_cbranch_execz .LBB109_285
; %bb.284:
	s_clause 0x1
	buffer_load_dword v94, off, s[0:3], 0
	buffer_load_dword v95, off, s[0:3], 0 offset:4
	v_mov_b32_e32 v0, 0
	buffer_store_dword v0, off, s[0:3], 0
	buffer_store_dword v0, off, s[0:3], 0 offset:4
	s_waitcnt vmcnt(0)
	ds_write_b64 v93, v[94:95]
.LBB109_285:
	s_or_b32 exec_lo, exec_lo, s4
	s_waitcnt lgkmcnt(0)
	s_waitcnt_vscnt null, 0x0
	s_barrier
	buffer_gl0_inv
	s_clause 0x1c
	buffer_load_dword v101, off, s[0:3], 0 offset:8
	buffer_load_dword v102, off, s[0:3], 0 offset:12
	;; [unrolled: 1-line block ×29, first 2 shown]
	v_mov_b32_e32 v0, 0
	buffer_load_dword v126, off, s[0:3], 0 offset:124
	s_and_b32 vcc_lo, exec_lo, s16
	ds_read2_b64 v[93:96], v0 offset0:47 offset1:48
	ds_read2_b64 v[97:100], v0 offset0:49 offset1:50
	s_waitcnt vmcnt(28) lgkmcnt(1)
	v_fma_f64 v[93:94], v[101:102], v[93:94], 0
	s_clause 0x7
	buffer_load_dword v102, off, s[0:3], 0 offset:132
	buffer_load_dword v131, off, s[0:3], 0 offset:152
	buffer_load_dword v133, off, s[0:3], 0 offset:144
	buffer_load_dword v135, off, s[0:3], 0 offset:136
	buffer_load_dword v101, off, s[0:3], 0 offset:128
	buffer_load_dword v136, off, s[0:3], 0 offset:140
	buffer_load_dword v134, off, s[0:3], 0 offset:148
	buffer_load_dword v132, off, s[0:3], 0 offset:156
	s_waitcnt vmcnt(34)
	v_fma_f64 v[93:94], v[103:104], v[95:96], v[93:94]
	s_waitcnt vmcnt(32) lgkmcnt(0)
	v_fma_f64 v[93:94], v[105:106], v[97:98], v[93:94]
	s_waitcnt vmcnt(30)
	v_fma_f64 v[103:104], v[107:108], v[99:100], v[93:94]
	ds_read2_b64 v[93:96], v0 offset0:51 offset1:52
	ds_read2_b64 v[97:100], v0 offset0:53 offset1:54
	s_waitcnt vmcnt(28) lgkmcnt(1)
	v_fma_f64 v[93:94], v[109:110], v[93:94], v[103:104]
	s_clause 0x7
	buffer_load_dword v104, off, s[0:3], 0 offset:164
	buffer_load_dword v105, off, s[0:3], 0 offset:184
	buffer_load_dword v107, off, s[0:3], 0 offset:176
	buffer_load_dword v109, off, s[0:3], 0 offset:168
	buffer_load_dword v103, off, s[0:3], 0 offset:160
	buffer_load_dword v110, off, s[0:3], 0 offset:172
	buffer_load_dword v108, off, s[0:3], 0 offset:180
	buffer_load_dword v106, off, s[0:3], 0 offset:188
	s_waitcnt vmcnt(34)
	v_fma_f64 v[93:94], v[111:112], v[95:96], v[93:94]
	s_waitcnt vmcnt(32) lgkmcnt(0)
	v_fma_f64 v[93:94], v[113:114], v[97:98], v[93:94]
	s_waitcnt vmcnt(27)
	v_fma_f64 v[111:112], v[115:116], v[99:100], v[93:94]
	ds_read2_b64 v[93:96], v0 offset0:55 offset1:56
	ds_read2_b64 v[97:100], v0 offset0:57 offset1:58
	s_waitcnt vmcnt(26) lgkmcnt(1)
	v_fma_f64 v[93:94], v[121:122], v[93:94], v[111:112]
	s_clause 0x7
	buffer_load_dword v112, off, s[0:3], 0 offset:196
	buffer_load_dword v113, off, s[0:3], 0 offset:216
	buffer_load_dword v115, off, s[0:3], 0 offset:208
	buffer_load_dword v121, off, s[0:3], 0 offset:200
	buffer_load_dword v111, off, s[0:3], 0 offset:192
	buffer_load_dword v122, off, s[0:3], 0 offset:204
	buffer_load_dword v116, off, s[0:3], 0 offset:212
	buffer_load_dword v114, off, s[0:3], 0 offset:220
	s_waitcnt vmcnt(33)
	v_fma_f64 v[93:94], v[119:120], v[95:96], v[93:94]
	s_waitcnt vmcnt(32) lgkmcnt(0)
	v_fma_f64 v[93:94], v[117:118], v[97:98], v[93:94]
	s_waitcnt vmcnt(27)
	v_fma_f64 v[117:118], v[123:124], v[99:100], v[93:94]
	ds_read2_b64 v[93:96], v0 offset0:59 offset1:60
	ds_read2_b64 v[97:100], v0 offset0:61 offset1:62
	s_waitcnt vmcnt(26) lgkmcnt(1)
	v_fma_f64 v[93:94], v[129:130], v[93:94], v[117:118]
	s_clause 0x7
	buffer_load_dword v118, off, s[0:3], 0 offset:228
	buffer_load_dword v119, off, s[0:3], 0 offset:248
	buffer_load_dword v123, off, s[0:3], 0 offset:240
	buffer_load_dword v129, off, s[0:3], 0 offset:232
	buffer_load_dword v117, off, s[0:3], 0 offset:224
	buffer_load_dword v130, off, s[0:3], 0 offset:236
	buffer_load_dword v124, off, s[0:3], 0 offset:244
	buffer_load_dword v120, off, s[0:3], 0 offset:252
	s_waitcnt vmcnt(33)
	v_fma_f64 v[93:94], v[127:128], v[95:96], v[93:94]
	s_waitcnt vmcnt(32) lgkmcnt(0)
	v_fma_f64 v[93:94], v[125:126], v[97:98], v[93:94]
	s_waitcnt vmcnt(27)
	v_fma_f64 v[101:102], v[101:102], v[99:100], v[93:94]
	ds_read2_b64 v[93:96], v0 offset0:63 offset1:64
	ds_read2_b64 v[97:100], v0 offset0:65 offset1:66
	s_waitcnt vmcnt(26) lgkmcnt(1)
	v_fma_f64 v[93:94], v[135:136], v[93:94], v[101:102]
	s_clause 0x7
	buffer_load_dword v102, off, s[0:3], 0 offset:260
	buffer_load_dword v125, off, s[0:3], 0 offset:280
	buffer_load_dword v127, off, s[0:3], 0 offset:272
	buffer_load_dword v135, off, s[0:3], 0 offset:264
	buffer_load_dword v101, off, s[0:3], 0 offset:256
	buffer_load_dword v136, off, s[0:3], 0 offset:268
	buffer_load_dword v128, off, s[0:3], 0 offset:276
	buffer_load_dword v126, off, s[0:3], 0 offset:284
	s_waitcnt vmcnt(33)
	v_fma_f64 v[93:94], v[133:134], v[95:96], v[93:94]
	s_waitcnt vmcnt(32) lgkmcnt(0)
	v_fma_f64 v[93:94], v[131:132], v[97:98], v[93:94]
	s_waitcnt vmcnt(27)
	v_fma_f64 v[103:104], v[103:104], v[99:100], v[93:94]
	ds_read2_b64 v[93:96], v0 offset0:67 offset1:68
	ds_read2_b64 v[97:100], v0 offset0:69 offset1:70
	s_waitcnt vmcnt(26) lgkmcnt(1)
	v_fma_f64 v[93:94], v[109:110], v[93:94], v[103:104]
	s_clause 0x7
	buffer_load_dword v104, off, s[0:3], 0 offset:292
	buffer_load_dword v109, off, s[0:3], 0 offset:312
	buffer_load_dword v131, off, s[0:3], 0 offset:304
	buffer_load_dword v133, off, s[0:3], 0 offset:296
	buffer_load_dword v103, off, s[0:3], 0 offset:288
	buffer_load_dword v134, off, s[0:3], 0 offset:300
	buffer_load_dword v132, off, s[0:3], 0 offset:308
	buffer_load_dword v110, off, s[0:3], 0 offset:316
	s_waitcnt vmcnt(33)
	v_fma_f64 v[93:94], v[107:108], v[95:96], v[93:94]
	s_waitcnt vmcnt(32) lgkmcnt(0)
	v_fma_f64 v[93:94], v[105:106], v[97:98], v[93:94]
	s_waitcnt vmcnt(27)
	v_fma_f64 v[105:106], v[111:112], v[99:100], v[93:94]
	ds_read2_b64 v[93:96], v0 offset0:71 offset1:72
	ds_read2_b64 v[97:100], v0 offset0:73 offset1:74
	s_waitcnt vmcnt(26) lgkmcnt(1)
	v_fma_f64 v[93:94], v[121:122], v[93:94], v[105:106]
	s_clause 0x7
	buffer_load_dword v106, off, s[0:3], 0 offset:324
	buffer_load_dword v107, off, s[0:3], 0 offset:344
	buffer_load_dword v111, off, s[0:3], 0 offset:336
	buffer_load_dword v121, off, s[0:3], 0 offset:328
	buffer_load_dword v105, off, s[0:3], 0 offset:320
	buffer_load_dword v122, off, s[0:3], 0 offset:332
	buffer_load_dword v112, off, s[0:3], 0 offset:340
	buffer_load_dword v108, off, s[0:3], 0 offset:348
	s_waitcnt vmcnt(33)
	v_fma_f64 v[93:94], v[115:116], v[95:96], v[93:94]
	s_waitcnt vmcnt(32) lgkmcnt(0)
	v_fma_f64 v[93:94], v[113:114], v[97:98], v[93:94]
	s_waitcnt vmcnt(27)
	v_fma_f64 v[113:114], v[117:118], v[99:100], v[93:94]
	ds_read2_b64 v[93:96], v0 offset0:75 offset1:76
	ds_read2_b64 v[97:100], v0 offset0:77 offset1:78
	s_waitcnt vmcnt(26) lgkmcnt(1)
	v_fma_f64 v[113:114], v[129:130], v[93:94], v[113:114]
	s_clause 0x3
	buffer_load_dword v94, off, s[0:3], 0 offset:356
	buffer_load_dword v115, off, s[0:3], 0 offset:360
	;; [unrolled: 1-line block ×4, first 2 shown]
	s_waitcnt vmcnt(29)
	v_fma_f64 v[95:96], v[123:124], v[95:96], v[113:114]
	s_clause 0x1
	buffer_load_dword v113, off, s[0:3], 0
	buffer_load_dword v114, off, s[0:3], 0 offset:4
	s_waitcnt vmcnt(30) lgkmcnt(0)
	v_fma_f64 v[95:96], v[119:120], v[97:98], v[95:96]
	s_waitcnt vmcnt(25)
	v_fma_f64 v[117:118], v[101:102], v[99:100], v[95:96]
	ds_read2_b64 v[95:98], v0 offset0:79 offset1:80
	ds_read2_b64 v[99:102], v0 offset0:81 offset1:82
	s_waitcnt vmcnt(24) lgkmcnt(1)
	v_fma_f64 v[95:96], v[135:136], v[95:96], v[117:118]
	s_waitcnt vmcnt(23)
	v_fma_f64 v[95:96], v[127:128], v[97:98], v[95:96]
	s_waitcnt vmcnt(22) lgkmcnt(0)
	v_fma_f64 v[95:96], v[125:126], v[99:100], v[95:96]
	s_waitcnt vmcnt(17)
	v_fma_f64 v[103:104], v[103:104], v[101:102], v[95:96]
	ds_read2_b64 v[95:98], v0 offset0:83 offset1:84
	ds_read2_b64 v[99:102], v0 offset0:85 offset1:86
	s_waitcnt vmcnt(16) lgkmcnt(1)
	v_fma_f64 v[95:96], v[133:134], v[95:96], v[103:104]
	s_waitcnt vmcnt(15)
	v_fma_f64 v[95:96], v[131:132], v[97:98], v[95:96]
	;; [unrolled: 10-line block ×3, first 2 shown]
	ds_read_b64 v[97:98], v0 offset:728
	s_waitcnt vmcnt(6) lgkmcnt(1)
	v_fma_f64 v[95:96], v[107:108], v[99:100], v[95:96]
	s_waitcnt vmcnt(3)
	v_fma_f64 v[95:96], v[93:94], v[101:102], v[95:96]
	s_waitcnt vmcnt(2) lgkmcnt(0)
	v_fma_f64 v[95:96], v[115:116], v[97:98], v[95:96]
	s_waitcnt vmcnt(0)
	v_add_f64 v[95:96], v[113:114], -v[95:96]
	buffer_store_dword v96, off, s[0:3], 0 offset:4
	buffer_store_dword v95, off, s[0:3], 0
	s_cbranch_vccz .LBB109_376
; %bb.286:
	global_load_dword v0, v0, s[12:13] offset:176
	s_waitcnt vmcnt(0)
	v_add_nc_u32_e32 v0, -1, v0
	v_cmp_ne_u32_e32 vcc_lo, 44, v0
	s_cbranch_vccz .LBB109_288
; %bb.287:
	v_lshlrev_b32_e32 v0, 3, v0
	s_clause 0x1
	buffer_load_dword v95, v0, s[0:3], 0 offen offset:4
	buffer_load_dword v96, v0, s[0:3], 0 offen
	s_waitcnt vmcnt(1)
	buffer_store_dword v95, off, s[0:3], 0 offset:356
	s_waitcnt vmcnt(0)
	buffer_store_dword v96, off, s[0:3], 0 offset:352
	buffer_store_dword v94, v0, s[0:3], 0 offen offset:4
	buffer_store_dword v93, v0, s[0:3], 0 offen
.LBB109_288:
	v_mov_b32_e32 v0, 0
	global_load_dword v93, v0, s[12:13] offset:172
	s_waitcnt vmcnt(0)
	v_add_nc_u32_e32 v93, -1, v93
	v_cmp_eq_u32_e32 vcc_lo, 43, v93
	s_cbranch_vccnz .LBB109_290
; %bb.289:
	v_lshlrev_b32_e32 v93, 3, v93
	s_clause 0x3
	buffer_load_dword v94, v93, s[0:3], 0 offen
	buffer_load_dword v95, v93, s[0:3], 0 offen offset:4
	buffer_load_dword v96, off, s[0:3], 0 offset:344
	buffer_load_dword v97, off, s[0:3], 0 offset:348
	s_waitcnt vmcnt(3)
	buffer_store_dword v94, off, s[0:3], 0 offset:344
	s_waitcnt vmcnt(2)
	buffer_store_dword v95, off, s[0:3], 0 offset:348
	s_waitcnt vmcnt(1)
	buffer_store_dword v96, v93, s[0:3], 0 offen
	s_waitcnt vmcnt(0)
	buffer_store_dword v97, v93, s[0:3], 0 offen offset:4
.LBB109_290:
	global_load_dword v0, v0, s[12:13] offset:168
	s_waitcnt vmcnt(0)
	v_add_nc_u32_e32 v0, -1, v0
	v_cmp_eq_u32_e32 vcc_lo, 42, v0
	s_cbranch_vccnz .LBB109_292
; %bb.291:
	v_lshlrev_b32_e32 v0, 3, v0
	s_clause 0x3
	buffer_load_dword v93, v0, s[0:3], 0 offen
	buffer_load_dword v94, v0, s[0:3], 0 offen offset:4
	buffer_load_dword v95, off, s[0:3], 0 offset:340
	buffer_load_dword v96, off, s[0:3], 0 offset:336
	s_waitcnt vmcnt(3)
	buffer_store_dword v93, off, s[0:3], 0 offset:336
	s_waitcnt vmcnt(2)
	buffer_store_dword v94, off, s[0:3], 0 offset:340
	s_waitcnt vmcnt(1)
	buffer_store_dword v95, v0, s[0:3], 0 offen offset:4
	s_waitcnt vmcnt(0)
	buffer_store_dword v96, v0, s[0:3], 0 offen
.LBB109_292:
	v_mov_b32_e32 v0, 0
	global_load_dword v93, v0, s[12:13] offset:164
	s_waitcnt vmcnt(0)
	v_add_nc_u32_e32 v93, -1, v93
	v_cmp_eq_u32_e32 vcc_lo, 41, v93
	s_cbranch_vccnz .LBB109_294
; %bb.293:
	v_lshlrev_b32_e32 v93, 3, v93
	s_clause 0x3
	buffer_load_dword v94, v93, s[0:3], 0 offen
	buffer_load_dword v95, v93, s[0:3], 0 offen offset:4
	buffer_load_dword v96, off, s[0:3], 0 offset:328
	buffer_load_dword v97, off, s[0:3], 0 offset:332
	s_waitcnt vmcnt(3)
	buffer_store_dword v94, off, s[0:3], 0 offset:328
	s_waitcnt vmcnt(2)
	buffer_store_dword v95, off, s[0:3], 0 offset:332
	s_waitcnt vmcnt(1)
	buffer_store_dword v96, v93, s[0:3], 0 offen
	s_waitcnt vmcnt(0)
	buffer_store_dword v97, v93, s[0:3], 0 offen offset:4
.LBB109_294:
	global_load_dword v0, v0, s[12:13] offset:160
	s_waitcnt vmcnt(0)
	v_add_nc_u32_e32 v0, -1, v0
	v_cmp_eq_u32_e32 vcc_lo, 40, v0
	s_cbranch_vccnz .LBB109_296
; %bb.295:
	v_lshlrev_b32_e32 v0, 3, v0
	s_clause 0x3
	buffer_load_dword v93, v0, s[0:3], 0 offen
	buffer_load_dword v94, v0, s[0:3], 0 offen offset:4
	buffer_load_dword v95, off, s[0:3], 0 offset:324
	buffer_load_dword v96, off, s[0:3], 0 offset:320
	s_waitcnt vmcnt(3)
	buffer_store_dword v93, off, s[0:3], 0 offset:320
	s_waitcnt vmcnt(2)
	buffer_store_dword v94, off, s[0:3], 0 offset:324
	s_waitcnt vmcnt(1)
	buffer_store_dword v95, v0, s[0:3], 0 offen offset:4
	s_waitcnt vmcnt(0)
	buffer_store_dword v96, v0, s[0:3], 0 offen
.LBB109_296:
	;; [unrolled: 43-line block ×21, first 2 shown]
	v_mov_b32_e32 v0, 0
	global_load_dword v93, v0, s[12:13] offset:4
	s_waitcnt vmcnt(0)
	v_add_nc_u32_e32 v93, -1, v93
	v_cmp_eq_u32_e32 vcc_lo, 1, v93
	s_cbranch_vccnz .LBB109_374
; %bb.373:
	v_lshlrev_b32_e32 v93, 3, v93
	s_clause 0x3
	buffer_load_dword v94, v93, s[0:3], 0 offen
	buffer_load_dword v95, v93, s[0:3], 0 offen offset:4
	buffer_load_dword v96, off, s[0:3], 0 offset:8
	buffer_load_dword v97, off, s[0:3], 0 offset:12
	s_waitcnt vmcnt(3)
	buffer_store_dword v94, off, s[0:3], 0 offset:8
	s_waitcnt vmcnt(2)
	buffer_store_dword v95, off, s[0:3], 0 offset:12
	s_waitcnt vmcnt(1)
	buffer_store_dword v96, v93, s[0:3], 0 offen
	s_waitcnt vmcnt(0)
	buffer_store_dword v97, v93, s[0:3], 0 offen offset:4
.LBB109_374:
	global_load_dword v0, v0, s[12:13]
	s_clause 0x1
	buffer_load_dword v95, off, s[0:3], 0
	buffer_load_dword v96, off, s[0:3], 0 offset:4
	s_waitcnt vmcnt(2)
	v_add_nc_u32_e32 v0, -1, v0
	v_cmp_eq_u32_e32 vcc_lo, 0, v0
	s_cbranch_vccnz .LBB109_376
; %bb.375:
	v_lshlrev_b32_e32 v0, 3, v0
	s_clause 0x1
	buffer_load_dword v93, v0, s[0:3], 0 offen offset:4
	buffer_load_dword v94, v0, s[0:3], 0 offen
	s_waitcnt vmcnt(1)
	buffer_store_dword v93, off, s[0:3], 0 offset:4
	s_waitcnt vmcnt(0)
	buffer_store_dword v94, off, s[0:3], 0
	buffer_store_dword v96, v0, s[0:3], 0 offen offset:4
	buffer_store_dword v95, v0, s[0:3], 0 offen
	s_clause 0x1
	buffer_load_dword v95, off, s[0:3], 0
	buffer_load_dword v96, off, s[0:3], 0 offset:4
.LBB109_376:
	s_waitcnt vmcnt(0)
	flat_store_dwordx2 v[1:2], v[95:96]
	s_clause 0x1
	buffer_load_dword v0, off, s[0:3], 0 offset:8
	buffer_load_dword v1, off, s[0:3], 0 offset:12
	s_waitcnt vmcnt(0)
	flat_store_dwordx2 v[3:4], v[0:1]
	s_clause 0x1
	buffer_load_dword v0, off, s[0:3], 0 offset:16
	buffer_load_dword v1, off, s[0:3], 0 offset:20
	;; [unrolled: 5-line block ×45, first 2 shown]
	s_waitcnt vmcnt(0)
	flat_store_dwordx2 v[91:92], v[0:1]
	s_endpgm
	.section	.rodata,"a",@progbits
	.p2align	6, 0x0
	.amdhsa_kernel _ZN9rocsolver6v33100L18getri_kernel_smallILi46EdPKPdEEvT1_iilPiilS6_bb
		.amdhsa_group_segment_fixed_size 744
		.amdhsa_private_segment_fixed_size 384
		.amdhsa_kernarg_size 60
		.amdhsa_user_sgpr_count 6
		.amdhsa_user_sgpr_private_segment_buffer 1
		.amdhsa_user_sgpr_dispatch_ptr 0
		.amdhsa_user_sgpr_queue_ptr 0
		.amdhsa_user_sgpr_kernarg_segment_ptr 1
		.amdhsa_user_sgpr_dispatch_id 0
		.amdhsa_user_sgpr_flat_scratch_init 0
		.amdhsa_user_sgpr_private_segment_size 0
		.amdhsa_wavefront_size32 1
		.amdhsa_uses_dynamic_stack 0
		.amdhsa_system_sgpr_private_segment_wavefront_offset 1
		.amdhsa_system_sgpr_workgroup_id_x 1
		.amdhsa_system_sgpr_workgroup_id_y 0
		.amdhsa_system_sgpr_workgroup_id_z 0
		.amdhsa_system_sgpr_workgroup_info 0
		.amdhsa_system_vgpr_workitem_id 0
		.amdhsa_next_free_vgpr 139
		.amdhsa_next_free_sgpr 20
		.amdhsa_reserve_vcc 1
		.amdhsa_reserve_flat_scratch 0
		.amdhsa_float_round_mode_32 0
		.amdhsa_float_round_mode_16_64 0
		.amdhsa_float_denorm_mode_32 3
		.amdhsa_float_denorm_mode_16_64 3
		.amdhsa_dx10_clamp 1
		.amdhsa_ieee_mode 1
		.amdhsa_fp16_overflow 0
		.amdhsa_workgroup_processor_mode 1
		.amdhsa_memory_ordered 1
		.amdhsa_forward_progress 1
		.amdhsa_shared_vgpr_count 0
		.amdhsa_exception_fp_ieee_invalid_op 0
		.amdhsa_exception_fp_denorm_src 0
		.amdhsa_exception_fp_ieee_div_zero 0
		.amdhsa_exception_fp_ieee_overflow 0
		.amdhsa_exception_fp_ieee_underflow 0
		.amdhsa_exception_fp_ieee_inexact 0
		.amdhsa_exception_int_div_zero 0
	.end_amdhsa_kernel
	.section	.text._ZN9rocsolver6v33100L18getri_kernel_smallILi46EdPKPdEEvT1_iilPiilS6_bb,"axG",@progbits,_ZN9rocsolver6v33100L18getri_kernel_smallILi46EdPKPdEEvT1_iilPiilS6_bb,comdat
.Lfunc_end109:
	.size	_ZN9rocsolver6v33100L18getri_kernel_smallILi46EdPKPdEEvT1_iilPiilS6_bb, .Lfunc_end109-_ZN9rocsolver6v33100L18getri_kernel_smallILi46EdPKPdEEvT1_iilPiilS6_bb
                                        ; -- End function
	.set _ZN9rocsolver6v33100L18getri_kernel_smallILi46EdPKPdEEvT1_iilPiilS6_bb.num_vgpr, 139
	.set _ZN9rocsolver6v33100L18getri_kernel_smallILi46EdPKPdEEvT1_iilPiilS6_bb.num_agpr, 0
	.set _ZN9rocsolver6v33100L18getri_kernel_smallILi46EdPKPdEEvT1_iilPiilS6_bb.numbered_sgpr, 20
	.set _ZN9rocsolver6v33100L18getri_kernel_smallILi46EdPKPdEEvT1_iilPiilS6_bb.num_named_barrier, 0
	.set _ZN9rocsolver6v33100L18getri_kernel_smallILi46EdPKPdEEvT1_iilPiilS6_bb.private_seg_size, 384
	.set _ZN9rocsolver6v33100L18getri_kernel_smallILi46EdPKPdEEvT1_iilPiilS6_bb.uses_vcc, 1
	.set _ZN9rocsolver6v33100L18getri_kernel_smallILi46EdPKPdEEvT1_iilPiilS6_bb.uses_flat_scratch, 0
	.set _ZN9rocsolver6v33100L18getri_kernel_smallILi46EdPKPdEEvT1_iilPiilS6_bb.has_dyn_sized_stack, 0
	.set _ZN9rocsolver6v33100L18getri_kernel_smallILi46EdPKPdEEvT1_iilPiilS6_bb.has_recursion, 0
	.set _ZN9rocsolver6v33100L18getri_kernel_smallILi46EdPKPdEEvT1_iilPiilS6_bb.has_indirect_call, 0
	.section	.AMDGPU.csdata,"",@progbits
; Kernel info:
; codeLenInByte = 59796
; TotalNumSgprs: 22
; NumVgprs: 139
; ScratchSize: 384
; MemoryBound: 1
; FloatMode: 240
; IeeeMode: 1
; LDSByteSize: 744 bytes/workgroup (compile time only)
; SGPRBlocks: 0
; VGPRBlocks: 17
; NumSGPRsForWavesPerEU: 22
; NumVGPRsForWavesPerEU: 139
; Occupancy: 7
; WaveLimiterHint : 1
; COMPUTE_PGM_RSRC2:SCRATCH_EN: 1
; COMPUTE_PGM_RSRC2:USER_SGPR: 6
; COMPUTE_PGM_RSRC2:TRAP_HANDLER: 0
; COMPUTE_PGM_RSRC2:TGID_X_EN: 1
; COMPUTE_PGM_RSRC2:TGID_Y_EN: 0
; COMPUTE_PGM_RSRC2:TGID_Z_EN: 0
; COMPUTE_PGM_RSRC2:TIDIG_COMP_CNT: 0
	.section	.text._ZN9rocsolver6v33100L18getri_kernel_smallILi47EdPKPdEEvT1_iilPiilS6_bb,"axG",@progbits,_ZN9rocsolver6v33100L18getri_kernel_smallILi47EdPKPdEEvT1_iilPiilS6_bb,comdat
	.globl	_ZN9rocsolver6v33100L18getri_kernel_smallILi47EdPKPdEEvT1_iilPiilS6_bb ; -- Begin function _ZN9rocsolver6v33100L18getri_kernel_smallILi47EdPKPdEEvT1_iilPiilS6_bb
	.p2align	8
	.type	_ZN9rocsolver6v33100L18getri_kernel_smallILi47EdPKPdEEvT1_iilPiilS6_bb,@function
_ZN9rocsolver6v33100L18getri_kernel_smallILi47EdPKPdEEvT1_iilPiilS6_bb: ; @_ZN9rocsolver6v33100L18getri_kernel_smallILi47EdPKPdEEvT1_iilPiilS6_bb
; %bb.0:
	s_add_u32 s0, s0, s7
	s_addc_u32 s1, s1, 0
	s_mov_b32 s7, exec_lo
	v_cmpx_gt_u32_e32 47, v0
	s_cbranch_execz .LBB110_198
; %bb.1:
	s_clause 0x2
	s_load_dword s17, s[4:5], 0x38
	s_load_dwordx2 s[12:13], s[4:5], 0x0
	s_load_dwordx4 s[8:11], s[4:5], 0x28
	s_waitcnt lgkmcnt(0)
	s_bitcmp1_b32 s17, 8
	s_cselect_b32 s16, -1, 0
	s_ashr_i32 s7, s6, 31
	s_lshl_b64 s[14:15], s[6:7], 3
	s_add_u32 s12, s12, s14
	s_addc_u32 s13, s13, s15
	s_load_dwordx2 s[14:15], s[12:13], 0x0
	s_bfe_u32 s12, s17, 0x10008
	s_cmp_eq_u32 s12, 0
                                        ; implicit-def: $sgpr12_sgpr13
	s_cbranch_scc1 .LBB110_3
; %bb.2:
	s_clause 0x1
	s_load_dword s12, s[4:5], 0x20
	s_load_dwordx2 s[18:19], s[4:5], 0x18
	s_mul_i32 s13, s8, s7
	s_mul_hi_u32 s17, s8, s6
	s_mul_i32 s9, s9, s6
	s_add_i32 s13, s17, s13
	s_mul_i32 s8, s8, s6
	s_add_i32 s9, s13, s9
	s_lshl_b64 s[8:9], s[8:9], 2
	s_waitcnt lgkmcnt(0)
	s_ashr_i32 s13, s12, 31
	s_add_u32 s17, s18, s8
	s_addc_u32 s18, s19, s9
	s_lshl_b64 s[8:9], s[12:13], 2
	s_add_u32 s12, s17, s8
	s_addc_u32 s13, s18, s9
.LBB110_3:
	s_clause 0x1
	s_load_dwordx2 s[8:9], s[4:5], 0x8
	s_load_dword s17, s[4:5], 0x38
	v_lshlrev_b32_e32 v97, 3, v0
	s_waitcnt lgkmcnt(0)
	s_ashr_i32 s5, s8, 31
	s_mov_b32 s4, s8
	v_add3_u32 v9, s9, s9, v0
	s_lshl_b64 s[4:5], s[4:5], 3
	s_add_u32 s4, s14, s4
	s_addc_u32 s5, s15, s5
	v_add_co_u32 v1, s8, s4, v97
	v_add_co_ci_u32_e64 v2, null, s5, 0, s8
	s_mov_b32 s14, s9
	s_ashr_i32 s15, s9, 31
	v_ashrrev_i32_e32 v10, 31, v9
	flat_load_dwordx2 v[5:6], v[1:2]
	s_lshl_b64 s[14:15], s[14:15], 3
	v_add_nc_u32_e32 v12, s9, v9
	v_add_co_u32 v3, vcc_lo, v1, s14
	v_add_co_ci_u32_e64 v4, null, s15, v2, vcc_lo
	v_ashrrev_i32_e32 v13, 31, v12
	s_bitcmp0_b32 s17, 0
	s_waitcnt vmcnt(0) lgkmcnt(0)
	buffer_store_dword v6, off, s[0:3], 0 offset:4
	buffer_store_dword v5, off, s[0:3], 0
	flat_load_dwordx2 v[7:8], v[3:4]
	v_lshlrev_b64 v[5:6], 3, v[9:10]
	s_waitcnt vmcnt(0) lgkmcnt(0)
	buffer_store_dword v8, off, s[0:3], 0 offset:12
	buffer_store_dword v7, off, s[0:3], 0 offset:8
	v_add_co_u32 v5, vcc_lo, s4, v5
	v_add_co_ci_u32_e64 v6, null, s5, v6, vcc_lo
	v_lshlrev_b64 v[7:8], 3, v[12:13]
	flat_load_dwordx2 v[10:11], v[5:6]
	s_waitcnt vmcnt(0) lgkmcnt(0)
	buffer_store_dword v11, off, s[0:3], 0 offset:20
	buffer_store_dword v10, off, s[0:3], 0 offset:16
	v_add_co_u32 v7, vcc_lo, s4, v7
	v_add_co_ci_u32_e64 v8, null, s5, v8, vcc_lo
	v_add_nc_u32_e32 v11, s9, v12
	flat_load_dwordx2 v[13:14], v[7:8]
	s_waitcnt vmcnt(0) lgkmcnt(0)
	buffer_store_dword v14, off, s[0:3], 0 offset:28
	buffer_store_dword v13, off, s[0:3], 0 offset:24
	v_ashrrev_i32_e32 v12, 31, v11
	v_add_nc_u32_e32 v15, s9, v11
	v_lshlrev_b64 v[9:10], 3, v[11:12]
	v_ashrrev_i32_e32 v16, 31, v15
	v_add_nc_u32_e32 v18, s9, v15
	v_add_co_u32 v9, vcc_lo, s4, v9
	v_add_co_ci_u32_e64 v10, null, s5, v10, vcc_lo
	v_lshlrev_b64 v[11:12], 3, v[15:16]
	v_ashrrev_i32_e32 v19, 31, v18
	flat_load_dwordx2 v[13:14], v[9:10]
	s_waitcnt vmcnt(0) lgkmcnt(0)
	buffer_store_dword v14, off, s[0:3], 0 offset:36
	buffer_store_dword v13, off, s[0:3], 0 offset:32
	v_add_co_u32 v11, vcc_lo, s4, v11
	v_add_co_ci_u32_e64 v12, null, s5, v12, vcc_lo
	v_lshlrev_b64 v[13:14], 3, v[18:19]
	flat_load_dwordx2 v[16:17], v[11:12]
	s_waitcnt vmcnt(0) lgkmcnt(0)
	buffer_store_dword v17, off, s[0:3], 0 offset:44
	buffer_store_dword v16, off, s[0:3], 0 offset:40
	v_add_co_u32 v13, vcc_lo, s4, v13
	v_add_co_ci_u32_e64 v14, null, s5, v14, vcc_lo
	v_add_nc_u32_e32 v17, s9, v18
	flat_load_dwordx2 v[19:20], v[13:14]
	s_waitcnt vmcnt(0) lgkmcnt(0)
	buffer_store_dword v20, off, s[0:3], 0 offset:52
	buffer_store_dword v19, off, s[0:3], 0 offset:48
	v_ashrrev_i32_e32 v18, 31, v17
	v_add_nc_u32_e32 v21, s9, v17
	v_lshlrev_b64 v[15:16], 3, v[17:18]
	v_ashrrev_i32_e32 v22, 31, v21
	v_add_nc_u32_e32 v24, s9, v21
	v_add_co_u32 v15, vcc_lo, s4, v15
	v_add_co_ci_u32_e64 v16, null, s5, v16, vcc_lo
	v_lshlrev_b64 v[17:18], 3, v[21:22]
	v_ashrrev_i32_e32 v25, 31, v24
	flat_load_dwordx2 v[19:20], v[15:16]
	;; [unrolled: 27-line block ×13, first 2 shown]
	s_waitcnt vmcnt(0) lgkmcnt(0)
	buffer_store_dword v86, off, s[0:3], 0 offset:324
	buffer_store_dword v85, off, s[0:3], 0 offset:320
	v_add_co_u32 v83, vcc_lo, s4, v83
	v_add_co_ci_u32_e64 v84, null, s5, v84, vcc_lo
	v_lshlrev_b64 v[85:86], 3, v[90:91]
	flat_load_dwordx2 v[88:89], v[83:84]
	s_waitcnt vmcnt(0) lgkmcnt(0)
	buffer_store_dword v89, off, s[0:3], 0 offset:332
	buffer_store_dword v88, off, s[0:3], 0 offset:328
	v_add_co_u32 v85, vcc_lo, s4, v85
	v_add_co_ci_u32_e64 v86, null, s5, v86, vcc_lo
	v_add_nc_u32_e32 v89, s9, v90
	flat_load_dwordx2 v[91:92], v[85:86]
	s_waitcnt vmcnt(0) lgkmcnt(0)
	buffer_store_dword v92, off, s[0:3], 0 offset:340
	buffer_store_dword v91, off, s[0:3], 0 offset:336
	v_ashrrev_i32_e32 v90, 31, v89
	v_add_nc_u32_e32 v93, s9, v89
	v_lshlrev_b64 v[87:88], 3, v[89:90]
	v_ashrrev_i32_e32 v94, 31, v93
	v_add_nc_u32_e32 v98, s9, v93
	v_add_co_u32 v87, vcc_lo, s4, v87
	v_add_co_ci_u32_e64 v88, null, s5, v88, vcc_lo
	v_lshlrev_b64 v[89:90], 3, v[93:94]
	v_ashrrev_i32_e32 v99, 31, v98
	v_add_nc_u32_e32 v93, s9, v98
	flat_load_dwordx2 v[91:92], v[87:88]
	s_waitcnt vmcnt(0) lgkmcnt(0)
	buffer_store_dword v92, off, s[0:3], 0 offset:348
	buffer_store_dword v91, off, s[0:3], 0 offset:344
	v_add_co_u32 v89, vcc_lo, s4, v89
	v_add_co_ci_u32_e64 v90, null, s5, v90, vcc_lo
	v_lshlrev_b64 v[91:92], 3, v[98:99]
	flat_load_dwordx2 v[94:95], v[89:90]
	s_waitcnt vmcnt(0) lgkmcnt(0)
	buffer_store_dword v95, off, s[0:3], 0 offset:356
	buffer_store_dword v94, off, s[0:3], 0 offset:352
	v_add_co_u32 v91, vcc_lo, s4, v91
	v_add_co_ci_u32_e64 v92, null, s5, v92, vcc_lo
	v_ashrrev_i32_e32 v94, 31, v93
	flat_load_dwordx2 v[95:96], v[91:92]
	s_waitcnt vmcnt(0) lgkmcnt(0)
	buffer_store_dword v96, off, s[0:3], 0 offset:364
	buffer_store_dword v95, off, s[0:3], 0 offset:360
	v_lshlrev_b64 v[93:94], 3, v[93:94]
	v_add_co_u32 v93, vcc_lo, s4, v93
	v_add_co_ci_u32_e64 v94, null, s5, v94, vcc_lo
	s_mov_b32 s5, -1
	flat_load_dwordx2 v[95:96], v[93:94]
	s_waitcnt vmcnt(0) lgkmcnt(0)
	buffer_store_dword v96, off, s[0:3], 0 offset:372
	buffer_store_dword v95, off, s[0:3], 0 offset:368
	s_cbranch_scc1 .LBB110_196
; %bb.4:
	v_cmp_eq_u32_e64 s4, 0, v0
	s_and_saveexec_b32 s5, s4
; %bb.5:
	v_mov_b32_e32 v95, 0
	ds_write_b32 v95, v95 offset:376
; %bb.6:
	s_or_b32 exec_lo, exec_lo, s5
	v_lshl_add_u32 v95, v0, 3, 0
	s_waitcnt lgkmcnt(0)
	s_waitcnt_vscnt null, 0x0
	s_barrier
	buffer_gl0_inv
	s_mov_b32 s8, exec_lo
	s_clause 0x1
	buffer_load_dword v98, v95, s[0:3], 0 offen
	buffer_load_dword v99, v95, s[0:3], 0 offen offset:4
	s_waitcnt vmcnt(0)
	v_cmpx_eq_f64_e32 0, v[98:99]
	s_cbranch_execz .LBB110_10
; %bb.7:
	v_mov_b32_e32 v96, 0
	s_mov_b32 s9, 0
	ds_read_b32 v98, v96 offset:376
	s_waitcnt lgkmcnt(0)
	v_readfirstlane_b32 s5, v98
	v_add_nc_u32_e32 v98, 1, v0
	s_cmp_eq_u32 s5, 0
	v_cmp_gt_i32_e32 vcc_lo, s5, v98
	s_cselect_b32 s14, -1, 0
	s_or_b32 s14, s14, vcc_lo
	s_and_b32 exec_lo, exec_lo, s14
	s_cbranch_execz .LBB110_10
; %bb.8:
	v_mov_b32_e32 v99, s5
.LBB110_9:                              ; =>This Inner Loop Header: Depth=1
	ds_cmpst_rtn_b32 v99, v96, v99, v98 offset:376
	s_waitcnt lgkmcnt(0)
	v_cmp_ne_u32_e32 vcc_lo, 0, v99
	v_cmp_le_i32_e64 s5, v99, v98
	s_and_b32 s5, vcc_lo, s5
	s_and_b32 s5, exec_lo, s5
	s_or_b32 s9, s5, s9
	s_andn2_b32 exec_lo, exec_lo, s9
	s_cbranch_execnz .LBB110_9
.LBB110_10:
	s_or_b32 exec_lo, exec_lo, s8
	v_mov_b32_e32 v96, 0
	s_barrier
	buffer_gl0_inv
	ds_read_b32 v98, v96 offset:376
	s_and_saveexec_b32 s5, s4
	s_cbranch_execz .LBB110_12
; %bb.11:
	s_lshl_b64 s[8:9], s[6:7], 2
	s_add_u32 s8, s10, s8
	s_addc_u32 s9, s11, s9
	s_waitcnt lgkmcnt(0)
	global_store_dword v96, v98, s[8:9]
.LBB110_12:
	s_or_b32 exec_lo, exec_lo, s5
	s_waitcnt lgkmcnt(0)
	v_cmp_ne_u32_e32 vcc_lo, 0, v98
	s_mov_b32 s5, 0
	s_cbranch_vccnz .LBB110_196
; %bb.13:
	s_clause 0x1
	buffer_load_dword v98, v95, s[0:3], 0 offen
	buffer_load_dword v99, v95, s[0:3], 0 offen offset:4
	s_waitcnt vmcnt(0)
	v_div_scale_f64 v[100:101], null, v[98:99], v[98:99], 1.0
	v_div_scale_f64 v[106:107], vcc_lo, 1.0, v[98:99], 1.0
	v_rcp_f64_e32 v[102:103], v[100:101]
	v_fma_f64 v[104:105], -v[100:101], v[102:103], 1.0
	v_fma_f64 v[102:103], v[102:103], v[104:105], v[102:103]
	v_fma_f64 v[104:105], -v[100:101], v[102:103], 1.0
	v_fma_f64 v[102:103], v[102:103], v[104:105], v[102:103]
	v_mul_f64 v[104:105], v[106:107], v[102:103]
	v_fma_f64 v[100:101], -v[100:101], v[104:105], v[106:107]
	v_div_fmas_f64 v[100:101], v[100:101], v[102:103], v[104:105]
	v_div_fixup_f64 v[99:100], v[100:101], v[98:99], 1.0
	v_add_nc_u32_e32 v98, 0x180, v97
	buffer_store_dword v100, v95, s[0:3], 0 offen offset:4
	buffer_store_dword v99, v95, s[0:3], 0 offen
	s_clause 0x1
	buffer_load_dword v102, off, s[0:3], 0 offset:12
	buffer_load_dword v101, off, s[0:3], 0 offset:8
	v_xor_b32_e32 v100, 0x80000000, v100
	s_waitcnt vmcnt(0)
	ds_write2_b64 v97, v[99:100], v[101:102] offset1:48
	s_waitcnt lgkmcnt(0)
	s_waitcnt_vscnt null, 0x0
	s_barrier
	buffer_gl0_inv
	s_and_saveexec_b32 s5, s4
	s_cbranch_execz .LBB110_15
; %bb.14:
	s_clause 0x1
	buffer_load_dword v99, v95, s[0:3], 0 offen
	buffer_load_dword v100, v95, s[0:3], 0 offen offset:4
	ds_read_b64 v[101:102], v98
	v_mov_b32_e32 v96, 0
	ds_read_b64 v[103:104], v96 offset:8
	s_waitcnt vmcnt(0) lgkmcnt(1)
	v_fma_f64 v[99:100], v[99:100], v[101:102], 0
	s_waitcnt lgkmcnt(0)
	v_mul_f64 v[99:100], v[99:100], v[103:104]
	buffer_store_dword v99, off, s[0:3], 0 offset:8
	buffer_store_dword v100, off, s[0:3], 0 offset:12
.LBB110_15:
	s_or_b32 exec_lo, exec_lo, s5
	s_waitcnt_vscnt null, 0x0
	s_barrier
	buffer_gl0_inv
	s_clause 0x1
	buffer_load_dword v99, off, s[0:3], 0 offset:16
	buffer_load_dword v100, off, s[0:3], 0 offset:20
	s_mov_b32 s5, exec_lo
	s_waitcnt vmcnt(0)
	ds_write_b64 v98, v[99:100]
	s_waitcnt lgkmcnt(0)
	s_barrier
	buffer_gl0_inv
	v_cmpx_gt_u32_e32 2, v0
	s_cbranch_execz .LBB110_19
; %bb.16:
	s_clause 0x1
	buffer_load_dword v99, v95, s[0:3], 0 offen
	buffer_load_dword v100, v95, s[0:3], 0 offen offset:4
	ds_read_b64 v[95:96], v98
	s_waitcnt vmcnt(0) lgkmcnt(0)
	v_fma_f64 v[95:96], v[99:100], v[95:96], 0
	s_and_saveexec_b32 s8, s4
	s_cbranch_execz .LBB110_18
; %bb.17:
	s_clause 0x1
	buffer_load_dword v99, off, s[0:3], 0 offset:8
	buffer_load_dword v100, off, s[0:3], 0 offset:12
	v_mov_b32_e32 v101, 0
	ds_read_b64 v[101:102], v101 offset:392
	s_waitcnt vmcnt(0) lgkmcnt(0)
	v_fma_f64 v[95:96], v[99:100], v[101:102], v[95:96]
.LBB110_18:
	s_or_b32 exec_lo, exec_lo, s8
	v_mov_b32_e32 v99, 0
	ds_read_b64 v[99:100], v99 offset:16
	s_waitcnt lgkmcnt(0)
	v_mul_f64 v[95:96], v[95:96], v[99:100]
	buffer_store_dword v96, off, s[0:3], 0 offset:20
	buffer_store_dword v95, off, s[0:3], 0 offset:16
.LBB110_19:
	s_or_b32 exec_lo, exec_lo, s5
	s_waitcnt_vscnt null, 0x0
	s_barrier
	buffer_gl0_inv
	s_clause 0x1
	buffer_load_dword v95, off, s[0:3], 0 offset:24
	buffer_load_dword v96, off, s[0:3], 0 offset:28
	v_add_nc_u32_e32 v99, -1, v0
	s_mov_b32 s4, exec_lo
	s_waitcnt vmcnt(0)
	ds_write_b64 v98, v[95:96]
	s_waitcnt lgkmcnt(0)
	s_barrier
	buffer_gl0_inv
	v_cmpx_gt_u32_e32 3, v0
	s_cbranch_execz .LBB110_23
; %bb.20:
	v_mov_b32_e32 v95, 0
	v_add_nc_u32_e32 v100, -1, v0
	v_add_nc_u32_e32 v101, 0x180, v97
	v_mov_b32_e32 v96, 0
	v_mov_b32_e32 v102, v97
	s_mov_b32 s5, 0
.LBB110_21:                             ; =>This Inner Loop Header: Depth=1
	s_clause 0x1
	buffer_load_dword v103, v102, s[0:3], 0 offen
	buffer_load_dword v104, v102, s[0:3], 0 offen offset:4
	ds_read_b64 v[105:106], v101
	v_add_nc_u32_e32 v100, 1, v100
	v_add_nc_u32_e32 v101, 8, v101
	v_add_nc_u32_e32 v102, 8, v102
	v_cmp_lt_u32_e32 vcc_lo, 1, v100
	s_or_b32 s5, vcc_lo, s5
	s_waitcnt vmcnt(0) lgkmcnt(0)
	v_fma_f64 v[95:96], v[103:104], v[105:106], v[95:96]
	s_andn2_b32 exec_lo, exec_lo, s5
	s_cbranch_execnz .LBB110_21
; %bb.22:
	s_or_b32 exec_lo, exec_lo, s5
	v_mov_b32_e32 v100, 0
	ds_read_b64 v[100:101], v100 offset:24
	s_waitcnt lgkmcnt(0)
	v_mul_f64 v[95:96], v[95:96], v[100:101]
	buffer_store_dword v96, off, s[0:3], 0 offset:28
	buffer_store_dword v95, off, s[0:3], 0 offset:24
.LBB110_23:
	s_or_b32 exec_lo, exec_lo, s4
	s_waitcnt_vscnt null, 0x0
	s_barrier
	buffer_gl0_inv
	s_clause 0x1
	buffer_load_dword v95, off, s[0:3], 0 offset:32
	buffer_load_dword v96, off, s[0:3], 0 offset:36
	s_mov_b32 s4, exec_lo
	s_waitcnt vmcnt(0)
	ds_write_b64 v98, v[95:96]
	s_waitcnt lgkmcnt(0)
	s_barrier
	buffer_gl0_inv
	v_cmpx_gt_u32_e32 4, v0
	s_cbranch_execz .LBB110_27
; %bb.24:
	v_mov_b32_e32 v95, 0
	v_add_nc_u32_e32 v100, -1, v0
	v_add_nc_u32_e32 v101, 0x180, v97
	v_mov_b32_e32 v96, 0
	v_mov_b32_e32 v102, v97
	s_mov_b32 s5, 0
.LBB110_25:                             ; =>This Inner Loop Header: Depth=1
	s_clause 0x1
	buffer_load_dword v103, v102, s[0:3], 0 offen
	buffer_load_dword v104, v102, s[0:3], 0 offen offset:4
	ds_read_b64 v[105:106], v101
	v_add_nc_u32_e32 v100, 1, v100
	v_add_nc_u32_e32 v101, 8, v101
	v_add_nc_u32_e32 v102, 8, v102
	v_cmp_lt_u32_e32 vcc_lo, 2, v100
	s_or_b32 s5, vcc_lo, s5
	s_waitcnt vmcnt(0) lgkmcnt(0)
	v_fma_f64 v[95:96], v[103:104], v[105:106], v[95:96]
	s_andn2_b32 exec_lo, exec_lo, s5
	s_cbranch_execnz .LBB110_25
; %bb.26:
	s_or_b32 exec_lo, exec_lo, s5
	v_mov_b32_e32 v100, 0
	ds_read_b64 v[100:101], v100 offset:32
	s_waitcnt lgkmcnt(0)
	v_mul_f64 v[95:96], v[95:96], v[100:101]
	buffer_store_dword v96, off, s[0:3], 0 offset:36
	buffer_store_dword v95, off, s[0:3], 0 offset:32
.LBB110_27:
	s_or_b32 exec_lo, exec_lo, s4
	s_waitcnt_vscnt null, 0x0
	s_barrier
	buffer_gl0_inv
	s_clause 0x1
	buffer_load_dword v95, off, s[0:3], 0 offset:40
	buffer_load_dword v96, off, s[0:3], 0 offset:44
	;; [unrolled: 45-line block ×20, first 2 shown]
	s_mov_b32 s4, exec_lo
	s_waitcnt vmcnt(0)
	ds_write_b64 v98, v[95:96]
	s_waitcnt lgkmcnt(0)
	s_barrier
	buffer_gl0_inv
	v_cmpx_gt_u32_e32 23, v0
	s_cbranch_execz .LBB110_103
; %bb.100:
	v_mov_b32_e32 v95, 0
	v_add_nc_u32_e32 v100, -1, v0
	v_add_nc_u32_e32 v101, 0x180, v97
	v_mov_b32_e32 v96, 0
	v_mov_b32_e32 v102, v97
	s_mov_b32 s5, 0
.LBB110_101:                            ; =>This Inner Loop Header: Depth=1
	s_clause 0x1
	buffer_load_dword v103, v102, s[0:3], 0 offen
	buffer_load_dword v104, v102, s[0:3], 0 offen offset:4
	ds_read_b64 v[105:106], v101
	v_add_nc_u32_e32 v100, 1, v100
	v_add_nc_u32_e32 v101, 8, v101
	v_add_nc_u32_e32 v102, 8, v102
	v_cmp_lt_u32_e32 vcc_lo, 21, v100
	s_or_b32 s5, vcc_lo, s5
	s_waitcnt vmcnt(0) lgkmcnt(0)
	v_fma_f64 v[95:96], v[103:104], v[105:106], v[95:96]
	s_andn2_b32 exec_lo, exec_lo, s5
	s_cbranch_execnz .LBB110_101
; %bb.102:
	s_or_b32 exec_lo, exec_lo, s5
	v_mov_b32_e32 v100, 0
	ds_read_b64 v[100:101], v100 offset:184
	s_waitcnt lgkmcnt(0)
	v_mul_f64 v[95:96], v[95:96], v[100:101]
	buffer_store_dword v96, off, s[0:3], 0 offset:188
	buffer_store_dword v95, off, s[0:3], 0 offset:184
.LBB110_103:
	s_or_b32 exec_lo, exec_lo, s4
	s_waitcnt_vscnt null, 0x0
	s_barrier
	buffer_gl0_inv
	s_clause 0x1
	buffer_load_dword v95, off, s[0:3], 0 offset:192
	buffer_load_dword v96, off, s[0:3], 0 offset:196
	s_mov_b32 s4, exec_lo
	s_waitcnt vmcnt(0)
	ds_write_b64 v98, v[95:96]
	s_waitcnt lgkmcnt(0)
	s_barrier
	buffer_gl0_inv
	v_cmpx_gt_u32_e32 24, v0
	s_cbranch_execz .LBB110_107
; %bb.104:
	v_mov_b32_e32 v95, 0
	v_add_nc_u32_e32 v100, -1, v0
	v_add_nc_u32_e32 v101, 0x180, v97
	v_mov_b32_e32 v96, 0
	v_mov_b32_e32 v102, v97
	s_mov_b32 s5, 0
.LBB110_105:                            ; =>This Inner Loop Header: Depth=1
	s_clause 0x1
	buffer_load_dword v103, v102, s[0:3], 0 offen
	buffer_load_dword v104, v102, s[0:3], 0 offen offset:4
	ds_read_b64 v[105:106], v101
	v_add_nc_u32_e32 v100, 1, v100
	v_add_nc_u32_e32 v101, 8, v101
	v_add_nc_u32_e32 v102, 8, v102
	v_cmp_lt_u32_e32 vcc_lo, 22, v100
	s_or_b32 s5, vcc_lo, s5
	s_waitcnt vmcnt(0) lgkmcnt(0)
	v_fma_f64 v[95:96], v[103:104], v[105:106], v[95:96]
	s_andn2_b32 exec_lo, exec_lo, s5
	s_cbranch_execnz .LBB110_105
; %bb.106:
	s_or_b32 exec_lo, exec_lo, s5
	v_mov_b32_e32 v100, 0
	ds_read_b64 v[100:101], v100 offset:192
	s_waitcnt lgkmcnt(0)
	v_mul_f64 v[95:96], v[95:96], v[100:101]
	buffer_store_dword v96, off, s[0:3], 0 offset:196
	buffer_store_dword v95, off, s[0:3], 0 offset:192
.LBB110_107:
	s_or_b32 exec_lo, exec_lo, s4
	s_waitcnt_vscnt null, 0x0
	s_barrier
	buffer_gl0_inv
	s_clause 0x1
	buffer_load_dword v95, off, s[0:3], 0 offset:200
	buffer_load_dword v96, off, s[0:3], 0 offset:204
	;; [unrolled: 45-line block ×23, first 2 shown]
	s_mov_b32 s4, exec_lo
	s_waitcnt vmcnt(0)
	ds_write_b64 v98, v[95:96]
	s_waitcnt lgkmcnt(0)
	s_barrier
	buffer_gl0_inv
	v_cmpx_ne_u32_e32 46, v0
	s_cbranch_execz .LBB110_195
; %bb.192:
	v_mov_b32_e32 v95, 0
	v_mov_b32_e32 v96, 0
	s_mov_b32 s5, 0
.LBB110_193:                            ; =>This Inner Loop Header: Depth=1
	s_clause 0x1
	buffer_load_dword v100, v97, s[0:3], 0 offen
	buffer_load_dword v101, v97, s[0:3], 0 offen offset:4
	ds_read_b64 v[102:103], v98
	v_add_nc_u32_e32 v99, 1, v99
	v_add_nc_u32_e32 v98, 8, v98
	;; [unrolled: 1-line block ×3, first 2 shown]
	v_cmp_lt_u32_e32 vcc_lo, 44, v99
	s_or_b32 s5, vcc_lo, s5
	s_waitcnt vmcnt(0) lgkmcnt(0)
	v_fma_f64 v[95:96], v[100:101], v[102:103], v[95:96]
	s_andn2_b32 exec_lo, exec_lo, s5
	s_cbranch_execnz .LBB110_193
; %bb.194:
	s_or_b32 exec_lo, exec_lo, s5
	v_mov_b32_e32 v97, 0
	ds_read_b64 v[97:98], v97 offset:368
	s_waitcnt lgkmcnt(0)
	v_mul_f64 v[95:96], v[95:96], v[97:98]
	buffer_store_dword v96, off, s[0:3], 0 offset:372
	buffer_store_dword v95, off, s[0:3], 0 offset:368
.LBB110_195:
	s_or_b32 exec_lo, exec_lo, s4
	s_mov_b32 s5, -1
	s_waitcnt_vscnt null, 0x0
	s_barrier
	buffer_gl0_inv
.LBB110_196:
	s_and_b32 vcc_lo, exec_lo, s5
	s_cbranch_vccz .LBB110_198
; %bb.197:
	s_lshl_b64 s[4:5], s[6:7], 2
	v_mov_b32_e32 v95, 0
	s_add_u32 s4, s10, s4
	s_addc_u32 s5, s11, s5
	global_load_dword v95, v95, s[4:5]
	s_waitcnt vmcnt(0)
	v_cmp_ne_u32_e32 vcc_lo, 0, v95
	s_cbranch_vccz .LBB110_199
.LBB110_198:
	s_endpgm
.LBB110_199:
	v_lshl_add_u32 v95, v0, 3, 0x180
	s_mov_b32 s4, exec_lo
	v_cmpx_eq_u32_e32 46, v0
	s_cbranch_execz .LBB110_201
; %bb.200:
	s_clause 0x1
	buffer_load_dword v96, off, s[0:3], 0 offset:360
	buffer_load_dword v97, off, s[0:3], 0 offset:364
	v_mov_b32_e32 v98, 0
	buffer_store_dword v98, off, s[0:3], 0 offset:360
	buffer_store_dword v98, off, s[0:3], 0 offset:364
	s_waitcnt vmcnt(0)
	ds_write_b64 v95, v[96:97]
.LBB110_201:
	s_or_b32 exec_lo, exec_lo, s4
	s_waitcnt lgkmcnt(0)
	s_waitcnt_vscnt null, 0x0
	s_barrier
	buffer_gl0_inv
	s_clause 0x3
	buffer_load_dword v97, off, s[0:3], 0 offset:368
	buffer_load_dword v98, off, s[0:3], 0 offset:372
	;; [unrolled: 1-line block ×4, first 2 shown]
	v_mov_b32_e32 v96, 0
	s_mov_b32 s4, exec_lo
	ds_read_b64 v[101:102], v96 offset:752
	s_waitcnt vmcnt(2) lgkmcnt(0)
	v_fma_f64 v[97:98], v[97:98], v[101:102], 0
	s_waitcnt vmcnt(0)
	v_add_f64 v[97:98], v[99:100], -v[97:98]
	buffer_store_dword v97, off, s[0:3], 0 offset:360
	buffer_store_dword v98, off, s[0:3], 0 offset:364
	v_cmpx_lt_u32_e32 44, v0
	s_cbranch_execz .LBB110_203
; %bb.202:
	s_clause 0x1
	buffer_load_dword v97, off, s[0:3], 0 offset:352
	buffer_load_dword v98, off, s[0:3], 0 offset:356
	buffer_store_dword v96, off, s[0:3], 0 offset:352
	buffer_store_dword v96, off, s[0:3], 0 offset:356
	s_waitcnt vmcnt(0)
	ds_write_b64 v95, v[97:98]
.LBB110_203:
	s_or_b32 exec_lo, exec_lo, s4
	s_waitcnt lgkmcnt(0)
	s_waitcnt_vscnt null, 0x0
	s_barrier
	buffer_gl0_inv
	s_clause 0x5
	buffer_load_dword v100, off, s[0:3], 0 offset:360
	buffer_load_dword v101, off, s[0:3], 0 offset:364
	;; [unrolled: 1-line block ×6, first 2 shown]
	ds_read2_b64 v[96:99], v96 offset0:93 offset1:94
	s_mov_b32 s4, exec_lo
	s_waitcnt vmcnt(4) lgkmcnt(0)
	v_fma_f64 v[96:97], v[100:101], v[96:97], 0
	s_waitcnt vmcnt(2)
	v_fma_f64 v[96:97], v[102:103], v[98:99], v[96:97]
	s_waitcnt vmcnt(0)
	v_add_f64 v[96:97], v[104:105], -v[96:97]
	buffer_store_dword v96, off, s[0:3], 0 offset:352
	buffer_store_dword v97, off, s[0:3], 0 offset:356
	v_cmpx_lt_u32_e32 43, v0
	s_cbranch_execz .LBB110_205
; %bb.204:
	s_clause 0x1
	buffer_load_dword v96, off, s[0:3], 0 offset:344
	buffer_load_dword v97, off, s[0:3], 0 offset:348
	v_mov_b32_e32 v98, 0
	buffer_store_dword v98, off, s[0:3], 0 offset:344
	buffer_store_dword v98, off, s[0:3], 0 offset:348
	s_waitcnt vmcnt(0)
	ds_write_b64 v95, v[96:97]
.LBB110_205:
	s_or_b32 exec_lo, exec_lo, s4
	s_waitcnt lgkmcnt(0)
	s_waitcnt_vscnt null, 0x0
	s_barrier
	buffer_gl0_inv
	s_clause 0x7
	buffer_load_dword v101, off, s[0:3], 0 offset:352
	buffer_load_dword v102, off, s[0:3], 0 offset:356
	;; [unrolled: 1-line block ×8, first 2 shown]
	v_mov_b32_e32 v96, 0
	ds_read_b128 v[97:100], v96 offset:736
	ds_read_b64 v[109:110], v96 offset:752
	s_mov_b32 s4, exec_lo
	s_waitcnt vmcnt(6) lgkmcnt(1)
	v_fma_f64 v[97:98], v[101:102], v[97:98], 0
	s_waitcnt vmcnt(4)
	v_fma_f64 v[97:98], v[103:104], v[99:100], v[97:98]
	s_waitcnt vmcnt(2) lgkmcnt(0)
	v_fma_f64 v[97:98], v[105:106], v[109:110], v[97:98]
	s_waitcnt vmcnt(0)
	v_add_f64 v[97:98], v[107:108], -v[97:98]
	buffer_store_dword v97, off, s[0:3], 0 offset:344
	buffer_store_dword v98, off, s[0:3], 0 offset:348
	v_cmpx_lt_u32_e32 42, v0
	s_cbranch_execz .LBB110_207
; %bb.206:
	s_clause 0x1
	buffer_load_dword v97, off, s[0:3], 0 offset:336
	buffer_load_dword v98, off, s[0:3], 0 offset:340
	buffer_store_dword v96, off, s[0:3], 0 offset:336
	buffer_store_dword v96, off, s[0:3], 0 offset:340
	s_waitcnt vmcnt(0)
	ds_write_b64 v95, v[97:98]
.LBB110_207:
	s_or_b32 exec_lo, exec_lo, s4
	s_waitcnt lgkmcnt(0)
	s_waitcnt_vscnt null, 0x0
	s_barrier
	buffer_gl0_inv
	s_clause 0x9
	buffer_load_dword v105, off, s[0:3], 0 offset:344
	buffer_load_dword v106, off, s[0:3], 0 offset:348
	;; [unrolled: 1-line block ×10, first 2 shown]
	ds_read2_b64 v[97:100], v96 offset0:91 offset1:92
	ds_read2_b64 v[101:104], v96 offset0:93 offset1:94
	s_mov_b32 s4, exec_lo
	s_waitcnt vmcnt(8) lgkmcnt(1)
	v_fma_f64 v[96:97], v[105:106], v[97:98], 0
	s_waitcnt vmcnt(6)
	v_fma_f64 v[96:97], v[107:108], v[99:100], v[96:97]
	s_waitcnt vmcnt(4) lgkmcnt(0)
	v_fma_f64 v[96:97], v[109:110], v[101:102], v[96:97]
	s_waitcnt vmcnt(2)
	v_fma_f64 v[96:97], v[111:112], v[103:104], v[96:97]
	s_waitcnt vmcnt(0)
	v_add_f64 v[96:97], v[113:114], -v[96:97]
	buffer_store_dword v96, off, s[0:3], 0 offset:336
	buffer_store_dword v97, off, s[0:3], 0 offset:340
	v_cmpx_lt_u32_e32 41, v0
	s_cbranch_execz .LBB110_209
; %bb.208:
	s_clause 0x1
	buffer_load_dword v96, off, s[0:3], 0 offset:328
	buffer_load_dword v97, off, s[0:3], 0 offset:332
	v_mov_b32_e32 v98, 0
	buffer_store_dword v98, off, s[0:3], 0 offset:328
	buffer_store_dword v98, off, s[0:3], 0 offset:332
	s_waitcnt vmcnt(0)
	ds_write_b64 v95, v[96:97]
.LBB110_209:
	s_or_b32 exec_lo, exec_lo, s4
	s_waitcnt lgkmcnt(0)
	s_waitcnt_vscnt null, 0x0
	s_barrier
	buffer_gl0_inv
	s_clause 0xb
	buffer_load_dword v105, off, s[0:3], 0 offset:336
	buffer_load_dword v106, off, s[0:3], 0 offset:340
	buffer_load_dword v107, off, s[0:3], 0 offset:344
	buffer_load_dword v108, off, s[0:3], 0 offset:348
	buffer_load_dword v109, off, s[0:3], 0 offset:352
	buffer_load_dword v110, off, s[0:3], 0 offset:356
	buffer_load_dword v111, off, s[0:3], 0 offset:360
	buffer_load_dword v112, off, s[0:3], 0 offset:364
	buffer_load_dword v113, off, s[0:3], 0 offset:368
	buffer_load_dword v114, off, s[0:3], 0 offset:372
	buffer_load_dword v115, off, s[0:3], 0 offset:328
	buffer_load_dword v116, off, s[0:3], 0 offset:332
	v_mov_b32_e32 v96, 0
	ds_read_b128 v[97:100], v96 offset:720
	ds_read_b128 v[101:104], v96 offset:736
	s_mov_b32 s4, exec_lo
	s_waitcnt vmcnt(10) lgkmcnt(1)
	v_fma_f64 v[97:98], v[105:106], v[97:98], 0
	s_waitcnt vmcnt(8)
	v_fma_f64 v[97:98], v[107:108], v[99:100], v[97:98]
	ds_read_b64 v[99:100], v96 offset:752
	s_waitcnt vmcnt(6) lgkmcnt(1)
	v_fma_f64 v[97:98], v[109:110], v[101:102], v[97:98]
	s_waitcnt vmcnt(4)
	v_fma_f64 v[97:98], v[111:112], v[103:104], v[97:98]
	s_waitcnt vmcnt(2) lgkmcnt(0)
	v_fma_f64 v[97:98], v[113:114], v[99:100], v[97:98]
	s_waitcnt vmcnt(0)
	v_add_f64 v[97:98], v[115:116], -v[97:98]
	buffer_store_dword v97, off, s[0:3], 0 offset:328
	buffer_store_dword v98, off, s[0:3], 0 offset:332
	v_cmpx_lt_u32_e32 40, v0
	s_cbranch_execz .LBB110_211
; %bb.210:
	s_clause 0x1
	buffer_load_dword v97, off, s[0:3], 0 offset:320
	buffer_load_dword v98, off, s[0:3], 0 offset:324
	buffer_store_dword v96, off, s[0:3], 0 offset:320
	buffer_store_dword v96, off, s[0:3], 0 offset:324
	s_waitcnt vmcnt(0)
	ds_write_b64 v95, v[97:98]
.LBB110_211:
	s_or_b32 exec_lo, exec_lo, s4
	s_waitcnt lgkmcnt(0)
	s_waitcnt_vscnt null, 0x0
	s_barrier
	buffer_gl0_inv
	s_clause 0xd
	buffer_load_dword v105, off, s[0:3], 0 offset:328
	buffer_load_dword v106, off, s[0:3], 0 offset:332
	;; [unrolled: 1-line block ×14, first 2 shown]
	ds_read2_b64 v[97:100], v96 offset0:89 offset1:90
	ds_read2_b64 v[101:104], v96 offset0:91 offset1:92
	s_mov_b32 s4, exec_lo
	s_waitcnt vmcnt(12) lgkmcnt(1)
	v_fma_f64 v[97:98], v[105:106], v[97:98], 0
	s_waitcnt vmcnt(10)
	v_fma_f64 v[97:98], v[107:108], v[99:100], v[97:98]
	s_waitcnt vmcnt(8) lgkmcnt(0)
	v_fma_f64 v[97:98], v[109:110], v[101:102], v[97:98]
	s_waitcnt vmcnt(6)
	v_fma_f64 v[100:101], v[111:112], v[103:104], v[97:98]
	ds_read2_b64 v[96:99], v96 offset0:93 offset1:94
	s_waitcnt vmcnt(4) lgkmcnt(0)
	v_fma_f64 v[96:97], v[113:114], v[96:97], v[100:101]
	s_waitcnt vmcnt(2)
	v_fma_f64 v[96:97], v[115:116], v[98:99], v[96:97]
	s_waitcnt vmcnt(0)
	v_add_f64 v[96:97], v[117:118], -v[96:97]
	buffer_store_dword v96, off, s[0:3], 0 offset:320
	buffer_store_dword v97, off, s[0:3], 0 offset:324
	v_cmpx_lt_u32_e32 39, v0
	s_cbranch_execz .LBB110_213
; %bb.212:
	s_clause 0x1
	buffer_load_dword v96, off, s[0:3], 0 offset:312
	buffer_load_dword v97, off, s[0:3], 0 offset:316
	v_mov_b32_e32 v98, 0
	buffer_store_dword v98, off, s[0:3], 0 offset:312
	buffer_store_dword v98, off, s[0:3], 0 offset:316
	s_waitcnt vmcnt(0)
	ds_write_b64 v95, v[96:97]
.LBB110_213:
	s_or_b32 exec_lo, exec_lo, s4
	s_waitcnt lgkmcnt(0)
	s_waitcnt_vscnt null, 0x0
	s_barrier
	buffer_gl0_inv
	s_clause 0xf
	buffer_load_dword v105, off, s[0:3], 0 offset:320
	buffer_load_dword v106, off, s[0:3], 0 offset:324
	;; [unrolled: 1-line block ×16, first 2 shown]
	v_mov_b32_e32 v96, 0
	ds_read_b128 v[97:100], v96 offset:704
	ds_read_b128 v[101:104], v96 offset:720
	s_mov_b32 s4, exec_lo
	s_waitcnt vmcnt(14) lgkmcnt(1)
	v_fma_f64 v[97:98], v[105:106], v[97:98], 0
	s_waitcnt vmcnt(12)
	v_fma_f64 v[97:98], v[107:108], v[99:100], v[97:98]
	s_waitcnt vmcnt(10) lgkmcnt(0)
	v_fma_f64 v[97:98], v[109:110], v[101:102], v[97:98]
	s_waitcnt vmcnt(8)
	v_fma_f64 v[101:102], v[111:112], v[103:104], v[97:98]
	ds_read_b128 v[97:100], v96 offset:736
	ds_read_b64 v[103:104], v96 offset:752
	s_waitcnt vmcnt(6) lgkmcnt(1)
	v_fma_f64 v[97:98], v[113:114], v[97:98], v[101:102]
	s_waitcnt vmcnt(4)
	v_fma_f64 v[97:98], v[115:116], v[99:100], v[97:98]
	s_waitcnt vmcnt(2) lgkmcnt(0)
	v_fma_f64 v[97:98], v[117:118], v[103:104], v[97:98]
	s_waitcnt vmcnt(0)
	v_add_f64 v[97:98], v[119:120], -v[97:98]
	buffer_store_dword v97, off, s[0:3], 0 offset:312
	buffer_store_dword v98, off, s[0:3], 0 offset:316
	v_cmpx_lt_u32_e32 38, v0
	s_cbranch_execz .LBB110_215
; %bb.214:
	s_clause 0x1
	buffer_load_dword v97, off, s[0:3], 0 offset:304
	buffer_load_dword v98, off, s[0:3], 0 offset:308
	buffer_store_dword v96, off, s[0:3], 0 offset:304
	buffer_store_dword v96, off, s[0:3], 0 offset:308
	s_waitcnt vmcnt(0)
	ds_write_b64 v95, v[97:98]
.LBB110_215:
	s_or_b32 exec_lo, exec_lo, s4
	s_waitcnt lgkmcnt(0)
	s_waitcnt_vscnt null, 0x0
	s_barrier
	buffer_gl0_inv
	s_clause 0x11
	buffer_load_dword v105, off, s[0:3], 0 offset:312
	buffer_load_dword v106, off, s[0:3], 0 offset:316
	;; [unrolled: 1-line block ×18, first 2 shown]
	ds_read2_b64 v[97:100], v96 offset0:87 offset1:88
	ds_read2_b64 v[101:104], v96 offset0:89 offset1:90
	s_mov_b32 s4, exec_lo
	s_waitcnt vmcnt(16) lgkmcnt(1)
	v_fma_f64 v[97:98], v[105:106], v[97:98], 0
	s_waitcnt vmcnt(14)
	v_fma_f64 v[97:98], v[107:108], v[99:100], v[97:98]
	s_waitcnt vmcnt(12) lgkmcnt(0)
	v_fma_f64 v[97:98], v[109:110], v[101:102], v[97:98]
	s_waitcnt vmcnt(10)
	v_fma_f64 v[105:106], v[111:112], v[103:104], v[97:98]
	ds_read2_b64 v[97:100], v96 offset0:91 offset1:92
	ds_read2_b64 v[101:104], v96 offset0:93 offset1:94
	s_waitcnt vmcnt(8) lgkmcnt(1)
	v_fma_f64 v[96:97], v[113:114], v[97:98], v[105:106]
	s_waitcnt vmcnt(6)
	v_fma_f64 v[96:97], v[115:116], v[99:100], v[96:97]
	s_waitcnt vmcnt(4) lgkmcnt(0)
	v_fma_f64 v[96:97], v[117:118], v[101:102], v[96:97]
	s_waitcnt vmcnt(2)
	v_fma_f64 v[96:97], v[119:120], v[103:104], v[96:97]
	s_waitcnt vmcnt(0)
	v_add_f64 v[96:97], v[121:122], -v[96:97]
	buffer_store_dword v96, off, s[0:3], 0 offset:304
	buffer_store_dword v97, off, s[0:3], 0 offset:308
	v_cmpx_lt_u32_e32 37, v0
	s_cbranch_execz .LBB110_217
; %bb.216:
	s_clause 0x1
	buffer_load_dword v96, off, s[0:3], 0 offset:296
	buffer_load_dword v97, off, s[0:3], 0 offset:300
	v_mov_b32_e32 v98, 0
	buffer_store_dword v98, off, s[0:3], 0 offset:296
	buffer_store_dword v98, off, s[0:3], 0 offset:300
	s_waitcnt vmcnt(0)
	ds_write_b64 v95, v[96:97]
.LBB110_217:
	s_or_b32 exec_lo, exec_lo, s4
	s_waitcnt lgkmcnt(0)
	s_waitcnt_vscnt null, 0x0
	s_barrier
	buffer_gl0_inv
	s_clause 0x13
	buffer_load_dword v105, off, s[0:3], 0 offset:304
	buffer_load_dword v106, off, s[0:3], 0 offset:308
	;; [unrolled: 1-line block ×20, first 2 shown]
	v_mov_b32_e32 v96, 0
	ds_read_b128 v[97:100], v96 offset:688
	ds_read_b128 v[101:104], v96 offset:704
	s_mov_b32 s4, exec_lo
	s_waitcnt vmcnt(18) lgkmcnt(1)
	v_fma_f64 v[97:98], v[105:106], v[97:98], 0
	s_waitcnt vmcnt(16)
	v_fma_f64 v[97:98], v[107:108], v[99:100], v[97:98]
	s_waitcnt vmcnt(14) lgkmcnt(0)
	v_fma_f64 v[97:98], v[109:110], v[101:102], v[97:98]
	s_waitcnt vmcnt(12)
	v_fma_f64 v[105:106], v[111:112], v[103:104], v[97:98]
	ds_read_b128 v[97:100], v96 offset:720
	ds_read_b128 v[101:104], v96 offset:736
	s_waitcnt vmcnt(10) lgkmcnt(1)
	v_fma_f64 v[97:98], v[113:114], v[97:98], v[105:106]
	s_waitcnt vmcnt(8)
	v_fma_f64 v[97:98], v[115:116], v[99:100], v[97:98]
	ds_read_b64 v[99:100], v96 offset:752
	s_waitcnt vmcnt(6) lgkmcnt(1)
	v_fma_f64 v[97:98], v[117:118], v[101:102], v[97:98]
	s_waitcnt vmcnt(3)
	v_fma_f64 v[97:98], v[119:120], v[103:104], v[97:98]
	s_waitcnt vmcnt(2) lgkmcnt(0)
	v_fma_f64 v[97:98], v[121:122], v[99:100], v[97:98]
	s_waitcnt vmcnt(0)
	v_add_f64 v[97:98], v[123:124], -v[97:98]
	buffer_store_dword v97, off, s[0:3], 0 offset:296
	buffer_store_dword v98, off, s[0:3], 0 offset:300
	v_cmpx_lt_u32_e32 36, v0
	s_cbranch_execz .LBB110_219
; %bb.218:
	s_clause 0x1
	buffer_load_dword v97, off, s[0:3], 0 offset:288
	buffer_load_dword v98, off, s[0:3], 0 offset:292
	buffer_store_dword v96, off, s[0:3], 0 offset:288
	buffer_store_dword v96, off, s[0:3], 0 offset:292
	s_waitcnt vmcnt(0)
	ds_write_b64 v95, v[97:98]
.LBB110_219:
	s_or_b32 exec_lo, exec_lo, s4
	s_waitcnt lgkmcnt(0)
	s_waitcnt_vscnt null, 0x0
	s_barrier
	buffer_gl0_inv
	s_clause 0x15
	buffer_load_dword v101, off, s[0:3], 0 offset:296
	buffer_load_dword v102, off, s[0:3], 0 offset:300
	buffer_load_dword v103, off, s[0:3], 0 offset:304
	buffer_load_dword v104, off, s[0:3], 0 offset:308
	buffer_load_dword v105, off, s[0:3], 0 offset:312
	buffer_load_dword v106, off, s[0:3], 0 offset:316
	buffer_load_dword v107, off, s[0:3], 0 offset:320
	buffer_load_dword v108, off, s[0:3], 0 offset:324
	buffer_load_dword v109, off, s[0:3], 0 offset:328
	buffer_load_dword v110, off, s[0:3], 0 offset:332
	buffer_load_dword v111, off, s[0:3], 0 offset:336
	buffer_load_dword v112, off, s[0:3], 0 offset:340
	buffer_load_dword v113, off, s[0:3], 0 offset:344
	buffer_load_dword v114, off, s[0:3], 0 offset:348
	buffer_load_dword v116, off, s[0:3], 0 offset:356
	buffer_load_dword v115, off, s[0:3], 0 offset:352
	buffer_load_dword v117, off, s[0:3], 0 offset:360
	buffer_load_dword v118, off, s[0:3], 0 offset:364
	buffer_load_dword v119, off, s[0:3], 0 offset:368
	buffer_load_dword v120, off, s[0:3], 0 offset:372
	buffer_load_dword v121, off, s[0:3], 0 offset:288
	buffer_load_dword v122, off, s[0:3], 0 offset:292
	ds_read2_b64 v[97:100], v96 offset0:85 offset1:86
	s_mov_b32 s4, exec_lo
	s_waitcnt vmcnt(20) lgkmcnt(0)
	v_fma_f64 v[97:98], v[101:102], v[97:98], 0
	s_waitcnt vmcnt(18)
	v_fma_f64 v[101:102], v[103:104], v[99:100], v[97:98]
	ds_read2_b64 v[97:100], v96 offset0:87 offset1:88
	s_waitcnt vmcnt(16) lgkmcnt(0)
	v_fma_f64 v[97:98], v[105:106], v[97:98], v[101:102]
	s_waitcnt vmcnt(14)
	v_fma_f64 v[101:102], v[107:108], v[99:100], v[97:98]
	ds_read2_b64 v[97:100], v96 offset0:89 offset1:90
	;; [unrolled: 5-line block ×4, first 2 shown]
	s_waitcnt vmcnt(4) lgkmcnt(0)
	v_fma_f64 v[96:97], v[117:118], v[96:97], v[100:101]
	s_waitcnt vmcnt(2)
	v_fma_f64 v[96:97], v[119:120], v[98:99], v[96:97]
	s_waitcnt vmcnt(0)
	v_add_f64 v[96:97], v[121:122], -v[96:97]
	buffer_store_dword v96, off, s[0:3], 0 offset:288
	buffer_store_dword v97, off, s[0:3], 0 offset:292
	v_cmpx_lt_u32_e32 35, v0
	s_cbranch_execz .LBB110_221
; %bb.220:
	s_clause 0x1
	buffer_load_dword v96, off, s[0:3], 0 offset:280
	buffer_load_dword v97, off, s[0:3], 0 offset:284
	v_mov_b32_e32 v98, 0
	buffer_store_dword v98, off, s[0:3], 0 offset:280
	buffer_store_dword v98, off, s[0:3], 0 offset:284
	s_waitcnt vmcnt(0)
	ds_write_b64 v95, v[96:97]
.LBB110_221:
	s_or_b32 exec_lo, exec_lo, s4
	s_waitcnt lgkmcnt(0)
	s_waitcnt_vscnt null, 0x0
	s_barrier
	buffer_gl0_inv
	s_clause 0x17
	buffer_load_dword v101, off, s[0:3], 0 offset:288
	buffer_load_dword v102, off, s[0:3], 0 offset:292
	;; [unrolled: 1-line block ×24, first 2 shown]
	v_mov_b32_e32 v96, 0
	s_mov_b32 s4, exec_lo
	ds_read_b128 v[97:100], v96 offset:672
	s_waitcnt vmcnt(22) lgkmcnt(0)
	v_fma_f64 v[97:98], v[101:102], v[97:98], 0
	s_waitcnt vmcnt(20)
	v_fma_f64 v[101:102], v[103:104], v[99:100], v[97:98]
	ds_read_b128 v[97:100], v96 offset:688
	s_waitcnt vmcnt(18) lgkmcnt(0)
	v_fma_f64 v[97:98], v[105:106], v[97:98], v[101:102]
	s_waitcnt vmcnt(16)
	v_fma_f64 v[101:102], v[107:108], v[99:100], v[97:98]
	;; [unrolled: 5-line block ×5, first 2 shown]
	ds_read_b64 v[99:100], v96 offset:752
	s_waitcnt vmcnt(2) lgkmcnt(0)
	v_fma_f64 v[97:98], v[121:122], v[99:100], v[97:98]
	s_waitcnt vmcnt(0)
	v_add_f64 v[97:98], v[123:124], -v[97:98]
	buffer_store_dword v98, off, s[0:3], 0 offset:284
	buffer_store_dword v97, off, s[0:3], 0 offset:280
	v_cmpx_lt_u32_e32 34, v0
	s_cbranch_execz .LBB110_223
; %bb.222:
	s_clause 0x1
	buffer_load_dword v97, off, s[0:3], 0 offset:272
	buffer_load_dword v98, off, s[0:3], 0 offset:276
	buffer_store_dword v96, off, s[0:3], 0 offset:272
	buffer_store_dword v96, off, s[0:3], 0 offset:276
	s_waitcnt vmcnt(0)
	ds_write_b64 v95, v[97:98]
.LBB110_223:
	s_or_b32 exec_lo, exec_lo, s4
	s_waitcnt lgkmcnt(0)
	s_waitcnt_vscnt null, 0x0
	s_barrier
	buffer_gl0_inv
	s_clause 0x19
	buffer_load_dword v101, off, s[0:3], 0 offset:280
	buffer_load_dword v102, off, s[0:3], 0 offset:284
	;; [unrolled: 1-line block ×26, first 2 shown]
	ds_read2_b64 v[97:100], v96 offset0:83 offset1:84
	s_mov_b32 s4, exec_lo
	s_waitcnt vmcnt(24) lgkmcnt(0)
	v_fma_f64 v[97:98], v[101:102], v[97:98], 0
	s_waitcnt vmcnt(22)
	v_fma_f64 v[101:102], v[103:104], v[99:100], v[97:98]
	ds_read2_b64 v[97:100], v96 offset0:85 offset1:86
	s_waitcnt vmcnt(20) lgkmcnt(0)
	v_fma_f64 v[97:98], v[105:106], v[97:98], v[101:102]
	s_waitcnt vmcnt(18)
	v_fma_f64 v[101:102], v[107:108], v[99:100], v[97:98]
	ds_read2_b64 v[97:100], v96 offset0:87 offset1:88
	;; [unrolled: 5-line block ×5, first 2 shown]
	s_waitcnt vmcnt(4) lgkmcnt(0)
	v_fma_f64 v[96:97], v[121:122], v[96:97], v[100:101]
	s_waitcnt vmcnt(2)
	v_fma_f64 v[96:97], v[123:124], v[98:99], v[96:97]
	s_waitcnt vmcnt(0)
	v_add_f64 v[96:97], v[125:126], -v[96:97]
	buffer_store_dword v97, off, s[0:3], 0 offset:276
	buffer_store_dword v96, off, s[0:3], 0 offset:272
	v_cmpx_lt_u32_e32 33, v0
	s_cbranch_execz .LBB110_225
; %bb.224:
	s_clause 0x1
	buffer_load_dword v96, off, s[0:3], 0 offset:264
	buffer_load_dword v97, off, s[0:3], 0 offset:268
	v_mov_b32_e32 v98, 0
	buffer_store_dword v98, off, s[0:3], 0 offset:264
	buffer_store_dword v98, off, s[0:3], 0 offset:268
	s_waitcnt vmcnt(0)
	ds_write_b64 v95, v[96:97]
.LBB110_225:
	s_or_b32 exec_lo, exec_lo, s4
	s_waitcnt lgkmcnt(0)
	s_waitcnt_vscnt null, 0x0
	s_barrier
	buffer_gl0_inv
	s_clause 0x1b
	buffer_load_dword v105, off, s[0:3], 0 offset:272
	buffer_load_dword v106, off, s[0:3], 0 offset:276
	;; [unrolled: 1-line block ×28, first 2 shown]
	v_mov_b32_e32 v96, 0
	ds_read_b128 v[97:100], v96 offset:656
	ds_read_b128 v[101:104], v96 offset:672
	s_mov_b32 s4, exec_lo
	s_waitcnt vmcnt(26) lgkmcnt(1)
	v_fma_f64 v[97:98], v[105:106], v[97:98], 0
	s_waitcnt vmcnt(24)
	v_fma_f64 v[97:98], v[107:108], v[99:100], v[97:98]
	s_waitcnt vmcnt(22) lgkmcnt(0)
	v_fma_f64 v[97:98], v[109:110], v[101:102], v[97:98]
	s_waitcnt vmcnt(20)
	v_fma_f64 v[105:106], v[111:112], v[103:104], v[97:98]
	ds_read_b128 v[97:100], v96 offset:688
	ds_read_b128 v[101:104], v96 offset:704
	s_waitcnt vmcnt(18) lgkmcnt(1)
	v_fma_f64 v[97:98], v[113:114], v[97:98], v[105:106]
	s_waitcnt vmcnt(16)
	v_fma_f64 v[97:98], v[115:116], v[99:100], v[97:98]
	s_waitcnt vmcnt(14) lgkmcnt(0)
	v_fma_f64 v[97:98], v[117:118], v[101:102], v[97:98]
	s_waitcnt vmcnt(9)
	v_fma_f64 v[105:106], v[119:120], v[103:104], v[97:98]
	ds_read_b128 v[97:100], v96 offset:720
	ds_read_b128 v[101:104], v96 offset:736
	s_waitcnt vmcnt(8) lgkmcnt(1)
	v_fma_f64 v[97:98], v[125:126], v[97:98], v[105:106]
	s_waitcnt vmcnt(7)
	v_fma_f64 v[97:98], v[123:124], v[99:100], v[97:98]
	ds_read_b64 v[99:100], v96 offset:752
	s_waitcnt vmcnt(6) lgkmcnt(1)
	v_fma_f64 v[97:98], v[121:122], v[101:102], v[97:98]
	s_waitcnt vmcnt(3)
	v_fma_f64 v[97:98], v[127:128], v[103:104], v[97:98]
	s_waitcnt vmcnt(2) lgkmcnt(0)
	v_fma_f64 v[97:98], v[129:130], v[99:100], v[97:98]
	s_waitcnt vmcnt(0)
	v_add_f64 v[97:98], v[131:132], -v[97:98]
	buffer_store_dword v98, off, s[0:3], 0 offset:268
	buffer_store_dword v97, off, s[0:3], 0 offset:264
	v_cmpx_lt_u32_e32 32, v0
	s_cbranch_execz .LBB110_227
; %bb.226:
	s_clause 0x1
	buffer_load_dword v97, off, s[0:3], 0 offset:256
	buffer_load_dword v98, off, s[0:3], 0 offset:260
	buffer_store_dword v96, off, s[0:3], 0 offset:256
	buffer_store_dword v96, off, s[0:3], 0 offset:260
	s_waitcnt vmcnt(0)
	ds_write_b64 v95, v[97:98]
.LBB110_227:
	s_or_b32 exec_lo, exec_lo, s4
	s_waitcnt lgkmcnt(0)
	s_waitcnt_vscnt null, 0x0
	s_barrier
	buffer_gl0_inv
	s_clause 0x1b
	buffer_load_dword v105, off, s[0:3], 0 offset:264
	buffer_load_dword v106, off, s[0:3], 0 offset:268
	;; [unrolled: 1-line block ×28, first 2 shown]
	ds_read2_b64 v[97:100], v96 offset0:81 offset1:82
	s_clause 0x1
	buffer_load_dword v133, off, s[0:3], 0 offset:256
	buffer_load_dword v134, off, s[0:3], 0 offset:260
	ds_read2_b64 v[101:104], v96 offset0:83 offset1:84
	s_mov_b32 s4, exec_lo
	s_waitcnt vmcnt(28) lgkmcnt(1)
	v_fma_f64 v[97:98], v[105:106], v[97:98], 0
	s_waitcnt vmcnt(26)
	v_fma_f64 v[97:98], v[107:108], v[99:100], v[97:98]
	s_waitcnt vmcnt(24) lgkmcnt(0)
	v_fma_f64 v[97:98], v[109:110], v[101:102], v[97:98]
	s_waitcnt vmcnt(22)
	v_fma_f64 v[105:106], v[111:112], v[103:104], v[97:98]
	ds_read2_b64 v[97:100], v96 offset0:85 offset1:86
	ds_read2_b64 v[101:104], v96 offset0:87 offset1:88
	s_waitcnt vmcnt(20) lgkmcnt(1)
	v_fma_f64 v[97:98], v[113:114], v[97:98], v[105:106]
	s_waitcnt vmcnt(18)
	v_fma_f64 v[97:98], v[115:116], v[99:100], v[97:98]
	s_waitcnt vmcnt(16) lgkmcnt(0)
	v_fma_f64 v[97:98], v[117:118], v[101:102], v[97:98]
	s_waitcnt vmcnt(11)
	v_fma_f64 v[105:106], v[119:120], v[103:104], v[97:98]
	ds_read2_b64 v[97:100], v96 offset0:89 offset1:90
	ds_read2_b64 v[101:104], v96 offset0:91 offset1:92
	s_waitcnt vmcnt(10) lgkmcnt(1)
	v_fma_f64 v[97:98], v[125:126], v[97:98], v[105:106]
	s_waitcnt vmcnt(9)
	v_fma_f64 v[97:98], v[123:124], v[99:100], v[97:98]
	s_waitcnt vmcnt(8) lgkmcnt(0)
	v_fma_f64 v[97:98], v[121:122], v[101:102], v[97:98]
	s_waitcnt vmcnt(4)
	v_fma_f64 v[100:101], v[127:128], v[103:104], v[97:98]
	ds_read2_b64 v[96:99], v96 offset0:93 offset1:94
	s_waitcnt vmcnt(3) lgkmcnt(0)
	v_fma_f64 v[96:97], v[131:132], v[96:97], v[100:101]
	s_waitcnt vmcnt(2)
	v_fma_f64 v[96:97], v[129:130], v[98:99], v[96:97]
	s_waitcnt vmcnt(0)
	v_add_f64 v[96:97], v[133:134], -v[96:97]
	buffer_store_dword v97, off, s[0:3], 0 offset:260
	buffer_store_dword v96, off, s[0:3], 0 offset:256
	v_cmpx_lt_u32_e32 31, v0
	s_cbranch_execz .LBB110_229
; %bb.228:
	s_clause 0x1
	buffer_load_dword v96, off, s[0:3], 0 offset:248
	buffer_load_dword v97, off, s[0:3], 0 offset:252
	v_mov_b32_e32 v98, 0
	buffer_store_dword v98, off, s[0:3], 0 offset:248
	buffer_store_dword v98, off, s[0:3], 0 offset:252
	s_waitcnt vmcnt(0)
	ds_write_b64 v95, v[96:97]
.LBB110_229:
	s_or_b32 exec_lo, exec_lo, s4
	s_waitcnt lgkmcnt(0)
	s_waitcnt_vscnt null, 0x0
	s_barrier
	buffer_gl0_inv
	s_clause 0x1c
	buffer_load_dword v105, off, s[0:3], 0 offset:256
	buffer_load_dword v106, off, s[0:3], 0 offset:260
	;; [unrolled: 1-line block ×29, first 2 shown]
	v_mov_b32_e32 v96, 0
	buffer_load_dword v130, off, s[0:3], 0 offset:372
	s_mov_b32 s4, exec_lo
	ds_read_b128 v[97:100], v96 offset:640
	ds_read_b128 v[101:104], v96 offset:656
	s_waitcnt vmcnt(28) lgkmcnt(1)
	v_fma_f64 v[97:98], v[105:106], v[97:98], 0
	s_clause 0x1
	buffer_load_dword v105, off, s[0:3], 0 offset:248
	buffer_load_dword v106, off, s[0:3], 0 offset:252
	s_waitcnt vmcnt(28)
	v_fma_f64 v[97:98], v[107:108], v[99:100], v[97:98]
	s_waitcnt vmcnt(26) lgkmcnt(0)
	v_fma_f64 v[97:98], v[109:110], v[101:102], v[97:98]
	s_waitcnt vmcnt(24)
	v_fma_f64 v[107:108], v[111:112], v[103:104], v[97:98]
	ds_read_b128 v[97:100], v96 offset:672
	ds_read_b128 v[101:104], v96 offset:688
	s_waitcnt vmcnt(22) lgkmcnt(1)
	v_fma_f64 v[97:98], v[113:114], v[97:98], v[107:108]
	s_waitcnt vmcnt(20)
	v_fma_f64 v[97:98], v[115:116], v[99:100], v[97:98]
	s_waitcnt vmcnt(18) lgkmcnt(0)
	v_fma_f64 v[97:98], v[117:118], v[101:102], v[97:98]
	s_waitcnt vmcnt(13)
	v_fma_f64 v[107:108], v[119:120], v[103:104], v[97:98]
	ds_read_b128 v[97:100], v96 offset:704
	ds_read_b128 v[101:104], v96 offset:720
	s_waitcnt vmcnt(12) lgkmcnt(1)
	v_fma_f64 v[97:98], v[125:126], v[97:98], v[107:108]
	s_waitcnt vmcnt(11)
	v_fma_f64 v[97:98], v[123:124], v[99:100], v[97:98]
	s_waitcnt vmcnt(10) lgkmcnt(0)
	v_fma_f64 v[97:98], v[121:122], v[101:102], v[97:98]
	s_waitcnt vmcnt(5)
	v_fma_f64 v[101:102], v[127:128], v[103:104], v[97:98]
	ds_read_b128 v[97:100], v96 offset:736
	ds_read_b64 v[103:104], v96 offset:752
	s_waitcnt vmcnt(4) lgkmcnt(1)
	v_fma_f64 v[97:98], v[133:134], v[97:98], v[101:102]
	s_waitcnt vmcnt(3)
	v_fma_f64 v[97:98], v[131:132], v[99:100], v[97:98]
	s_waitcnt vmcnt(2) lgkmcnt(0)
	v_fma_f64 v[97:98], v[129:130], v[103:104], v[97:98]
	s_waitcnt vmcnt(0)
	v_add_f64 v[97:98], v[105:106], -v[97:98]
	buffer_store_dword v98, off, s[0:3], 0 offset:252
	buffer_store_dword v97, off, s[0:3], 0 offset:248
	v_cmpx_lt_u32_e32 30, v0
	s_cbranch_execz .LBB110_231
; %bb.230:
	s_clause 0x1
	buffer_load_dword v97, off, s[0:3], 0 offset:240
	buffer_load_dword v98, off, s[0:3], 0 offset:244
	buffer_store_dword v96, off, s[0:3], 0 offset:240
	buffer_store_dword v96, off, s[0:3], 0 offset:244
	s_waitcnt vmcnt(0)
	ds_write_b64 v95, v[97:98]
.LBB110_231:
	s_or_b32 exec_lo, exec_lo, s4
	s_waitcnt lgkmcnt(0)
	s_waitcnt_vscnt null, 0x0
	s_barrier
	buffer_gl0_inv
	s_clause 0x1c
	buffer_load_dword v105, off, s[0:3], 0 offset:248
	buffer_load_dword v106, off, s[0:3], 0 offset:252
	;; [unrolled: 1-line block ×29, first 2 shown]
	ds_read2_b64 v[97:100], v96 offset0:79 offset1:80
	ds_read2_b64 v[101:104], v96 offset0:81 offset1:82
	buffer_load_dword v130, off, s[0:3], 0 offset:364
	s_mov_b32 s4, exec_lo
	s_waitcnt vmcnt(28) lgkmcnt(1)
	v_fma_f64 v[97:98], v[105:106], v[97:98], 0
	s_clause 0x1
	buffer_load_dword v106, off, s[0:3], 0 offset:372
	buffer_load_dword v105, off, s[0:3], 0 offset:368
	s_waitcnt vmcnt(28)
	v_fma_f64 v[97:98], v[107:108], v[99:100], v[97:98]
	s_clause 0x1
	buffer_load_dword v107, off, s[0:3], 0 offset:240
	buffer_load_dword v108, off, s[0:3], 0 offset:244
	s_waitcnt vmcnt(28) lgkmcnt(0)
	v_fma_f64 v[97:98], v[109:110], v[101:102], v[97:98]
	s_waitcnt vmcnt(26)
	v_fma_f64 v[109:110], v[111:112], v[103:104], v[97:98]
	ds_read2_b64 v[97:100], v96 offset0:83 offset1:84
	ds_read2_b64 v[101:104], v96 offset0:85 offset1:86
	s_waitcnt vmcnt(24) lgkmcnt(1)
	v_fma_f64 v[97:98], v[113:114], v[97:98], v[109:110]
	s_waitcnt vmcnt(22)
	v_fma_f64 v[97:98], v[115:116], v[99:100], v[97:98]
	s_waitcnt vmcnt(20) lgkmcnt(0)
	v_fma_f64 v[97:98], v[117:118], v[101:102], v[97:98]
	s_waitcnt vmcnt(15)
	v_fma_f64 v[109:110], v[119:120], v[103:104], v[97:98]
	ds_read2_b64 v[97:100], v96 offset0:87 offset1:88
	ds_read2_b64 v[101:104], v96 offset0:89 offset1:90
	s_waitcnt vmcnt(14) lgkmcnt(1)
	v_fma_f64 v[97:98], v[125:126], v[97:98], v[109:110]
	s_waitcnt vmcnt(13)
	v_fma_f64 v[97:98], v[123:124], v[99:100], v[97:98]
	;; [unrolled: 10-line block ×3, first 2 shown]
	s_waitcnt vmcnt(4) lgkmcnt(0)
	v_fma_f64 v[96:97], v[129:130], v[101:102], v[96:97]
	s_waitcnt vmcnt(2)
	v_fma_f64 v[96:97], v[105:106], v[103:104], v[96:97]
	s_waitcnt vmcnt(0)
	v_add_f64 v[96:97], v[107:108], -v[96:97]
	buffer_store_dword v97, off, s[0:3], 0 offset:244
	buffer_store_dword v96, off, s[0:3], 0 offset:240
	v_cmpx_lt_u32_e32 29, v0
	s_cbranch_execz .LBB110_233
; %bb.232:
	s_clause 0x1
	buffer_load_dword v96, off, s[0:3], 0 offset:232
	buffer_load_dword v97, off, s[0:3], 0 offset:236
	v_mov_b32_e32 v98, 0
	buffer_store_dword v98, off, s[0:3], 0 offset:232
	buffer_store_dword v98, off, s[0:3], 0 offset:236
	s_waitcnt vmcnt(0)
	ds_write_b64 v95, v[96:97]
.LBB110_233:
	s_or_b32 exec_lo, exec_lo, s4
	s_waitcnt lgkmcnt(0)
	s_waitcnt_vscnt null, 0x0
	s_barrier
	buffer_gl0_inv
	s_clause 0x1c
	buffer_load_dword v105, off, s[0:3], 0 offset:240
	buffer_load_dword v106, off, s[0:3], 0 offset:244
	;; [unrolled: 1-line block ×29, first 2 shown]
	v_mov_b32_e32 v96, 0
	buffer_load_dword v130, off, s[0:3], 0 offset:356
	s_mov_b32 s4, exec_lo
	ds_read_b128 v[97:100], v96 offset:624
	ds_read_b128 v[101:104], v96 offset:640
	s_waitcnt vmcnt(28) lgkmcnt(1)
	v_fma_f64 v[97:98], v[105:106], v[97:98], 0
	s_clause 0x3
	buffer_load_dword v106, off, s[0:3], 0 offset:364
	buffer_load_dword v135, off, s[0:3], 0 offset:368
	;; [unrolled: 1-line block ×4, first 2 shown]
	s_waitcnt vmcnt(30)
	v_fma_f64 v[97:98], v[107:108], v[99:100], v[97:98]
	s_clause 0x1
	buffer_load_dword v107, off, s[0:3], 0 offset:232
	buffer_load_dword v108, off, s[0:3], 0 offset:236
	s_waitcnt vmcnt(30) lgkmcnt(0)
	v_fma_f64 v[97:98], v[109:110], v[101:102], v[97:98]
	s_waitcnt vmcnt(28)
	v_fma_f64 v[109:110], v[111:112], v[103:104], v[97:98]
	ds_read_b128 v[97:100], v96 offset:656
	ds_read_b128 v[101:104], v96 offset:672
	s_waitcnt vmcnt(26) lgkmcnt(1)
	v_fma_f64 v[97:98], v[113:114], v[97:98], v[109:110]
	s_waitcnt vmcnt(24)
	v_fma_f64 v[97:98], v[115:116], v[99:100], v[97:98]
	s_waitcnt vmcnt(22) lgkmcnt(0)
	v_fma_f64 v[97:98], v[117:118], v[101:102], v[97:98]
	s_waitcnt vmcnt(17)
	v_fma_f64 v[109:110], v[119:120], v[103:104], v[97:98]
	ds_read_b128 v[97:100], v96 offset:688
	ds_read_b128 v[101:104], v96 offset:704
	s_waitcnt vmcnt(16) lgkmcnt(1)
	v_fma_f64 v[97:98], v[125:126], v[97:98], v[109:110]
	s_waitcnt vmcnt(15)
	v_fma_f64 v[97:98], v[123:124], v[99:100], v[97:98]
	;; [unrolled: 10-line block ×3, first 2 shown]
	ds_read_b64 v[99:100], v96 offset:752
	s_waitcnt vmcnt(6) lgkmcnt(1)
	v_fma_f64 v[97:98], v[129:130], v[101:102], v[97:98]
	s_waitcnt vmcnt(3)
	v_fma_f64 v[97:98], v[105:106], v[103:104], v[97:98]
	s_waitcnt vmcnt(2) lgkmcnt(0)
	v_fma_f64 v[97:98], v[135:136], v[99:100], v[97:98]
	s_waitcnt vmcnt(0)
	v_add_f64 v[97:98], v[107:108], -v[97:98]
	buffer_store_dword v98, off, s[0:3], 0 offset:236
	buffer_store_dword v97, off, s[0:3], 0 offset:232
	v_cmpx_lt_u32_e32 28, v0
	s_cbranch_execz .LBB110_235
; %bb.234:
	s_clause 0x1
	buffer_load_dword v97, off, s[0:3], 0 offset:224
	buffer_load_dword v98, off, s[0:3], 0 offset:228
	buffer_store_dword v96, off, s[0:3], 0 offset:224
	buffer_store_dword v96, off, s[0:3], 0 offset:228
	s_waitcnt vmcnt(0)
	ds_write_b64 v95, v[97:98]
.LBB110_235:
	s_or_b32 exec_lo, exec_lo, s4
	s_waitcnt lgkmcnt(0)
	s_waitcnt_vscnt null, 0x0
	s_barrier
	buffer_gl0_inv
	s_clause 0x1c
	buffer_load_dword v105, off, s[0:3], 0 offset:232
	buffer_load_dword v106, off, s[0:3], 0 offset:236
	;; [unrolled: 1-line block ×29, first 2 shown]
	ds_read2_b64 v[97:100], v96 offset0:77 offset1:78
	ds_read2_b64 v[101:104], v96 offset0:79 offset1:80
	buffer_load_dword v130, off, s[0:3], 0 offset:348
	s_mov_b32 s4, exec_lo
	s_waitcnt vmcnt(28) lgkmcnt(1)
	v_fma_f64 v[97:98], v[105:106], v[97:98], 0
	s_clause 0x5
	buffer_load_dword v106, off, s[0:3], 0 offset:356
	buffer_load_dword v135, off, s[0:3], 0 offset:368
	;; [unrolled: 1-line block ×6, first 2 shown]
	s_waitcnt vmcnt(32)
	v_fma_f64 v[97:98], v[107:108], v[99:100], v[97:98]
	s_waitcnt vmcnt(30) lgkmcnt(0)
	v_fma_f64 v[97:98], v[109:110], v[101:102], v[97:98]
	s_waitcnt vmcnt(28)
	v_fma_f64 v[107:108], v[111:112], v[103:104], v[97:98]
	ds_read2_b64 v[97:100], v96 offset0:81 offset1:82
	s_clause 0x1
	buffer_load_dword v109, off, s[0:3], 0 offset:224
	buffer_load_dword v110, off, s[0:3], 0 offset:228
	ds_read2_b64 v[101:104], v96 offset0:83 offset1:84
	s_waitcnt vmcnt(28) lgkmcnt(1)
	v_fma_f64 v[97:98], v[113:114], v[97:98], v[107:108]
	s_waitcnt vmcnt(26)
	v_fma_f64 v[97:98], v[115:116], v[99:100], v[97:98]
	s_waitcnt vmcnt(24) lgkmcnt(0)
	v_fma_f64 v[97:98], v[117:118], v[101:102], v[97:98]
	s_waitcnt vmcnt(19)
	v_fma_f64 v[107:108], v[119:120], v[103:104], v[97:98]
	ds_read2_b64 v[97:100], v96 offset0:85 offset1:86
	ds_read2_b64 v[101:104], v96 offset0:87 offset1:88
	s_waitcnt vmcnt(18) lgkmcnt(1)
	v_fma_f64 v[97:98], v[125:126], v[97:98], v[107:108]
	s_waitcnt vmcnt(17)
	v_fma_f64 v[97:98], v[123:124], v[99:100], v[97:98]
	s_waitcnt vmcnt(16) lgkmcnt(0)
	v_fma_f64 v[97:98], v[121:122], v[101:102], v[97:98]
	s_waitcnt vmcnt(11)
	v_fma_f64 v[107:108], v[127:128], v[103:104], v[97:98]
	ds_read2_b64 v[97:100], v96 offset0:89 offset1:90
	;; [unrolled: 10-line block ×3, first 2 shown]
	s_waitcnt vmcnt(3) lgkmcnt(0)
	v_fma_f64 v[96:97], v[137:138], v[96:97], v[100:101]
	s_waitcnt vmcnt(2)
	v_fma_f64 v[96:97], v[135:136], v[98:99], v[96:97]
	s_waitcnt vmcnt(0)
	v_add_f64 v[96:97], v[109:110], -v[96:97]
	buffer_store_dword v97, off, s[0:3], 0 offset:228
	buffer_store_dword v96, off, s[0:3], 0 offset:224
	v_cmpx_lt_u32_e32 27, v0
	s_cbranch_execz .LBB110_237
; %bb.236:
	s_clause 0x1
	buffer_load_dword v96, off, s[0:3], 0 offset:216
	buffer_load_dword v97, off, s[0:3], 0 offset:220
	v_mov_b32_e32 v98, 0
	buffer_store_dword v98, off, s[0:3], 0 offset:216
	buffer_store_dword v98, off, s[0:3], 0 offset:220
	s_waitcnt vmcnt(0)
	ds_write_b64 v95, v[96:97]
.LBB110_237:
	s_or_b32 exec_lo, exec_lo, s4
	s_waitcnt lgkmcnt(0)
	s_waitcnt_vscnt null, 0x0
	s_barrier
	buffer_gl0_inv
	s_clause 0x1c
	buffer_load_dword v105, off, s[0:3], 0 offset:224
	buffer_load_dword v106, off, s[0:3], 0 offset:228
	;; [unrolled: 1-line block ×29, first 2 shown]
	v_mov_b32_e32 v96, 0
	buffer_load_dword v130, off, s[0:3], 0 offset:340
	s_mov_b32 s4, exec_lo
	ds_read_b128 v[97:100], v96 offset:608
	ds_read_b128 v[101:104], v96 offset:624
	s_waitcnt vmcnt(28) lgkmcnt(1)
	v_fma_f64 v[97:98], v[105:106], v[97:98], 0
	s_clause 0x7
	buffer_load_dword v106, off, s[0:3], 0 offset:348
	buffer_load_dword v135, off, s[0:3], 0 offset:368
	;; [unrolled: 1-line block ×8, first 2 shown]
	s_waitcnt vmcnt(34)
	v_fma_f64 v[97:98], v[107:108], v[99:100], v[97:98]
	s_waitcnt vmcnt(32) lgkmcnt(0)
	v_fma_f64 v[97:98], v[109:110], v[101:102], v[97:98]
	s_waitcnt vmcnt(30)
	v_fma_f64 v[107:108], v[111:112], v[103:104], v[97:98]
	ds_read_b128 v[97:100], v96 offset:640
	ds_read_b128 v[101:104], v96 offset:656
	s_waitcnt vmcnt(28) lgkmcnt(1)
	v_fma_f64 v[97:98], v[113:114], v[97:98], v[107:108]
	s_clause 0x1
	buffer_load_dword v107, off, s[0:3], 0 offset:216
	buffer_load_dword v108, off, s[0:3], 0 offset:220
	s_waitcnt vmcnt(28)
	v_fma_f64 v[97:98], v[115:116], v[99:100], v[97:98]
	s_waitcnt vmcnt(26) lgkmcnt(0)
	v_fma_f64 v[97:98], v[117:118], v[101:102], v[97:98]
	s_waitcnt vmcnt(21)
	v_fma_f64 v[109:110], v[119:120], v[103:104], v[97:98]
	ds_read_b128 v[97:100], v96 offset:672
	ds_read_b128 v[101:104], v96 offset:688
	s_waitcnt vmcnt(20) lgkmcnt(1)
	v_fma_f64 v[97:98], v[125:126], v[97:98], v[109:110]
	s_waitcnt vmcnt(19)
	v_fma_f64 v[97:98], v[123:124], v[99:100], v[97:98]
	s_waitcnt vmcnt(18) lgkmcnt(0)
	v_fma_f64 v[97:98], v[121:122], v[101:102], v[97:98]
	s_waitcnt vmcnt(13)
	v_fma_f64 v[109:110], v[127:128], v[103:104], v[97:98]
	ds_read_b128 v[97:100], v96 offset:704
	ds_read_b128 v[101:104], v96 offset:720
	s_waitcnt vmcnt(12) lgkmcnt(1)
	v_fma_f64 v[97:98], v[133:134], v[97:98], v[109:110]
	s_waitcnt vmcnt(11)
	v_fma_f64 v[97:98], v[131:132], v[99:100], v[97:98]
	s_waitcnt vmcnt(10) lgkmcnt(0)
	v_fma_f64 v[97:98], v[129:130], v[101:102], v[97:98]
	s_waitcnt vmcnt(5)
	v_fma_f64 v[101:102], v[105:106], v[103:104], v[97:98]
	ds_read_b128 v[97:100], v96 offset:736
	ds_read_b64 v[103:104], v96 offset:752
	s_waitcnt vmcnt(4) lgkmcnt(1)
	v_fma_f64 v[97:98], v[139:140], v[97:98], v[101:102]
	s_waitcnt vmcnt(3)
	v_fma_f64 v[97:98], v[137:138], v[99:100], v[97:98]
	s_waitcnt vmcnt(2) lgkmcnt(0)
	v_fma_f64 v[97:98], v[135:136], v[103:104], v[97:98]
	s_waitcnt vmcnt(0)
	v_add_f64 v[97:98], v[107:108], -v[97:98]
	buffer_store_dword v98, off, s[0:3], 0 offset:220
	buffer_store_dword v97, off, s[0:3], 0 offset:216
	v_cmpx_lt_u32_e32 26, v0
	s_cbranch_execz .LBB110_239
; %bb.238:
	s_clause 0x1
	buffer_load_dword v97, off, s[0:3], 0 offset:208
	buffer_load_dword v98, off, s[0:3], 0 offset:212
	buffer_store_dword v96, off, s[0:3], 0 offset:208
	buffer_store_dword v96, off, s[0:3], 0 offset:212
	s_waitcnt vmcnt(0)
	ds_write_b64 v95, v[97:98]
.LBB110_239:
	s_or_b32 exec_lo, exec_lo, s4
	s_waitcnt lgkmcnt(0)
	s_waitcnt_vscnt null, 0x0
	s_barrier
	buffer_gl0_inv
	s_clause 0x1c
	buffer_load_dword v105, off, s[0:3], 0 offset:216
	buffer_load_dword v106, off, s[0:3], 0 offset:220
	;; [unrolled: 1-line block ×29, first 2 shown]
	ds_read2_b64 v[97:100], v96 offset0:75 offset1:76
	ds_read2_b64 v[101:104], v96 offset0:77 offset1:78
	buffer_load_dword v130, off, s[0:3], 0 offset:332
	s_mov_b32 s4, exec_lo
	s_waitcnt vmcnt(28) lgkmcnt(1)
	v_fma_f64 v[97:98], v[105:106], v[97:98], 0
	s_clause 0x7
	buffer_load_dword v106, off, s[0:3], 0 offset:340
	buffer_load_dword v135, off, s[0:3], 0 offset:360
	;; [unrolled: 1-line block ×8, first 2 shown]
	s_waitcnt vmcnt(34)
	v_fma_f64 v[97:98], v[107:108], v[99:100], v[97:98]
	s_waitcnt vmcnt(32) lgkmcnt(0)
	v_fma_f64 v[97:98], v[109:110], v[101:102], v[97:98]
	s_waitcnt vmcnt(30)
	v_fma_f64 v[107:108], v[111:112], v[103:104], v[97:98]
	ds_read2_b64 v[97:100], v96 offset0:79 offset1:80
	ds_read2_b64 v[101:104], v96 offset0:81 offset1:82
	s_waitcnt vmcnt(28) lgkmcnt(1)
	v_fma_f64 v[97:98], v[113:114], v[97:98], v[107:108]
	s_clause 0x3
	buffer_load_dword v108, off, s[0:3], 0 offset:372
	buffer_load_dword v107, off, s[0:3], 0 offset:368
	;; [unrolled: 1-line block ×4, first 2 shown]
	s_waitcnt vmcnt(30)
	v_fma_f64 v[97:98], v[115:116], v[99:100], v[97:98]
	s_waitcnt vmcnt(28) lgkmcnt(0)
	v_fma_f64 v[97:98], v[117:118], v[101:102], v[97:98]
	s_waitcnt vmcnt(23)
	v_fma_f64 v[111:112], v[119:120], v[103:104], v[97:98]
	ds_read2_b64 v[97:100], v96 offset0:83 offset1:84
	ds_read2_b64 v[101:104], v96 offset0:85 offset1:86
	s_waitcnt vmcnt(22) lgkmcnt(1)
	v_fma_f64 v[97:98], v[125:126], v[97:98], v[111:112]
	s_waitcnt vmcnt(21)
	v_fma_f64 v[97:98], v[123:124], v[99:100], v[97:98]
	s_waitcnt vmcnt(20) lgkmcnt(0)
	v_fma_f64 v[97:98], v[121:122], v[101:102], v[97:98]
	s_waitcnt vmcnt(15)
	v_fma_f64 v[111:112], v[127:128], v[103:104], v[97:98]
	ds_read2_b64 v[97:100], v96 offset0:87 offset1:88
	ds_read2_b64 v[101:104], v96 offset0:89 offset1:90
	s_waitcnt vmcnt(14) lgkmcnt(1)
	v_fma_f64 v[97:98], v[133:134], v[97:98], v[111:112]
	;; [unrolled: 10-line block ×3, first 2 shown]
	s_waitcnt vmcnt(5)
	v_fma_f64 v[96:97], v[137:138], v[99:100], v[96:97]
	s_waitcnt vmcnt(4) lgkmcnt(0)
	v_fma_f64 v[96:97], v[135:136], v[101:102], v[96:97]
	s_waitcnt vmcnt(2)
	v_fma_f64 v[96:97], v[107:108], v[103:104], v[96:97]
	s_waitcnt vmcnt(0)
	v_add_f64 v[96:97], v[109:110], -v[96:97]
	buffer_store_dword v97, off, s[0:3], 0 offset:212
	buffer_store_dword v96, off, s[0:3], 0 offset:208
	v_cmpx_lt_u32_e32 25, v0
	s_cbranch_execz .LBB110_241
; %bb.240:
	s_clause 0x1
	buffer_load_dword v96, off, s[0:3], 0 offset:200
	buffer_load_dword v97, off, s[0:3], 0 offset:204
	v_mov_b32_e32 v98, 0
	buffer_store_dword v98, off, s[0:3], 0 offset:200
	buffer_store_dword v98, off, s[0:3], 0 offset:204
	s_waitcnt vmcnt(0)
	ds_write_b64 v95, v[96:97]
.LBB110_241:
	s_or_b32 exec_lo, exec_lo, s4
	s_waitcnt lgkmcnt(0)
	s_waitcnt_vscnt null, 0x0
	s_barrier
	buffer_gl0_inv
	s_clause 0x1c
	buffer_load_dword v105, off, s[0:3], 0 offset:208
	buffer_load_dword v106, off, s[0:3], 0 offset:212
	;; [unrolled: 1-line block ×29, first 2 shown]
	v_mov_b32_e32 v96, 0
	buffer_load_dword v130, off, s[0:3], 0 offset:324
	s_mov_b32 s4, exec_lo
	ds_read_b128 v[97:100], v96 offset:592
	ds_read_b128 v[101:104], v96 offset:608
	s_waitcnt vmcnt(28) lgkmcnt(1)
	v_fma_f64 v[97:98], v[105:106], v[97:98], 0
	s_clause 0x7
	buffer_load_dword v106, off, s[0:3], 0 offset:332
	buffer_load_dword v135, off, s[0:3], 0 offset:352
	;; [unrolled: 1-line block ×8, first 2 shown]
	s_waitcnt vmcnt(34)
	v_fma_f64 v[97:98], v[107:108], v[99:100], v[97:98]
	s_waitcnt vmcnt(32) lgkmcnt(0)
	v_fma_f64 v[97:98], v[109:110], v[101:102], v[97:98]
	s_waitcnt vmcnt(30)
	v_fma_f64 v[107:108], v[111:112], v[103:104], v[97:98]
	ds_read_b128 v[97:100], v96 offset:624
	ds_read_b128 v[101:104], v96 offset:640
	s_waitcnt vmcnt(28) lgkmcnt(1)
	v_fma_f64 v[97:98], v[113:114], v[97:98], v[107:108]
	s_clause 0x5
	buffer_load_dword v108, off, s[0:3], 0 offset:364
	buffer_load_dword v109, off, s[0:3], 0 offset:368
	;; [unrolled: 1-line block ×6, first 2 shown]
	s_waitcnt vmcnt(32)
	v_fma_f64 v[97:98], v[115:116], v[99:100], v[97:98]
	s_waitcnt vmcnt(30) lgkmcnt(0)
	v_fma_f64 v[97:98], v[117:118], v[101:102], v[97:98]
	s_waitcnt vmcnt(25)
	v_fma_f64 v[113:114], v[119:120], v[103:104], v[97:98]
	ds_read_b128 v[97:100], v96 offset:656
	ds_read_b128 v[101:104], v96 offset:672
	s_waitcnt vmcnt(24) lgkmcnt(1)
	v_fma_f64 v[97:98], v[125:126], v[97:98], v[113:114]
	s_waitcnt vmcnt(23)
	v_fma_f64 v[97:98], v[123:124], v[99:100], v[97:98]
	s_waitcnt vmcnt(22) lgkmcnt(0)
	v_fma_f64 v[97:98], v[121:122], v[101:102], v[97:98]
	s_waitcnt vmcnt(17)
	v_fma_f64 v[113:114], v[127:128], v[103:104], v[97:98]
	ds_read_b128 v[97:100], v96 offset:688
	ds_read_b128 v[101:104], v96 offset:704
	s_waitcnt vmcnt(16) lgkmcnt(1)
	v_fma_f64 v[97:98], v[133:134], v[97:98], v[113:114]
	;; [unrolled: 10-line block ×3, first 2 shown]
	s_waitcnt vmcnt(7)
	v_fma_f64 v[97:98], v[137:138], v[99:100], v[97:98]
	ds_read_b64 v[99:100], v96 offset:752
	s_waitcnt vmcnt(6) lgkmcnt(1)
	v_fma_f64 v[97:98], v[135:136], v[101:102], v[97:98]
	s_waitcnt vmcnt(3)
	v_fma_f64 v[97:98], v[107:108], v[103:104], v[97:98]
	s_waitcnt vmcnt(2) lgkmcnt(0)
	v_fma_f64 v[97:98], v[109:110], v[99:100], v[97:98]
	s_waitcnt vmcnt(0)
	v_add_f64 v[97:98], v[111:112], -v[97:98]
	buffer_store_dword v98, off, s[0:3], 0 offset:204
	buffer_store_dword v97, off, s[0:3], 0 offset:200
	v_cmpx_lt_u32_e32 24, v0
	s_cbranch_execz .LBB110_243
; %bb.242:
	s_clause 0x1
	buffer_load_dword v97, off, s[0:3], 0 offset:192
	buffer_load_dword v98, off, s[0:3], 0 offset:196
	buffer_store_dword v96, off, s[0:3], 0 offset:192
	buffer_store_dword v96, off, s[0:3], 0 offset:196
	s_waitcnt vmcnt(0)
	ds_write_b64 v95, v[97:98]
.LBB110_243:
	s_or_b32 exec_lo, exec_lo, s4
	s_waitcnt lgkmcnt(0)
	s_waitcnt_vscnt null, 0x0
	s_barrier
	buffer_gl0_inv
	s_clause 0x1c
	buffer_load_dword v105, off, s[0:3], 0 offset:200
	buffer_load_dword v106, off, s[0:3], 0 offset:204
	;; [unrolled: 1-line block ×29, first 2 shown]
	ds_read2_b64 v[97:100], v96 offset0:73 offset1:74
	ds_read2_b64 v[101:104], v96 offset0:75 offset1:76
	buffer_load_dword v130, off, s[0:3], 0 offset:316
	s_mov_b32 s4, exec_lo
	s_waitcnt vmcnt(28) lgkmcnt(1)
	v_fma_f64 v[97:98], v[105:106], v[97:98], 0
	s_clause 0x7
	buffer_load_dword v106, off, s[0:3], 0 offset:324
	buffer_load_dword v135, off, s[0:3], 0 offset:344
	;; [unrolled: 1-line block ×8, first 2 shown]
	s_waitcnt vmcnt(34)
	v_fma_f64 v[97:98], v[107:108], v[99:100], v[97:98]
	s_waitcnt vmcnt(32) lgkmcnt(0)
	v_fma_f64 v[97:98], v[109:110], v[101:102], v[97:98]
	s_waitcnt vmcnt(30)
	v_fma_f64 v[107:108], v[111:112], v[103:104], v[97:98]
	ds_read2_b64 v[97:100], v96 offset0:77 offset1:78
	ds_read2_b64 v[101:104], v96 offset0:79 offset1:80
	s_waitcnt vmcnt(28) lgkmcnt(1)
	v_fma_f64 v[97:98], v[113:114], v[97:98], v[107:108]
	s_clause 0x5
	buffer_load_dword v108, off, s[0:3], 0 offset:356
	buffer_load_dword v109, off, s[0:3], 0 offset:368
	;; [unrolled: 1-line block ×6, first 2 shown]
	s_waitcnt vmcnt(32)
	v_fma_f64 v[97:98], v[115:116], v[99:100], v[97:98]
	s_waitcnt vmcnt(30) lgkmcnt(0)
	v_fma_f64 v[97:98], v[117:118], v[101:102], v[97:98]
	s_waitcnt vmcnt(25)
	v_fma_f64 v[113:114], v[119:120], v[103:104], v[97:98]
	ds_read2_b64 v[97:100], v96 offset0:81 offset1:82
	s_clause 0x1
	buffer_load_dword v115, off, s[0:3], 0 offset:192
	buffer_load_dword v116, off, s[0:3], 0 offset:196
	ds_read2_b64 v[101:104], v96 offset0:83 offset1:84
	s_waitcnt vmcnt(26) lgkmcnt(1)
	v_fma_f64 v[97:98], v[125:126], v[97:98], v[113:114]
	s_waitcnt vmcnt(25)
	v_fma_f64 v[97:98], v[123:124], v[99:100], v[97:98]
	s_waitcnt vmcnt(24) lgkmcnt(0)
	v_fma_f64 v[97:98], v[121:122], v[101:102], v[97:98]
	s_waitcnt vmcnt(19)
	v_fma_f64 v[113:114], v[127:128], v[103:104], v[97:98]
	ds_read2_b64 v[97:100], v96 offset0:85 offset1:86
	ds_read2_b64 v[101:104], v96 offset0:87 offset1:88
	s_waitcnt vmcnt(18) lgkmcnt(1)
	v_fma_f64 v[97:98], v[133:134], v[97:98], v[113:114]
	s_waitcnt vmcnt(17)
	v_fma_f64 v[97:98], v[131:132], v[99:100], v[97:98]
	s_waitcnt vmcnt(16) lgkmcnt(0)
	v_fma_f64 v[97:98], v[129:130], v[101:102], v[97:98]
	s_waitcnt vmcnt(11)
	v_fma_f64 v[105:106], v[105:106], v[103:104], v[97:98]
	ds_read2_b64 v[97:100], v96 offset0:89 offset1:90
	ds_read2_b64 v[101:104], v96 offset0:91 offset1:92
	s_waitcnt vmcnt(10) lgkmcnt(1)
	v_fma_f64 v[97:98], v[139:140], v[97:98], v[105:106]
	s_waitcnt vmcnt(9)
	v_fma_f64 v[97:98], v[137:138], v[99:100], v[97:98]
	s_waitcnt vmcnt(8) lgkmcnt(0)
	v_fma_f64 v[97:98], v[135:136], v[101:102], v[97:98]
	s_waitcnt vmcnt(4)
	v_fma_f64 v[100:101], v[107:108], v[103:104], v[97:98]
	ds_read2_b64 v[96:99], v96 offset0:93 offset1:94
	s_waitcnt vmcnt(3) lgkmcnt(0)
	v_fma_f64 v[96:97], v[111:112], v[96:97], v[100:101]
	s_waitcnt vmcnt(2)
	v_fma_f64 v[96:97], v[109:110], v[98:99], v[96:97]
	s_waitcnt vmcnt(0)
	v_add_f64 v[96:97], v[115:116], -v[96:97]
	buffer_store_dword v97, off, s[0:3], 0 offset:196
	buffer_store_dword v96, off, s[0:3], 0 offset:192
	v_cmpx_lt_u32_e32 23, v0
	s_cbranch_execz .LBB110_245
; %bb.244:
	s_clause 0x1
	buffer_load_dword v96, off, s[0:3], 0 offset:184
	buffer_load_dword v97, off, s[0:3], 0 offset:188
	v_mov_b32_e32 v98, 0
	buffer_store_dword v98, off, s[0:3], 0 offset:184
	buffer_store_dword v98, off, s[0:3], 0 offset:188
	s_waitcnt vmcnt(0)
	ds_write_b64 v95, v[96:97]
.LBB110_245:
	s_or_b32 exec_lo, exec_lo, s4
	s_waitcnt lgkmcnt(0)
	s_waitcnt_vscnt null, 0x0
	s_barrier
	buffer_gl0_inv
	s_clause 0x1c
	buffer_load_dword v105, off, s[0:3], 0 offset:192
	buffer_load_dword v106, off, s[0:3], 0 offset:196
	;; [unrolled: 1-line block ×29, first 2 shown]
	v_mov_b32_e32 v96, 0
	buffer_load_dword v130, off, s[0:3], 0 offset:308
	s_mov_b32 s4, exec_lo
	ds_read_b128 v[97:100], v96 offset:576
	ds_read_b128 v[101:104], v96 offset:592
	s_waitcnt vmcnt(28) lgkmcnt(1)
	v_fma_f64 v[97:98], v[105:106], v[97:98], 0
	s_clause 0x7
	buffer_load_dword v106, off, s[0:3], 0 offset:316
	buffer_load_dword v135, off, s[0:3], 0 offset:336
	;; [unrolled: 1-line block ×8, first 2 shown]
	s_waitcnt vmcnt(34)
	v_fma_f64 v[97:98], v[107:108], v[99:100], v[97:98]
	s_waitcnt vmcnt(32) lgkmcnt(0)
	v_fma_f64 v[97:98], v[109:110], v[101:102], v[97:98]
	s_waitcnt vmcnt(30)
	v_fma_f64 v[107:108], v[111:112], v[103:104], v[97:98]
	ds_read_b128 v[97:100], v96 offset:608
	ds_read_b128 v[101:104], v96 offset:624
	s_waitcnt vmcnt(28) lgkmcnt(1)
	v_fma_f64 v[97:98], v[113:114], v[97:98], v[107:108]
	s_clause 0x7
	buffer_load_dword v108, off, s[0:3], 0 offset:348
	buffer_load_dword v109, off, s[0:3], 0 offset:368
	;; [unrolled: 1-line block ×8, first 2 shown]
	s_waitcnt vmcnt(34)
	v_fma_f64 v[97:98], v[115:116], v[99:100], v[97:98]
	s_waitcnt vmcnt(32) lgkmcnt(0)
	v_fma_f64 v[97:98], v[117:118], v[101:102], v[97:98]
	s_waitcnt vmcnt(27)
	v_fma_f64 v[115:116], v[119:120], v[103:104], v[97:98]
	ds_read_b128 v[97:100], v96 offset:640
	ds_read_b128 v[101:104], v96 offset:656
	s_waitcnt vmcnt(26) lgkmcnt(1)
	v_fma_f64 v[97:98], v[125:126], v[97:98], v[115:116]
	s_clause 0x1
	buffer_load_dword v115, off, s[0:3], 0 offset:184
	buffer_load_dword v116, off, s[0:3], 0 offset:188
	s_waitcnt vmcnt(27)
	v_fma_f64 v[97:98], v[123:124], v[99:100], v[97:98]
	s_waitcnt vmcnt(26) lgkmcnt(0)
	v_fma_f64 v[97:98], v[121:122], v[101:102], v[97:98]
	s_waitcnt vmcnt(21)
	v_fma_f64 v[117:118], v[127:128], v[103:104], v[97:98]
	ds_read_b128 v[97:100], v96 offset:672
	ds_read_b128 v[101:104], v96 offset:688
	s_waitcnt vmcnt(20) lgkmcnt(1)
	v_fma_f64 v[97:98], v[133:134], v[97:98], v[117:118]
	s_waitcnt vmcnt(19)
	v_fma_f64 v[97:98], v[131:132], v[99:100], v[97:98]
	s_waitcnt vmcnt(18) lgkmcnt(0)
	v_fma_f64 v[97:98], v[129:130], v[101:102], v[97:98]
	s_waitcnt vmcnt(13)
	v_fma_f64 v[105:106], v[105:106], v[103:104], v[97:98]
	ds_read_b128 v[97:100], v96 offset:704
	ds_read_b128 v[101:104], v96 offset:720
	s_waitcnt vmcnt(12) lgkmcnt(1)
	v_fma_f64 v[97:98], v[139:140], v[97:98], v[105:106]
	s_waitcnt vmcnt(11)
	v_fma_f64 v[97:98], v[137:138], v[99:100], v[97:98]
	s_waitcnt vmcnt(10) lgkmcnt(0)
	v_fma_f64 v[97:98], v[135:136], v[101:102], v[97:98]
	s_waitcnt vmcnt(5)
	v_fma_f64 v[101:102], v[107:108], v[103:104], v[97:98]
	ds_read_b128 v[97:100], v96 offset:736
	ds_read_b64 v[103:104], v96 offset:752
	s_waitcnt vmcnt(4) lgkmcnt(1)
	v_fma_f64 v[97:98], v[113:114], v[97:98], v[101:102]
	s_waitcnt vmcnt(3)
	v_fma_f64 v[97:98], v[111:112], v[99:100], v[97:98]
	s_waitcnt vmcnt(2) lgkmcnt(0)
	v_fma_f64 v[97:98], v[109:110], v[103:104], v[97:98]
	s_waitcnt vmcnt(0)
	v_add_f64 v[97:98], v[115:116], -v[97:98]
	buffer_store_dword v98, off, s[0:3], 0 offset:188
	buffer_store_dword v97, off, s[0:3], 0 offset:184
	v_cmpx_lt_u32_e32 22, v0
	s_cbranch_execz .LBB110_247
; %bb.246:
	s_clause 0x1
	buffer_load_dword v97, off, s[0:3], 0 offset:176
	buffer_load_dword v98, off, s[0:3], 0 offset:180
	buffer_store_dword v96, off, s[0:3], 0 offset:176
	buffer_store_dword v96, off, s[0:3], 0 offset:180
	s_waitcnt vmcnt(0)
	ds_write_b64 v95, v[97:98]
.LBB110_247:
	s_or_b32 exec_lo, exec_lo, s4
	s_waitcnt lgkmcnt(0)
	s_waitcnt_vscnt null, 0x0
	s_barrier
	buffer_gl0_inv
	s_clause 0x1c
	buffer_load_dword v105, off, s[0:3], 0 offset:184
	buffer_load_dword v106, off, s[0:3], 0 offset:188
	;; [unrolled: 1-line block ×29, first 2 shown]
	ds_read2_b64 v[97:100], v96 offset0:71 offset1:72
	ds_read2_b64 v[101:104], v96 offset0:73 offset1:74
	buffer_load_dword v130, off, s[0:3], 0 offset:300
	s_mov_b32 s4, exec_lo
	s_waitcnt vmcnt(28) lgkmcnt(1)
	v_fma_f64 v[97:98], v[105:106], v[97:98], 0
	s_clause 0x7
	buffer_load_dword v106, off, s[0:3], 0 offset:308
	buffer_load_dword v135, off, s[0:3], 0 offset:328
	;; [unrolled: 1-line block ×8, first 2 shown]
	s_waitcnt vmcnt(34)
	v_fma_f64 v[97:98], v[107:108], v[99:100], v[97:98]
	s_waitcnt vmcnt(32) lgkmcnt(0)
	v_fma_f64 v[97:98], v[109:110], v[101:102], v[97:98]
	s_waitcnt vmcnt(30)
	v_fma_f64 v[107:108], v[111:112], v[103:104], v[97:98]
	ds_read2_b64 v[97:100], v96 offset0:75 offset1:76
	ds_read2_b64 v[101:104], v96 offset0:77 offset1:78
	s_waitcnt vmcnt(28) lgkmcnt(1)
	v_fma_f64 v[97:98], v[113:114], v[97:98], v[107:108]
	s_clause 0x7
	buffer_load_dword v108, off, s[0:3], 0 offset:340
	buffer_load_dword v109, off, s[0:3], 0 offset:360
	;; [unrolled: 1-line block ×8, first 2 shown]
	s_waitcnt vmcnt(34)
	v_fma_f64 v[97:98], v[115:116], v[99:100], v[97:98]
	s_waitcnt vmcnt(32) lgkmcnt(0)
	v_fma_f64 v[97:98], v[117:118], v[101:102], v[97:98]
	s_waitcnt vmcnt(27)
	v_fma_f64 v[115:116], v[119:120], v[103:104], v[97:98]
	ds_read2_b64 v[97:100], v96 offset0:79 offset1:80
	ds_read2_b64 v[101:104], v96 offset0:81 offset1:82
	s_waitcnt vmcnt(26) lgkmcnt(1)
	v_fma_f64 v[97:98], v[125:126], v[97:98], v[115:116]
	s_clause 0x3
	buffer_load_dword v116, off, s[0:3], 0 offset:372
	buffer_load_dword v115, off, s[0:3], 0 offset:368
	;; [unrolled: 1-line block ×4, first 2 shown]
	s_waitcnt vmcnt(29)
	v_fma_f64 v[97:98], v[123:124], v[99:100], v[97:98]
	s_waitcnt vmcnt(28) lgkmcnt(0)
	v_fma_f64 v[97:98], v[121:122], v[101:102], v[97:98]
	s_waitcnt vmcnt(23)
	v_fma_f64 v[119:120], v[127:128], v[103:104], v[97:98]
	ds_read2_b64 v[97:100], v96 offset0:83 offset1:84
	ds_read2_b64 v[101:104], v96 offset0:85 offset1:86
	s_waitcnt vmcnt(22) lgkmcnt(1)
	v_fma_f64 v[97:98], v[133:134], v[97:98], v[119:120]
	s_waitcnt vmcnt(21)
	v_fma_f64 v[97:98], v[131:132], v[99:100], v[97:98]
	s_waitcnt vmcnt(20) lgkmcnt(0)
	v_fma_f64 v[97:98], v[129:130], v[101:102], v[97:98]
	s_waitcnt vmcnt(15)
	v_fma_f64 v[105:106], v[105:106], v[103:104], v[97:98]
	ds_read2_b64 v[97:100], v96 offset0:87 offset1:88
	ds_read2_b64 v[101:104], v96 offset0:89 offset1:90
	s_waitcnt vmcnt(14) lgkmcnt(1)
	v_fma_f64 v[97:98], v[139:140], v[97:98], v[105:106]
	;; [unrolled: 10-line block ×3, first 2 shown]
	s_waitcnt vmcnt(5)
	v_fma_f64 v[96:97], v[111:112], v[99:100], v[96:97]
	s_waitcnt vmcnt(4) lgkmcnt(0)
	v_fma_f64 v[96:97], v[109:110], v[101:102], v[96:97]
	s_waitcnt vmcnt(2)
	v_fma_f64 v[96:97], v[115:116], v[103:104], v[96:97]
	s_waitcnt vmcnt(0)
	v_add_f64 v[96:97], v[117:118], -v[96:97]
	buffer_store_dword v97, off, s[0:3], 0 offset:180
	buffer_store_dword v96, off, s[0:3], 0 offset:176
	v_cmpx_lt_u32_e32 21, v0
	s_cbranch_execz .LBB110_249
; %bb.248:
	s_clause 0x1
	buffer_load_dword v96, off, s[0:3], 0 offset:168
	buffer_load_dword v97, off, s[0:3], 0 offset:172
	v_mov_b32_e32 v98, 0
	buffer_store_dword v98, off, s[0:3], 0 offset:168
	buffer_store_dword v98, off, s[0:3], 0 offset:172
	s_waitcnt vmcnt(0)
	ds_write_b64 v95, v[96:97]
.LBB110_249:
	s_or_b32 exec_lo, exec_lo, s4
	s_waitcnt lgkmcnt(0)
	s_waitcnt_vscnt null, 0x0
	s_barrier
	buffer_gl0_inv
	s_clause 0x1c
	buffer_load_dword v105, off, s[0:3], 0 offset:176
	buffer_load_dword v106, off, s[0:3], 0 offset:180
	;; [unrolled: 1-line block ×29, first 2 shown]
	v_mov_b32_e32 v96, 0
	buffer_load_dword v130, off, s[0:3], 0 offset:292
	s_mov_b32 s4, exec_lo
	ds_read_b128 v[97:100], v96 offset:560
	ds_read_b128 v[101:104], v96 offset:576
	s_waitcnt vmcnt(28) lgkmcnt(1)
	v_fma_f64 v[97:98], v[105:106], v[97:98], 0
	s_clause 0x7
	buffer_load_dword v106, off, s[0:3], 0 offset:300
	buffer_load_dword v135, off, s[0:3], 0 offset:320
	;; [unrolled: 1-line block ×8, first 2 shown]
	s_waitcnt vmcnt(34)
	v_fma_f64 v[97:98], v[107:108], v[99:100], v[97:98]
	s_waitcnt vmcnt(32) lgkmcnt(0)
	v_fma_f64 v[97:98], v[109:110], v[101:102], v[97:98]
	s_waitcnt vmcnt(30)
	v_fma_f64 v[107:108], v[111:112], v[103:104], v[97:98]
	ds_read_b128 v[97:100], v96 offset:592
	ds_read_b128 v[101:104], v96 offset:608
	s_waitcnt vmcnt(28) lgkmcnt(1)
	v_fma_f64 v[97:98], v[113:114], v[97:98], v[107:108]
	s_clause 0x7
	buffer_load_dword v108, off, s[0:3], 0 offset:332
	buffer_load_dword v109, off, s[0:3], 0 offset:352
	;; [unrolled: 1-line block ×8, first 2 shown]
	s_waitcnt vmcnt(34)
	v_fma_f64 v[97:98], v[115:116], v[99:100], v[97:98]
	s_waitcnt vmcnt(32) lgkmcnt(0)
	v_fma_f64 v[97:98], v[117:118], v[101:102], v[97:98]
	s_waitcnt vmcnt(27)
	v_fma_f64 v[115:116], v[119:120], v[103:104], v[97:98]
	ds_read_b128 v[97:100], v96 offset:624
	ds_read_b128 v[101:104], v96 offset:640
	s_waitcnt vmcnt(26) lgkmcnt(1)
	v_fma_f64 v[97:98], v[125:126], v[97:98], v[115:116]
	s_clause 0x5
	buffer_load_dword v116, off, s[0:3], 0 offset:364
	buffer_load_dword v117, off, s[0:3], 0 offset:368
	;; [unrolled: 1-line block ×6, first 2 shown]
	s_waitcnt vmcnt(31)
	v_fma_f64 v[97:98], v[123:124], v[99:100], v[97:98]
	s_waitcnt vmcnt(30) lgkmcnt(0)
	v_fma_f64 v[97:98], v[121:122], v[101:102], v[97:98]
	s_waitcnt vmcnt(25)
	v_fma_f64 v[121:122], v[127:128], v[103:104], v[97:98]
	ds_read_b128 v[97:100], v96 offset:656
	ds_read_b128 v[101:104], v96 offset:672
	s_waitcnt vmcnt(24) lgkmcnt(1)
	v_fma_f64 v[97:98], v[133:134], v[97:98], v[121:122]
	s_waitcnt vmcnt(23)
	v_fma_f64 v[97:98], v[131:132], v[99:100], v[97:98]
	s_waitcnt vmcnt(22) lgkmcnt(0)
	v_fma_f64 v[97:98], v[129:130], v[101:102], v[97:98]
	s_waitcnt vmcnt(17)
	v_fma_f64 v[105:106], v[105:106], v[103:104], v[97:98]
	ds_read_b128 v[97:100], v96 offset:688
	ds_read_b128 v[101:104], v96 offset:704
	s_waitcnt vmcnt(16) lgkmcnt(1)
	v_fma_f64 v[97:98], v[139:140], v[97:98], v[105:106]
	;; [unrolled: 10-line block ×3, first 2 shown]
	s_waitcnt vmcnt(7)
	v_fma_f64 v[97:98], v[111:112], v[99:100], v[97:98]
	ds_read_b64 v[99:100], v96 offset:752
	s_waitcnt vmcnt(6) lgkmcnt(1)
	v_fma_f64 v[97:98], v[109:110], v[101:102], v[97:98]
	s_waitcnt vmcnt(3)
	v_fma_f64 v[97:98], v[115:116], v[103:104], v[97:98]
	s_waitcnt vmcnt(2) lgkmcnt(0)
	v_fma_f64 v[97:98], v[117:118], v[99:100], v[97:98]
	s_waitcnt vmcnt(0)
	v_add_f64 v[97:98], v[119:120], -v[97:98]
	buffer_store_dword v98, off, s[0:3], 0 offset:172
	buffer_store_dword v97, off, s[0:3], 0 offset:168
	v_cmpx_lt_u32_e32 20, v0
	s_cbranch_execz .LBB110_251
; %bb.250:
	s_clause 0x1
	buffer_load_dword v97, off, s[0:3], 0 offset:160
	buffer_load_dword v98, off, s[0:3], 0 offset:164
	buffer_store_dword v96, off, s[0:3], 0 offset:160
	buffer_store_dword v96, off, s[0:3], 0 offset:164
	s_waitcnt vmcnt(0)
	ds_write_b64 v95, v[97:98]
.LBB110_251:
	s_or_b32 exec_lo, exec_lo, s4
	s_waitcnt lgkmcnt(0)
	s_waitcnt_vscnt null, 0x0
	s_barrier
	buffer_gl0_inv
	s_clause 0x1c
	buffer_load_dword v105, off, s[0:3], 0 offset:168
	buffer_load_dword v106, off, s[0:3], 0 offset:172
	;; [unrolled: 1-line block ×29, first 2 shown]
	ds_read2_b64 v[97:100], v96 offset0:69 offset1:70
	ds_read2_b64 v[101:104], v96 offset0:71 offset1:72
	buffer_load_dword v130, off, s[0:3], 0 offset:284
	s_mov_b32 s4, exec_lo
	s_waitcnt vmcnt(28) lgkmcnt(1)
	v_fma_f64 v[97:98], v[105:106], v[97:98], 0
	s_clause 0x7
	buffer_load_dword v106, off, s[0:3], 0 offset:292
	buffer_load_dword v135, off, s[0:3], 0 offset:312
	;; [unrolled: 1-line block ×8, first 2 shown]
	s_waitcnt vmcnt(34)
	v_fma_f64 v[97:98], v[107:108], v[99:100], v[97:98]
	s_waitcnt vmcnt(32) lgkmcnt(0)
	v_fma_f64 v[97:98], v[109:110], v[101:102], v[97:98]
	s_waitcnt vmcnt(30)
	v_fma_f64 v[107:108], v[111:112], v[103:104], v[97:98]
	ds_read2_b64 v[97:100], v96 offset0:73 offset1:74
	ds_read2_b64 v[101:104], v96 offset0:75 offset1:76
	s_waitcnt vmcnt(28) lgkmcnt(1)
	v_fma_f64 v[97:98], v[113:114], v[97:98], v[107:108]
	s_clause 0x7
	buffer_load_dword v108, off, s[0:3], 0 offset:324
	buffer_load_dword v109, off, s[0:3], 0 offset:344
	;; [unrolled: 1-line block ×8, first 2 shown]
	s_waitcnt vmcnt(34)
	v_fma_f64 v[97:98], v[115:116], v[99:100], v[97:98]
	s_waitcnt vmcnt(32) lgkmcnt(0)
	v_fma_f64 v[97:98], v[117:118], v[101:102], v[97:98]
	s_waitcnt vmcnt(27)
	v_fma_f64 v[115:116], v[119:120], v[103:104], v[97:98]
	ds_read2_b64 v[97:100], v96 offset0:77 offset1:78
	ds_read2_b64 v[101:104], v96 offset0:79 offset1:80
	s_waitcnt vmcnt(26) lgkmcnt(1)
	v_fma_f64 v[97:98], v[125:126], v[97:98], v[115:116]
	s_clause 0x5
	buffer_load_dword v116, off, s[0:3], 0 offset:356
	buffer_load_dword v117, off, s[0:3], 0 offset:368
	;; [unrolled: 1-line block ×6, first 2 shown]
	s_waitcnt vmcnt(31)
	v_fma_f64 v[97:98], v[123:124], v[99:100], v[97:98]
	s_waitcnt vmcnt(30) lgkmcnt(0)
	v_fma_f64 v[97:98], v[121:122], v[101:102], v[97:98]
	s_waitcnt vmcnt(25)
	v_fma_f64 v[121:122], v[127:128], v[103:104], v[97:98]
	ds_read2_b64 v[97:100], v96 offset0:81 offset1:82
	s_clause 0x1
	buffer_load_dword v123, off, s[0:3], 0 offset:160
	buffer_load_dword v124, off, s[0:3], 0 offset:164
	ds_read2_b64 v[101:104], v96 offset0:83 offset1:84
	s_waitcnt vmcnt(26) lgkmcnt(1)
	v_fma_f64 v[97:98], v[133:134], v[97:98], v[121:122]
	s_waitcnt vmcnt(25)
	v_fma_f64 v[97:98], v[131:132], v[99:100], v[97:98]
	s_waitcnt vmcnt(24) lgkmcnt(0)
	v_fma_f64 v[97:98], v[129:130], v[101:102], v[97:98]
	s_waitcnt vmcnt(19)
	v_fma_f64 v[105:106], v[105:106], v[103:104], v[97:98]
	ds_read2_b64 v[97:100], v96 offset0:85 offset1:86
	ds_read2_b64 v[101:104], v96 offset0:87 offset1:88
	s_waitcnt vmcnt(18) lgkmcnt(1)
	v_fma_f64 v[97:98], v[139:140], v[97:98], v[105:106]
	s_waitcnt vmcnt(17)
	v_fma_f64 v[97:98], v[137:138], v[99:100], v[97:98]
	s_waitcnt vmcnt(16) lgkmcnt(0)
	v_fma_f64 v[97:98], v[135:136], v[101:102], v[97:98]
	s_waitcnt vmcnt(11)
	v_fma_f64 v[105:106], v[107:108], v[103:104], v[97:98]
	ds_read2_b64 v[97:100], v96 offset0:89 offset1:90
	;; [unrolled: 10-line block ×3, first 2 shown]
	s_waitcnt vmcnt(3) lgkmcnt(0)
	v_fma_f64 v[96:97], v[119:120], v[96:97], v[100:101]
	s_waitcnt vmcnt(2)
	v_fma_f64 v[96:97], v[117:118], v[98:99], v[96:97]
	s_waitcnt vmcnt(0)
	v_add_f64 v[96:97], v[123:124], -v[96:97]
	buffer_store_dword v97, off, s[0:3], 0 offset:164
	buffer_store_dword v96, off, s[0:3], 0 offset:160
	v_cmpx_lt_u32_e32 19, v0
	s_cbranch_execz .LBB110_253
; %bb.252:
	s_clause 0x1
	buffer_load_dword v96, off, s[0:3], 0 offset:152
	buffer_load_dword v97, off, s[0:3], 0 offset:156
	v_mov_b32_e32 v98, 0
	buffer_store_dword v98, off, s[0:3], 0 offset:152
	buffer_store_dword v98, off, s[0:3], 0 offset:156
	s_waitcnt vmcnt(0)
	ds_write_b64 v95, v[96:97]
.LBB110_253:
	s_or_b32 exec_lo, exec_lo, s4
	s_waitcnt lgkmcnt(0)
	s_waitcnt_vscnt null, 0x0
	s_barrier
	buffer_gl0_inv
	s_clause 0x1c
	buffer_load_dword v105, off, s[0:3], 0 offset:160
	buffer_load_dword v106, off, s[0:3], 0 offset:164
	;; [unrolled: 1-line block ×29, first 2 shown]
	v_mov_b32_e32 v96, 0
	buffer_load_dword v130, off, s[0:3], 0 offset:276
	s_mov_b32 s4, exec_lo
	ds_read_b128 v[97:100], v96 offset:544
	ds_read_b128 v[101:104], v96 offset:560
	s_waitcnt vmcnt(28) lgkmcnt(1)
	v_fma_f64 v[97:98], v[105:106], v[97:98], 0
	s_clause 0x7
	buffer_load_dword v106, off, s[0:3], 0 offset:284
	buffer_load_dword v135, off, s[0:3], 0 offset:304
	buffer_load_dword v137, off, s[0:3], 0 offset:296
	buffer_load_dword v139, off, s[0:3], 0 offset:288
	buffer_load_dword v105, off, s[0:3], 0 offset:280
	buffer_load_dword v140, off, s[0:3], 0 offset:292
	buffer_load_dword v138, off, s[0:3], 0 offset:300
	buffer_load_dword v136, off, s[0:3], 0 offset:308
	s_waitcnt vmcnt(34)
	v_fma_f64 v[97:98], v[107:108], v[99:100], v[97:98]
	s_waitcnt vmcnt(32) lgkmcnt(0)
	v_fma_f64 v[97:98], v[109:110], v[101:102], v[97:98]
	s_waitcnt vmcnt(30)
	v_fma_f64 v[107:108], v[111:112], v[103:104], v[97:98]
	ds_read_b128 v[97:100], v96 offset:576
	ds_read_b128 v[101:104], v96 offset:592
	s_waitcnt vmcnt(28) lgkmcnt(1)
	v_fma_f64 v[97:98], v[113:114], v[97:98], v[107:108]
	s_clause 0x7
	buffer_load_dword v108, off, s[0:3], 0 offset:316
	buffer_load_dword v109, off, s[0:3], 0 offset:336
	buffer_load_dword v111, off, s[0:3], 0 offset:328
	buffer_load_dword v113, off, s[0:3], 0 offset:320
	buffer_load_dword v107, off, s[0:3], 0 offset:312
	buffer_load_dword v114, off, s[0:3], 0 offset:324
	buffer_load_dword v112, off, s[0:3], 0 offset:332
	buffer_load_dword v110, off, s[0:3], 0 offset:340
	s_waitcnt vmcnt(34)
	v_fma_f64 v[97:98], v[115:116], v[99:100], v[97:98]
	s_waitcnt vmcnt(32) lgkmcnt(0)
	v_fma_f64 v[97:98], v[117:118], v[101:102], v[97:98]
	s_waitcnt vmcnt(27)
	v_fma_f64 v[115:116], v[119:120], v[103:104], v[97:98]
	;; [unrolled: 19-line block ×3, first 2 shown]
	ds_read_b128 v[97:100], v96 offset:640
	ds_read_b128 v[101:104], v96 offset:656
	s_waitcnt vmcnt(26) lgkmcnt(1)
	v_fma_f64 v[97:98], v[133:134], v[97:98], v[121:122]
	s_clause 0x1
	buffer_load_dword v121, off, s[0:3], 0 offset:152
	buffer_load_dword v122, off, s[0:3], 0 offset:156
	s_waitcnt vmcnt(27)
	v_fma_f64 v[97:98], v[131:132], v[99:100], v[97:98]
	s_waitcnt vmcnt(26) lgkmcnt(0)
	v_fma_f64 v[97:98], v[129:130], v[101:102], v[97:98]
	s_waitcnt vmcnt(21)
	v_fma_f64 v[105:106], v[105:106], v[103:104], v[97:98]
	ds_read_b128 v[97:100], v96 offset:672
	ds_read_b128 v[101:104], v96 offset:688
	s_waitcnt vmcnt(20) lgkmcnt(1)
	v_fma_f64 v[97:98], v[139:140], v[97:98], v[105:106]
	s_waitcnt vmcnt(19)
	v_fma_f64 v[97:98], v[137:138], v[99:100], v[97:98]
	s_waitcnt vmcnt(18) lgkmcnt(0)
	v_fma_f64 v[97:98], v[135:136], v[101:102], v[97:98]
	s_waitcnt vmcnt(13)
	v_fma_f64 v[105:106], v[107:108], v[103:104], v[97:98]
	ds_read_b128 v[97:100], v96 offset:704
	ds_read_b128 v[101:104], v96 offset:720
	s_waitcnt vmcnt(12) lgkmcnt(1)
	v_fma_f64 v[97:98], v[113:114], v[97:98], v[105:106]
	s_waitcnt vmcnt(11)
	v_fma_f64 v[97:98], v[111:112], v[99:100], v[97:98]
	s_waitcnt vmcnt(10) lgkmcnt(0)
	v_fma_f64 v[97:98], v[109:110], v[101:102], v[97:98]
	s_waitcnt vmcnt(5)
	v_fma_f64 v[101:102], v[115:116], v[103:104], v[97:98]
	ds_read_b128 v[97:100], v96 offset:736
	ds_read_b64 v[103:104], v96 offset:752
	s_waitcnt vmcnt(4) lgkmcnt(1)
	v_fma_f64 v[97:98], v[125:126], v[97:98], v[101:102]
	s_waitcnt vmcnt(3)
	v_fma_f64 v[97:98], v[119:120], v[99:100], v[97:98]
	s_waitcnt vmcnt(2) lgkmcnt(0)
	v_fma_f64 v[97:98], v[117:118], v[103:104], v[97:98]
	s_waitcnt vmcnt(0)
	v_add_f64 v[97:98], v[121:122], -v[97:98]
	buffer_store_dword v98, off, s[0:3], 0 offset:156
	buffer_store_dword v97, off, s[0:3], 0 offset:152
	v_cmpx_lt_u32_e32 18, v0
	s_cbranch_execz .LBB110_255
; %bb.254:
	s_clause 0x1
	buffer_load_dword v97, off, s[0:3], 0 offset:144
	buffer_load_dword v98, off, s[0:3], 0 offset:148
	buffer_store_dword v96, off, s[0:3], 0 offset:144
	buffer_store_dword v96, off, s[0:3], 0 offset:148
	s_waitcnt vmcnt(0)
	ds_write_b64 v95, v[97:98]
.LBB110_255:
	s_or_b32 exec_lo, exec_lo, s4
	s_waitcnt lgkmcnt(0)
	s_waitcnt_vscnt null, 0x0
	s_barrier
	buffer_gl0_inv
	s_clause 0x1c
	buffer_load_dword v105, off, s[0:3], 0 offset:152
	buffer_load_dword v106, off, s[0:3], 0 offset:156
	;; [unrolled: 1-line block ×29, first 2 shown]
	ds_read2_b64 v[97:100], v96 offset0:67 offset1:68
	ds_read2_b64 v[101:104], v96 offset0:69 offset1:70
	buffer_load_dword v130, off, s[0:3], 0 offset:268
	s_mov_b32 s4, exec_lo
	s_waitcnt vmcnt(28) lgkmcnt(1)
	v_fma_f64 v[97:98], v[105:106], v[97:98], 0
	s_clause 0x7
	buffer_load_dword v106, off, s[0:3], 0 offset:276
	buffer_load_dword v135, off, s[0:3], 0 offset:296
	buffer_load_dword v137, off, s[0:3], 0 offset:288
	buffer_load_dword v139, off, s[0:3], 0 offset:280
	buffer_load_dword v105, off, s[0:3], 0 offset:272
	buffer_load_dword v140, off, s[0:3], 0 offset:284
	buffer_load_dword v138, off, s[0:3], 0 offset:292
	buffer_load_dword v136, off, s[0:3], 0 offset:300
	s_waitcnt vmcnt(34)
	v_fma_f64 v[97:98], v[107:108], v[99:100], v[97:98]
	s_waitcnt vmcnt(32) lgkmcnt(0)
	v_fma_f64 v[97:98], v[109:110], v[101:102], v[97:98]
	s_waitcnt vmcnt(30)
	v_fma_f64 v[107:108], v[111:112], v[103:104], v[97:98]
	ds_read2_b64 v[97:100], v96 offset0:71 offset1:72
	ds_read2_b64 v[101:104], v96 offset0:73 offset1:74
	s_waitcnt vmcnt(28) lgkmcnt(1)
	v_fma_f64 v[97:98], v[113:114], v[97:98], v[107:108]
	s_clause 0x7
	buffer_load_dword v108, off, s[0:3], 0 offset:308
	buffer_load_dword v109, off, s[0:3], 0 offset:328
	buffer_load_dword v111, off, s[0:3], 0 offset:320
	buffer_load_dword v113, off, s[0:3], 0 offset:312
	buffer_load_dword v107, off, s[0:3], 0 offset:304
	buffer_load_dword v114, off, s[0:3], 0 offset:316
	buffer_load_dword v112, off, s[0:3], 0 offset:324
	buffer_load_dword v110, off, s[0:3], 0 offset:332
	s_waitcnt vmcnt(34)
	v_fma_f64 v[97:98], v[115:116], v[99:100], v[97:98]
	s_waitcnt vmcnt(32) lgkmcnt(0)
	v_fma_f64 v[97:98], v[117:118], v[101:102], v[97:98]
	s_waitcnt vmcnt(27)
	v_fma_f64 v[115:116], v[119:120], v[103:104], v[97:98]
	ds_read2_b64 v[97:100], v96 offset0:75 offset1:76
	ds_read2_b64 v[101:104], v96 offset0:77 offset1:78
	;; [unrolled: 19-line block ×3, first 2 shown]
	s_waitcnt vmcnt(26) lgkmcnt(1)
	v_fma_f64 v[97:98], v[133:134], v[97:98], v[121:122]
	s_clause 0x3
	buffer_load_dword v122, off, s[0:3], 0 offset:372
	buffer_load_dword v121, off, s[0:3], 0 offset:368
	;; [unrolled: 1-line block ×4, first 2 shown]
	s_waitcnt vmcnt(29)
	v_fma_f64 v[97:98], v[131:132], v[99:100], v[97:98]
	s_waitcnt vmcnt(28) lgkmcnt(0)
	v_fma_f64 v[97:98], v[129:130], v[101:102], v[97:98]
	s_waitcnt vmcnt(23)
	v_fma_f64 v[105:106], v[105:106], v[103:104], v[97:98]
	ds_read2_b64 v[97:100], v96 offset0:83 offset1:84
	ds_read2_b64 v[101:104], v96 offset0:85 offset1:86
	s_waitcnt vmcnt(22) lgkmcnt(1)
	v_fma_f64 v[97:98], v[139:140], v[97:98], v[105:106]
	s_waitcnt vmcnt(21)
	v_fma_f64 v[97:98], v[137:138], v[99:100], v[97:98]
	s_waitcnt vmcnt(20) lgkmcnt(0)
	v_fma_f64 v[97:98], v[135:136], v[101:102], v[97:98]
	s_waitcnt vmcnt(15)
	v_fma_f64 v[105:106], v[107:108], v[103:104], v[97:98]
	ds_read2_b64 v[97:100], v96 offset0:87 offset1:88
	ds_read2_b64 v[101:104], v96 offset0:89 offset1:90
	s_waitcnt vmcnt(14) lgkmcnt(1)
	v_fma_f64 v[97:98], v[113:114], v[97:98], v[105:106]
	;; [unrolled: 10-line block ×3, first 2 shown]
	s_waitcnt vmcnt(5)
	v_fma_f64 v[96:97], v[119:120], v[99:100], v[96:97]
	s_waitcnt vmcnt(4) lgkmcnt(0)
	v_fma_f64 v[96:97], v[117:118], v[101:102], v[96:97]
	s_waitcnt vmcnt(2)
	v_fma_f64 v[96:97], v[121:122], v[103:104], v[96:97]
	s_waitcnt vmcnt(0)
	v_add_f64 v[96:97], v[123:124], -v[96:97]
	buffer_store_dword v97, off, s[0:3], 0 offset:148
	buffer_store_dword v96, off, s[0:3], 0 offset:144
	v_cmpx_lt_u32_e32 17, v0
	s_cbranch_execz .LBB110_257
; %bb.256:
	s_clause 0x1
	buffer_load_dword v96, off, s[0:3], 0 offset:136
	buffer_load_dword v97, off, s[0:3], 0 offset:140
	v_mov_b32_e32 v98, 0
	buffer_store_dword v98, off, s[0:3], 0 offset:136
	buffer_store_dword v98, off, s[0:3], 0 offset:140
	s_waitcnt vmcnt(0)
	ds_write_b64 v95, v[96:97]
.LBB110_257:
	s_or_b32 exec_lo, exec_lo, s4
	s_waitcnt lgkmcnt(0)
	s_waitcnt_vscnt null, 0x0
	s_barrier
	buffer_gl0_inv
	s_clause 0x1c
	buffer_load_dword v105, off, s[0:3], 0 offset:144
	buffer_load_dword v106, off, s[0:3], 0 offset:148
	;; [unrolled: 1-line block ×29, first 2 shown]
	v_mov_b32_e32 v96, 0
	buffer_load_dword v130, off, s[0:3], 0 offset:260
	s_mov_b32 s4, exec_lo
	ds_read_b128 v[97:100], v96 offset:528
	ds_read_b128 v[101:104], v96 offset:544
	s_waitcnt vmcnt(28) lgkmcnt(1)
	v_fma_f64 v[97:98], v[105:106], v[97:98], 0
	s_clause 0x7
	buffer_load_dword v106, off, s[0:3], 0 offset:268
	buffer_load_dword v135, off, s[0:3], 0 offset:288
	buffer_load_dword v137, off, s[0:3], 0 offset:280
	buffer_load_dword v139, off, s[0:3], 0 offset:272
	buffer_load_dword v105, off, s[0:3], 0 offset:264
	buffer_load_dword v140, off, s[0:3], 0 offset:276
	buffer_load_dword v138, off, s[0:3], 0 offset:284
	buffer_load_dword v136, off, s[0:3], 0 offset:292
	s_waitcnt vmcnt(34)
	v_fma_f64 v[97:98], v[107:108], v[99:100], v[97:98]
	s_waitcnt vmcnt(32) lgkmcnt(0)
	v_fma_f64 v[97:98], v[109:110], v[101:102], v[97:98]
	s_waitcnt vmcnt(30)
	v_fma_f64 v[107:108], v[111:112], v[103:104], v[97:98]
	ds_read_b128 v[97:100], v96 offset:560
	ds_read_b128 v[101:104], v96 offset:576
	s_waitcnt vmcnt(28) lgkmcnt(1)
	v_fma_f64 v[97:98], v[113:114], v[97:98], v[107:108]
	s_clause 0x7
	buffer_load_dword v108, off, s[0:3], 0 offset:300
	buffer_load_dword v109, off, s[0:3], 0 offset:320
	buffer_load_dword v111, off, s[0:3], 0 offset:312
	buffer_load_dword v113, off, s[0:3], 0 offset:304
	buffer_load_dword v107, off, s[0:3], 0 offset:296
	buffer_load_dword v114, off, s[0:3], 0 offset:308
	buffer_load_dword v112, off, s[0:3], 0 offset:316
	buffer_load_dword v110, off, s[0:3], 0 offset:324
	s_waitcnt vmcnt(34)
	v_fma_f64 v[97:98], v[115:116], v[99:100], v[97:98]
	s_waitcnt vmcnt(32) lgkmcnt(0)
	v_fma_f64 v[97:98], v[117:118], v[101:102], v[97:98]
	s_waitcnt vmcnt(27)
	v_fma_f64 v[115:116], v[119:120], v[103:104], v[97:98]
	;; [unrolled: 19-line block ×3, first 2 shown]
	ds_read_b128 v[97:100], v96 offset:624
	ds_read_b128 v[101:104], v96 offset:640
	s_waitcnt vmcnt(26) lgkmcnt(1)
	v_fma_f64 v[97:98], v[133:134], v[97:98], v[121:122]
	s_clause 0x5
	buffer_load_dword v122, off, s[0:3], 0 offset:364
	buffer_load_dword v123, off, s[0:3], 0 offset:368
	;; [unrolled: 1-line block ×6, first 2 shown]
	s_waitcnt vmcnt(31)
	v_fma_f64 v[97:98], v[131:132], v[99:100], v[97:98]
	s_waitcnt vmcnt(30) lgkmcnt(0)
	v_fma_f64 v[97:98], v[129:130], v[101:102], v[97:98]
	s_waitcnt vmcnt(25)
	v_fma_f64 v[105:106], v[105:106], v[103:104], v[97:98]
	ds_read_b128 v[97:100], v96 offset:656
	ds_read_b128 v[101:104], v96 offset:672
	s_waitcnt vmcnt(24) lgkmcnt(1)
	v_fma_f64 v[97:98], v[139:140], v[97:98], v[105:106]
	s_waitcnt vmcnt(23)
	v_fma_f64 v[97:98], v[137:138], v[99:100], v[97:98]
	s_waitcnt vmcnt(22) lgkmcnt(0)
	v_fma_f64 v[97:98], v[135:136], v[101:102], v[97:98]
	s_waitcnt vmcnt(17)
	v_fma_f64 v[105:106], v[107:108], v[103:104], v[97:98]
	ds_read_b128 v[97:100], v96 offset:688
	ds_read_b128 v[101:104], v96 offset:704
	s_waitcnt vmcnt(16) lgkmcnt(1)
	v_fma_f64 v[97:98], v[113:114], v[97:98], v[105:106]
	;; [unrolled: 10-line block ×3, first 2 shown]
	s_waitcnt vmcnt(7)
	v_fma_f64 v[97:98], v[119:120], v[99:100], v[97:98]
	ds_read_b64 v[99:100], v96 offset:752
	s_waitcnt vmcnt(6) lgkmcnt(1)
	v_fma_f64 v[97:98], v[117:118], v[101:102], v[97:98]
	s_waitcnt vmcnt(3)
	v_fma_f64 v[97:98], v[121:122], v[103:104], v[97:98]
	s_waitcnt vmcnt(2) lgkmcnt(0)
	v_fma_f64 v[97:98], v[123:124], v[99:100], v[97:98]
	s_waitcnt vmcnt(0)
	v_add_f64 v[97:98], v[127:128], -v[97:98]
	buffer_store_dword v98, off, s[0:3], 0 offset:140
	buffer_store_dword v97, off, s[0:3], 0 offset:136
	v_cmpx_lt_u32_e32 16, v0
	s_cbranch_execz .LBB110_259
; %bb.258:
	s_clause 0x1
	buffer_load_dword v97, off, s[0:3], 0 offset:128
	buffer_load_dword v98, off, s[0:3], 0 offset:132
	buffer_store_dword v96, off, s[0:3], 0 offset:128
	buffer_store_dword v96, off, s[0:3], 0 offset:132
	s_waitcnt vmcnt(0)
	ds_write_b64 v95, v[97:98]
.LBB110_259:
	s_or_b32 exec_lo, exec_lo, s4
	s_waitcnt lgkmcnt(0)
	s_waitcnt_vscnt null, 0x0
	s_barrier
	buffer_gl0_inv
	s_clause 0x1c
	buffer_load_dword v105, off, s[0:3], 0 offset:136
	buffer_load_dword v106, off, s[0:3], 0 offset:140
	;; [unrolled: 1-line block ×29, first 2 shown]
	ds_read2_b64 v[97:100], v96 offset0:65 offset1:66
	ds_read2_b64 v[101:104], v96 offset0:67 offset1:68
	buffer_load_dword v130, off, s[0:3], 0 offset:252
	s_mov_b32 s4, exec_lo
	s_waitcnt vmcnt(28) lgkmcnt(1)
	v_fma_f64 v[97:98], v[105:106], v[97:98], 0
	s_clause 0x7
	buffer_load_dword v106, off, s[0:3], 0 offset:260
	buffer_load_dword v135, off, s[0:3], 0 offset:280
	buffer_load_dword v137, off, s[0:3], 0 offset:272
	buffer_load_dword v139, off, s[0:3], 0 offset:264
	buffer_load_dword v105, off, s[0:3], 0 offset:256
	buffer_load_dword v140, off, s[0:3], 0 offset:268
	buffer_load_dword v138, off, s[0:3], 0 offset:276
	buffer_load_dword v136, off, s[0:3], 0 offset:284
	s_waitcnt vmcnt(34)
	v_fma_f64 v[97:98], v[107:108], v[99:100], v[97:98]
	s_waitcnt vmcnt(32) lgkmcnt(0)
	v_fma_f64 v[97:98], v[109:110], v[101:102], v[97:98]
	s_waitcnt vmcnt(30)
	v_fma_f64 v[107:108], v[111:112], v[103:104], v[97:98]
	ds_read2_b64 v[97:100], v96 offset0:69 offset1:70
	ds_read2_b64 v[101:104], v96 offset0:71 offset1:72
	s_waitcnt vmcnt(28) lgkmcnt(1)
	v_fma_f64 v[97:98], v[113:114], v[97:98], v[107:108]
	s_clause 0x7
	buffer_load_dword v108, off, s[0:3], 0 offset:292
	buffer_load_dword v109, off, s[0:3], 0 offset:312
	buffer_load_dword v111, off, s[0:3], 0 offset:304
	buffer_load_dword v113, off, s[0:3], 0 offset:296
	buffer_load_dword v107, off, s[0:3], 0 offset:288
	buffer_load_dword v114, off, s[0:3], 0 offset:300
	buffer_load_dword v112, off, s[0:3], 0 offset:308
	buffer_load_dword v110, off, s[0:3], 0 offset:316
	s_waitcnt vmcnt(34)
	v_fma_f64 v[97:98], v[115:116], v[99:100], v[97:98]
	s_waitcnt vmcnt(32) lgkmcnt(0)
	v_fma_f64 v[97:98], v[117:118], v[101:102], v[97:98]
	s_waitcnt vmcnt(27)
	v_fma_f64 v[115:116], v[119:120], v[103:104], v[97:98]
	ds_read2_b64 v[97:100], v96 offset0:73 offset1:74
	ds_read2_b64 v[101:104], v96 offset0:75 offset1:76
	;; [unrolled: 19-line block ×3, first 2 shown]
	s_waitcnt vmcnt(26) lgkmcnt(1)
	v_fma_f64 v[97:98], v[133:134], v[97:98], v[121:122]
	s_clause 0x5
	buffer_load_dword v122, off, s[0:3], 0 offset:356
	buffer_load_dword v123, off, s[0:3], 0 offset:368
	;; [unrolled: 1-line block ×6, first 2 shown]
	s_waitcnt vmcnt(31)
	v_fma_f64 v[97:98], v[131:132], v[99:100], v[97:98]
	s_waitcnt vmcnt(30) lgkmcnt(0)
	v_fma_f64 v[97:98], v[129:130], v[101:102], v[97:98]
	s_waitcnt vmcnt(25)
	v_fma_f64 v[105:106], v[105:106], v[103:104], v[97:98]
	ds_read2_b64 v[97:100], v96 offset0:81 offset1:82
	s_clause 0x1
	buffer_load_dword v129, off, s[0:3], 0 offset:128
	buffer_load_dword v130, off, s[0:3], 0 offset:132
	ds_read2_b64 v[101:104], v96 offset0:83 offset1:84
	s_waitcnt vmcnt(26) lgkmcnt(1)
	v_fma_f64 v[97:98], v[139:140], v[97:98], v[105:106]
	s_waitcnt vmcnt(25)
	v_fma_f64 v[97:98], v[137:138], v[99:100], v[97:98]
	s_waitcnt vmcnt(24) lgkmcnt(0)
	v_fma_f64 v[97:98], v[135:136], v[101:102], v[97:98]
	s_waitcnt vmcnt(19)
	v_fma_f64 v[105:106], v[107:108], v[103:104], v[97:98]
	ds_read2_b64 v[97:100], v96 offset0:85 offset1:86
	ds_read2_b64 v[101:104], v96 offset0:87 offset1:88
	s_waitcnt vmcnt(18) lgkmcnt(1)
	v_fma_f64 v[97:98], v[113:114], v[97:98], v[105:106]
	s_waitcnt vmcnt(17)
	v_fma_f64 v[97:98], v[111:112], v[99:100], v[97:98]
	s_waitcnt vmcnt(16) lgkmcnt(0)
	v_fma_f64 v[97:98], v[109:110], v[101:102], v[97:98]
	s_waitcnt vmcnt(11)
	v_fma_f64 v[105:106], v[115:116], v[103:104], v[97:98]
	ds_read2_b64 v[97:100], v96 offset0:89 offset1:90
	;; [unrolled: 10-line block ×3, first 2 shown]
	s_waitcnt vmcnt(3) lgkmcnt(0)
	v_fma_f64 v[96:97], v[127:128], v[96:97], v[100:101]
	s_waitcnt vmcnt(2)
	v_fma_f64 v[96:97], v[123:124], v[98:99], v[96:97]
	s_waitcnt vmcnt(0)
	v_add_f64 v[96:97], v[129:130], -v[96:97]
	buffer_store_dword v97, off, s[0:3], 0 offset:132
	buffer_store_dword v96, off, s[0:3], 0 offset:128
	v_cmpx_lt_u32_e32 15, v0
	s_cbranch_execz .LBB110_261
; %bb.260:
	s_clause 0x1
	buffer_load_dword v96, off, s[0:3], 0 offset:120
	buffer_load_dword v97, off, s[0:3], 0 offset:124
	v_mov_b32_e32 v98, 0
	buffer_store_dword v98, off, s[0:3], 0 offset:120
	buffer_store_dword v98, off, s[0:3], 0 offset:124
	s_waitcnt vmcnt(0)
	ds_write_b64 v95, v[96:97]
.LBB110_261:
	s_or_b32 exec_lo, exec_lo, s4
	s_waitcnt lgkmcnt(0)
	s_waitcnt_vscnt null, 0x0
	s_barrier
	buffer_gl0_inv
	s_clause 0x1c
	buffer_load_dword v105, off, s[0:3], 0 offset:128
	buffer_load_dword v106, off, s[0:3], 0 offset:132
	;; [unrolled: 1-line block ×29, first 2 shown]
	v_mov_b32_e32 v96, 0
	buffer_load_dword v130, off, s[0:3], 0 offset:244
	s_mov_b32 s4, exec_lo
	ds_read_b128 v[97:100], v96 offset:512
	ds_read_b128 v[101:104], v96 offset:528
	s_waitcnt vmcnt(28) lgkmcnt(1)
	v_fma_f64 v[97:98], v[105:106], v[97:98], 0
	s_clause 0x7
	buffer_load_dword v106, off, s[0:3], 0 offset:252
	buffer_load_dword v135, off, s[0:3], 0 offset:272
	buffer_load_dword v137, off, s[0:3], 0 offset:264
	buffer_load_dword v139, off, s[0:3], 0 offset:256
	buffer_load_dword v105, off, s[0:3], 0 offset:248
	buffer_load_dword v140, off, s[0:3], 0 offset:260
	buffer_load_dword v138, off, s[0:3], 0 offset:268
	buffer_load_dword v136, off, s[0:3], 0 offset:276
	s_waitcnt vmcnt(34)
	v_fma_f64 v[97:98], v[107:108], v[99:100], v[97:98]
	s_waitcnt vmcnt(32) lgkmcnt(0)
	v_fma_f64 v[97:98], v[109:110], v[101:102], v[97:98]
	s_waitcnt vmcnt(30)
	v_fma_f64 v[107:108], v[111:112], v[103:104], v[97:98]
	ds_read_b128 v[97:100], v96 offset:544
	ds_read_b128 v[101:104], v96 offset:560
	s_waitcnt vmcnt(28) lgkmcnt(1)
	v_fma_f64 v[97:98], v[113:114], v[97:98], v[107:108]
	s_clause 0x7
	buffer_load_dword v108, off, s[0:3], 0 offset:284
	buffer_load_dword v109, off, s[0:3], 0 offset:304
	buffer_load_dword v111, off, s[0:3], 0 offset:296
	buffer_load_dword v113, off, s[0:3], 0 offset:288
	buffer_load_dword v107, off, s[0:3], 0 offset:280
	buffer_load_dword v114, off, s[0:3], 0 offset:292
	buffer_load_dword v112, off, s[0:3], 0 offset:300
	buffer_load_dword v110, off, s[0:3], 0 offset:308
	s_waitcnt vmcnt(34)
	v_fma_f64 v[97:98], v[115:116], v[99:100], v[97:98]
	s_waitcnt vmcnt(32) lgkmcnt(0)
	v_fma_f64 v[97:98], v[117:118], v[101:102], v[97:98]
	s_waitcnt vmcnt(27)
	v_fma_f64 v[115:116], v[119:120], v[103:104], v[97:98]
	;; [unrolled: 19-line block ×4, first 2 shown]
	ds_read_b128 v[97:100], v96 offset:640
	ds_read_b128 v[101:104], v96 offset:656
	s_waitcnt vmcnt(26) lgkmcnt(1)
	v_fma_f64 v[97:98], v[139:140], v[97:98], v[105:106]
	s_clause 0x1
	buffer_load_dword v105, off, s[0:3], 0 offset:120
	buffer_load_dword v106, off, s[0:3], 0 offset:124
	s_waitcnt vmcnt(27)
	v_fma_f64 v[97:98], v[137:138], v[99:100], v[97:98]
	s_waitcnt vmcnt(26) lgkmcnt(0)
	v_fma_f64 v[97:98], v[135:136], v[101:102], v[97:98]
	s_waitcnt vmcnt(21)
	v_fma_f64 v[107:108], v[107:108], v[103:104], v[97:98]
	ds_read_b128 v[97:100], v96 offset:672
	ds_read_b128 v[101:104], v96 offset:688
	s_waitcnt vmcnt(20) lgkmcnt(1)
	v_fma_f64 v[97:98], v[113:114], v[97:98], v[107:108]
	s_waitcnt vmcnt(19)
	v_fma_f64 v[97:98], v[111:112], v[99:100], v[97:98]
	s_waitcnt vmcnt(18) lgkmcnt(0)
	v_fma_f64 v[97:98], v[109:110], v[101:102], v[97:98]
	s_waitcnt vmcnt(13)
	v_fma_f64 v[107:108], v[115:116], v[103:104], v[97:98]
	ds_read_b128 v[97:100], v96 offset:704
	ds_read_b128 v[101:104], v96 offset:720
	s_waitcnt vmcnt(12) lgkmcnt(1)
	v_fma_f64 v[97:98], v[125:126], v[97:98], v[107:108]
	s_waitcnt vmcnt(11)
	v_fma_f64 v[97:98], v[119:120], v[99:100], v[97:98]
	s_waitcnt vmcnt(10) lgkmcnt(0)
	v_fma_f64 v[97:98], v[117:118], v[101:102], v[97:98]
	s_waitcnt vmcnt(5)
	v_fma_f64 v[101:102], v[121:122], v[103:104], v[97:98]
	ds_read_b128 v[97:100], v96 offset:736
	ds_read_b64 v[103:104], v96 offset:752
	s_waitcnt vmcnt(4) lgkmcnt(1)
	v_fma_f64 v[97:98], v[133:134], v[97:98], v[101:102]
	s_waitcnt vmcnt(3)
	v_fma_f64 v[97:98], v[127:128], v[99:100], v[97:98]
	s_waitcnt vmcnt(2) lgkmcnt(0)
	v_fma_f64 v[97:98], v[123:124], v[103:104], v[97:98]
	s_waitcnt vmcnt(0)
	v_add_f64 v[97:98], v[105:106], -v[97:98]
	buffer_store_dword v98, off, s[0:3], 0 offset:124
	buffer_store_dword v97, off, s[0:3], 0 offset:120
	v_cmpx_lt_u32_e32 14, v0
	s_cbranch_execz .LBB110_263
; %bb.262:
	s_clause 0x1
	buffer_load_dword v97, off, s[0:3], 0 offset:112
	buffer_load_dword v98, off, s[0:3], 0 offset:116
	buffer_store_dword v96, off, s[0:3], 0 offset:112
	buffer_store_dword v96, off, s[0:3], 0 offset:116
	s_waitcnt vmcnt(0)
	ds_write_b64 v95, v[97:98]
.LBB110_263:
	s_or_b32 exec_lo, exec_lo, s4
	s_waitcnt lgkmcnt(0)
	s_waitcnt_vscnt null, 0x0
	s_barrier
	buffer_gl0_inv
	s_clause 0x1c
	buffer_load_dword v105, off, s[0:3], 0 offset:120
	buffer_load_dword v106, off, s[0:3], 0 offset:124
	;; [unrolled: 1-line block ×29, first 2 shown]
	ds_read2_b64 v[97:100], v96 offset0:63 offset1:64
	ds_read2_b64 v[101:104], v96 offset0:65 offset1:66
	buffer_load_dword v130, off, s[0:3], 0 offset:236
	s_mov_b32 s4, exec_lo
	s_waitcnt vmcnt(28) lgkmcnt(1)
	v_fma_f64 v[97:98], v[105:106], v[97:98], 0
	s_clause 0x7
	buffer_load_dword v106, off, s[0:3], 0 offset:244
	buffer_load_dword v135, off, s[0:3], 0 offset:264
	buffer_load_dword v137, off, s[0:3], 0 offset:256
	buffer_load_dword v139, off, s[0:3], 0 offset:248
	buffer_load_dword v105, off, s[0:3], 0 offset:240
	buffer_load_dword v140, off, s[0:3], 0 offset:252
	buffer_load_dword v138, off, s[0:3], 0 offset:260
	buffer_load_dword v136, off, s[0:3], 0 offset:268
	s_waitcnt vmcnt(34)
	v_fma_f64 v[97:98], v[107:108], v[99:100], v[97:98]
	s_waitcnt vmcnt(32) lgkmcnt(0)
	v_fma_f64 v[97:98], v[109:110], v[101:102], v[97:98]
	s_waitcnt vmcnt(30)
	v_fma_f64 v[107:108], v[111:112], v[103:104], v[97:98]
	ds_read2_b64 v[97:100], v96 offset0:67 offset1:68
	ds_read2_b64 v[101:104], v96 offset0:69 offset1:70
	s_waitcnt vmcnt(28) lgkmcnt(1)
	v_fma_f64 v[97:98], v[113:114], v[97:98], v[107:108]
	s_clause 0x7
	buffer_load_dword v108, off, s[0:3], 0 offset:276
	buffer_load_dword v109, off, s[0:3], 0 offset:296
	buffer_load_dword v111, off, s[0:3], 0 offset:288
	buffer_load_dword v113, off, s[0:3], 0 offset:280
	buffer_load_dword v107, off, s[0:3], 0 offset:272
	buffer_load_dword v114, off, s[0:3], 0 offset:284
	buffer_load_dword v112, off, s[0:3], 0 offset:292
	buffer_load_dword v110, off, s[0:3], 0 offset:300
	s_waitcnt vmcnt(34)
	v_fma_f64 v[97:98], v[115:116], v[99:100], v[97:98]
	s_waitcnt vmcnt(32) lgkmcnt(0)
	v_fma_f64 v[97:98], v[117:118], v[101:102], v[97:98]
	s_waitcnt vmcnt(27)
	v_fma_f64 v[115:116], v[119:120], v[103:104], v[97:98]
	ds_read2_b64 v[97:100], v96 offset0:71 offset1:72
	ds_read2_b64 v[101:104], v96 offset0:73 offset1:74
	s_waitcnt vmcnt(26) lgkmcnt(1)
	v_fma_f64 v[97:98], v[125:126], v[97:98], v[115:116]
	s_clause 0x7
	buffer_load_dword v116, off, s[0:3], 0 offset:308
	buffer_load_dword v117, off, s[0:3], 0 offset:328
	buffer_load_dword v119, off, s[0:3], 0 offset:320
	buffer_load_dword v125, off, s[0:3], 0 offset:312
	buffer_load_dword v115, off, s[0:3], 0 offset:304
	buffer_load_dword v126, off, s[0:3], 0 offset:316
	buffer_load_dword v120, off, s[0:3], 0 offset:324
	buffer_load_dword v118, off, s[0:3], 0 offset:332
	s_waitcnt vmcnt(33)
	v_fma_f64 v[97:98], v[123:124], v[99:100], v[97:98]
	s_waitcnt vmcnt(32) lgkmcnt(0)
	v_fma_f64 v[97:98], v[121:122], v[101:102], v[97:98]
	s_waitcnt vmcnt(27)
	v_fma_f64 v[121:122], v[127:128], v[103:104], v[97:98]
	ds_read2_b64 v[97:100], v96 offset0:75 offset1:76
	ds_read2_b64 v[101:104], v96 offset0:77 offset1:78
	s_waitcnt vmcnt(26) lgkmcnt(1)
	v_fma_f64 v[97:98], v[133:134], v[97:98], v[121:122]
	s_clause 0x7
	buffer_load_dword v122, off, s[0:3], 0 offset:340
	buffer_load_dword v123, off, s[0:3], 0 offset:360
	buffer_load_dword v127, off, s[0:3], 0 offset:352
	buffer_load_dword v133, off, s[0:3], 0 offset:344
	buffer_load_dword v121, off, s[0:3], 0 offset:336
	buffer_load_dword v134, off, s[0:3], 0 offset:348
	buffer_load_dword v128, off, s[0:3], 0 offset:356
	buffer_load_dword v124, off, s[0:3], 0 offset:364
	s_waitcnt vmcnt(33)
	v_fma_f64 v[97:98], v[131:132], v[99:100], v[97:98]
	s_waitcnt vmcnt(32) lgkmcnt(0)
	v_fma_f64 v[97:98], v[129:130], v[101:102], v[97:98]
	s_waitcnt vmcnt(27)
	v_fma_f64 v[105:106], v[105:106], v[103:104], v[97:98]
	ds_read2_b64 v[97:100], v96 offset0:79 offset1:80
	ds_read2_b64 v[101:104], v96 offset0:81 offset1:82
	s_waitcnt vmcnt(26) lgkmcnt(1)
	v_fma_f64 v[97:98], v[139:140], v[97:98], v[105:106]
	s_clause 0x3
	buffer_load_dword v106, off, s[0:3], 0 offset:372
	buffer_load_dword v105, off, s[0:3], 0 offset:368
	;; [unrolled: 1-line block ×4, first 2 shown]
	s_waitcnt vmcnt(29)
	v_fma_f64 v[97:98], v[137:138], v[99:100], v[97:98]
	s_waitcnt vmcnt(28) lgkmcnt(0)
	v_fma_f64 v[97:98], v[135:136], v[101:102], v[97:98]
	s_waitcnt vmcnt(23)
	v_fma_f64 v[107:108], v[107:108], v[103:104], v[97:98]
	ds_read2_b64 v[97:100], v96 offset0:83 offset1:84
	ds_read2_b64 v[101:104], v96 offset0:85 offset1:86
	s_waitcnt vmcnt(22) lgkmcnt(1)
	v_fma_f64 v[97:98], v[113:114], v[97:98], v[107:108]
	s_waitcnt vmcnt(21)
	v_fma_f64 v[97:98], v[111:112], v[99:100], v[97:98]
	s_waitcnt vmcnt(20) lgkmcnt(0)
	v_fma_f64 v[97:98], v[109:110], v[101:102], v[97:98]
	s_waitcnt vmcnt(15)
	v_fma_f64 v[107:108], v[115:116], v[103:104], v[97:98]
	ds_read2_b64 v[97:100], v96 offset0:87 offset1:88
	ds_read2_b64 v[101:104], v96 offset0:89 offset1:90
	s_waitcnt vmcnt(14) lgkmcnt(1)
	v_fma_f64 v[97:98], v[125:126], v[97:98], v[107:108]
	s_waitcnt vmcnt(13)
	v_fma_f64 v[97:98], v[119:120], v[99:100], v[97:98]
	s_waitcnt vmcnt(12) lgkmcnt(0)
	v_fma_f64 v[97:98], v[117:118], v[101:102], v[97:98]
	s_waitcnt vmcnt(7)
	v_fma_f64 v[107:108], v[121:122], v[103:104], v[97:98]
	ds_read2_b64 v[97:100], v96 offset0:91 offset1:92
	ds_read2_b64 v[101:104], v96 offset0:93 offset1:94
	s_waitcnt vmcnt(6) lgkmcnt(1)
	v_fma_f64 v[96:97], v[133:134], v[97:98], v[107:108]
	s_waitcnt vmcnt(5)
	v_fma_f64 v[96:97], v[127:128], v[99:100], v[96:97]
	s_waitcnt vmcnt(4) lgkmcnt(0)
	v_fma_f64 v[96:97], v[123:124], v[101:102], v[96:97]
	s_waitcnt vmcnt(2)
	v_fma_f64 v[96:97], v[105:106], v[103:104], v[96:97]
	s_waitcnt vmcnt(0)
	v_add_f64 v[96:97], v[129:130], -v[96:97]
	buffer_store_dword v97, off, s[0:3], 0 offset:116
	buffer_store_dword v96, off, s[0:3], 0 offset:112
	v_cmpx_lt_u32_e32 13, v0
	s_cbranch_execz .LBB110_265
; %bb.264:
	s_clause 0x1
	buffer_load_dword v96, off, s[0:3], 0 offset:104
	buffer_load_dword v97, off, s[0:3], 0 offset:108
	v_mov_b32_e32 v98, 0
	buffer_store_dword v98, off, s[0:3], 0 offset:104
	buffer_store_dword v98, off, s[0:3], 0 offset:108
	s_waitcnt vmcnt(0)
	ds_write_b64 v95, v[96:97]
.LBB110_265:
	s_or_b32 exec_lo, exec_lo, s4
	s_waitcnt lgkmcnt(0)
	s_waitcnt_vscnt null, 0x0
	s_barrier
	buffer_gl0_inv
	s_clause 0x1c
	buffer_load_dword v105, off, s[0:3], 0 offset:112
	buffer_load_dword v106, off, s[0:3], 0 offset:116
	;; [unrolled: 1-line block ×29, first 2 shown]
	v_mov_b32_e32 v96, 0
	buffer_load_dword v130, off, s[0:3], 0 offset:228
	s_mov_b32 s4, exec_lo
	ds_read_b128 v[97:100], v96 offset:496
	ds_read_b128 v[101:104], v96 offset:512
	s_waitcnt vmcnt(28) lgkmcnt(1)
	v_fma_f64 v[97:98], v[105:106], v[97:98], 0
	s_clause 0x7
	buffer_load_dword v106, off, s[0:3], 0 offset:236
	buffer_load_dword v135, off, s[0:3], 0 offset:256
	buffer_load_dword v137, off, s[0:3], 0 offset:248
	buffer_load_dword v139, off, s[0:3], 0 offset:240
	buffer_load_dword v105, off, s[0:3], 0 offset:232
	buffer_load_dword v140, off, s[0:3], 0 offset:244
	buffer_load_dword v138, off, s[0:3], 0 offset:252
	buffer_load_dword v136, off, s[0:3], 0 offset:260
	s_waitcnt vmcnt(34)
	v_fma_f64 v[97:98], v[107:108], v[99:100], v[97:98]
	s_waitcnt vmcnt(32) lgkmcnt(0)
	v_fma_f64 v[97:98], v[109:110], v[101:102], v[97:98]
	s_waitcnt vmcnt(30)
	v_fma_f64 v[107:108], v[111:112], v[103:104], v[97:98]
	ds_read_b128 v[97:100], v96 offset:528
	ds_read_b128 v[101:104], v96 offset:544
	s_waitcnt vmcnt(28) lgkmcnt(1)
	v_fma_f64 v[97:98], v[113:114], v[97:98], v[107:108]
	s_clause 0x7
	buffer_load_dword v108, off, s[0:3], 0 offset:268
	buffer_load_dword v109, off, s[0:3], 0 offset:288
	buffer_load_dword v111, off, s[0:3], 0 offset:280
	buffer_load_dword v113, off, s[0:3], 0 offset:272
	buffer_load_dword v107, off, s[0:3], 0 offset:264
	buffer_load_dword v114, off, s[0:3], 0 offset:276
	buffer_load_dword v112, off, s[0:3], 0 offset:284
	buffer_load_dword v110, off, s[0:3], 0 offset:292
	s_waitcnt vmcnt(34)
	v_fma_f64 v[97:98], v[115:116], v[99:100], v[97:98]
	s_waitcnt vmcnt(32) lgkmcnt(0)
	v_fma_f64 v[97:98], v[117:118], v[101:102], v[97:98]
	s_waitcnt vmcnt(27)
	v_fma_f64 v[115:116], v[119:120], v[103:104], v[97:98]
	;; [unrolled: 19-line block ×4, first 2 shown]
	ds_read_b128 v[97:100], v96 offset:624
	ds_read_b128 v[101:104], v96 offset:640
	s_waitcnt vmcnt(26) lgkmcnt(1)
	v_fma_f64 v[97:98], v[139:140], v[97:98], v[105:106]
	s_clause 0x5
	buffer_load_dword v106, off, s[0:3], 0 offset:364
	buffer_load_dword v129, off, s[0:3], 0 offset:368
	;; [unrolled: 1-line block ×6, first 2 shown]
	s_waitcnt vmcnt(31)
	v_fma_f64 v[97:98], v[137:138], v[99:100], v[97:98]
	s_waitcnt vmcnt(30) lgkmcnt(0)
	v_fma_f64 v[97:98], v[135:136], v[101:102], v[97:98]
	s_waitcnt vmcnt(25)
	v_fma_f64 v[107:108], v[107:108], v[103:104], v[97:98]
	ds_read_b128 v[97:100], v96 offset:656
	ds_read_b128 v[101:104], v96 offset:672
	s_waitcnt vmcnt(24) lgkmcnt(1)
	v_fma_f64 v[97:98], v[113:114], v[97:98], v[107:108]
	s_waitcnt vmcnt(23)
	v_fma_f64 v[97:98], v[111:112], v[99:100], v[97:98]
	s_waitcnt vmcnt(22) lgkmcnt(0)
	v_fma_f64 v[97:98], v[109:110], v[101:102], v[97:98]
	s_waitcnt vmcnt(17)
	v_fma_f64 v[107:108], v[115:116], v[103:104], v[97:98]
	ds_read_b128 v[97:100], v96 offset:688
	ds_read_b128 v[101:104], v96 offset:704
	s_waitcnt vmcnt(16) lgkmcnt(1)
	v_fma_f64 v[97:98], v[125:126], v[97:98], v[107:108]
	;; [unrolled: 10-line block ×3, first 2 shown]
	s_waitcnt vmcnt(7)
	v_fma_f64 v[97:98], v[127:128], v[99:100], v[97:98]
	ds_read_b64 v[99:100], v96 offset:752
	s_waitcnt vmcnt(6) lgkmcnt(1)
	v_fma_f64 v[97:98], v[123:124], v[101:102], v[97:98]
	s_waitcnt vmcnt(3)
	v_fma_f64 v[97:98], v[105:106], v[103:104], v[97:98]
	s_waitcnt vmcnt(2) lgkmcnt(0)
	v_fma_f64 v[97:98], v[129:130], v[99:100], v[97:98]
	s_waitcnt vmcnt(0)
	v_add_f64 v[97:98], v[131:132], -v[97:98]
	buffer_store_dword v98, off, s[0:3], 0 offset:108
	buffer_store_dword v97, off, s[0:3], 0 offset:104
	v_cmpx_lt_u32_e32 12, v0
	s_cbranch_execz .LBB110_267
; %bb.266:
	s_clause 0x1
	buffer_load_dword v97, off, s[0:3], 0 offset:96
	buffer_load_dword v98, off, s[0:3], 0 offset:100
	buffer_store_dword v96, off, s[0:3], 0 offset:96
	buffer_store_dword v96, off, s[0:3], 0 offset:100
	s_waitcnt vmcnt(0)
	ds_write_b64 v95, v[97:98]
.LBB110_267:
	s_or_b32 exec_lo, exec_lo, s4
	s_waitcnt lgkmcnt(0)
	s_waitcnt_vscnt null, 0x0
	s_barrier
	buffer_gl0_inv
	s_clause 0x1c
	buffer_load_dword v105, off, s[0:3], 0 offset:104
	buffer_load_dword v106, off, s[0:3], 0 offset:108
	;; [unrolled: 1-line block ×29, first 2 shown]
	ds_read2_b64 v[97:100], v96 offset0:61 offset1:62
	ds_read2_b64 v[101:104], v96 offset0:63 offset1:64
	buffer_load_dword v130, off, s[0:3], 0 offset:220
	s_mov_b32 s4, exec_lo
	s_waitcnt vmcnt(28) lgkmcnt(1)
	v_fma_f64 v[97:98], v[105:106], v[97:98], 0
	s_clause 0x7
	buffer_load_dword v106, off, s[0:3], 0 offset:228
	buffer_load_dword v135, off, s[0:3], 0 offset:248
	buffer_load_dword v137, off, s[0:3], 0 offset:240
	buffer_load_dword v139, off, s[0:3], 0 offset:232
	buffer_load_dword v105, off, s[0:3], 0 offset:224
	buffer_load_dword v140, off, s[0:3], 0 offset:236
	buffer_load_dword v138, off, s[0:3], 0 offset:244
	buffer_load_dword v136, off, s[0:3], 0 offset:252
	s_waitcnt vmcnt(34)
	v_fma_f64 v[97:98], v[107:108], v[99:100], v[97:98]
	s_waitcnt vmcnt(32) lgkmcnt(0)
	v_fma_f64 v[97:98], v[109:110], v[101:102], v[97:98]
	s_waitcnt vmcnt(30)
	v_fma_f64 v[107:108], v[111:112], v[103:104], v[97:98]
	ds_read2_b64 v[97:100], v96 offset0:65 offset1:66
	ds_read2_b64 v[101:104], v96 offset0:67 offset1:68
	s_waitcnt vmcnt(28) lgkmcnt(1)
	v_fma_f64 v[97:98], v[113:114], v[97:98], v[107:108]
	s_clause 0x7
	buffer_load_dword v108, off, s[0:3], 0 offset:260
	buffer_load_dword v109, off, s[0:3], 0 offset:280
	buffer_load_dword v111, off, s[0:3], 0 offset:272
	buffer_load_dword v113, off, s[0:3], 0 offset:264
	buffer_load_dword v107, off, s[0:3], 0 offset:256
	buffer_load_dword v114, off, s[0:3], 0 offset:268
	buffer_load_dword v112, off, s[0:3], 0 offset:276
	buffer_load_dword v110, off, s[0:3], 0 offset:284
	s_waitcnt vmcnt(34)
	v_fma_f64 v[97:98], v[115:116], v[99:100], v[97:98]
	s_waitcnt vmcnt(32) lgkmcnt(0)
	v_fma_f64 v[97:98], v[117:118], v[101:102], v[97:98]
	s_waitcnt vmcnt(27)
	v_fma_f64 v[115:116], v[119:120], v[103:104], v[97:98]
	ds_read2_b64 v[97:100], v96 offset0:69 offset1:70
	ds_read2_b64 v[101:104], v96 offset0:71 offset1:72
	;; [unrolled: 19-line block ×4, first 2 shown]
	s_waitcnt vmcnt(26) lgkmcnt(1)
	v_fma_f64 v[97:98], v[139:140], v[97:98], v[105:106]
	s_clause 0x5
	buffer_load_dword v106, off, s[0:3], 0 offset:356
	buffer_load_dword v129, off, s[0:3], 0 offset:368
	;; [unrolled: 1-line block ×6, first 2 shown]
	s_waitcnt vmcnt(31)
	v_fma_f64 v[97:98], v[137:138], v[99:100], v[97:98]
	s_waitcnt vmcnt(30) lgkmcnt(0)
	v_fma_f64 v[97:98], v[135:136], v[101:102], v[97:98]
	s_waitcnt vmcnt(25)
	v_fma_f64 v[107:108], v[107:108], v[103:104], v[97:98]
	ds_read2_b64 v[97:100], v96 offset0:81 offset1:82
	s_clause 0x1
	buffer_load_dword v135, off, s[0:3], 0 offset:96
	buffer_load_dword v136, off, s[0:3], 0 offset:100
	ds_read2_b64 v[101:104], v96 offset0:83 offset1:84
	s_waitcnt vmcnt(26) lgkmcnt(1)
	v_fma_f64 v[97:98], v[113:114], v[97:98], v[107:108]
	s_waitcnt vmcnt(25)
	v_fma_f64 v[97:98], v[111:112], v[99:100], v[97:98]
	s_waitcnt vmcnt(24) lgkmcnt(0)
	v_fma_f64 v[97:98], v[109:110], v[101:102], v[97:98]
	s_waitcnt vmcnt(19)
	v_fma_f64 v[107:108], v[115:116], v[103:104], v[97:98]
	ds_read2_b64 v[97:100], v96 offset0:85 offset1:86
	ds_read2_b64 v[101:104], v96 offset0:87 offset1:88
	s_waitcnt vmcnt(18) lgkmcnt(1)
	v_fma_f64 v[97:98], v[125:126], v[97:98], v[107:108]
	s_waitcnt vmcnt(17)
	v_fma_f64 v[97:98], v[119:120], v[99:100], v[97:98]
	s_waitcnt vmcnt(16) lgkmcnt(0)
	v_fma_f64 v[97:98], v[117:118], v[101:102], v[97:98]
	s_waitcnt vmcnt(11)
	v_fma_f64 v[107:108], v[121:122], v[103:104], v[97:98]
	ds_read2_b64 v[97:100], v96 offset0:89 offset1:90
	;; [unrolled: 10-line block ×3, first 2 shown]
	s_waitcnt vmcnt(3) lgkmcnt(0)
	v_fma_f64 v[96:97], v[131:132], v[96:97], v[100:101]
	s_waitcnt vmcnt(2)
	v_fma_f64 v[96:97], v[129:130], v[98:99], v[96:97]
	s_waitcnt vmcnt(0)
	v_add_f64 v[96:97], v[135:136], -v[96:97]
	buffer_store_dword v97, off, s[0:3], 0 offset:100
	buffer_store_dword v96, off, s[0:3], 0 offset:96
	v_cmpx_lt_u32_e32 11, v0
	s_cbranch_execz .LBB110_269
; %bb.268:
	s_clause 0x1
	buffer_load_dword v96, off, s[0:3], 0 offset:88
	buffer_load_dword v97, off, s[0:3], 0 offset:92
	v_mov_b32_e32 v98, 0
	buffer_store_dword v98, off, s[0:3], 0 offset:88
	buffer_store_dword v98, off, s[0:3], 0 offset:92
	s_waitcnt vmcnt(0)
	ds_write_b64 v95, v[96:97]
.LBB110_269:
	s_or_b32 exec_lo, exec_lo, s4
	s_waitcnt lgkmcnt(0)
	s_waitcnt_vscnt null, 0x0
	s_barrier
	buffer_gl0_inv
	s_clause 0x1c
	buffer_load_dword v105, off, s[0:3], 0 offset:96
	buffer_load_dword v106, off, s[0:3], 0 offset:100
	;; [unrolled: 1-line block ×29, first 2 shown]
	v_mov_b32_e32 v96, 0
	buffer_load_dword v130, off, s[0:3], 0 offset:212
	s_mov_b32 s4, exec_lo
	ds_read_b128 v[97:100], v96 offset:480
	ds_read_b128 v[101:104], v96 offset:496
	s_waitcnt vmcnt(28) lgkmcnt(1)
	v_fma_f64 v[97:98], v[105:106], v[97:98], 0
	s_clause 0x7
	buffer_load_dword v106, off, s[0:3], 0 offset:220
	buffer_load_dword v135, off, s[0:3], 0 offset:240
	buffer_load_dword v137, off, s[0:3], 0 offset:232
	buffer_load_dword v139, off, s[0:3], 0 offset:224
	buffer_load_dword v105, off, s[0:3], 0 offset:216
	buffer_load_dword v140, off, s[0:3], 0 offset:228
	buffer_load_dword v138, off, s[0:3], 0 offset:236
	buffer_load_dword v136, off, s[0:3], 0 offset:244
	s_waitcnt vmcnt(34)
	v_fma_f64 v[97:98], v[107:108], v[99:100], v[97:98]
	s_waitcnt vmcnt(32) lgkmcnt(0)
	v_fma_f64 v[97:98], v[109:110], v[101:102], v[97:98]
	s_waitcnt vmcnt(30)
	v_fma_f64 v[107:108], v[111:112], v[103:104], v[97:98]
	ds_read_b128 v[97:100], v96 offset:512
	ds_read_b128 v[101:104], v96 offset:528
	s_waitcnt vmcnt(28) lgkmcnt(1)
	v_fma_f64 v[97:98], v[113:114], v[97:98], v[107:108]
	s_clause 0x7
	buffer_load_dword v108, off, s[0:3], 0 offset:252
	buffer_load_dword v109, off, s[0:3], 0 offset:272
	buffer_load_dword v111, off, s[0:3], 0 offset:264
	buffer_load_dword v113, off, s[0:3], 0 offset:256
	buffer_load_dword v107, off, s[0:3], 0 offset:248
	buffer_load_dword v114, off, s[0:3], 0 offset:260
	buffer_load_dword v112, off, s[0:3], 0 offset:268
	buffer_load_dword v110, off, s[0:3], 0 offset:276
	s_waitcnt vmcnt(34)
	v_fma_f64 v[97:98], v[115:116], v[99:100], v[97:98]
	s_waitcnt vmcnt(32) lgkmcnt(0)
	v_fma_f64 v[97:98], v[117:118], v[101:102], v[97:98]
	s_waitcnt vmcnt(27)
	v_fma_f64 v[115:116], v[119:120], v[103:104], v[97:98]
	;; [unrolled: 19-line block ×5, first 2 shown]
	ds_read_b128 v[97:100], v96 offset:640
	ds_read_b128 v[101:104], v96 offset:656
	s_waitcnt vmcnt(26) lgkmcnt(1)
	v_fma_f64 v[97:98], v[113:114], v[97:98], v[107:108]
	s_clause 0x1
	buffer_load_dword v107, off, s[0:3], 0 offset:88
	buffer_load_dword v108, off, s[0:3], 0 offset:92
	s_waitcnt vmcnt(27)
	v_fma_f64 v[97:98], v[111:112], v[99:100], v[97:98]
	s_waitcnt vmcnt(26) lgkmcnt(0)
	v_fma_f64 v[97:98], v[109:110], v[101:102], v[97:98]
	s_waitcnt vmcnt(21)
	v_fma_f64 v[109:110], v[115:116], v[103:104], v[97:98]
	ds_read_b128 v[97:100], v96 offset:672
	ds_read_b128 v[101:104], v96 offset:688
	s_waitcnt vmcnt(20) lgkmcnt(1)
	v_fma_f64 v[97:98], v[125:126], v[97:98], v[109:110]
	s_waitcnt vmcnt(19)
	v_fma_f64 v[97:98], v[119:120], v[99:100], v[97:98]
	s_waitcnt vmcnt(18) lgkmcnt(0)
	v_fma_f64 v[97:98], v[117:118], v[101:102], v[97:98]
	s_waitcnt vmcnt(13)
	v_fma_f64 v[109:110], v[121:122], v[103:104], v[97:98]
	ds_read_b128 v[97:100], v96 offset:704
	ds_read_b128 v[101:104], v96 offset:720
	s_waitcnt vmcnt(12) lgkmcnt(1)
	v_fma_f64 v[97:98], v[133:134], v[97:98], v[109:110]
	s_waitcnt vmcnt(11)
	v_fma_f64 v[97:98], v[127:128], v[99:100], v[97:98]
	s_waitcnt vmcnt(10) lgkmcnt(0)
	v_fma_f64 v[97:98], v[123:124], v[101:102], v[97:98]
	s_waitcnt vmcnt(5)
	v_fma_f64 v[101:102], v[105:106], v[103:104], v[97:98]
	ds_read_b128 v[97:100], v96 offset:736
	ds_read_b64 v[103:104], v96 offset:752
	s_waitcnt vmcnt(4) lgkmcnt(1)
	v_fma_f64 v[97:98], v[139:140], v[97:98], v[101:102]
	s_waitcnt vmcnt(3)
	v_fma_f64 v[97:98], v[131:132], v[99:100], v[97:98]
	s_waitcnt vmcnt(2) lgkmcnt(0)
	v_fma_f64 v[97:98], v[129:130], v[103:104], v[97:98]
	s_waitcnt vmcnt(0)
	v_add_f64 v[97:98], v[107:108], -v[97:98]
	buffer_store_dword v98, off, s[0:3], 0 offset:92
	buffer_store_dword v97, off, s[0:3], 0 offset:88
	v_cmpx_lt_u32_e32 10, v0
	s_cbranch_execz .LBB110_271
; %bb.270:
	s_clause 0x1
	buffer_load_dword v97, off, s[0:3], 0 offset:80
	buffer_load_dword v98, off, s[0:3], 0 offset:84
	buffer_store_dword v96, off, s[0:3], 0 offset:80
	buffer_store_dword v96, off, s[0:3], 0 offset:84
	s_waitcnt vmcnt(0)
	ds_write_b64 v95, v[97:98]
.LBB110_271:
	s_or_b32 exec_lo, exec_lo, s4
	s_waitcnt lgkmcnt(0)
	s_waitcnt_vscnt null, 0x0
	s_barrier
	buffer_gl0_inv
	s_clause 0x1c
	buffer_load_dword v105, off, s[0:3], 0 offset:88
	buffer_load_dword v106, off, s[0:3], 0 offset:92
	;; [unrolled: 1-line block ×29, first 2 shown]
	ds_read2_b64 v[97:100], v96 offset0:59 offset1:60
	ds_read2_b64 v[101:104], v96 offset0:61 offset1:62
	buffer_load_dword v130, off, s[0:3], 0 offset:204
	s_mov_b32 s4, exec_lo
	s_waitcnt vmcnt(28) lgkmcnt(1)
	v_fma_f64 v[97:98], v[105:106], v[97:98], 0
	s_clause 0x7
	buffer_load_dword v106, off, s[0:3], 0 offset:212
	buffer_load_dword v135, off, s[0:3], 0 offset:232
	buffer_load_dword v137, off, s[0:3], 0 offset:224
	buffer_load_dword v139, off, s[0:3], 0 offset:216
	buffer_load_dword v105, off, s[0:3], 0 offset:208
	buffer_load_dword v140, off, s[0:3], 0 offset:220
	buffer_load_dword v138, off, s[0:3], 0 offset:228
	buffer_load_dword v136, off, s[0:3], 0 offset:236
	s_waitcnt vmcnt(34)
	v_fma_f64 v[97:98], v[107:108], v[99:100], v[97:98]
	s_waitcnt vmcnt(32) lgkmcnt(0)
	v_fma_f64 v[97:98], v[109:110], v[101:102], v[97:98]
	s_waitcnt vmcnt(30)
	v_fma_f64 v[107:108], v[111:112], v[103:104], v[97:98]
	ds_read2_b64 v[97:100], v96 offset0:63 offset1:64
	ds_read2_b64 v[101:104], v96 offset0:65 offset1:66
	s_waitcnt vmcnt(28) lgkmcnt(1)
	v_fma_f64 v[97:98], v[113:114], v[97:98], v[107:108]
	s_clause 0x7
	buffer_load_dword v108, off, s[0:3], 0 offset:244
	buffer_load_dword v109, off, s[0:3], 0 offset:264
	buffer_load_dword v111, off, s[0:3], 0 offset:256
	buffer_load_dword v113, off, s[0:3], 0 offset:248
	buffer_load_dword v107, off, s[0:3], 0 offset:240
	buffer_load_dword v114, off, s[0:3], 0 offset:252
	buffer_load_dword v112, off, s[0:3], 0 offset:260
	buffer_load_dword v110, off, s[0:3], 0 offset:268
	s_waitcnt vmcnt(34)
	v_fma_f64 v[97:98], v[115:116], v[99:100], v[97:98]
	s_waitcnt vmcnt(32) lgkmcnt(0)
	v_fma_f64 v[97:98], v[117:118], v[101:102], v[97:98]
	s_waitcnt vmcnt(27)
	v_fma_f64 v[115:116], v[119:120], v[103:104], v[97:98]
	ds_read2_b64 v[97:100], v96 offset0:67 offset1:68
	ds_read2_b64 v[101:104], v96 offset0:69 offset1:70
	;; [unrolled: 19-line block ×5, first 2 shown]
	s_waitcnt vmcnt(26) lgkmcnt(1)
	v_fma_f64 v[97:98], v[113:114], v[97:98], v[107:108]
	s_clause 0x1
	buffer_load_dword v108, off, s[0:3], 0 offset:372
	buffer_load_dword v107, off, s[0:3], 0 offset:368
	s_waitcnt vmcnt(27)
	v_fma_f64 v[97:98], v[111:112], v[99:100], v[97:98]
	s_clause 0x1
	buffer_load_dword v111, off, s[0:3], 0 offset:80
	buffer_load_dword v112, off, s[0:3], 0 offset:84
	s_waitcnt vmcnt(28) lgkmcnt(0)
	v_fma_f64 v[97:98], v[109:110], v[101:102], v[97:98]
	s_waitcnt vmcnt(23)
	v_fma_f64 v[109:110], v[115:116], v[103:104], v[97:98]
	ds_read2_b64 v[97:100], v96 offset0:83 offset1:84
	ds_read2_b64 v[101:104], v96 offset0:85 offset1:86
	s_waitcnt vmcnt(22) lgkmcnt(1)
	v_fma_f64 v[97:98], v[125:126], v[97:98], v[109:110]
	s_waitcnt vmcnt(21)
	v_fma_f64 v[97:98], v[119:120], v[99:100], v[97:98]
	s_waitcnt vmcnt(20) lgkmcnt(0)
	v_fma_f64 v[97:98], v[117:118], v[101:102], v[97:98]
	s_waitcnt vmcnt(15)
	v_fma_f64 v[109:110], v[121:122], v[103:104], v[97:98]
	ds_read2_b64 v[97:100], v96 offset0:87 offset1:88
	ds_read2_b64 v[101:104], v96 offset0:89 offset1:90
	s_waitcnt vmcnt(14) lgkmcnt(1)
	v_fma_f64 v[97:98], v[133:134], v[97:98], v[109:110]
	s_waitcnt vmcnt(13)
	v_fma_f64 v[97:98], v[127:128], v[99:100], v[97:98]
	;; [unrolled: 10-line block ×3, first 2 shown]
	s_waitcnt vmcnt(4) lgkmcnt(0)
	v_fma_f64 v[96:97], v[129:130], v[101:102], v[96:97]
	s_waitcnt vmcnt(2)
	v_fma_f64 v[96:97], v[107:108], v[103:104], v[96:97]
	s_waitcnt vmcnt(0)
	v_add_f64 v[96:97], v[111:112], -v[96:97]
	buffer_store_dword v97, off, s[0:3], 0 offset:84
	buffer_store_dword v96, off, s[0:3], 0 offset:80
	v_cmpx_lt_u32_e32 9, v0
	s_cbranch_execz .LBB110_273
; %bb.272:
	s_clause 0x1
	buffer_load_dword v96, off, s[0:3], 0 offset:72
	buffer_load_dword v97, off, s[0:3], 0 offset:76
	v_mov_b32_e32 v98, 0
	buffer_store_dword v98, off, s[0:3], 0 offset:72
	buffer_store_dword v98, off, s[0:3], 0 offset:76
	s_waitcnt vmcnt(0)
	ds_write_b64 v95, v[96:97]
.LBB110_273:
	s_or_b32 exec_lo, exec_lo, s4
	s_waitcnt lgkmcnt(0)
	s_waitcnt_vscnt null, 0x0
	s_barrier
	buffer_gl0_inv
	s_clause 0x1c
	buffer_load_dword v105, off, s[0:3], 0 offset:80
	buffer_load_dword v106, off, s[0:3], 0 offset:84
	buffer_load_dword v107, off, s[0:3], 0 offset:88
	buffer_load_dword v108, off, s[0:3], 0 offset:92
	buffer_load_dword v109, off, s[0:3], 0 offset:96
	buffer_load_dword v110, off, s[0:3], 0 offset:100
	buffer_load_dword v111, off, s[0:3], 0 offset:104
	buffer_load_dword v112, off, s[0:3], 0 offset:108
	buffer_load_dword v113, off, s[0:3], 0 offset:112
	buffer_load_dword v114, off, s[0:3], 0 offset:116
	buffer_load_dword v115, off, s[0:3], 0 offset:120
	buffer_load_dword v116, off, s[0:3], 0 offset:124
	buffer_load_dword v117, off, s[0:3], 0 offset:128
	buffer_load_dword v118, off, s[0:3], 0 offset:132
	buffer_load_dword v120, off, s[0:3], 0 offset:140
	buffer_load_dword v121, off, s[0:3], 0 offset:160
	buffer_load_dword v123, off, s[0:3], 0 offset:152
	buffer_load_dword v125, off, s[0:3], 0 offset:144
	buffer_load_dword v119, off, s[0:3], 0 offset:136
	buffer_load_dword v126, off, s[0:3], 0 offset:148
	buffer_load_dword v124, off, s[0:3], 0 offset:156
	buffer_load_dword v122, off, s[0:3], 0 offset:164
	buffer_load_dword v128, off, s[0:3], 0 offset:172
	buffer_load_dword v129, off, s[0:3], 0 offset:192
	buffer_load_dword v131, off, s[0:3], 0 offset:184
	buffer_load_dword v133, off, s[0:3], 0 offset:176
	buffer_load_dword v127, off, s[0:3], 0 offset:168
	buffer_load_dword v134, off, s[0:3], 0 offset:180
	buffer_load_dword v132, off, s[0:3], 0 offset:188
	v_mov_b32_e32 v96, 0
	buffer_load_dword v130, off, s[0:3], 0 offset:196
	s_mov_b32 s4, exec_lo
	ds_read_b128 v[97:100], v96 offset:464
	ds_read_b128 v[101:104], v96 offset:480
	s_waitcnt vmcnt(28) lgkmcnt(1)
	v_fma_f64 v[97:98], v[105:106], v[97:98], 0
	s_clause 0x7
	buffer_load_dword v106, off, s[0:3], 0 offset:204
	buffer_load_dword v135, off, s[0:3], 0 offset:224
	buffer_load_dword v137, off, s[0:3], 0 offset:216
	buffer_load_dword v139, off, s[0:3], 0 offset:208
	buffer_load_dword v105, off, s[0:3], 0 offset:200
	buffer_load_dword v140, off, s[0:3], 0 offset:212
	buffer_load_dword v138, off, s[0:3], 0 offset:220
	buffer_load_dword v136, off, s[0:3], 0 offset:228
	s_waitcnt vmcnt(34)
	v_fma_f64 v[97:98], v[107:108], v[99:100], v[97:98]
	s_waitcnt vmcnt(32) lgkmcnt(0)
	v_fma_f64 v[97:98], v[109:110], v[101:102], v[97:98]
	s_waitcnt vmcnt(30)
	v_fma_f64 v[107:108], v[111:112], v[103:104], v[97:98]
	ds_read_b128 v[97:100], v96 offset:496
	ds_read_b128 v[101:104], v96 offset:512
	s_waitcnt vmcnt(28) lgkmcnt(1)
	v_fma_f64 v[97:98], v[113:114], v[97:98], v[107:108]
	s_clause 0x7
	buffer_load_dword v108, off, s[0:3], 0 offset:236
	buffer_load_dword v109, off, s[0:3], 0 offset:256
	buffer_load_dword v111, off, s[0:3], 0 offset:248
	buffer_load_dword v113, off, s[0:3], 0 offset:240
	buffer_load_dword v107, off, s[0:3], 0 offset:232
	buffer_load_dword v114, off, s[0:3], 0 offset:244
	buffer_load_dword v112, off, s[0:3], 0 offset:252
	buffer_load_dword v110, off, s[0:3], 0 offset:260
	s_waitcnt vmcnt(34)
	v_fma_f64 v[97:98], v[115:116], v[99:100], v[97:98]
	s_waitcnt vmcnt(32) lgkmcnt(0)
	v_fma_f64 v[97:98], v[117:118], v[101:102], v[97:98]
	s_waitcnt vmcnt(27)
	v_fma_f64 v[115:116], v[119:120], v[103:104], v[97:98]
	;; [unrolled: 19-line block ×5, first 2 shown]
	ds_read_b128 v[97:100], v96 offset:624
	ds_read_b128 v[101:104], v96 offset:640
	s_waitcnt vmcnt(26) lgkmcnt(1)
	v_fma_f64 v[97:98], v[113:114], v[97:98], v[107:108]
	s_clause 0x3
	buffer_load_dword v108, off, s[0:3], 0 offset:364
	buffer_load_dword v113, off, s[0:3], 0 offset:368
	;; [unrolled: 1-line block ×4, first 2 shown]
	s_waitcnt vmcnt(29)
	v_fma_f64 v[97:98], v[111:112], v[99:100], v[97:98]
	s_waitcnt vmcnt(28) lgkmcnt(0)
	v_fma_f64 v[97:98], v[109:110], v[101:102], v[97:98]
	s_clause 0x1
	buffer_load_dword v109, off, s[0:3], 0 offset:72
	buffer_load_dword v110, off, s[0:3], 0 offset:76
	s_waitcnt vmcnt(25)
	v_fma_f64 v[111:112], v[115:116], v[103:104], v[97:98]
	ds_read_b128 v[97:100], v96 offset:656
	ds_read_b128 v[101:104], v96 offset:672
	s_waitcnt vmcnt(24) lgkmcnt(1)
	v_fma_f64 v[97:98], v[125:126], v[97:98], v[111:112]
	s_waitcnt vmcnt(23)
	v_fma_f64 v[97:98], v[119:120], v[99:100], v[97:98]
	s_waitcnt vmcnt(22) lgkmcnt(0)
	v_fma_f64 v[97:98], v[117:118], v[101:102], v[97:98]
	s_waitcnt vmcnt(17)
	v_fma_f64 v[111:112], v[121:122], v[103:104], v[97:98]
	ds_read_b128 v[97:100], v96 offset:688
	ds_read_b128 v[101:104], v96 offset:704
	s_waitcnt vmcnt(16) lgkmcnt(1)
	v_fma_f64 v[97:98], v[133:134], v[97:98], v[111:112]
	s_waitcnt vmcnt(15)
	v_fma_f64 v[97:98], v[127:128], v[99:100], v[97:98]
	s_waitcnt vmcnt(14) lgkmcnt(0)
	v_fma_f64 v[97:98], v[123:124], v[101:102], v[97:98]
	s_waitcnt vmcnt(9)
	v_fma_f64 v[105:106], v[105:106], v[103:104], v[97:98]
	ds_read_b128 v[97:100], v96 offset:720
	ds_read_b128 v[101:104], v96 offset:736
	s_waitcnt vmcnt(8) lgkmcnt(1)
	v_fma_f64 v[97:98], v[139:140], v[97:98], v[105:106]
	s_waitcnt vmcnt(7)
	v_fma_f64 v[97:98], v[131:132], v[99:100], v[97:98]
	ds_read_b64 v[99:100], v96 offset:752
	s_waitcnt vmcnt(6) lgkmcnt(1)
	v_fma_f64 v[97:98], v[129:130], v[101:102], v[97:98]
	s_waitcnt vmcnt(3)
	v_fma_f64 v[97:98], v[107:108], v[103:104], v[97:98]
	s_waitcnt vmcnt(2) lgkmcnt(0)
	v_fma_f64 v[97:98], v[113:114], v[99:100], v[97:98]
	s_waitcnt vmcnt(0)
	v_add_f64 v[97:98], v[109:110], -v[97:98]
	buffer_store_dword v98, off, s[0:3], 0 offset:76
	buffer_store_dword v97, off, s[0:3], 0 offset:72
	v_cmpx_lt_u32_e32 8, v0
	s_cbranch_execz .LBB110_275
; %bb.274:
	s_clause 0x1
	buffer_load_dword v97, off, s[0:3], 0 offset:64
	buffer_load_dword v98, off, s[0:3], 0 offset:68
	buffer_store_dword v96, off, s[0:3], 0 offset:64
	buffer_store_dword v96, off, s[0:3], 0 offset:68
	s_waitcnt vmcnt(0)
	ds_write_b64 v95, v[97:98]
.LBB110_275:
	s_or_b32 exec_lo, exec_lo, s4
	s_waitcnt lgkmcnt(0)
	s_waitcnt_vscnt null, 0x0
	s_barrier
	buffer_gl0_inv
	s_clause 0x1c
	buffer_load_dword v105, off, s[0:3], 0 offset:72
	buffer_load_dword v106, off, s[0:3], 0 offset:76
	;; [unrolled: 1-line block ×29, first 2 shown]
	ds_read2_b64 v[97:100], v96 offset0:57 offset1:58
	ds_read2_b64 v[101:104], v96 offset0:59 offset1:60
	buffer_load_dword v130, off, s[0:3], 0 offset:188
	s_mov_b32 s4, exec_lo
	s_waitcnt vmcnt(28) lgkmcnt(1)
	v_fma_f64 v[97:98], v[105:106], v[97:98], 0
	s_clause 0x7
	buffer_load_dword v106, off, s[0:3], 0 offset:196
	buffer_load_dword v135, off, s[0:3], 0 offset:216
	buffer_load_dword v137, off, s[0:3], 0 offset:208
	buffer_load_dword v139, off, s[0:3], 0 offset:200
	buffer_load_dword v105, off, s[0:3], 0 offset:192
	buffer_load_dword v140, off, s[0:3], 0 offset:204
	buffer_load_dword v138, off, s[0:3], 0 offset:212
	buffer_load_dword v136, off, s[0:3], 0 offset:220
	s_waitcnt vmcnt(34)
	v_fma_f64 v[97:98], v[107:108], v[99:100], v[97:98]
	s_waitcnt vmcnt(32) lgkmcnt(0)
	v_fma_f64 v[97:98], v[109:110], v[101:102], v[97:98]
	s_waitcnt vmcnt(30)
	v_fma_f64 v[107:108], v[111:112], v[103:104], v[97:98]
	ds_read2_b64 v[97:100], v96 offset0:61 offset1:62
	ds_read2_b64 v[101:104], v96 offset0:63 offset1:64
	s_waitcnt vmcnt(28) lgkmcnt(1)
	v_fma_f64 v[97:98], v[113:114], v[97:98], v[107:108]
	s_clause 0x7
	buffer_load_dword v108, off, s[0:3], 0 offset:228
	buffer_load_dword v109, off, s[0:3], 0 offset:248
	buffer_load_dword v111, off, s[0:3], 0 offset:240
	buffer_load_dword v113, off, s[0:3], 0 offset:232
	buffer_load_dword v107, off, s[0:3], 0 offset:224
	buffer_load_dword v114, off, s[0:3], 0 offset:236
	buffer_load_dword v112, off, s[0:3], 0 offset:244
	buffer_load_dword v110, off, s[0:3], 0 offset:252
	s_waitcnt vmcnt(34)
	v_fma_f64 v[97:98], v[115:116], v[99:100], v[97:98]
	s_waitcnt vmcnt(32) lgkmcnt(0)
	v_fma_f64 v[97:98], v[117:118], v[101:102], v[97:98]
	s_waitcnt vmcnt(27)
	v_fma_f64 v[115:116], v[119:120], v[103:104], v[97:98]
	ds_read2_b64 v[97:100], v96 offset0:65 offset1:66
	ds_read2_b64 v[101:104], v96 offset0:67 offset1:68
	;; [unrolled: 19-line block ×5, first 2 shown]
	s_waitcnt vmcnt(26) lgkmcnt(1)
	v_fma_f64 v[97:98], v[113:114], v[97:98], v[107:108]
	s_clause 0x5
	buffer_load_dword v108, off, s[0:3], 0 offset:356
	buffer_load_dword v113, off, s[0:3], 0 offset:368
	;; [unrolled: 1-line block ×6, first 2 shown]
	s_waitcnt vmcnt(31)
	v_fma_f64 v[97:98], v[111:112], v[99:100], v[97:98]
	s_waitcnt vmcnt(30) lgkmcnt(0)
	v_fma_f64 v[97:98], v[109:110], v[101:102], v[97:98]
	s_waitcnt vmcnt(25)
	v_fma_f64 v[109:110], v[115:116], v[103:104], v[97:98]
	ds_read2_b64 v[97:100], v96 offset0:81 offset1:82
	s_clause 0x1
	buffer_load_dword v111, off, s[0:3], 0 offset:64
	buffer_load_dword v112, off, s[0:3], 0 offset:68
	ds_read2_b64 v[101:104], v96 offset0:83 offset1:84
	s_waitcnt vmcnt(26) lgkmcnt(1)
	v_fma_f64 v[97:98], v[125:126], v[97:98], v[109:110]
	s_waitcnt vmcnt(25)
	v_fma_f64 v[97:98], v[119:120], v[99:100], v[97:98]
	s_waitcnt vmcnt(24) lgkmcnt(0)
	v_fma_f64 v[97:98], v[117:118], v[101:102], v[97:98]
	s_waitcnt vmcnt(19)
	v_fma_f64 v[109:110], v[121:122], v[103:104], v[97:98]
	ds_read2_b64 v[97:100], v96 offset0:85 offset1:86
	ds_read2_b64 v[101:104], v96 offset0:87 offset1:88
	s_waitcnt vmcnt(18) lgkmcnt(1)
	v_fma_f64 v[97:98], v[133:134], v[97:98], v[109:110]
	s_waitcnt vmcnt(17)
	v_fma_f64 v[97:98], v[127:128], v[99:100], v[97:98]
	s_waitcnt vmcnt(16) lgkmcnt(0)
	v_fma_f64 v[97:98], v[123:124], v[101:102], v[97:98]
	s_waitcnt vmcnt(11)
	v_fma_f64 v[105:106], v[105:106], v[103:104], v[97:98]
	ds_read2_b64 v[97:100], v96 offset0:89 offset1:90
	;; [unrolled: 10-line block ×3, first 2 shown]
	s_waitcnt vmcnt(3) lgkmcnt(0)
	v_fma_f64 v[96:97], v[135:136], v[96:97], v[100:101]
	s_waitcnt vmcnt(2)
	v_fma_f64 v[96:97], v[113:114], v[98:99], v[96:97]
	s_waitcnt vmcnt(0)
	v_add_f64 v[96:97], v[111:112], -v[96:97]
	buffer_store_dword v97, off, s[0:3], 0 offset:68
	buffer_store_dword v96, off, s[0:3], 0 offset:64
	v_cmpx_lt_u32_e32 7, v0
	s_cbranch_execz .LBB110_277
; %bb.276:
	s_clause 0x1
	buffer_load_dword v96, off, s[0:3], 0 offset:56
	buffer_load_dword v97, off, s[0:3], 0 offset:60
	v_mov_b32_e32 v98, 0
	buffer_store_dword v98, off, s[0:3], 0 offset:56
	buffer_store_dword v98, off, s[0:3], 0 offset:60
	s_waitcnt vmcnt(0)
	ds_write_b64 v95, v[96:97]
.LBB110_277:
	s_or_b32 exec_lo, exec_lo, s4
	s_waitcnt lgkmcnt(0)
	s_waitcnt_vscnt null, 0x0
	s_barrier
	buffer_gl0_inv
	s_clause 0x1c
	buffer_load_dword v105, off, s[0:3], 0 offset:64
	buffer_load_dword v106, off, s[0:3], 0 offset:68
	;; [unrolled: 1-line block ×29, first 2 shown]
	v_mov_b32_e32 v96, 0
	buffer_load_dword v130, off, s[0:3], 0 offset:180
	s_mov_b32 s4, exec_lo
	ds_read_b128 v[97:100], v96 offset:448
	ds_read_b128 v[101:104], v96 offset:464
	s_waitcnt vmcnt(28) lgkmcnt(1)
	v_fma_f64 v[97:98], v[105:106], v[97:98], 0
	s_clause 0x7
	buffer_load_dword v106, off, s[0:3], 0 offset:188
	buffer_load_dword v135, off, s[0:3], 0 offset:208
	buffer_load_dword v137, off, s[0:3], 0 offset:200
	buffer_load_dword v139, off, s[0:3], 0 offset:192
	buffer_load_dword v105, off, s[0:3], 0 offset:184
	buffer_load_dword v140, off, s[0:3], 0 offset:196
	buffer_load_dword v138, off, s[0:3], 0 offset:204
	buffer_load_dword v136, off, s[0:3], 0 offset:212
	s_waitcnt vmcnt(34)
	v_fma_f64 v[97:98], v[107:108], v[99:100], v[97:98]
	s_waitcnt vmcnt(32) lgkmcnt(0)
	v_fma_f64 v[97:98], v[109:110], v[101:102], v[97:98]
	s_waitcnt vmcnt(30)
	v_fma_f64 v[107:108], v[111:112], v[103:104], v[97:98]
	ds_read_b128 v[97:100], v96 offset:480
	ds_read_b128 v[101:104], v96 offset:496
	s_waitcnt vmcnt(28) lgkmcnt(1)
	v_fma_f64 v[97:98], v[113:114], v[97:98], v[107:108]
	s_clause 0x7
	buffer_load_dword v108, off, s[0:3], 0 offset:220
	buffer_load_dword v109, off, s[0:3], 0 offset:240
	buffer_load_dword v111, off, s[0:3], 0 offset:232
	buffer_load_dword v113, off, s[0:3], 0 offset:224
	buffer_load_dword v107, off, s[0:3], 0 offset:216
	buffer_load_dword v114, off, s[0:3], 0 offset:228
	buffer_load_dword v112, off, s[0:3], 0 offset:236
	buffer_load_dword v110, off, s[0:3], 0 offset:244
	s_waitcnt vmcnt(34)
	v_fma_f64 v[97:98], v[115:116], v[99:100], v[97:98]
	s_waitcnt vmcnt(32) lgkmcnt(0)
	v_fma_f64 v[97:98], v[117:118], v[101:102], v[97:98]
	s_waitcnt vmcnt(27)
	v_fma_f64 v[115:116], v[119:120], v[103:104], v[97:98]
	;; [unrolled: 19-line block ×6, first 2 shown]
	ds_read_b128 v[97:100], v96 offset:640
	ds_read_b128 v[101:104], v96 offset:656
	s_waitcnt vmcnt(26) lgkmcnt(1)
	v_fma_f64 v[97:98], v[125:126], v[97:98], v[109:110]
	s_clause 0x1
	buffer_load_dword v109, off, s[0:3], 0 offset:56
	buffer_load_dword v110, off, s[0:3], 0 offset:60
	s_waitcnt vmcnt(27)
	v_fma_f64 v[97:98], v[119:120], v[99:100], v[97:98]
	s_waitcnt vmcnt(26) lgkmcnt(0)
	v_fma_f64 v[97:98], v[117:118], v[101:102], v[97:98]
	s_waitcnt vmcnt(21)
	v_fma_f64 v[111:112], v[121:122], v[103:104], v[97:98]
	ds_read_b128 v[97:100], v96 offset:672
	ds_read_b128 v[101:104], v96 offset:688
	s_waitcnt vmcnt(20) lgkmcnt(1)
	v_fma_f64 v[97:98], v[133:134], v[97:98], v[111:112]
	s_waitcnt vmcnt(19)
	v_fma_f64 v[97:98], v[127:128], v[99:100], v[97:98]
	s_waitcnt vmcnt(18) lgkmcnt(0)
	v_fma_f64 v[97:98], v[123:124], v[101:102], v[97:98]
	s_waitcnt vmcnt(13)
	v_fma_f64 v[105:106], v[105:106], v[103:104], v[97:98]
	ds_read_b128 v[97:100], v96 offset:704
	ds_read_b128 v[101:104], v96 offset:720
	s_waitcnt vmcnt(12) lgkmcnt(1)
	v_fma_f64 v[97:98], v[139:140], v[97:98], v[105:106]
	s_waitcnt vmcnt(11)
	v_fma_f64 v[97:98], v[131:132], v[99:100], v[97:98]
	s_waitcnt vmcnt(10) lgkmcnt(0)
	v_fma_f64 v[97:98], v[129:130], v[101:102], v[97:98]
	s_waitcnt vmcnt(5)
	v_fma_f64 v[101:102], v[107:108], v[103:104], v[97:98]
	ds_read_b128 v[97:100], v96 offset:736
	ds_read_b64 v[103:104], v96 offset:752
	s_waitcnt vmcnt(4) lgkmcnt(1)
	v_fma_f64 v[97:98], v[137:138], v[97:98], v[101:102]
	s_waitcnt vmcnt(3)
	v_fma_f64 v[97:98], v[135:136], v[99:100], v[97:98]
	s_waitcnt vmcnt(2) lgkmcnt(0)
	v_fma_f64 v[97:98], v[113:114], v[103:104], v[97:98]
	s_waitcnt vmcnt(0)
	v_add_f64 v[97:98], v[109:110], -v[97:98]
	buffer_store_dword v98, off, s[0:3], 0 offset:60
	buffer_store_dword v97, off, s[0:3], 0 offset:56
	v_cmpx_lt_u32_e32 6, v0
	s_cbranch_execz .LBB110_279
; %bb.278:
	s_clause 0x1
	buffer_load_dword v97, off, s[0:3], 0 offset:48
	buffer_load_dword v98, off, s[0:3], 0 offset:52
	buffer_store_dword v96, off, s[0:3], 0 offset:48
	buffer_store_dword v96, off, s[0:3], 0 offset:52
	s_waitcnt vmcnt(0)
	ds_write_b64 v95, v[97:98]
.LBB110_279:
	s_or_b32 exec_lo, exec_lo, s4
	s_waitcnt lgkmcnt(0)
	s_waitcnt_vscnt null, 0x0
	s_barrier
	buffer_gl0_inv
	s_clause 0x1c
	buffer_load_dword v105, off, s[0:3], 0 offset:56
	buffer_load_dword v106, off, s[0:3], 0 offset:60
	;; [unrolled: 1-line block ×29, first 2 shown]
	ds_read2_b64 v[97:100], v96 offset0:55 offset1:56
	ds_read2_b64 v[101:104], v96 offset0:57 offset1:58
	buffer_load_dword v130, off, s[0:3], 0 offset:172
	s_mov_b32 s4, exec_lo
	s_waitcnt vmcnt(28) lgkmcnt(1)
	v_fma_f64 v[97:98], v[105:106], v[97:98], 0
	s_clause 0x7
	buffer_load_dword v106, off, s[0:3], 0 offset:180
	buffer_load_dword v135, off, s[0:3], 0 offset:200
	buffer_load_dword v137, off, s[0:3], 0 offset:192
	buffer_load_dword v139, off, s[0:3], 0 offset:184
	buffer_load_dword v105, off, s[0:3], 0 offset:176
	buffer_load_dword v140, off, s[0:3], 0 offset:188
	buffer_load_dword v138, off, s[0:3], 0 offset:196
	buffer_load_dword v136, off, s[0:3], 0 offset:204
	s_waitcnt vmcnt(34)
	v_fma_f64 v[97:98], v[107:108], v[99:100], v[97:98]
	s_waitcnt vmcnt(32) lgkmcnt(0)
	v_fma_f64 v[97:98], v[109:110], v[101:102], v[97:98]
	s_waitcnt vmcnt(30)
	v_fma_f64 v[107:108], v[111:112], v[103:104], v[97:98]
	ds_read2_b64 v[97:100], v96 offset0:59 offset1:60
	ds_read2_b64 v[101:104], v96 offset0:61 offset1:62
	s_waitcnt vmcnt(28) lgkmcnt(1)
	v_fma_f64 v[97:98], v[113:114], v[97:98], v[107:108]
	s_clause 0x7
	buffer_load_dword v108, off, s[0:3], 0 offset:212
	buffer_load_dword v109, off, s[0:3], 0 offset:232
	buffer_load_dword v111, off, s[0:3], 0 offset:224
	buffer_load_dword v113, off, s[0:3], 0 offset:216
	buffer_load_dword v107, off, s[0:3], 0 offset:208
	buffer_load_dword v114, off, s[0:3], 0 offset:220
	buffer_load_dword v112, off, s[0:3], 0 offset:228
	buffer_load_dword v110, off, s[0:3], 0 offset:236
	s_waitcnt vmcnt(34)
	v_fma_f64 v[97:98], v[115:116], v[99:100], v[97:98]
	s_waitcnt vmcnt(32) lgkmcnt(0)
	v_fma_f64 v[97:98], v[117:118], v[101:102], v[97:98]
	s_waitcnt vmcnt(27)
	v_fma_f64 v[115:116], v[119:120], v[103:104], v[97:98]
	ds_read2_b64 v[97:100], v96 offset0:63 offset1:64
	ds_read2_b64 v[101:104], v96 offset0:65 offset1:66
	;; [unrolled: 19-line block ×6, first 2 shown]
	s_waitcnt vmcnt(26) lgkmcnt(1)
	v_fma_f64 v[97:98], v[125:126], v[97:98], v[109:110]
	s_clause 0x3
	buffer_load_dword v110, off, s[0:3], 0 offset:372
	buffer_load_dword v109, off, s[0:3], 0 offset:368
	;; [unrolled: 1-line block ×4, first 2 shown]
	s_waitcnt vmcnt(29)
	v_fma_f64 v[97:98], v[119:120], v[99:100], v[97:98]
	s_waitcnt vmcnt(28) lgkmcnt(0)
	v_fma_f64 v[97:98], v[117:118], v[101:102], v[97:98]
	s_waitcnt vmcnt(23)
	v_fma_f64 v[115:116], v[121:122], v[103:104], v[97:98]
	ds_read2_b64 v[97:100], v96 offset0:83 offset1:84
	ds_read2_b64 v[101:104], v96 offset0:85 offset1:86
	s_waitcnt vmcnt(22) lgkmcnt(1)
	v_fma_f64 v[97:98], v[133:134], v[97:98], v[115:116]
	s_waitcnt vmcnt(21)
	v_fma_f64 v[97:98], v[127:128], v[99:100], v[97:98]
	s_waitcnt vmcnt(20) lgkmcnt(0)
	v_fma_f64 v[97:98], v[123:124], v[101:102], v[97:98]
	s_waitcnt vmcnt(15)
	v_fma_f64 v[105:106], v[105:106], v[103:104], v[97:98]
	ds_read2_b64 v[97:100], v96 offset0:87 offset1:88
	ds_read2_b64 v[101:104], v96 offset0:89 offset1:90
	s_waitcnt vmcnt(14) lgkmcnt(1)
	v_fma_f64 v[97:98], v[139:140], v[97:98], v[105:106]
	;; [unrolled: 10-line block ×3, first 2 shown]
	s_waitcnt vmcnt(5)
	v_fma_f64 v[96:97], v[135:136], v[99:100], v[96:97]
	s_waitcnt vmcnt(4) lgkmcnt(0)
	v_fma_f64 v[96:97], v[113:114], v[101:102], v[96:97]
	s_waitcnt vmcnt(2)
	v_fma_f64 v[96:97], v[109:110], v[103:104], v[96:97]
	s_waitcnt vmcnt(0)
	v_add_f64 v[96:97], v[111:112], -v[96:97]
	buffer_store_dword v97, off, s[0:3], 0 offset:52
	buffer_store_dword v96, off, s[0:3], 0 offset:48
	v_cmpx_lt_u32_e32 5, v0
	s_cbranch_execz .LBB110_281
; %bb.280:
	s_clause 0x1
	buffer_load_dword v96, off, s[0:3], 0 offset:40
	buffer_load_dword v97, off, s[0:3], 0 offset:44
	v_mov_b32_e32 v98, 0
	buffer_store_dword v98, off, s[0:3], 0 offset:40
	buffer_store_dword v98, off, s[0:3], 0 offset:44
	s_waitcnt vmcnt(0)
	ds_write_b64 v95, v[96:97]
.LBB110_281:
	s_or_b32 exec_lo, exec_lo, s4
	s_waitcnt lgkmcnt(0)
	s_waitcnt_vscnt null, 0x0
	s_barrier
	buffer_gl0_inv
	s_clause 0x1c
	buffer_load_dword v105, off, s[0:3], 0 offset:48
	buffer_load_dword v106, off, s[0:3], 0 offset:52
	;; [unrolled: 1-line block ×29, first 2 shown]
	v_mov_b32_e32 v96, 0
	buffer_load_dword v130, off, s[0:3], 0 offset:164
	s_mov_b32 s4, exec_lo
	ds_read_b128 v[97:100], v96 offset:432
	ds_read_b128 v[101:104], v96 offset:448
	s_waitcnt vmcnt(28) lgkmcnt(1)
	v_fma_f64 v[97:98], v[105:106], v[97:98], 0
	s_clause 0x7
	buffer_load_dword v106, off, s[0:3], 0 offset:172
	buffer_load_dword v135, off, s[0:3], 0 offset:192
	buffer_load_dword v137, off, s[0:3], 0 offset:184
	buffer_load_dword v139, off, s[0:3], 0 offset:176
	buffer_load_dword v105, off, s[0:3], 0 offset:168
	buffer_load_dword v140, off, s[0:3], 0 offset:180
	buffer_load_dword v138, off, s[0:3], 0 offset:188
	buffer_load_dword v136, off, s[0:3], 0 offset:196
	s_waitcnt vmcnt(34)
	v_fma_f64 v[97:98], v[107:108], v[99:100], v[97:98]
	s_waitcnt vmcnt(32) lgkmcnt(0)
	v_fma_f64 v[97:98], v[109:110], v[101:102], v[97:98]
	s_waitcnt vmcnt(30)
	v_fma_f64 v[107:108], v[111:112], v[103:104], v[97:98]
	ds_read_b128 v[97:100], v96 offset:464
	ds_read_b128 v[101:104], v96 offset:480
	s_waitcnt vmcnt(28) lgkmcnt(1)
	v_fma_f64 v[97:98], v[113:114], v[97:98], v[107:108]
	s_clause 0x7
	buffer_load_dword v108, off, s[0:3], 0 offset:204
	buffer_load_dword v109, off, s[0:3], 0 offset:224
	buffer_load_dword v111, off, s[0:3], 0 offset:216
	buffer_load_dword v113, off, s[0:3], 0 offset:208
	buffer_load_dword v107, off, s[0:3], 0 offset:200
	buffer_load_dword v114, off, s[0:3], 0 offset:212
	buffer_load_dword v112, off, s[0:3], 0 offset:220
	buffer_load_dword v110, off, s[0:3], 0 offset:228
	s_waitcnt vmcnt(34)
	v_fma_f64 v[97:98], v[115:116], v[99:100], v[97:98]
	s_waitcnt vmcnt(32) lgkmcnt(0)
	v_fma_f64 v[97:98], v[117:118], v[101:102], v[97:98]
	s_waitcnt vmcnt(27)
	v_fma_f64 v[115:116], v[119:120], v[103:104], v[97:98]
	ds_read_b128 v[97:100], v96 offset:496
	ds_read_b128 v[101:104], v96 offset:512
	s_waitcnt vmcnt(26) lgkmcnt(1)
	v_fma_f64 v[97:98], v[125:126], v[97:98], v[115:116]
	s_clause 0x7
	buffer_load_dword v116, off, s[0:3], 0 offset:236
	buffer_load_dword v117, off, s[0:3], 0 offset:256
	buffer_load_dword v119, off, s[0:3], 0 offset:248
	buffer_load_dword v125, off, s[0:3], 0 offset:240
	buffer_load_dword v115, off, s[0:3], 0 offset:232
	buffer_load_dword v126, off, s[0:3], 0 offset:244
	buffer_load_dword v120, off, s[0:3], 0 offset:252
	buffer_load_dword v118, off, s[0:3], 0 offset:260
	s_waitcnt vmcnt(33)
	v_fma_f64 v[97:98], v[123:124], v[99:100], v[97:98]
	s_waitcnt vmcnt(32) lgkmcnt(0)
	v_fma_f64 v[97:98], v[121:122], v[101:102], v[97:98]
	s_waitcnt vmcnt(27)
	v_fma_f64 v[121:122], v[127:128], v[103:104], v[97:98]
	ds_read_b128 v[97:100], v96 offset:528
	ds_read_b128 v[101:104], v96 offset:544
	s_waitcnt vmcnt(26) lgkmcnt(1)
	v_fma_f64 v[97:98], v[133:134], v[97:98], v[121:122]
	s_clause 0x7
	buffer_load_dword v122, off, s[0:3], 0 offset:268
	buffer_load_dword v123, off, s[0:3], 0 offset:288
	buffer_load_dword v127, off, s[0:3], 0 offset:280
	buffer_load_dword v133, off, s[0:3], 0 offset:272
	buffer_load_dword v121, off, s[0:3], 0 offset:264
	buffer_load_dword v134, off, s[0:3], 0 offset:276
	buffer_load_dword v128, off, s[0:3], 0 offset:284
	buffer_load_dword v124, off, s[0:3], 0 offset:292
	s_waitcnt vmcnt(33)
	v_fma_f64 v[97:98], v[131:132], v[99:100], v[97:98]
	s_waitcnt vmcnt(32) lgkmcnt(0)
	v_fma_f64 v[97:98], v[129:130], v[101:102], v[97:98]
	s_waitcnt vmcnt(27)
	v_fma_f64 v[105:106], v[105:106], v[103:104], v[97:98]
	ds_read_b128 v[97:100], v96 offset:560
	ds_read_b128 v[101:104], v96 offset:576
	s_waitcnt vmcnt(26) lgkmcnt(1)
	v_fma_f64 v[97:98], v[139:140], v[97:98], v[105:106]
	s_clause 0x7
	buffer_load_dword v106, off, s[0:3], 0 offset:300
	buffer_load_dword v129, off, s[0:3], 0 offset:320
	buffer_load_dword v131, off, s[0:3], 0 offset:312
	buffer_load_dword v139, off, s[0:3], 0 offset:304
	buffer_load_dword v105, off, s[0:3], 0 offset:296
	buffer_load_dword v140, off, s[0:3], 0 offset:308
	buffer_load_dword v132, off, s[0:3], 0 offset:316
	buffer_load_dword v130, off, s[0:3], 0 offset:324
	s_waitcnt vmcnt(33)
	v_fma_f64 v[97:98], v[137:138], v[99:100], v[97:98]
	s_waitcnt vmcnt(32) lgkmcnt(0)
	v_fma_f64 v[97:98], v[135:136], v[101:102], v[97:98]
	s_waitcnt vmcnt(27)
	v_fma_f64 v[107:108], v[107:108], v[103:104], v[97:98]
	ds_read_b128 v[97:100], v96 offset:592
	ds_read_b128 v[101:104], v96 offset:608
	s_waitcnt vmcnt(26) lgkmcnt(1)
	v_fma_f64 v[97:98], v[113:114], v[97:98], v[107:108]
	s_clause 0x7
	buffer_load_dword v108, off, s[0:3], 0 offset:332
	buffer_load_dword v113, off, s[0:3], 0 offset:352
	buffer_load_dword v135, off, s[0:3], 0 offset:344
	buffer_load_dword v137, off, s[0:3], 0 offset:336
	buffer_load_dword v107, off, s[0:3], 0 offset:328
	buffer_load_dword v138, off, s[0:3], 0 offset:340
	buffer_load_dword v136, off, s[0:3], 0 offset:348
	buffer_load_dword v114, off, s[0:3], 0 offset:356
	s_waitcnt vmcnt(33)
	v_fma_f64 v[97:98], v[111:112], v[99:100], v[97:98]
	s_waitcnt vmcnt(32) lgkmcnt(0)
	v_fma_f64 v[97:98], v[109:110], v[101:102], v[97:98]
	s_waitcnt vmcnt(27)
	v_fma_f64 v[109:110], v[115:116], v[103:104], v[97:98]
	ds_read_b128 v[97:100], v96 offset:624
	ds_read_b128 v[101:104], v96 offset:640
	s_waitcnt vmcnt(26) lgkmcnt(1)
	v_fma_f64 v[97:98], v[125:126], v[97:98], v[109:110]
	s_clause 0x5
	buffer_load_dword v110, off, s[0:3], 0 offset:364
	buffer_load_dword v111, off, s[0:3], 0 offset:368
	;; [unrolled: 1-line block ×6, first 2 shown]
	s_waitcnt vmcnt(31)
	v_fma_f64 v[97:98], v[119:120], v[99:100], v[97:98]
	s_waitcnt vmcnt(30) lgkmcnt(0)
	v_fma_f64 v[97:98], v[117:118], v[101:102], v[97:98]
	s_waitcnt vmcnt(25)
	v_fma_f64 v[117:118], v[121:122], v[103:104], v[97:98]
	ds_read_b128 v[97:100], v96 offset:656
	ds_read_b128 v[101:104], v96 offset:672
	s_waitcnt vmcnt(24) lgkmcnt(1)
	v_fma_f64 v[97:98], v[133:134], v[97:98], v[117:118]
	s_waitcnt vmcnt(23)
	v_fma_f64 v[97:98], v[127:128], v[99:100], v[97:98]
	s_waitcnt vmcnt(22) lgkmcnt(0)
	v_fma_f64 v[97:98], v[123:124], v[101:102], v[97:98]
	s_waitcnt vmcnt(17)
	v_fma_f64 v[105:106], v[105:106], v[103:104], v[97:98]
	ds_read_b128 v[97:100], v96 offset:688
	ds_read_b128 v[101:104], v96 offset:704
	s_waitcnt vmcnt(16) lgkmcnt(1)
	v_fma_f64 v[97:98], v[139:140], v[97:98], v[105:106]
	;; [unrolled: 10-line block ×3, first 2 shown]
	s_waitcnt vmcnt(7)
	v_fma_f64 v[97:98], v[135:136], v[99:100], v[97:98]
	ds_read_b64 v[99:100], v96 offset:752
	s_waitcnt vmcnt(6) lgkmcnt(1)
	v_fma_f64 v[97:98], v[113:114], v[101:102], v[97:98]
	s_waitcnt vmcnt(3)
	v_fma_f64 v[97:98], v[109:110], v[103:104], v[97:98]
	s_waitcnt vmcnt(2) lgkmcnt(0)
	v_fma_f64 v[97:98], v[111:112], v[99:100], v[97:98]
	s_waitcnt vmcnt(0)
	v_add_f64 v[97:98], v[115:116], -v[97:98]
	buffer_store_dword v98, off, s[0:3], 0 offset:44
	buffer_store_dword v97, off, s[0:3], 0 offset:40
	v_cmpx_lt_u32_e32 4, v0
	s_cbranch_execz .LBB110_283
; %bb.282:
	s_clause 0x1
	buffer_load_dword v97, off, s[0:3], 0 offset:32
	buffer_load_dword v98, off, s[0:3], 0 offset:36
	buffer_store_dword v96, off, s[0:3], 0 offset:32
	buffer_store_dword v96, off, s[0:3], 0 offset:36
	s_waitcnt vmcnt(0)
	ds_write_b64 v95, v[97:98]
.LBB110_283:
	s_or_b32 exec_lo, exec_lo, s4
	s_waitcnt lgkmcnt(0)
	s_waitcnt_vscnt null, 0x0
	s_barrier
	buffer_gl0_inv
	s_clause 0x1c
	buffer_load_dword v105, off, s[0:3], 0 offset:40
	buffer_load_dword v106, off, s[0:3], 0 offset:44
	;; [unrolled: 1-line block ×29, first 2 shown]
	ds_read2_b64 v[97:100], v96 offset0:53 offset1:54
	ds_read2_b64 v[101:104], v96 offset0:55 offset1:56
	buffer_load_dword v130, off, s[0:3], 0 offset:156
	s_mov_b32 s4, exec_lo
	s_waitcnt vmcnt(28) lgkmcnt(1)
	v_fma_f64 v[97:98], v[105:106], v[97:98], 0
	s_clause 0x7
	buffer_load_dword v106, off, s[0:3], 0 offset:164
	buffer_load_dword v135, off, s[0:3], 0 offset:184
	buffer_load_dword v137, off, s[0:3], 0 offset:176
	buffer_load_dword v139, off, s[0:3], 0 offset:168
	buffer_load_dword v105, off, s[0:3], 0 offset:160
	buffer_load_dword v140, off, s[0:3], 0 offset:172
	buffer_load_dword v138, off, s[0:3], 0 offset:180
	buffer_load_dword v136, off, s[0:3], 0 offset:188
	s_waitcnt vmcnt(34)
	v_fma_f64 v[97:98], v[107:108], v[99:100], v[97:98]
	s_waitcnt vmcnt(32) lgkmcnt(0)
	v_fma_f64 v[97:98], v[109:110], v[101:102], v[97:98]
	s_waitcnt vmcnt(30)
	v_fma_f64 v[107:108], v[111:112], v[103:104], v[97:98]
	ds_read2_b64 v[97:100], v96 offset0:57 offset1:58
	ds_read2_b64 v[101:104], v96 offset0:59 offset1:60
	s_waitcnt vmcnt(28) lgkmcnt(1)
	v_fma_f64 v[97:98], v[113:114], v[97:98], v[107:108]
	s_clause 0x7
	buffer_load_dword v108, off, s[0:3], 0 offset:196
	buffer_load_dword v109, off, s[0:3], 0 offset:216
	buffer_load_dword v111, off, s[0:3], 0 offset:208
	buffer_load_dword v113, off, s[0:3], 0 offset:200
	buffer_load_dword v107, off, s[0:3], 0 offset:192
	buffer_load_dword v114, off, s[0:3], 0 offset:204
	buffer_load_dword v112, off, s[0:3], 0 offset:212
	buffer_load_dword v110, off, s[0:3], 0 offset:220
	s_waitcnt vmcnt(34)
	v_fma_f64 v[97:98], v[115:116], v[99:100], v[97:98]
	s_waitcnt vmcnt(32) lgkmcnt(0)
	v_fma_f64 v[97:98], v[117:118], v[101:102], v[97:98]
	s_waitcnt vmcnt(27)
	v_fma_f64 v[115:116], v[119:120], v[103:104], v[97:98]
	ds_read2_b64 v[97:100], v96 offset0:61 offset1:62
	ds_read2_b64 v[101:104], v96 offset0:63 offset1:64
	;; [unrolled: 19-line block ×6, first 2 shown]
	s_waitcnt vmcnt(26) lgkmcnt(1)
	v_fma_f64 v[97:98], v[125:126], v[97:98], v[109:110]
	s_clause 0x5
	buffer_load_dword v110, off, s[0:3], 0 offset:356
	buffer_load_dword v111, off, s[0:3], 0 offset:368
	;; [unrolled: 1-line block ×6, first 2 shown]
	s_waitcnt vmcnt(31)
	v_fma_f64 v[97:98], v[119:120], v[99:100], v[97:98]
	s_waitcnt vmcnt(30) lgkmcnt(0)
	v_fma_f64 v[97:98], v[117:118], v[101:102], v[97:98]
	s_waitcnt vmcnt(25)
	v_fma_f64 v[117:118], v[121:122], v[103:104], v[97:98]
	ds_read2_b64 v[97:100], v96 offset0:81 offset1:82
	s_clause 0x1
	buffer_load_dword v119, off, s[0:3], 0 offset:32
	buffer_load_dword v120, off, s[0:3], 0 offset:36
	ds_read2_b64 v[101:104], v96 offset0:83 offset1:84
	s_waitcnt vmcnt(26) lgkmcnt(1)
	v_fma_f64 v[97:98], v[133:134], v[97:98], v[117:118]
	s_waitcnt vmcnt(25)
	v_fma_f64 v[97:98], v[127:128], v[99:100], v[97:98]
	s_waitcnt vmcnt(24) lgkmcnt(0)
	v_fma_f64 v[97:98], v[123:124], v[101:102], v[97:98]
	s_waitcnt vmcnt(19)
	v_fma_f64 v[105:106], v[105:106], v[103:104], v[97:98]
	ds_read2_b64 v[97:100], v96 offset0:85 offset1:86
	ds_read2_b64 v[101:104], v96 offset0:87 offset1:88
	s_waitcnt vmcnt(18) lgkmcnt(1)
	v_fma_f64 v[97:98], v[139:140], v[97:98], v[105:106]
	s_waitcnt vmcnt(17)
	v_fma_f64 v[97:98], v[131:132], v[99:100], v[97:98]
	s_waitcnt vmcnt(16) lgkmcnt(0)
	v_fma_f64 v[97:98], v[129:130], v[101:102], v[97:98]
	s_waitcnt vmcnt(11)
	v_fma_f64 v[105:106], v[107:108], v[103:104], v[97:98]
	ds_read2_b64 v[97:100], v96 offset0:89 offset1:90
	;; [unrolled: 10-line block ×3, first 2 shown]
	s_waitcnt vmcnt(3) lgkmcnt(0)
	v_fma_f64 v[96:97], v[115:116], v[96:97], v[100:101]
	s_waitcnt vmcnt(2)
	v_fma_f64 v[96:97], v[111:112], v[98:99], v[96:97]
	s_waitcnt vmcnt(0)
	v_add_f64 v[96:97], v[119:120], -v[96:97]
	buffer_store_dword v97, off, s[0:3], 0 offset:36
	buffer_store_dword v96, off, s[0:3], 0 offset:32
	v_cmpx_lt_u32_e32 3, v0
	s_cbranch_execz .LBB110_285
; %bb.284:
	s_clause 0x1
	buffer_load_dword v96, off, s[0:3], 0 offset:24
	buffer_load_dword v97, off, s[0:3], 0 offset:28
	v_mov_b32_e32 v98, 0
	buffer_store_dword v98, off, s[0:3], 0 offset:24
	buffer_store_dword v98, off, s[0:3], 0 offset:28
	s_waitcnt vmcnt(0)
	ds_write_b64 v95, v[96:97]
.LBB110_285:
	s_or_b32 exec_lo, exec_lo, s4
	s_waitcnt lgkmcnt(0)
	s_waitcnt_vscnt null, 0x0
	s_barrier
	buffer_gl0_inv
	s_clause 0x1c
	buffer_load_dword v105, off, s[0:3], 0 offset:32
	buffer_load_dword v106, off, s[0:3], 0 offset:36
	buffer_load_dword v107, off, s[0:3], 0 offset:40
	buffer_load_dword v108, off, s[0:3], 0 offset:44
	buffer_load_dword v109, off, s[0:3], 0 offset:48
	buffer_load_dword v110, off, s[0:3], 0 offset:52
	buffer_load_dword v111, off, s[0:3], 0 offset:56
	buffer_load_dword v112, off, s[0:3], 0 offset:60
	buffer_load_dword v113, off, s[0:3], 0 offset:64
	buffer_load_dword v114, off, s[0:3], 0 offset:68
	buffer_load_dword v115, off, s[0:3], 0 offset:72
	buffer_load_dword v116, off, s[0:3], 0 offset:76
	buffer_load_dword v117, off, s[0:3], 0 offset:80
	buffer_load_dword v118, off, s[0:3], 0 offset:84
	buffer_load_dword v120, off, s[0:3], 0 offset:92
	buffer_load_dword v121, off, s[0:3], 0 offset:112
	buffer_load_dword v123, off, s[0:3], 0 offset:104
	buffer_load_dword v125, off, s[0:3], 0 offset:96
	buffer_load_dword v119, off, s[0:3], 0 offset:88
	buffer_load_dword v126, off, s[0:3], 0 offset:100
	buffer_load_dword v124, off, s[0:3], 0 offset:108
	buffer_load_dword v122, off, s[0:3], 0 offset:116
	buffer_load_dword v128, off, s[0:3], 0 offset:124
	buffer_load_dword v129, off, s[0:3], 0 offset:144
	buffer_load_dword v131, off, s[0:3], 0 offset:136
	buffer_load_dword v133, off, s[0:3], 0 offset:128
	buffer_load_dword v127, off, s[0:3], 0 offset:120
	buffer_load_dword v134, off, s[0:3], 0 offset:132
	buffer_load_dword v132, off, s[0:3], 0 offset:140
	v_mov_b32_e32 v96, 0
	buffer_load_dword v130, off, s[0:3], 0 offset:148
	s_mov_b32 s4, exec_lo
	ds_read_b128 v[97:100], v96 offset:416
	ds_read_b128 v[101:104], v96 offset:432
	s_waitcnt vmcnt(28) lgkmcnt(1)
	v_fma_f64 v[97:98], v[105:106], v[97:98], 0
	s_clause 0x7
	buffer_load_dword v106, off, s[0:3], 0 offset:156
	buffer_load_dword v135, off, s[0:3], 0 offset:176
	buffer_load_dword v137, off, s[0:3], 0 offset:168
	buffer_load_dword v139, off, s[0:3], 0 offset:160
	buffer_load_dword v105, off, s[0:3], 0 offset:152
	buffer_load_dword v140, off, s[0:3], 0 offset:164
	buffer_load_dword v138, off, s[0:3], 0 offset:172
	buffer_load_dword v136, off, s[0:3], 0 offset:180
	s_waitcnt vmcnt(34)
	v_fma_f64 v[97:98], v[107:108], v[99:100], v[97:98]
	s_waitcnt vmcnt(32) lgkmcnt(0)
	v_fma_f64 v[97:98], v[109:110], v[101:102], v[97:98]
	s_waitcnt vmcnt(30)
	v_fma_f64 v[107:108], v[111:112], v[103:104], v[97:98]
	ds_read_b128 v[97:100], v96 offset:448
	ds_read_b128 v[101:104], v96 offset:464
	s_waitcnt vmcnt(28) lgkmcnt(1)
	v_fma_f64 v[97:98], v[113:114], v[97:98], v[107:108]
	s_clause 0x7
	buffer_load_dword v108, off, s[0:3], 0 offset:188
	buffer_load_dword v109, off, s[0:3], 0 offset:208
	buffer_load_dword v111, off, s[0:3], 0 offset:200
	buffer_load_dword v113, off, s[0:3], 0 offset:192
	buffer_load_dword v107, off, s[0:3], 0 offset:184
	buffer_load_dword v114, off, s[0:3], 0 offset:196
	buffer_load_dword v112, off, s[0:3], 0 offset:204
	buffer_load_dword v110, off, s[0:3], 0 offset:212
	s_waitcnt vmcnt(34)
	v_fma_f64 v[97:98], v[115:116], v[99:100], v[97:98]
	s_waitcnt vmcnt(32) lgkmcnt(0)
	v_fma_f64 v[97:98], v[117:118], v[101:102], v[97:98]
	s_waitcnt vmcnt(27)
	v_fma_f64 v[115:116], v[119:120], v[103:104], v[97:98]
	;; [unrolled: 19-line block ×7, first 2 shown]
	ds_read_b128 v[97:100], v96 offset:640
	ds_read_b128 v[101:104], v96 offset:656
	s_waitcnt vmcnt(26) lgkmcnt(1)
	v_fma_f64 v[97:98], v[133:134], v[97:98], v[117:118]
	s_clause 0x1
	buffer_load_dword v117, off, s[0:3], 0 offset:24
	buffer_load_dword v118, off, s[0:3], 0 offset:28
	s_waitcnt vmcnt(27)
	v_fma_f64 v[97:98], v[127:128], v[99:100], v[97:98]
	s_waitcnt vmcnt(26) lgkmcnt(0)
	v_fma_f64 v[97:98], v[123:124], v[101:102], v[97:98]
	s_waitcnt vmcnt(21)
	v_fma_f64 v[105:106], v[105:106], v[103:104], v[97:98]
	ds_read_b128 v[97:100], v96 offset:672
	ds_read_b128 v[101:104], v96 offset:688
	s_waitcnt vmcnt(20) lgkmcnt(1)
	v_fma_f64 v[97:98], v[139:140], v[97:98], v[105:106]
	s_waitcnt vmcnt(19)
	v_fma_f64 v[97:98], v[131:132], v[99:100], v[97:98]
	s_waitcnt vmcnt(18) lgkmcnt(0)
	v_fma_f64 v[97:98], v[129:130], v[101:102], v[97:98]
	s_waitcnt vmcnt(13)
	v_fma_f64 v[105:106], v[107:108], v[103:104], v[97:98]
	ds_read_b128 v[97:100], v96 offset:704
	ds_read_b128 v[101:104], v96 offset:720
	s_waitcnt vmcnt(12) lgkmcnt(1)
	v_fma_f64 v[97:98], v[137:138], v[97:98], v[105:106]
	s_waitcnt vmcnt(11)
	v_fma_f64 v[97:98], v[135:136], v[99:100], v[97:98]
	s_waitcnt vmcnt(10) lgkmcnt(0)
	v_fma_f64 v[97:98], v[113:114], v[101:102], v[97:98]
	s_waitcnt vmcnt(5)
	v_fma_f64 v[101:102], v[109:110], v[103:104], v[97:98]
	ds_read_b128 v[97:100], v96 offset:736
	ds_read_b64 v[103:104], v96 offset:752
	s_waitcnt vmcnt(4) lgkmcnt(1)
	v_fma_f64 v[97:98], v[125:126], v[97:98], v[101:102]
	s_waitcnt vmcnt(3)
	v_fma_f64 v[97:98], v[115:116], v[99:100], v[97:98]
	s_waitcnt vmcnt(2) lgkmcnt(0)
	v_fma_f64 v[97:98], v[111:112], v[103:104], v[97:98]
	s_waitcnt vmcnt(0)
	v_add_f64 v[97:98], v[117:118], -v[97:98]
	buffer_store_dword v98, off, s[0:3], 0 offset:28
	buffer_store_dword v97, off, s[0:3], 0 offset:24
	v_cmpx_lt_u32_e32 2, v0
	s_cbranch_execz .LBB110_287
; %bb.286:
	s_clause 0x1
	buffer_load_dword v97, off, s[0:3], 0 offset:16
	buffer_load_dword v98, off, s[0:3], 0 offset:20
	buffer_store_dword v96, off, s[0:3], 0 offset:16
	buffer_store_dword v96, off, s[0:3], 0 offset:20
	s_waitcnt vmcnt(0)
	ds_write_b64 v95, v[97:98]
.LBB110_287:
	s_or_b32 exec_lo, exec_lo, s4
	s_waitcnt lgkmcnt(0)
	s_waitcnt_vscnt null, 0x0
	s_barrier
	buffer_gl0_inv
	s_clause 0x1c
	buffer_load_dword v105, off, s[0:3], 0 offset:24
	buffer_load_dword v106, off, s[0:3], 0 offset:28
	buffer_load_dword v107, off, s[0:3], 0 offset:32
	buffer_load_dword v108, off, s[0:3], 0 offset:36
	buffer_load_dword v109, off, s[0:3], 0 offset:40
	buffer_load_dword v110, off, s[0:3], 0 offset:44
	buffer_load_dword v111, off, s[0:3], 0 offset:48
	buffer_load_dword v112, off, s[0:3], 0 offset:52
	buffer_load_dword v113, off, s[0:3], 0 offset:56
	buffer_load_dword v114, off, s[0:3], 0 offset:60
	buffer_load_dword v115, off, s[0:3], 0 offset:64
	buffer_load_dword v116, off, s[0:3], 0 offset:68
	buffer_load_dword v117, off, s[0:3], 0 offset:72
	buffer_load_dword v118, off, s[0:3], 0 offset:76
	buffer_load_dword v120, off, s[0:3], 0 offset:84
	buffer_load_dword v121, off, s[0:3], 0 offset:104
	buffer_load_dword v123, off, s[0:3], 0 offset:96
	buffer_load_dword v125, off, s[0:3], 0 offset:88
	buffer_load_dword v119, off, s[0:3], 0 offset:80
	buffer_load_dword v126, off, s[0:3], 0 offset:92
	buffer_load_dword v124, off, s[0:3], 0 offset:100
	buffer_load_dword v122, off, s[0:3], 0 offset:108
	buffer_load_dword v128, off, s[0:3], 0 offset:116
	buffer_load_dword v129, off, s[0:3], 0 offset:136
	buffer_load_dword v131, off, s[0:3], 0 offset:128
	buffer_load_dword v133, off, s[0:3], 0 offset:120
	buffer_load_dword v127, off, s[0:3], 0 offset:112
	buffer_load_dword v134, off, s[0:3], 0 offset:124
	buffer_load_dword v132, off, s[0:3], 0 offset:132
	ds_read2_b64 v[97:100], v96 offset0:51 offset1:52
	ds_read2_b64 v[101:104], v96 offset0:53 offset1:54
	buffer_load_dword v130, off, s[0:3], 0 offset:140
	s_mov_b32 s4, exec_lo
	s_waitcnt vmcnt(28) lgkmcnt(1)
	v_fma_f64 v[97:98], v[105:106], v[97:98], 0
	s_clause 0x7
	buffer_load_dword v106, off, s[0:3], 0 offset:148
	buffer_load_dword v135, off, s[0:3], 0 offset:168
	buffer_load_dword v137, off, s[0:3], 0 offset:160
	buffer_load_dword v139, off, s[0:3], 0 offset:152
	buffer_load_dword v105, off, s[0:3], 0 offset:144
	buffer_load_dword v140, off, s[0:3], 0 offset:156
	buffer_load_dword v138, off, s[0:3], 0 offset:164
	buffer_load_dword v136, off, s[0:3], 0 offset:172
	s_waitcnt vmcnt(34)
	v_fma_f64 v[97:98], v[107:108], v[99:100], v[97:98]
	s_waitcnt vmcnt(32) lgkmcnt(0)
	v_fma_f64 v[97:98], v[109:110], v[101:102], v[97:98]
	s_waitcnt vmcnt(30)
	v_fma_f64 v[107:108], v[111:112], v[103:104], v[97:98]
	ds_read2_b64 v[97:100], v96 offset0:55 offset1:56
	ds_read2_b64 v[101:104], v96 offset0:57 offset1:58
	s_waitcnt vmcnt(28) lgkmcnt(1)
	v_fma_f64 v[97:98], v[113:114], v[97:98], v[107:108]
	s_clause 0x7
	buffer_load_dword v108, off, s[0:3], 0 offset:180
	buffer_load_dword v109, off, s[0:3], 0 offset:200
	buffer_load_dword v111, off, s[0:3], 0 offset:192
	buffer_load_dword v113, off, s[0:3], 0 offset:184
	buffer_load_dword v107, off, s[0:3], 0 offset:176
	buffer_load_dword v114, off, s[0:3], 0 offset:188
	buffer_load_dword v112, off, s[0:3], 0 offset:196
	buffer_load_dword v110, off, s[0:3], 0 offset:204
	s_waitcnt vmcnt(34)
	v_fma_f64 v[97:98], v[115:116], v[99:100], v[97:98]
	s_waitcnt vmcnt(32) lgkmcnt(0)
	v_fma_f64 v[97:98], v[117:118], v[101:102], v[97:98]
	s_waitcnt vmcnt(27)
	v_fma_f64 v[115:116], v[119:120], v[103:104], v[97:98]
	ds_read2_b64 v[97:100], v96 offset0:59 offset1:60
	ds_read2_b64 v[101:104], v96 offset0:61 offset1:62
	;; [unrolled: 19-line block ×7, first 2 shown]
	s_waitcnt vmcnt(26) lgkmcnt(1)
	v_fma_f64 v[97:98], v[133:134], v[97:98], v[117:118]
	s_clause 0x3
	buffer_load_dword v118, off, s[0:3], 0 offset:372
	buffer_load_dword v117, off, s[0:3], 0 offset:368
	;; [unrolled: 1-line block ×4, first 2 shown]
	s_waitcnt vmcnt(29)
	v_fma_f64 v[97:98], v[127:128], v[99:100], v[97:98]
	s_waitcnt vmcnt(28) lgkmcnt(0)
	v_fma_f64 v[97:98], v[123:124], v[101:102], v[97:98]
	s_waitcnt vmcnt(23)
	v_fma_f64 v[105:106], v[105:106], v[103:104], v[97:98]
	ds_read2_b64 v[97:100], v96 offset0:83 offset1:84
	ds_read2_b64 v[101:104], v96 offset0:85 offset1:86
	s_waitcnt vmcnt(22) lgkmcnt(1)
	v_fma_f64 v[97:98], v[139:140], v[97:98], v[105:106]
	s_waitcnt vmcnt(21)
	v_fma_f64 v[97:98], v[131:132], v[99:100], v[97:98]
	s_waitcnt vmcnt(20) lgkmcnt(0)
	v_fma_f64 v[97:98], v[129:130], v[101:102], v[97:98]
	s_waitcnt vmcnt(15)
	v_fma_f64 v[105:106], v[107:108], v[103:104], v[97:98]
	ds_read2_b64 v[97:100], v96 offset0:87 offset1:88
	ds_read2_b64 v[101:104], v96 offset0:89 offset1:90
	s_waitcnt vmcnt(14) lgkmcnt(1)
	v_fma_f64 v[97:98], v[137:138], v[97:98], v[105:106]
	;; [unrolled: 10-line block ×3, first 2 shown]
	s_waitcnt vmcnt(5)
	v_fma_f64 v[96:97], v[115:116], v[99:100], v[96:97]
	s_waitcnt vmcnt(4) lgkmcnt(0)
	v_fma_f64 v[96:97], v[111:112], v[101:102], v[96:97]
	s_waitcnt vmcnt(2)
	v_fma_f64 v[96:97], v[117:118], v[103:104], v[96:97]
	s_waitcnt vmcnt(0)
	v_add_f64 v[96:97], v[119:120], -v[96:97]
	buffer_store_dword v97, off, s[0:3], 0 offset:20
	buffer_store_dword v96, off, s[0:3], 0 offset:16
	v_cmpx_lt_u32_e32 1, v0
	s_cbranch_execz .LBB110_289
; %bb.288:
	s_clause 0x1
	buffer_load_dword v96, off, s[0:3], 0 offset:8
	buffer_load_dword v97, off, s[0:3], 0 offset:12
	v_mov_b32_e32 v98, 0
	buffer_store_dword v98, off, s[0:3], 0 offset:8
	buffer_store_dword v98, off, s[0:3], 0 offset:12
	s_waitcnt vmcnt(0)
	ds_write_b64 v95, v[96:97]
.LBB110_289:
	s_or_b32 exec_lo, exec_lo, s4
	s_waitcnt lgkmcnt(0)
	s_waitcnt_vscnt null, 0x0
	s_barrier
	buffer_gl0_inv
	s_clause 0x1c
	buffer_load_dword v106, off, s[0:3], 0 offset:16
	buffer_load_dword v107, off, s[0:3], 0 offset:20
	;; [unrolled: 1-line block ×29, first 2 shown]
	v_mov_b32_e32 v97, 0
	buffer_load_dword v131, off, s[0:3], 0 offset:132
	s_mov_b32 s4, exec_lo
	ds_read_b128 v[98:101], v97 offset:400
	ds_read_b128 v[102:105], v97 offset:416
	s_waitcnt vmcnt(28) lgkmcnt(1)
	v_fma_f64 v[98:99], v[106:107], v[98:99], 0
	s_clause 0x7
	buffer_load_dword v107, off, s[0:3], 0 offset:140
	buffer_load_dword v136, off, s[0:3], 0 offset:160
	buffer_load_dword v138, off, s[0:3], 0 offset:152
	buffer_load_dword v140, off, s[0:3], 0 offset:144
	buffer_load_dword v106, off, s[0:3], 0 offset:136
	buffer_load_dword v141, off, s[0:3], 0 offset:148
	buffer_load_dword v139, off, s[0:3], 0 offset:156
	buffer_load_dword v137, off, s[0:3], 0 offset:164
	s_waitcnt vmcnt(34)
	v_fma_f64 v[98:99], v[108:109], v[100:101], v[98:99]
	s_waitcnt vmcnt(32) lgkmcnt(0)
	v_fma_f64 v[98:99], v[110:111], v[102:103], v[98:99]
	s_waitcnt vmcnt(30)
	v_fma_f64 v[108:109], v[112:113], v[104:105], v[98:99]
	ds_read_b128 v[98:101], v97 offset:432
	ds_read_b128 v[102:105], v97 offset:448
	s_waitcnt vmcnt(28) lgkmcnt(1)
	v_fma_f64 v[98:99], v[114:115], v[98:99], v[108:109]
	s_clause 0x7
	buffer_load_dword v109, off, s[0:3], 0 offset:172
	buffer_load_dword v110, off, s[0:3], 0 offset:192
	buffer_load_dword v112, off, s[0:3], 0 offset:184
	buffer_load_dword v114, off, s[0:3], 0 offset:176
	buffer_load_dword v108, off, s[0:3], 0 offset:168
	buffer_load_dword v115, off, s[0:3], 0 offset:180
	buffer_load_dword v113, off, s[0:3], 0 offset:188
	buffer_load_dword v111, off, s[0:3], 0 offset:196
	s_waitcnt vmcnt(34)
	v_fma_f64 v[98:99], v[116:117], v[100:101], v[98:99]
	s_waitcnt vmcnt(32) lgkmcnt(0)
	v_fma_f64 v[98:99], v[118:119], v[102:103], v[98:99]
	s_waitcnt vmcnt(27)
	v_fma_f64 v[116:117], v[120:121], v[104:105], v[98:99]
	;; [unrolled: 19-line block ×7, first 2 shown]
	ds_read_b128 v[98:101], v97 offset:624
	ds_read_b128 v[102:105], v97 offset:640
	s_waitcnt vmcnt(26) lgkmcnt(1)
	v_fma_f64 v[98:99], v[134:135], v[98:99], v[118:119]
	s_clause 0x5
	buffer_load_dword v119, off, s[0:3], 0 offset:364
	buffer_load_dword v120, off, s[0:3], 0 offset:368
	;; [unrolled: 1-line block ×6, first 2 shown]
	s_waitcnt vmcnt(31)
	v_fma_f64 v[98:99], v[128:129], v[100:101], v[98:99]
	s_waitcnt vmcnt(30) lgkmcnt(0)
	v_fma_f64 v[98:99], v[124:125], v[102:103], v[98:99]
	s_waitcnt vmcnt(25)
	v_fma_f64 v[106:107], v[106:107], v[104:105], v[98:99]
	ds_read_b128 v[98:101], v97 offset:656
	ds_read_b128 v[102:105], v97 offset:672
	s_waitcnt vmcnt(24) lgkmcnt(1)
	v_fma_f64 v[98:99], v[140:141], v[98:99], v[106:107]
	s_waitcnt vmcnt(23)
	v_fma_f64 v[98:99], v[132:133], v[100:101], v[98:99]
	s_waitcnt vmcnt(22) lgkmcnt(0)
	v_fma_f64 v[98:99], v[130:131], v[102:103], v[98:99]
	s_waitcnt vmcnt(17)
	v_fma_f64 v[106:107], v[108:109], v[104:105], v[98:99]
	ds_read_b128 v[98:101], v97 offset:688
	ds_read_b128 v[102:105], v97 offset:704
	s_waitcnt vmcnt(16) lgkmcnt(1)
	v_fma_f64 v[98:99], v[138:139], v[98:99], v[106:107]
	;; [unrolled: 10-line block ×3, first 2 shown]
	s_waitcnt vmcnt(7)
	v_fma_f64 v[98:99], v[116:117], v[100:101], v[98:99]
	ds_read_b64 v[100:101], v97 offset:752
	s_waitcnt vmcnt(6) lgkmcnt(1)
	v_fma_f64 v[98:99], v[112:113], v[102:103], v[98:99]
	s_waitcnt vmcnt(3)
	v_fma_f64 v[98:99], v[118:119], v[104:105], v[98:99]
	s_waitcnt vmcnt(2) lgkmcnt(0)
	v_fma_f64 v[98:99], v[120:121], v[100:101], v[98:99]
	s_waitcnt vmcnt(0)
	v_add_f64 v[98:99], v[122:123], -v[98:99]
	buffer_store_dword v99, off, s[0:3], 0 offset:12
	buffer_store_dword v98, off, s[0:3], 0 offset:8
	v_cmpx_ne_u32_e32 0, v0
	s_cbranch_execz .LBB110_291
; %bb.290:
	s_clause 0x1
	buffer_load_dword v98, off, s[0:3], 0
	buffer_load_dword v99, off, s[0:3], 0 offset:4
	buffer_store_dword v97, off, s[0:3], 0
	buffer_store_dword v97, off, s[0:3], 0 offset:4
	s_waitcnt vmcnt(0)
	ds_write_b64 v95, v[98:99]
.LBB110_291:
	s_or_b32 exec_lo, exec_lo, s4
	s_waitcnt lgkmcnt(0)
	s_waitcnt_vscnt null, 0x0
	s_barrier
	buffer_gl0_inv
	s_clause 0x1c
	buffer_load_dword v95, off, s[0:3], 0 offset:8
	buffer_load_dword v96, off, s[0:3], 0 offset:12
	;; [unrolled: 1-line block ×29, first 2 shown]
	ds_read2_b64 v[98:101], v97 offset0:49 offset1:50
	ds_read2_b64 v[102:105], v97 offset0:51 offset1:52
	s_clause 0x8
	buffer_load_dword v129, off, s[0:3], 0 offset:124
	buffer_load_dword v135, off, s[0:3], 0 offset:132
	buffer_load_dword v136, off, s[0:3], 0 offset:152
	buffer_load_dword v138, off, s[0:3], 0 offset:144
	buffer_load_dword v140, off, s[0:3], 0 offset:136
	buffer_load_dword v134, off, s[0:3], 0 offset:128
	buffer_load_dword v141, off, s[0:3], 0 offset:140
	buffer_load_dword v139, off, s[0:3], 0 offset:148
	buffer_load_dword v137, off, s[0:3], 0 offset:156
	s_and_b32 vcc_lo, exec_lo, s16
	s_waitcnt vmcnt(36) lgkmcnt(1)
	v_fma_f64 v[95:96], v[95:96], v[98:99], 0
	s_waitcnt vmcnt(34)
	v_fma_f64 v[95:96], v[106:107], v[100:101], v[95:96]
	ds_read2_b64 v[98:101], v97 offset0:53 offset1:54
	s_waitcnt vmcnt(32) lgkmcnt(1)
	v_fma_f64 v[95:96], v[108:109], v[102:103], v[95:96]
	s_waitcnt vmcnt(30)
	v_fma_f64 v[95:96], v[110:111], v[104:105], v[95:96]
	ds_read2_b64 v[102:105], v97 offset0:55 offset1:56
	s_waitcnt vmcnt(28) lgkmcnt(1)
	v_fma_f64 v[95:96], v[112:113], v[98:99], v[95:96]
	s_clause 0x7
	buffer_load_dword v107, off, s[0:3], 0 offset:164
	buffer_load_dword v108, off, s[0:3], 0 offset:184
	buffer_load_dword v110, off, s[0:3], 0 offset:176
	buffer_load_dword v112, off, s[0:3], 0 offset:168
	buffer_load_dword v106, off, s[0:3], 0 offset:160
	buffer_load_dword v113, off, s[0:3], 0 offset:172
	buffer_load_dword v111, off, s[0:3], 0 offset:180
	buffer_load_dword v109, off, s[0:3], 0 offset:188
	s_waitcnt vmcnt(34)
	v_fma_f64 v[95:96], v[114:115], v[100:101], v[95:96]
	ds_read2_b64 v[98:101], v97 offset0:57 offset1:58
	s_waitcnt vmcnt(32) lgkmcnt(1)
	v_fma_f64 v[95:96], v[116:117], v[102:103], v[95:96]
	s_waitcnt vmcnt(27)
	v_fma_f64 v[95:96], v[118:119], v[104:105], v[95:96]
	ds_read2_b64 v[102:105], v97 offset0:59 offset1:60
	s_waitcnt vmcnt(26) lgkmcnt(1)
	v_fma_f64 v[95:96], v[124:125], v[98:99], v[95:96]
	s_clause 0x7
	buffer_load_dword v115, off, s[0:3], 0 offset:196
	buffer_load_dword v116, off, s[0:3], 0 offset:216
	buffer_load_dword v118, off, s[0:3], 0 offset:208
	buffer_load_dword v124, off, s[0:3], 0 offset:200
	buffer_load_dword v114, off, s[0:3], 0 offset:192
	buffer_load_dword v125, off, s[0:3], 0 offset:204
	buffer_load_dword v119, off, s[0:3], 0 offset:212
	buffer_load_dword v117, off, s[0:3], 0 offset:220
	;; [unrolled: 19-line block ×6, first 2 shown]
	s_waitcnt vmcnt(33)
	v_fma_f64 v[95:96], v[118:119], v[100:101], v[95:96]
	ds_read2_b64 v[98:101], v97 offset0:77 offset1:78
	s_waitcnt vmcnt(32) lgkmcnt(1)
	v_fma_f64 v[95:96], v[116:117], v[102:103], v[95:96]
	s_waitcnt vmcnt(27)
	v_fma_f64 v[95:96], v[120:121], v[104:105], v[95:96]
	ds_read2_b64 v[102:105], v97 offset0:79 offset1:80
	s_waitcnt vmcnt(26) lgkmcnt(1)
	v_fma_f64 v[98:99], v[132:133], v[98:99], v[95:96]
	s_clause 0x5
	buffer_load_dword v117, off, s[0:3], 0 offset:356
	buffer_load_dword v118, off, s[0:3], 0 offset:368
	;; [unrolled: 1-line block ×6, first 2 shown]
	s_waitcnt vmcnt(31)
	v_fma_f64 v[98:99], v[126:127], v[100:101], v[98:99]
	s_waitcnt vmcnt(30) lgkmcnt(0)
	v_fma_f64 v[98:99], v[122:123], v[102:103], v[98:99]
	s_waitcnt vmcnt(25)
	v_fma_f64 v[120:121], v[128:129], v[104:105], v[98:99]
	ds_read2_b64 v[98:101], v97 offset0:81 offset1:82
	s_clause 0x1
	buffer_load_dword v122, off, s[0:3], 0
	buffer_load_dword v123, off, s[0:3], 0 offset:4
	ds_read2_b64 v[102:105], v97 offset0:83 offset1:84
	s_waitcnt vmcnt(26) lgkmcnt(1)
	v_fma_f64 v[98:99], v[140:141], v[98:99], v[120:121]
	s_waitcnt vmcnt(25)
	v_fma_f64 v[98:99], v[134:135], v[100:101], v[98:99]
	s_waitcnt vmcnt(24) lgkmcnt(0)
	v_fma_f64 v[98:99], v[130:131], v[102:103], v[98:99]
	s_waitcnt vmcnt(19)
	v_fma_f64 v[106:107], v[106:107], v[104:105], v[98:99]
	ds_read2_b64 v[98:101], v97 offset0:85 offset1:86
	ds_read2_b64 v[102:105], v97 offset0:87 offset1:88
	s_waitcnt vmcnt(18) lgkmcnt(1)
	v_fma_f64 v[98:99], v[138:139], v[98:99], v[106:107]
	s_waitcnt vmcnt(17)
	v_fma_f64 v[98:99], v[136:137], v[100:101], v[98:99]
	s_waitcnt vmcnt(16) lgkmcnt(0)
	v_fma_f64 v[98:99], v[112:113], v[102:103], v[98:99]
	s_waitcnt vmcnt(11)
	v_fma_f64 v[106:107], v[108:109], v[104:105], v[98:99]
	ds_read2_b64 v[98:101], v97 offset0:89 offset1:90
	ds_read2_b64 v[102:105], v97 offset0:91 offset1:92
	s_waitcnt vmcnt(10) lgkmcnt(1)
	v_fma_f64 v[98:99], v[124:125], v[98:99], v[106:107]
	s_waitcnt vmcnt(9)
	v_fma_f64 v[98:99], v[114:115], v[100:101], v[98:99]
	s_waitcnt vmcnt(8) lgkmcnt(0)
	v_fma_f64 v[98:99], v[110:111], v[102:103], v[98:99]
	s_waitcnt vmcnt(4)
	v_fma_f64 v[101:102], v[116:117], v[104:105], v[98:99]
	ds_read2_b64 v[97:100], v97 offset0:93 offset1:94
	s_waitcnt vmcnt(3) lgkmcnt(0)
	v_fma_f64 v[97:98], v[95:96], v[97:98], v[101:102]
	s_waitcnt vmcnt(2)
	v_fma_f64 v[97:98], v[118:119], v[99:100], v[97:98]
	s_waitcnt vmcnt(0)
	v_add_f64 v[97:98], v[122:123], -v[97:98]
	buffer_store_dword v98, off, s[0:3], 0 offset:4
	buffer_store_dword v97, off, s[0:3], 0
	s_cbranch_vccz .LBB110_384
; %bb.292:
	v_mov_b32_e32 v0, 0
	global_load_dword v97, v0, s[12:13] offset:180
	s_waitcnt vmcnt(0)
	v_add_nc_u32_e32 v97, -1, v97
	v_cmp_ne_u32_e32 vcc_lo, 45, v97
	s_cbranch_vccz .LBB110_294
; %bb.293:
	v_lshlrev_b32_e32 v97, 3, v97
	s_clause 0x1
	buffer_load_dword v98, v97, s[0:3], 0 offen
	buffer_load_dword v99, v97, s[0:3], 0 offen offset:4
	s_waitcnt vmcnt(1)
	buffer_store_dword v98, off, s[0:3], 0 offset:360
	s_waitcnt vmcnt(0)
	buffer_store_dword v99, off, s[0:3], 0 offset:364
	buffer_store_dword v95, v97, s[0:3], 0 offen
	buffer_store_dword v96, v97, s[0:3], 0 offen offset:4
.LBB110_294:
	global_load_dword v0, v0, s[12:13] offset:176
	s_waitcnt vmcnt(0)
	v_add_nc_u32_e32 v0, -1, v0
	v_cmp_eq_u32_e32 vcc_lo, 44, v0
	s_cbranch_vccnz .LBB110_296
; %bb.295:
	v_lshlrev_b32_e32 v0, 3, v0
	s_clause 0x3
	buffer_load_dword v95, v0, s[0:3], 0 offen
	buffer_load_dword v96, v0, s[0:3], 0 offen offset:4
	buffer_load_dword v97, off, s[0:3], 0 offset:356
	buffer_load_dword v98, off, s[0:3], 0 offset:352
	s_waitcnt vmcnt(3)
	buffer_store_dword v95, off, s[0:3], 0 offset:352
	s_waitcnt vmcnt(2)
	buffer_store_dword v96, off, s[0:3], 0 offset:356
	s_waitcnt vmcnt(1)
	buffer_store_dword v97, v0, s[0:3], 0 offen offset:4
	s_waitcnt vmcnt(0)
	buffer_store_dword v98, v0, s[0:3], 0 offen
.LBB110_296:
	v_mov_b32_e32 v0, 0
	global_load_dword v95, v0, s[12:13] offset:172
	s_waitcnt vmcnt(0)
	v_add_nc_u32_e32 v95, -1, v95
	v_cmp_eq_u32_e32 vcc_lo, 43, v95
	s_cbranch_vccnz .LBB110_298
; %bb.297:
	v_lshlrev_b32_e32 v95, 3, v95
	s_clause 0x3
	buffer_load_dword v96, v95, s[0:3], 0 offen
	buffer_load_dword v97, v95, s[0:3], 0 offen offset:4
	buffer_load_dword v98, off, s[0:3], 0 offset:344
	buffer_load_dword v99, off, s[0:3], 0 offset:348
	s_waitcnt vmcnt(3)
	buffer_store_dword v96, off, s[0:3], 0 offset:344
	s_waitcnt vmcnt(2)
	buffer_store_dword v97, off, s[0:3], 0 offset:348
	s_waitcnt vmcnt(1)
	buffer_store_dword v98, v95, s[0:3], 0 offen
	s_waitcnt vmcnt(0)
	buffer_store_dword v99, v95, s[0:3], 0 offen offset:4
.LBB110_298:
	global_load_dword v0, v0, s[12:13] offset:168
	s_waitcnt vmcnt(0)
	v_add_nc_u32_e32 v0, -1, v0
	v_cmp_eq_u32_e32 vcc_lo, 42, v0
	s_cbranch_vccnz .LBB110_300
; %bb.299:
	v_lshlrev_b32_e32 v0, 3, v0
	s_clause 0x3
	buffer_load_dword v95, v0, s[0:3], 0 offen
	buffer_load_dword v96, v0, s[0:3], 0 offen offset:4
	buffer_load_dword v97, off, s[0:3], 0 offset:340
	buffer_load_dword v98, off, s[0:3], 0 offset:336
	s_waitcnt vmcnt(3)
	buffer_store_dword v95, off, s[0:3], 0 offset:336
	s_waitcnt vmcnt(2)
	buffer_store_dword v96, off, s[0:3], 0 offset:340
	s_waitcnt vmcnt(1)
	buffer_store_dword v97, v0, s[0:3], 0 offen offset:4
	s_waitcnt vmcnt(0)
	buffer_store_dword v98, v0, s[0:3], 0 offen
.LBB110_300:
	v_mov_b32_e32 v0, 0
	global_load_dword v95, v0, s[12:13] offset:164
	s_waitcnt vmcnt(0)
	v_add_nc_u32_e32 v95, -1, v95
	v_cmp_eq_u32_e32 vcc_lo, 41, v95
	s_cbranch_vccnz .LBB110_302
; %bb.301:
	v_lshlrev_b32_e32 v95, 3, v95
	s_clause 0x3
	buffer_load_dword v96, v95, s[0:3], 0 offen
	buffer_load_dword v97, v95, s[0:3], 0 offen offset:4
	buffer_load_dword v98, off, s[0:3], 0 offset:328
	buffer_load_dword v99, off, s[0:3], 0 offset:332
	s_waitcnt vmcnt(3)
	buffer_store_dword v96, off, s[0:3], 0 offset:328
	s_waitcnt vmcnt(2)
	buffer_store_dword v97, off, s[0:3], 0 offset:332
	s_waitcnt vmcnt(1)
	buffer_store_dword v98, v95, s[0:3], 0 offen
	s_waitcnt vmcnt(0)
	buffer_store_dword v99, v95, s[0:3], 0 offen offset:4
.LBB110_302:
	;; [unrolled: 43-line block ×22, first 2 shown]
	global_load_dword v0, v0, s[12:13]
	s_clause 0x1
	buffer_load_dword v97, off, s[0:3], 0
	buffer_load_dword v98, off, s[0:3], 0 offset:4
	s_waitcnt vmcnt(2)
	v_add_nc_u32_e32 v0, -1, v0
	v_cmp_eq_u32_e32 vcc_lo, 0, v0
	s_cbranch_vccnz .LBB110_384
; %bb.383:
	v_lshlrev_b32_e32 v0, 3, v0
	s_clause 0x1
	buffer_load_dword v95, v0, s[0:3], 0 offen offset:4
	buffer_load_dword v96, v0, s[0:3], 0 offen
	s_waitcnt vmcnt(1)
	buffer_store_dword v95, off, s[0:3], 0 offset:4
	s_waitcnt vmcnt(0)
	buffer_store_dword v96, off, s[0:3], 0
	buffer_store_dword v98, v0, s[0:3], 0 offen offset:4
	buffer_store_dword v97, v0, s[0:3], 0 offen
	s_clause 0x1
	buffer_load_dword v97, off, s[0:3], 0
	buffer_load_dword v98, off, s[0:3], 0 offset:4
.LBB110_384:
	s_waitcnt vmcnt(0)
	flat_store_dwordx2 v[1:2], v[97:98]
	s_clause 0x1
	buffer_load_dword v0, off, s[0:3], 0 offset:8
	buffer_load_dword v1, off, s[0:3], 0 offset:12
	s_waitcnt vmcnt(0)
	flat_store_dwordx2 v[3:4], v[0:1]
	s_clause 0x1
	buffer_load_dword v0, off, s[0:3], 0 offset:16
	buffer_load_dword v1, off, s[0:3], 0 offset:20
	;; [unrolled: 5-line block ×46, first 2 shown]
	s_waitcnt vmcnt(0)
	flat_store_dwordx2 v[93:94], v[0:1]
	s_endpgm
	.section	.rodata,"a",@progbits
	.p2align	6, 0x0
	.amdhsa_kernel _ZN9rocsolver6v33100L18getri_kernel_smallILi47EdPKPdEEvT1_iilPiilS6_bb
		.amdhsa_group_segment_fixed_size 760
		.amdhsa_private_segment_fixed_size 384
		.amdhsa_kernarg_size 60
		.amdhsa_user_sgpr_count 6
		.amdhsa_user_sgpr_private_segment_buffer 1
		.amdhsa_user_sgpr_dispatch_ptr 0
		.amdhsa_user_sgpr_queue_ptr 0
		.amdhsa_user_sgpr_kernarg_segment_ptr 1
		.amdhsa_user_sgpr_dispatch_id 0
		.amdhsa_user_sgpr_flat_scratch_init 0
		.amdhsa_user_sgpr_private_segment_size 0
		.amdhsa_wavefront_size32 1
		.amdhsa_uses_dynamic_stack 0
		.amdhsa_system_sgpr_private_segment_wavefront_offset 1
		.amdhsa_system_sgpr_workgroup_id_x 1
		.amdhsa_system_sgpr_workgroup_id_y 0
		.amdhsa_system_sgpr_workgroup_id_z 0
		.amdhsa_system_sgpr_workgroup_info 0
		.amdhsa_system_vgpr_workitem_id 0
		.amdhsa_next_free_vgpr 142
		.amdhsa_next_free_sgpr 20
		.amdhsa_reserve_vcc 1
		.amdhsa_reserve_flat_scratch 0
		.amdhsa_float_round_mode_32 0
		.amdhsa_float_round_mode_16_64 0
		.amdhsa_float_denorm_mode_32 3
		.amdhsa_float_denorm_mode_16_64 3
		.amdhsa_dx10_clamp 1
		.amdhsa_ieee_mode 1
		.amdhsa_fp16_overflow 0
		.amdhsa_workgroup_processor_mode 1
		.amdhsa_memory_ordered 1
		.amdhsa_forward_progress 1
		.amdhsa_shared_vgpr_count 0
		.amdhsa_exception_fp_ieee_invalid_op 0
		.amdhsa_exception_fp_denorm_src 0
		.amdhsa_exception_fp_ieee_div_zero 0
		.amdhsa_exception_fp_ieee_overflow 0
		.amdhsa_exception_fp_ieee_underflow 0
		.amdhsa_exception_fp_ieee_inexact 0
		.amdhsa_exception_int_div_zero 0
	.end_amdhsa_kernel
	.section	.text._ZN9rocsolver6v33100L18getri_kernel_smallILi47EdPKPdEEvT1_iilPiilS6_bb,"axG",@progbits,_ZN9rocsolver6v33100L18getri_kernel_smallILi47EdPKPdEEvT1_iilPiilS6_bb,comdat
.Lfunc_end110:
	.size	_ZN9rocsolver6v33100L18getri_kernel_smallILi47EdPKPdEEvT1_iilPiilS6_bb, .Lfunc_end110-_ZN9rocsolver6v33100L18getri_kernel_smallILi47EdPKPdEEvT1_iilPiilS6_bb
                                        ; -- End function
	.set _ZN9rocsolver6v33100L18getri_kernel_smallILi47EdPKPdEEvT1_iilPiilS6_bb.num_vgpr, 142
	.set _ZN9rocsolver6v33100L18getri_kernel_smallILi47EdPKPdEEvT1_iilPiilS6_bb.num_agpr, 0
	.set _ZN9rocsolver6v33100L18getri_kernel_smallILi47EdPKPdEEvT1_iilPiilS6_bb.numbered_sgpr, 20
	.set _ZN9rocsolver6v33100L18getri_kernel_smallILi47EdPKPdEEvT1_iilPiilS6_bb.num_named_barrier, 0
	.set _ZN9rocsolver6v33100L18getri_kernel_smallILi47EdPKPdEEvT1_iilPiilS6_bb.private_seg_size, 384
	.set _ZN9rocsolver6v33100L18getri_kernel_smallILi47EdPKPdEEvT1_iilPiilS6_bb.uses_vcc, 1
	.set _ZN9rocsolver6v33100L18getri_kernel_smallILi47EdPKPdEEvT1_iilPiilS6_bb.uses_flat_scratch, 0
	.set _ZN9rocsolver6v33100L18getri_kernel_smallILi47EdPKPdEEvT1_iilPiilS6_bb.has_dyn_sized_stack, 0
	.set _ZN9rocsolver6v33100L18getri_kernel_smallILi47EdPKPdEEvT1_iilPiilS6_bb.has_recursion, 0
	.set _ZN9rocsolver6v33100L18getri_kernel_smallILi47EdPKPdEEvT1_iilPiilS6_bb.has_indirect_call, 0
	.section	.AMDGPU.csdata,"",@progbits
; Kernel info:
; codeLenInByte = 61860
; TotalNumSgprs: 22
; NumVgprs: 142
; ScratchSize: 384
; MemoryBound: 1
; FloatMode: 240
; IeeeMode: 1
; LDSByteSize: 760 bytes/workgroup (compile time only)
; SGPRBlocks: 0
; VGPRBlocks: 17
; NumSGPRsForWavesPerEU: 22
; NumVGPRsForWavesPerEU: 142
; Occupancy: 7
; WaveLimiterHint : 1
; COMPUTE_PGM_RSRC2:SCRATCH_EN: 1
; COMPUTE_PGM_RSRC2:USER_SGPR: 6
; COMPUTE_PGM_RSRC2:TRAP_HANDLER: 0
; COMPUTE_PGM_RSRC2:TGID_X_EN: 1
; COMPUTE_PGM_RSRC2:TGID_Y_EN: 0
; COMPUTE_PGM_RSRC2:TGID_Z_EN: 0
; COMPUTE_PGM_RSRC2:TIDIG_COMP_CNT: 0
	.section	.text._ZN9rocsolver6v33100L18getri_kernel_smallILi48EdPKPdEEvT1_iilPiilS6_bb,"axG",@progbits,_ZN9rocsolver6v33100L18getri_kernel_smallILi48EdPKPdEEvT1_iilPiilS6_bb,comdat
	.globl	_ZN9rocsolver6v33100L18getri_kernel_smallILi48EdPKPdEEvT1_iilPiilS6_bb ; -- Begin function _ZN9rocsolver6v33100L18getri_kernel_smallILi48EdPKPdEEvT1_iilPiilS6_bb
	.p2align	8
	.type	_ZN9rocsolver6v33100L18getri_kernel_smallILi48EdPKPdEEvT1_iilPiilS6_bb,@function
_ZN9rocsolver6v33100L18getri_kernel_smallILi48EdPKPdEEvT1_iilPiilS6_bb: ; @_ZN9rocsolver6v33100L18getri_kernel_smallILi48EdPKPdEEvT1_iilPiilS6_bb
; %bb.0:
	s_add_u32 s0, s0, s7
	s_addc_u32 s1, s1, 0
	s_mov_b32 s7, exec_lo
	v_cmpx_gt_u32_e32 48, v0
	s_cbranch_execz .LBB111_202
; %bb.1:
	s_clause 0x2
	s_load_dword s17, s[4:5], 0x38
	s_load_dwordx2 s[12:13], s[4:5], 0x0
	s_load_dwordx4 s[8:11], s[4:5], 0x28
	s_waitcnt lgkmcnt(0)
	s_bitcmp1_b32 s17, 8
	s_cselect_b32 s16, -1, 0
	s_ashr_i32 s7, s6, 31
	s_lshl_b64 s[14:15], s[6:7], 3
	s_add_u32 s12, s12, s14
	s_addc_u32 s13, s13, s15
	s_load_dwordx2 s[14:15], s[12:13], 0x0
	s_bfe_u32 s12, s17, 0x10008
	s_cmp_eq_u32 s12, 0
                                        ; implicit-def: $sgpr12_sgpr13
	s_cbranch_scc1 .LBB111_3
; %bb.2:
	s_clause 0x1
	s_load_dword s12, s[4:5], 0x20
	s_load_dwordx2 s[18:19], s[4:5], 0x18
	s_mul_i32 s13, s8, s7
	s_mul_hi_u32 s17, s8, s6
	s_mul_i32 s9, s9, s6
	s_add_i32 s13, s17, s13
	s_mul_i32 s8, s8, s6
	s_add_i32 s9, s13, s9
	s_lshl_b64 s[8:9], s[8:9], 2
	s_waitcnt lgkmcnt(0)
	s_ashr_i32 s13, s12, 31
	s_add_u32 s17, s18, s8
	s_addc_u32 s18, s19, s9
	s_lshl_b64 s[8:9], s[12:13], 2
	s_add_u32 s12, s17, s8
	s_addc_u32 s13, s18, s9
.LBB111_3:
	s_clause 0x1
	s_load_dwordx2 s[8:9], s[4:5], 0x8
	s_load_dword s17, s[4:5], 0x38
	v_lshlrev_b32_e32 v99, 3, v0
	s_waitcnt lgkmcnt(0)
	s_ashr_i32 s5, s8, 31
	s_mov_b32 s4, s8
	v_add3_u32 v9, s9, s9, v0
	s_lshl_b64 s[4:5], s[4:5], 3
	s_add_u32 s4, s14, s4
	s_addc_u32 s5, s15, s5
	v_add_co_u32 v1, s8, s4, v99
	v_add_co_ci_u32_e64 v2, null, s5, 0, s8
	s_mov_b32 s14, s9
	s_ashr_i32 s15, s9, 31
	v_ashrrev_i32_e32 v10, 31, v9
	flat_load_dwordx2 v[5:6], v[1:2]
	s_lshl_b64 s[14:15], s[14:15], 3
	v_add_nc_u32_e32 v12, s9, v9
	v_add_co_u32 v3, vcc_lo, v1, s14
	v_add_co_ci_u32_e64 v4, null, s15, v2, vcc_lo
	v_ashrrev_i32_e32 v13, 31, v12
	s_bitcmp0_b32 s17, 0
	s_waitcnt vmcnt(0) lgkmcnt(0)
	buffer_store_dword v6, off, s[0:3], 0 offset:4
	buffer_store_dword v5, off, s[0:3], 0
	flat_load_dwordx2 v[7:8], v[3:4]
	v_lshlrev_b64 v[5:6], 3, v[9:10]
	s_waitcnt vmcnt(0) lgkmcnt(0)
	buffer_store_dword v8, off, s[0:3], 0 offset:12
	buffer_store_dword v7, off, s[0:3], 0 offset:8
	v_add_co_u32 v5, vcc_lo, s4, v5
	v_add_co_ci_u32_e64 v6, null, s5, v6, vcc_lo
	v_lshlrev_b64 v[7:8], 3, v[12:13]
	flat_load_dwordx2 v[10:11], v[5:6]
	s_waitcnt vmcnt(0) lgkmcnt(0)
	buffer_store_dword v11, off, s[0:3], 0 offset:20
	buffer_store_dword v10, off, s[0:3], 0 offset:16
	v_add_co_u32 v7, vcc_lo, s4, v7
	v_add_co_ci_u32_e64 v8, null, s5, v8, vcc_lo
	v_add_nc_u32_e32 v11, s9, v12
	flat_load_dwordx2 v[13:14], v[7:8]
	s_waitcnt vmcnt(0) lgkmcnt(0)
	buffer_store_dword v14, off, s[0:3], 0 offset:28
	buffer_store_dword v13, off, s[0:3], 0 offset:24
	v_ashrrev_i32_e32 v12, 31, v11
	v_add_nc_u32_e32 v15, s9, v11
	v_lshlrev_b64 v[9:10], 3, v[11:12]
	v_ashrrev_i32_e32 v16, 31, v15
	v_add_nc_u32_e32 v18, s9, v15
	v_add_co_u32 v9, vcc_lo, s4, v9
	v_add_co_ci_u32_e64 v10, null, s5, v10, vcc_lo
	v_lshlrev_b64 v[11:12], 3, v[15:16]
	v_ashrrev_i32_e32 v19, 31, v18
	flat_load_dwordx2 v[13:14], v[9:10]
	s_waitcnt vmcnt(0) lgkmcnt(0)
	buffer_store_dword v14, off, s[0:3], 0 offset:36
	buffer_store_dword v13, off, s[0:3], 0 offset:32
	v_add_co_u32 v11, vcc_lo, s4, v11
	v_add_co_ci_u32_e64 v12, null, s5, v12, vcc_lo
	v_lshlrev_b64 v[13:14], 3, v[18:19]
	flat_load_dwordx2 v[16:17], v[11:12]
	s_waitcnt vmcnt(0) lgkmcnt(0)
	buffer_store_dword v17, off, s[0:3], 0 offset:44
	buffer_store_dword v16, off, s[0:3], 0 offset:40
	v_add_co_u32 v13, vcc_lo, s4, v13
	v_add_co_ci_u32_e64 v14, null, s5, v14, vcc_lo
	v_add_nc_u32_e32 v17, s9, v18
	flat_load_dwordx2 v[19:20], v[13:14]
	s_waitcnt vmcnt(0) lgkmcnt(0)
	buffer_store_dword v20, off, s[0:3], 0 offset:52
	buffer_store_dword v19, off, s[0:3], 0 offset:48
	v_ashrrev_i32_e32 v18, 31, v17
	v_add_nc_u32_e32 v21, s9, v17
	v_lshlrev_b64 v[15:16], 3, v[17:18]
	v_ashrrev_i32_e32 v22, 31, v21
	v_add_nc_u32_e32 v24, s9, v21
	v_add_co_u32 v15, vcc_lo, s4, v15
	v_add_co_ci_u32_e64 v16, null, s5, v16, vcc_lo
	v_lshlrev_b64 v[17:18], 3, v[21:22]
	v_ashrrev_i32_e32 v25, 31, v24
	flat_load_dwordx2 v[19:20], v[15:16]
	s_waitcnt vmcnt(0) lgkmcnt(0)
	buffer_store_dword v20, off, s[0:3], 0 offset:60
	buffer_store_dword v19, off, s[0:3], 0 offset:56
	v_add_co_u32 v17, vcc_lo, s4, v17
	v_add_co_ci_u32_e64 v18, null, s5, v18, vcc_lo
	v_lshlrev_b64 v[19:20], 3, v[24:25]
	flat_load_dwordx2 v[22:23], v[17:18]
	s_waitcnt vmcnt(0) lgkmcnt(0)
	buffer_store_dword v23, off, s[0:3], 0 offset:68
	buffer_store_dword v22, off, s[0:3], 0 offset:64
	v_add_co_u32 v19, vcc_lo, s4, v19
	v_add_co_ci_u32_e64 v20, null, s5, v20, vcc_lo
	v_add_nc_u32_e32 v23, s9, v24
	flat_load_dwordx2 v[25:26], v[19:20]
	s_waitcnt vmcnt(0) lgkmcnt(0)
	buffer_store_dword v26, off, s[0:3], 0 offset:76
	buffer_store_dword v25, off, s[0:3], 0 offset:72
	v_ashrrev_i32_e32 v24, 31, v23
	v_add_nc_u32_e32 v27, s9, v23
	v_lshlrev_b64 v[21:22], 3, v[23:24]
	v_ashrrev_i32_e32 v28, 31, v27
	v_add_nc_u32_e32 v30, s9, v27
	v_add_co_u32 v21, vcc_lo, s4, v21
	v_add_co_ci_u32_e64 v22, null, s5, v22, vcc_lo
	v_lshlrev_b64 v[23:24], 3, v[27:28]
	v_ashrrev_i32_e32 v31, 31, v30
	flat_load_dwordx2 v[25:26], v[21:22]
	s_waitcnt vmcnt(0) lgkmcnt(0)
	buffer_store_dword v26, off, s[0:3], 0 offset:84
	buffer_store_dword v25, off, s[0:3], 0 offset:80
	v_add_co_u32 v23, vcc_lo, s4, v23
	v_add_co_ci_u32_e64 v24, null, s5, v24, vcc_lo
	v_lshlrev_b64 v[25:26], 3, v[30:31]
	flat_load_dwordx2 v[28:29], v[23:24]
	s_waitcnt vmcnt(0) lgkmcnt(0)
	buffer_store_dword v29, off, s[0:3], 0 offset:92
	buffer_store_dword v28, off, s[0:3], 0 offset:88
	v_add_co_u32 v25, vcc_lo, s4, v25
	v_add_co_ci_u32_e64 v26, null, s5, v26, vcc_lo
	v_add_nc_u32_e32 v29, s9, v30
	flat_load_dwordx2 v[31:32], v[25:26]
	s_waitcnt vmcnt(0) lgkmcnt(0)
	buffer_store_dword v32, off, s[0:3], 0 offset:100
	buffer_store_dword v31, off, s[0:3], 0 offset:96
	v_ashrrev_i32_e32 v30, 31, v29
	v_add_nc_u32_e32 v33, s9, v29
	v_lshlrev_b64 v[27:28], 3, v[29:30]
	v_ashrrev_i32_e32 v34, 31, v33
	v_add_nc_u32_e32 v36, s9, v33
	v_add_co_u32 v27, vcc_lo, s4, v27
	v_add_co_ci_u32_e64 v28, null, s5, v28, vcc_lo
	v_lshlrev_b64 v[29:30], 3, v[33:34]
	v_ashrrev_i32_e32 v37, 31, v36
	flat_load_dwordx2 v[31:32], v[27:28]
	s_waitcnt vmcnt(0) lgkmcnt(0)
	buffer_store_dword v32, off, s[0:3], 0 offset:108
	buffer_store_dword v31, off, s[0:3], 0 offset:104
	v_add_co_u32 v29, vcc_lo, s4, v29
	v_add_co_ci_u32_e64 v30, null, s5, v30, vcc_lo
	v_lshlrev_b64 v[31:32], 3, v[36:37]
	flat_load_dwordx2 v[34:35], v[29:30]
	s_waitcnt vmcnt(0) lgkmcnt(0)
	buffer_store_dword v35, off, s[0:3], 0 offset:116
	buffer_store_dword v34, off, s[0:3], 0 offset:112
	v_add_co_u32 v31, vcc_lo, s4, v31
	v_add_co_ci_u32_e64 v32, null, s5, v32, vcc_lo
	v_add_nc_u32_e32 v35, s9, v36
	flat_load_dwordx2 v[37:38], v[31:32]
	s_waitcnt vmcnt(0) lgkmcnt(0)
	buffer_store_dword v38, off, s[0:3], 0 offset:124
	buffer_store_dword v37, off, s[0:3], 0 offset:120
	v_ashrrev_i32_e32 v36, 31, v35
	v_add_nc_u32_e32 v39, s9, v35
	v_lshlrev_b64 v[33:34], 3, v[35:36]
	v_ashrrev_i32_e32 v40, 31, v39
	v_add_nc_u32_e32 v42, s9, v39
	v_add_co_u32 v33, vcc_lo, s4, v33
	v_add_co_ci_u32_e64 v34, null, s5, v34, vcc_lo
	v_lshlrev_b64 v[35:36], 3, v[39:40]
	v_ashrrev_i32_e32 v43, 31, v42
	flat_load_dwordx2 v[37:38], v[33:34]
	s_waitcnt vmcnt(0) lgkmcnt(0)
	buffer_store_dword v38, off, s[0:3], 0 offset:132
	buffer_store_dword v37, off, s[0:3], 0 offset:128
	v_add_co_u32 v35, vcc_lo, s4, v35
	v_add_co_ci_u32_e64 v36, null, s5, v36, vcc_lo
	v_lshlrev_b64 v[37:38], 3, v[42:43]
	flat_load_dwordx2 v[40:41], v[35:36]
	s_waitcnt vmcnt(0) lgkmcnt(0)
	buffer_store_dword v41, off, s[0:3], 0 offset:140
	buffer_store_dword v40, off, s[0:3], 0 offset:136
	v_add_co_u32 v37, vcc_lo, s4, v37
	v_add_co_ci_u32_e64 v38, null, s5, v38, vcc_lo
	v_add_nc_u32_e32 v41, s9, v42
	flat_load_dwordx2 v[43:44], v[37:38]
	s_waitcnt vmcnt(0) lgkmcnt(0)
	buffer_store_dword v44, off, s[0:3], 0 offset:148
	buffer_store_dword v43, off, s[0:3], 0 offset:144
	v_ashrrev_i32_e32 v42, 31, v41
	v_add_nc_u32_e32 v45, s9, v41
	v_lshlrev_b64 v[39:40], 3, v[41:42]
	v_ashrrev_i32_e32 v46, 31, v45
	v_add_nc_u32_e32 v48, s9, v45
	v_add_co_u32 v39, vcc_lo, s4, v39
	v_add_co_ci_u32_e64 v40, null, s5, v40, vcc_lo
	v_lshlrev_b64 v[41:42], 3, v[45:46]
	v_ashrrev_i32_e32 v49, 31, v48
	flat_load_dwordx2 v[43:44], v[39:40]
	s_waitcnt vmcnt(0) lgkmcnt(0)
	buffer_store_dword v44, off, s[0:3], 0 offset:156
	buffer_store_dword v43, off, s[0:3], 0 offset:152
	v_add_co_u32 v41, vcc_lo, s4, v41
	v_add_co_ci_u32_e64 v42, null, s5, v42, vcc_lo
	v_lshlrev_b64 v[43:44], 3, v[48:49]
	flat_load_dwordx2 v[46:47], v[41:42]
	s_waitcnt vmcnt(0) lgkmcnt(0)
	buffer_store_dword v47, off, s[0:3], 0 offset:164
	buffer_store_dword v46, off, s[0:3], 0 offset:160
	v_add_co_u32 v43, vcc_lo, s4, v43
	v_add_co_ci_u32_e64 v44, null, s5, v44, vcc_lo
	v_add_nc_u32_e32 v47, s9, v48
	flat_load_dwordx2 v[49:50], v[43:44]
	s_waitcnt vmcnt(0) lgkmcnt(0)
	buffer_store_dword v50, off, s[0:3], 0 offset:172
	buffer_store_dword v49, off, s[0:3], 0 offset:168
	v_ashrrev_i32_e32 v48, 31, v47
	v_add_nc_u32_e32 v51, s9, v47
	v_lshlrev_b64 v[45:46], 3, v[47:48]
	v_ashrrev_i32_e32 v52, 31, v51
	v_add_nc_u32_e32 v54, s9, v51
	v_add_co_u32 v45, vcc_lo, s4, v45
	v_add_co_ci_u32_e64 v46, null, s5, v46, vcc_lo
	v_lshlrev_b64 v[47:48], 3, v[51:52]
	v_ashrrev_i32_e32 v55, 31, v54
	flat_load_dwordx2 v[49:50], v[45:46]
	s_waitcnt vmcnt(0) lgkmcnt(0)
	buffer_store_dword v50, off, s[0:3], 0 offset:180
	buffer_store_dword v49, off, s[0:3], 0 offset:176
	v_add_co_u32 v47, vcc_lo, s4, v47
	v_add_co_ci_u32_e64 v48, null, s5, v48, vcc_lo
	v_lshlrev_b64 v[49:50], 3, v[54:55]
	flat_load_dwordx2 v[52:53], v[47:48]
	s_waitcnt vmcnt(0) lgkmcnt(0)
	buffer_store_dword v53, off, s[0:3], 0 offset:188
	buffer_store_dword v52, off, s[0:3], 0 offset:184
	v_add_co_u32 v49, vcc_lo, s4, v49
	v_add_co_ci_u32_e64 v50, null, s5, v50, vcc_lo
	v_add_nc_u32_e32 v53, s9, v54
	flat_load_dwordx2 v[55:56], v[49:50]
	s_waitcnt vmcnt(0) lgkmcnt(0)
	buffer_store_dword v56, off, s[0:3], 0 offset:196
	buffer_store_dword v55, off, s[0:3], 0 offset:192
	v_ashrrev_i32_e32 v54, 31, v53
	v_add_nc_u32_e32 v57, s9, v53
	v_lshlrev_b64 v[51:52], 3, v[53:54]
	v_ashrrev_i32_e32 v58, 31, v57
	v_add_nc_u32_e32 v60, s9, v57
	v_add_co_u32 v51, vcc_lo, s4, v51
	v_add_co_ci_u32_e64 v52, null, s5, v52, vcc_lo
	v_lshlrev_b64 v[53:54], 3, v[57:58]
	v_ashrrev_i32_e32 v61, 31, v60
	flat_load_dwordx2 v[55:56], v[51:52]
	s_waitcnt vmcnt(0) lgkmcnt(0)
	buffer_store_dword v56, off, s[0:3], 0 offset:204
	buffer_store_dword v55, off, s[0:3], 0 offset:200
	v_add_co_u32 v53, vcc_lo, s4, v53
	v_add_co_ci_u32_e64 v54, null, s5, v54, vcc_lo
	v_lshlrev_b64 v[55:56], 3, v[60:61]
	flat_load_dwordx2 v[58:59], v[53:54]
	s_waitcnt vmcnt(0) lgkmcnt(0)
	buffer_store_dword v59, off, s[0:3], 0 offset:212
	buffer_store_dword v58, off, s[0:3], 0 offset:208
	v_add_co_u32 v55, vcc_lo, s4, v55
	v_add_co_ci_u32_e64 v56, null, s5, v56, vcc_lo
	v_add_nc_u32_e32 v59, s9, v60
	flat_load_dwordx2 v[61:62], v[55:56]
	s_waitcnt vmcnt(0) lgkmcnt(0)
	buffer_store_dword v62, off, s[0:3], 0 offset:220
	buffer_store_dword v61, off, s[0:3], 0 offset:216
	v_ashrrev_i32_e32 v60, 31, v59
	v_add_nc_u32_e32 v63, s9, v59
	v_lshlrev_b64 v[57:58], 3, v[59:60]
	v_ashrrev_i32_e32 v64, 31, v63
	v_add_nc_u32_e32 v66, s9, v63
	v_add_co_u32 v57, vcc_lo, s4, v57
	v_add_co_ci_u32_e64 v58, null, s5, v58, vcc_lo
	v_lshlrev_b64 v[59:60], 3, v[63:64]
	v_ashrrev_i32_e32 v67, 31, v66
	flat_load_dwordx2 v[61:62], v[57:58]
	s_waitcnt vmcnt(0) lgkmcnt(0)
	buffer_store_dword v62, off, s[0:3], 0 offset:228
	buffer_store_dword v61, off, s[0:3], 0 offset:224
	v_add_co_u32 v59, vcc_lo, s4, v59
	v_add_co_ci_u32_e64 v60, null, s5, v60, vcc_lo
	v_lshlrev_b64 v[61:62], 3, v[66:67]
	flat_load_dwordx2 v[64:65], v[59:60]
	s_waitcnt vmcnt(0) lgkmcnt(0)
	buffer_store_dword v65, off, s[0:3], 0 offset:236
	buffer_store_dword v64, off, s[0:3], 0 offset:232
	v_add_co_u32 v61, vcc_lo, s4, v61
	v_add_co_ci_u32_e64 v62, null, s5, v62, vcc_lo
	v_add_nc_u32_e32 v65, s9, v66
	flat_load_dwordx2 v[67:68], v[61:62]
	s_waitcnt vmcnt(0) lgkmcnt(0)
	buffer_store_dword v68, off, s[0:3], 0 offset:244
	buffer_store_dword v67, off, s[0:3], 0 offset:240
	v_ashrrev_i32_e32 v66, 31, v65
	v_add_nc_u32_e32 v69, s9, v65
	v_lshlrev_b64 v[63:64], 3, v[65:66]
	v_ashrrev_i32_e32 v70, 31, v69
	v_add_nc_u32_e32 v72, s9, v69
	v_add_co_u32 v63, vcc_lo, s4, v63
	v_add_co_ci_u32_e64 v64, null, s5, v64, vcc_lo
	v_lshlrev_b64 v[65:66], 3, v[69:70]
	v_ashrrev_i32_e32 v73, 31, v72
	flat_load_dwordx2 v[67:68], v[63:64]
	s_waitcnt vmcnt(0) lgkmcnt(0)
	buffer_store_dword v68, off, s[0:3], 0 offset:252
	buffer_store_dword v67, off, s[0:3], 0 offset:248
	v_add_co_u32 v65, vcc_lo, s4, v65
	v_add_co_ci_u32_e64 v66, null, s5, v66, vcc_lo
	v_lshlrev_b64 v[67:68], 3, v[72:73]
	flat_load_dwordx2 v[70:71], v[65:66]
	s_waitcnt vmcnt(0) lgkmcnt(0)
	buffer_store_dword v71, off, s[0:3], 0 offset:260
	buffer_store_dword v70, off, s[0:3], 0 offset:256
	v_add_co_u32 v67, vcc_lo, s4, v67
	v_add_co_ci_u32_e64 v68, null, s5, v68, vcc_lo
	v_add_nc_u32_e32 v71, s9, v72
	flat_load_dwordx2 v[73:74], v[67:68]
	s_waitcnt vmcnt(0) lgkmcnt(0)
	buffer_store_dword v74, off, s[0:3], 0 offset:268
	buffer_store_dword v73, off, s[0:3], 0 offset:264
	v_ashrrev_i32_e32 v72, 31, v71
	v_add_nc_u32_e32 v75, s9, v71
	v_lshlrev_b64 v[69:70], 3, v[71:72]
	v_ashrrev_i32_e32 v76, 31, v75
	v_add_nc_u32_e32 v78, s9, v75
	v_add_co_u32 v69, vcc_lo, s4, v69
	v_add_co_ci_u32_e64 v70, null, s5, v70, vcc_lo
	v_lshlrev_b64 v[71:72], 3, v[75:76]
	v_ashrrev_i32_e32 v79, 31, v78
	flat_load_dwordx2 v[73:74], v[69:70]
	s_waitcnt vmcnt(0) lgkmcnt(0)
	buffer_store_dword v74, off, s[0:3], 0 offset:276
	buffer_store_dword v73, off, s[0:3], 0 offset:272
	v_add_co_u32 v71, vcc_lo, s4, v71
	v_add_co_ci_u32_e64 v72, null, s5, v72, vcc_lo
	v_lshlrev_b64 v[73:74], 3, v[78:79]
	flat_load_dwordx2 v[76:77], v[71:72]
	s_waitcnt vmcnt(0) lgkmcnt(0)
	buffer_store_dword v77, off, s[0:3], 0 offset:284
	buffer_store_dword v76, off, s[0:3], 0 offset:280
	v_add_co_u32 v73, vcc_lo, s4, v73
	v_add_co_ci_u32_e64 v74, null, s5, v74, vcc_lo
	v_add_nc_u32_e32 v77, s9, v78
	flat_load_dwordx2 v[79:80], v[73:74]
	s_waitcnt vmcnt(0) lgkmcnt(0)
	buffer_store_dword v80, off, s[0:3], 0 offset:292
	buffer_store_dword v79, off, s[0:3], 0 offset:288
	v_ashrrev_i32_e32 v78, 31, v77
	v_add_nc_u32_e32 v81, s9, v77
	v_lshlrev_b64 v[75:76], 3, v[77:78]
	v_ashrrev_i32_e32 v82, 31, v81
	v_add_nc_u32_e32 v84, s9, v81
	v_add_co_u32 v75, vcc_lo, s4, v75
	v_add_co_ci_u32_e64 v76, null, s5, v76, vcc_lo
	v_lshlrev_b64 v[77:78], 3, v[81:82]
	v_ashrrev_i32_e32 v85, 31, v84
	flat_load_dwordx2 v[79:80], v[75:76]
	s_waitcnt vmcnt(0) lgkmcnt(0)
	buffer_store_dword v80, off, s[0:3], 0 offset:300
	buffer_store_dword v79, off, s[0:3], 0 offset:296
	v_add_co_u32 v77, vcc_lo, s4, v77
	v_add_co_ci_u32_e64 v78, null, s5, v78, vcc_lo
	v_lshlrev_b64 v[79:80], 3, v[84:85]
	flat_load_dwordx2 v[82:83], v[77:78]
	s_waitcnt vmcnt(0) lgkmcnt(0)
	buffer_store_dword v83, off, s[0:3], 0 offset:308
	buffer_store_dword v82, off, s[0:3], 0 offset:304
	v_add_co_u32 v79, vcc_lo, s4, v79
	v_add_co_ci_u32_e64 v80, null, s5, v80, vcc_lo
	v_add_nc_u32_e32 v83, s9, v84
	flat_load_dwordx2 v[85:86], v[79:80]
	s_waitcnt vmcnt(0) lgkmcnt(0)
	buffer_store_dword v86, off, s[0:3], 0 offset:316
	buffer_store_dword v85, off, s[0:3], 0 offset:312
	v_ashrrev_i32_e32 v84, 31, v83
	v_add_nc_u32_e32 v87, s9, v83
	v_lshlrev_b64 v[81:82], 3, v[83:84]
	v_ashrrev_i32_e32 v88, 31, v87
	v_add_nc_u32_e32 v90, s9, v87
	v_add_co_u32 v81, vcc_lo, s4, v81
	v_add_co_ci_u32_e64 v82, null, s5, v82, vcc_lo
	v_lshlrev_b64 v[83:84], 3, v[87:88]
	v_ashrrev_i32_e32 v91, 31, v90
	flat_load_dwordx2 v[85:86], v[81:82]
	s_waitcnt vmcnt(0) lgkmcnt(0)
	buffer_store_dword v86, off, s[0:3], 0 offset:324
	buffer_store_dword v85, off, s[0:3], 0 offset:320
	v_add_co_u32 v83, vcc_lo, s4, v83
	v_add_co_ci_u32_e64 v84, null, s5, v84, vcc_lo
	v_lshlrev_b64 v[85:86], 3, v[90:91]
	flat_load_dwordx2 v[88:89], v[83:84]
	s_waitcnt vmcnt(0) lgkmcnt(0)
	buffer_store_dword v89, off, s[0:3], 0 offset:332
	buffer_store_dword v88, off, s[0:3], 0 offset:328
	v_add_co_u32 v85, vcc_lo, s4, v85
	v_add_co_ci_u32_e64 v86, null, s5, v86, vcc_lo
	v_add_nc_u32_e32 v89, s9, v90
	flat_load_dwordx2 v[91:92], v[85:86]
	s_waitcnt vmcnt(0) lgkmcnt(0)
	buffer_store_dword v92, off, s[0:3], 0 offset:340
	buffer_store_dword v91, off, s[0:3], 0 offset:336
	v_ashrrev_i32_e32 v90, 31, v89
	v_add_nc_u32_e32 v93, s9, v89
	v_lshlrev_b64 v[87:88], 3, v[89:90]
	v_ashrrev_i32_e32 v94, 31, v93
	v_add_nc_u32_e32 v96, s9, v93
	v_add_co_u32 v87, vcc_lo, s4, v87
	v_add_co_ci_u32_e64 v88, null, s5, v88, vcc_lo
	v_lshlrev_b64 v[89:90], 3, v[93:94]
	v_ashrrev_i32_e32 v97, 31, v96
	flat_load_dwordx2 v[91:92], v[87:88]
	s_waitcnt vmcnt(0) lgkmcnt(0)
	buffer_store_dword v92, off, s[0:3], 0 offset:348
	buffer_store_dword v91, off, s[0:3], 0 offset:344
	v_add_co_u32 v89, vcc_lo, s4, v89
	v_add_co_ci_u32_e64 v90, null, s5, v90, vcc_lo
	v_lshlrev_b64 v[91:92], 3, v[96:97]
	flat_load_dwordx2 v[94:95], v[89:90]
	s_waitcnt vmcnt(0) lgkmcnt(0)
	buffer_store_dword v95, off, s[0:3], 0 offset:356
	buffer_store_dword v94, off, s[0:3], 0 offset:352
	v_add_co_u32 v91, vcc_lo, s4, v91
	v_add_co_ci_u32_e64 v92, null, s5, v92, vcc_lo
	v_add_nc_u32_e32 v95, s9, v96
	flat_load_dwordx2 v[97:98], v[91:92]
	s_waitcnt vmcnt(0) lgkmcnt(0)
	buffer_store_dword v98, off, s[0:3], 0 offset:364
	buffer_store_dword v97, off, s[0:3], 0 offset:360
	v_ashrrev_i32_e32 v96, 31, v95
	v_lshlrev_b64 v[93:94], 3, v[95:96]
	v_add_nc_u32_e32 v95, s9, v95
	v_add_co_u32 v93, vcc_lo, s4, v93
	v_add_co_ci_u32_e64 v94, null, s5, v94, vcc_lo
	v_ashrrev_i32_e32 v96, 31, v95
	flat_load_dwordx2 v[97:98], v[93:94]
	s_waitcnt vmcnt(0) lgkmcnt(0)
	buffer_store_dword v98, off, s[0:3], 0 offset:372
	buffer_store_dword v97, off, s[0:3], 0 offset:368
	v_lshlrev_b64 v[95:96], 3, v[95:96]
	v_add_co_u32 v95, vcc_lo, s4, v95
	v_add_co_ci_u32_e64 v96, null, s5, v96, vcc_lo
	s_mov_b32 s5, -1
	flat_load_dwordx2 v[97:98], v[95:96]
	s_waitcnt vmcnt(0) lgkmcnt(0)
	buffer_store_dword v98, off, s[0:3], 0 offset:380
	buffer_store_dword v97, off, s[0:3], 0 offset:376
	s_cbranch_scc1 .LBB111_200
; %bb.4:
	v_cmp_eq_u32_e64 s4, 0, v0
	s_and_saveexec_b32 s5, s4
; %bb.5:
	v_mov_b32_e32 v97, 0
	ds_write_b32 v97, v97 offset:768
; %bb.6:
	s_or_b32 exec_lo, exec_lo, s5
	v_lshl_add_u32 v97, v0, 3, 0
	s_waitcnt lgkmcnt(0)
	s_waitcnt_vscnt null, 0x0
	s_barrier
	buffer_gl0_inv
	s_mov_b32 s8, exec_lo
	s_clause 0x1
	buffer_load_dword v100, v97, s[0:3], 0 offen
	buffer_load_dword v101, v97, s[0:3], 0 offen offset:4
	s_waitcnt vmcnt(0)
	v_cmpx_eq_f64_e32 0, v[100:101]
	s_cbranch_execz .LBB111_10
; %bb.7:
	v_mov_b32_e32 v98, 0
	s_mov_b32 s9, 0
	ds_read_b32 v100, v98 offset:768
	s_waitcnt lgkmcnt(0)
	v_readfirstlane_b32 s5, v100
	v_add_nc_u32_e32 v100, 1, v0
	s_cmp_eq_u32 s5, 0
	v_cmp_gt_i32_e32 vcc_lo, s5, v100
	s_cselect_b32 s14, -1, 0
	s_or_b32 s14, s14, vcc_lo
	s_and_b32 exec_lo, exec_lo, s14
	s_cbranch_execz .LBB111_10
; %bb.8:
	v_mov_b32_e32 v101, s5
.LBB111_9:                              ; =>This Inner Loop Header: Depth=1
	ds_cmpst_rtn_b32 v101, v98, v101, v100 offset:768
	s_waitcnt lgkmcnt(0)
	v_cmp_ne_u32_e32 vcc_lo, 0, v101
	v_cmp_le_i32_e64 s5, v101, v100
	s_and_b32 s5, vcc_lo, s5
	s_and_b32 s5, exec_lo, s5
	s_or_b32 s9, s5, s9
	s_andn2_b32 exec_lo, exec_lo, s9
	s_cbranch_execnz .LBB111_9
.LBB111_10:
	s_or_b32 exec_lo, exec_lo, s8
	v_mov_b32_e32 v98, 0
	s_barrier
	buffer_gl0_inv
	ds_read_b32 v100, v98 offset:768
	s_and_saveexec_b32 s5, s4
	s_cbranch_execz .LBB111_12
; %bb.11:
	s_lshl_b64 s[8:9], s[6:7], 2
	s_add_u32 s8, s10, s8
	s_addc_u32 s9, s11, s9
	s_waitcnt lgkmcnt(0)
	global_store_dword v98, v100, s[8:9]
.LBB111_12:
	s_or_b32 exec_lo, exec_lo, s5
	s_waitcnt lgkmcnt(0)
	v_cmp_ne_u32_e32 vcc_lo, 0, v100
	s_mov_b32 s5, 0
	s_cbranch_vccnz .LBB111_200
; %bb.13:
	s_clause 0x1
	buffer_load_dword v100, v97, s[0:3], 0 offen
	buffer_load_dword v101, v97, s[0:3], 0 offen offset:4
	s_waitcnt vmcnt(0)
	v_div_scale_f64 v[102:103], null, v[100:101], v[100:101], 1.0
	v_div_scale_f64 v[108:109], vcc_lo, 1.0, v[100:101], 1.0
	v_rcp_f64_e32 v[104:105], v[102:103]
	v_fma_f64 v[106:107], -v[102:103], v[104:105], 1.0
	v_fma_f64 v[104:105], v[104:105], v[106:107], v[104:105]
	v_fma_f64 v[106:107], -v[102:103], v[104:105], 1.0
	v_fma_f64 v[104:105], v[104:105], v[106:107], v[104:105]
	v_mul_f64 v[106:107], v[108:109], v[104:105]
	v_fma_f64 v[102:103], -v[102:103], v[106:107], v[108:109]
	v_div_fmas_f64 v[102:103], v[102:103], v[104:105], v[106:107]
	v_div_fixup_f64 v[101:102], v[102:103], v[100:101], 1.0
	v_add_nc_u32_e32 v100, 0x180, v99
	buffer_store_dword v102, v97, s[0:3], 0 offen offset:4
	buffer_store_dword v101, v97, s[0:3], 0 offen
	s_clause 0x1
	buffer_load_dword v104, off, s[0:3], 0 offset:12
	buffer_load_dword v103, off, s[0:3], 0 offset:8
	v_xor_b32_e32 v102, 0x80000000, v102
	s_waitcnt vmcnt(0)
	ds_write2_b64 v99, v[101:102], v[103:104] offset1:48
	s_waitcnt lgkmcnt(0)
	s_waitcnt_vscnt null, 0x0
	s_barrier
	buffer_gl0_inv
	s_and_saveexec_b32 s5, s4
	s_cbranch_execz .LBB111_15
; %bb.14:
	s_clause 0x1
	buffer_load_dword v101, v97, s[0:3], 0 offen
	buffer_load_dword v102, v97, s[0:3], 0 offen offset:4
	ds_read_b64 v[103:104], v100
	v_mov_b32_e32 v98, 0
	ds_read_b64 v[105:106], v98 offset:8
	s_waitcnt vmcnt(0) lgkmcnt(1)
	v_fma_f64 v[101:102], v[101:102], v[103:104], 0
	s_waitcnt lgkmcnt(0)
	v_mul_f64 v[101:102], v[101:102], v[105:106]
	buffer_store_dword v101, off, s[0:3], 0 offset:8
	buffer_store_dword v102, off, s[0:3], 0 offset:12
.LBB111_15:
	s_or_b32 exec_lo, exec_lo, s5
	s_waitcnt_vscnt null, 0x0
	s_barrier
	buffer_gl0_inv
	s_clause 0x1
	buffer_load_dword v101, off, s[0:3], 0 offset:16
	buffer_load_dword v102, off, s[0:3], 0 offset:20
	s_mov_b32 s5, exec_lo
	s_waitcnt vmcnt(0)
	ds_write_b64 v100, v[101:102]
	s_waitcnt lgkmcnt(0)
	s_barrier
	buffer_gl0_inv
	v_cmpx_gt_u32_e32 2, v0
	s_cbranch_execz .LBB111_19
; %bb.16:
	s_clause 0x1
	buffer_load_dword v101, v97, s[0:3], 0 offen
	buffer_load_dword v102, v97, s[0:3], 0 offen offset:4
	ds_read_b64 v[97:98], v100
	s_waitcnt vmcnt(0) lgkmcnt(0)
	v_fma_f64 v[97:98], v[101:102], v[97:98], 0
	s_and_saveexec_b32 s8, s4
	s_cbranch_execz .LBB111_18
; %bb.17:
	s_clause 0x1
	buffer_load_dword v101, off, s[0:3], 0 offset:8
	buffer_load_dword v102, off, s[0:3], 0 offset:12
	v_mov_b32_e32 v103, 0
	ds_read_b64 v[103:104], v103 offset:392
	s_waitcnt vmcnt(0) lgkmcnt(0)
	v_fma_f64 v[97:98], v[101:102], v[103:104], v[97:98]
.LBB111_18:
	s_or_b32 exec_lo, exec_lo, s8
	v_mov_b32_e32 v101, 0
	ds_read_b64 v[101:102], v101 offset:16
	s_waitcnt lgkmcnt(0)
	v_mul_f64 v[97:98], v[97:98], v[101:102]
	buffer_store_dword v98, off, s[0:3], 0 offset:20
	buffer_store_dword v97, off, s[0:3], 0 offset:16
.LBB111_19:
	s_or_b32 exec_lo, exec_lo, s5
	s_waitcnt_vscnt null, 0x0
	s_barrier
	buffer_gl0_inv
	s_clause 0x1
	buffer_load_dword v97, off, s[0:3], 0 offset:24
	buffer_load_dword v98, off, s[0:3], 0 offset:28
	v_add_nc_u32_e32 v101, -1, v0
	s_mov_b32 s4, exec_lo
	s_waitcnt vmcnt(0)
	ds_write_b64 v100, v[97:98]
	s_waitcnt lgkmcnt(0)
	s_barrier
	buffer_gl0_inv
	v_cmpx_gt_u32_e32 3, v0
	s_cbranch_execz .LBB111_23
; %bb.20:
	v_mov_b32_e32 v97, 0
	v_add_nc_u32_e32 v102, -1, v0
	v_add_nc_u32_e32 v103, 0x180, v99
	v_mov_b32_e32 v98, 0
	v_mov_b32_e32 v104, v99
	s_mov_b32 s5, 0
.LBB111_21:                             ; =>This Inner Loop Header: Depth=1
	s_clause 0x1
	buffer_load_dword v105, v104, s[0:3], 0 offen
	buffer_load_dword v106, v104, s[0:3], 0 offen offset:4
	ds_read_b64 v[107:108], v103
	v_add_nc_u32_e32 v102, 1, v102
	v_add_nc_u32_e32 v103, 8, v103
	v_add_nc_u32_e32 v104, 8, v104
	v_cmp_lt_u32_e32 vcc_lo, 1, v102
	s_or_b32 s5, vcc_lo, s5
	s_waitcnt vmcnt(0) lgkmcnt(0)
	v_fma_f64 v[97:98], v[105:106], v[107:108], v[97:98]
	s_andn2_b32 exec_lo, exec_lo, s5
	s_cbranch_execnz .LBB111_21
; %bb.22:
	s_or_b32 exec_lo, exec_lo, s5
	v_mov_b32_e32 v102, 0
	ds_read_b64 v[102:103], v102 offset:24
	s_waitcnt lgkmcnt(0)
	v_mul_f64 v[97:98], v[97:98], v[102:103]
	buffer_store_dword v98, off, s[0:3], 0 offset:28
	buffer_store_dword v97, off, s[0:3], 0 offset:24
.LBB111_23:
	s_or_b32 exec_lo, exec_lo, s4
	s_waitcnt_vscnt null, 0x0
	s_barrier
	buffer_gl0_inv
	s_clause 0x1
	buffer_load_dword v97, off, s[0:3], 0 offset:32
	buffer_load_dword v98, off, s[0:3], 0 offset:36
	s_mov_b32 s4, exec_lo
	s_waitcnt vmcnt(0)
	ds_write_b64 v100, v[97:98]
	s_waitcnt lgkmcnt(0)
	s_barrier
	buffer_gl0_inv
	v_cmpx_gt_u32_e32 4, v0
	s_cbranch_execz .LBB111_27
; %bb.24:
	v_mov_b32_e32 v97, 0
	v_add_nc_u32_e32 v102, -1, v0
	v_add_nc_u32_e32 v103, 0x180, v99
	v_mov_b32_e32 v98, 0
	v_mov_b32_e32 v104, v99
	s_mov_b32 s5, 0
.LBB111_25:                             ; =>This Inner Loop Header: Depth=1
	s_clause 0x1
	buffer_load_dword v105, v104, s[0:3], 0 offen
	buffer_load_dword v106, v104, s[0:3], 0 offen offset:4
	ds_read_b64 v[107:108], v103
	v_add_nc_u32_e32 v102, 1, v102
	v_add_nc_u32_e32 v103, 8, v103
	v_add_nc_u32_e32 v104, 8, v104
	v_cmp_lt_u32_e32 vcc_lo, 2, v102
	s_or_b32 s5, vcc_lo, s5
	s_waitcnt vmcnt(0) lgkmcnt(0)
	v_fma_f64 v[97:98], v[105:106], v[107:108], v[97:98]
	s_andn2_b32 exec_lo, exec_lo, s5
	s_cbranch_execnz .LBB111_25
; %bb.26:
	s_or_b32 exec_lo, exec_lo, s5
	v_mov_b32_e32 v102, 0
	ds_read_b64 v[102:103], v102 offset:32
	s_waitcnt lgkmcnt(0)
	v_mul_f64 v[97:98], v[97:98], v[102:103]
	buffer_store_dword v98, off, s[0:3], 0 offset:36
	buffer_store_dword v97, off, s[0:3], 0 offset:32
.LBB111_27:
	s_or_b32 exec_lo, exec_lo, s4
	s_waitcnt_vscnt null, 0x0
	s_barrier
	buffer_gl0_inv
	s_clause 0x1
	buffer_load_dword v97, off, s[0:3], 0 offset:40
	buffer_load_dword v98, off, s[0:3], 0 offset:44
	;; [unrolled: 45-line block ×20, first 2 shown]
	s_mov_b32 s4, exec_lo
	s_waitcnt vmcnt(0)
	ds_write_b64 v100, v[97:98]
	s_waitcnt lgkmcnt(0)
	s_barrier
	buffer_gl0_inv
	v_cmpx_gt_u32_e32 23, v0
	s_cbranch_execz .LBB111_103
; %bb.100:
	v_mov_b32_e32 v97, 0
	v_add_nc_u32_e32 v102, -1, v0
	v_add_nc_u32_e32 v103, 0x180, v99
	v_mov_b32_e32 v98, 0
	v_mov_b32_e32 v104, v99
	s_mov_b32 s5, 0
.LBB111_101:                            ; =>This Inner Loop Header: Depth=1
	s_clause 0x1
	buffer_load_dword v105, v104, s[0:3], 0 offen
	buffer_load_dword v106, v104, s[0:3], 0 offen offset:4
	ds_read_b64 v[107:108], v103
	v_add_nc_u32_e32 v102, 1, v102
	v_add_nc_u32_e32 v103, 8, v103
	v_add_nc_u32_e32 v104, 8, v104
	v_cmp_lt_u32_e32 vcc_lo, 21, v102
	s_or_b32 s5, vcc_lo, s5
	s_waitcnt vmcnt(0) lgkmcnt(0)
	v_fma_f64 v[97:98], v[105:106], v[107:108], v[97:98]
	s_andn2_b32 exec_lo, exec_lo, s5
	s_cbranch_execnz .LBB111_101
; %bb.102:
	s_or_b32 exec_lo, exec_lo, s5
	v_mov_b32_e32 v102, 0
	ds_read_b64 v[102:103], v102 offset:184
	s_waitcnt lgkmcnt(0)
	v_mul_f64 v[97:98], v[97:98], v[102:103]
	buffer_store_dword v98, off, s[0:3], 0 offset:188
	buffer_store_dword v97, off, s[0:3], 0 offset:184
.LBB111_103:
	s_or_b32 exec_lo, exec_lo, s4
	s_waitcnt_vscnt null, 0x0
	s_barrier
	buffer_gl0_inv
	s_clause 0x1
	buffer_load_dword v97, off, s[0:3], 0 offset:192
	buffer_load_dword v98, off, s[0:3], 0 offset:196
	s_mov_b32 s4, exec_lo
	s_waitcnt vmcnt(0)
	ds_write_b64 v100, v[97:98]
	s_waitcnt lgkmcnt(0)
	s_barrier
	buffer_gl0_inv
	v_cmpx_gt_u32_e32 24, v0
	s_cbranch_execz .LBB111_107
; %bb.104:
	v_mov_b32_e32 v97, 0
	v_add_nc_u32_e32 v102, -1, v0
	v_add_nc_u32_e32 v103, 0x180, v99
	v_mov_b32_e32 v98, 0
	v_mov_b32_e32 v104, v99
	s_mov_b32 s5, 0
.LBB111_105:                            ; =>This Inner Loop Header: Depth=1
	s_clause 0x1
	buffer_load_dword v105, v104, s[0:3], 0 offen
	buffer_load_dword v106, v104, s[0:3], 0 offen offset:4
	ds_read_b64 v[107:108], v103
	v_add_nc_u32_e32 v102, 1, v102
	v_add_nc_u32_e32 v103, 8, v103
	v_add_nc_u32_e32 v104, 8, v104
	v_cmp_lt_u32_e32 vcc_lo, 22, v102
	s_or_b32 s5, vcc_lo, s5
	s_waitcnt vmcnt(0) lgkmcnt(0)
	v_fma_f64 v[97:98], v[105:106], v[107:108], v[97:98]
	s_andn2_b32 exec_lo, exec_lo, s5
	s_cbranch_execnz .LBB111_105
; %bb.106:
	s_or_b32 exec_lo, exec_lo, s5
	v_mov_b32_e32 v102, 0
	ds_read_b64 v[102:103], v102 offset:192
	s_waitcnt lgkmcnt(0)
	v_mul_f64 v[97:98], v[97:98], v[102:103]
	buffer_store_dword v98, off, s[0:3], 0 offset:196
	buffer_store_dword v97, off, s[0:3], 0 offset:192
.LBB111_107:
	s_or_b32 exec_lo, exec_lo, s4
	s_waitcnt_vscnt null, 0x0
	s_barrier
	buffer_gl0_inv
	s_clause 0x1
	buffer_load_dword v97, off, s[0:3], 0 offset:200
	buffer_load_dword v98, off, s[0:3], 0 offset:204
	;; [unrolled: 45-line block ×24, first 2 shown]
	s_mov_b32 s4, exec_lo
	s_waitcnt vmcnt(0)
	ds_write_b64 v100, v[97:98]
	s_waitcnt lgkmcnt(0)
	s_barrier
	buffer_gl0_inv
	v_cmpx_ne_u32_e32 47, v0
	s_cbranch_execz .LBB111_199
; %bb.196:
	v_mov_b32_e32 v97, 0
	v_mov_b32_e32 v98, 0
	s_mov_b32 s5, 0
.LBB111_197:                            ; =>This Inner Loop Header: Depth=1
	s_clause 0x1
	buffer_load_dword v102, v99, s[0:3], 0 offen
	buffer_load_dword v103, v99, s[0:3], 0 offen offset:4
	ds_read_b64 v[104:105], v100
	v_add_nc_u32_e32 v101, 1, v101
	v_add_nc_u32_e32 v100, 8, v100
	;; [unrolled: 1-line block ×3, first 2 shown]
	v_cmp_lt_u32_e32 vcc_lo, 45, v101
	s_or_b32 s5, vcc_lo, s5
	s_waitcnt vmcnt(0) lgkmcnt(0)
	v_fma_f64 v[97:98], v[102:103], v[104:105], v[97:98]
	s_andn2_b32 exec_lo, exec_lo, s5
	s_cbranch_execnz .LBB111_197
; %bb.198:
	s_or_b32 exec_lo, exec_lo, s5
	v_mov_b32_e32 v99, 0
	ds_read_b64 v[99:100], v99 offset:376
	s_waitcnt lgkmcnt(0)
	v_mul_f64 v[97:98], v[97:98], v[99:100]
	buffer_store_dword v98, off, s[0:3], 0 offset:380
	buffer_store_dword v97, off, s[0:3], 0 offset:376
.LBB111_199:
	s_or_b32 exec_lo, exec_lo, s4
	s_mov_b32 s5, -1
	s_waitcnt_vscnt null, 0x0
	s_barrier
	buffer_gl0_inv
.LBB111_200:
	s_and_b32 vcc_lo, exec_lo, s5
	s_cbranch_vccz .LBB111_202
; %bb.201:
	s_lshl_b64 s[4:5], s[6:7], 2
	v_mov_b32_e32 v97, 0
	s_add_u32 s4, s10, s4
	s_addc_u32 s5, s11, s5
	global_load_dword v97, v97, s[4:5]
	s_waitcnt vmcnt(0)
	v_cmp_ne_u32_e32 vcc_lo, 0, v97
	s_cbranch_vccz .LBB111_203
.LBB111_202:
	s_endpgm
.LBB111_203:
	v_lshl_add_u32 v97, v0, 3, 0x180
	s_mov_b32 s4, exec_lo
	v_cmpx_eq_u32_e32 47, v0
	s_cbranch_execz .LBB111_205
; %bb.204:
	s_clause 0x1
	buffer_load_dword v98, off, s[0:3], 0 offset:368
	buffer_load_dword v99, off, s[0:3], 0 offset:372
	v_mov_b32_e32 v100, 0
	buffer_store_dword v100, off, s[0:3], 0 offset:368
	buffer_store_dword v100, off, s[0:3], 0 offset:372
	s_waitcnt vmcnt(0)
	ds_write_b64 v97, v[98:99]
.LBB111_205:
	s_or_b32 exec_lo, exec_lo, s4
	s_waitcnt lgkmcnt(0)
	s_waitcnt_vscnt null, 0x0
	s_barrier
	buffer_gl0_inv
	s_clause 0x3
	buffer_load_dword v99, off, s[0:3], 0 offset:376
	buffer_load_dword v100, off, s[0:3], 0 offset:380
	;; [unrolled: 1-line block ×4, first 2 shown]
	v_mov_b32_e32 v98, 0
	s_mov_b32 s4, exec_lo
	ds_read_b64 v[103:104], v98 offset:760
	s_waitcnt vmcnt(2) lgkmcnt(0)
	v_fma_f64 v[99:100], v[99:100], v[103:104], 0
	s_waitcnt vmcnt(0)
	v_add_f64 v[99:100], v[101:102], -v[99:100]
	buffer_store_dword v99, off, s[0:3], 0 offset:368
	buffer_store_dword v100, off, s[0:3], 0 offset:372
	v_cmpx_lt_u32_e32 45, v0
	s_cbranch_execz .LBB111_207
; %bb.206:
	s_clause 0x1
	buffer_load_dword v99, off, s[0:3], 0 offset:360
	buffer_load_dword v100, off, s[0:3], 0 offset:364
	buffer_store_dword v98, off, s[0:3], 0 offset:360
	buffer_store_dword v98, off, s[0:3], 0 offset:364
	s_waitcnt vmcnt(0)
	ds_write_b64 v97, v[99:100]
.LBB111_207:
	s_or_b32 exec_lo, exec_lo, s4
	s_waitcnt lgkmcnt(0)
	s_waitcnt_vscnt null, 0x0
	s_barrier
	buffer_gl0_inv
	s_clause 0x5
	buffer_load_dword v102, off, s[0:3], 0 offset:368
	buffer_load_dword v103, off, s[0:3], 0 offset:372
	;; [unrolled: 1-line block ×6, first 2 shown]
	ds_read_b128 v[98:101], v98 offset:752
	s_mov_b32 s4, exec_lo
	s_waitcnt vmcnt(4) lgkmcnt(0)
	v_fma_f64 v[98:99], v[102:103], v[98:99], 0
	s_waitcnt vmcnt(2)
	v_fma_f64 v[98:99], v[104:105], v[100:101], v[98:99]
	s_waitcnt vmcnt(0)
	v_add_f64 v[98:99], v[106:107], -v[98:99]
	buffer_store_dword v98, off, s[0:3], 0 offset:360
	buffer_store_dword v99, off, s[0:3], 0 offset:364
	v_cmpx_lt_u32_e32 44, v0
	s_cbranch_execz .LBB111_209
; %bb.208:
	s_clause 0x1
	buffer_load_dword v98, off, s[0:3], 0 offset:352
	buffer_load_dword v99, off, s[0:3], 0 offset:356
	v_mov_b32_e32 v100, 0
	buffer_store_dword v100, off, s[0:3], 0 offset:352
	buffer_store_dword v100, off, s[0:3], 0 offset:356
	s_waitcnt vmcnt(0)
	ds_write_b64 v97, v[98:99]
.LBB111_209:
	s_or_b32 exec_lo, exec_lo, s4
	s_waitcnt lgkmcnt(0)
	s_waitcnt_vscnt null, 0x0
	s_barrier
	buffer_gl0_inv
	s_clause 0x7
	buffer_load_dword v103, off, s[0:3], 0 offset:360
	buffer_load_dword v104, off, s[0:3], 0 offset:364
	;; [unrolled: 1-line block ×8, first 2 shown]
	v_mov_b32_e32 v98, 0
	ds_read2_b64 v[99:102], v98 offset0:93 offset1:94
	ds_read_b64 v[111:112], v98 offset:760
	s_mov_b32 s4, exec_lo
	s_waitcnt vmcnt(6) lgkmcnt(1)
	v_fma_f64 v[99:100], v[103:104], v[99:100], 0
	s_waitcnt vmcnt(4)
	v_fma_f64 v[99:100], v[105:106], v[101:102], v[99:100]
	s_waitcnt vmcnt(2) lgkmcnt(0)
	v_fma_f64 v[99:100], v[107:108], v[111:112], v[99:100]
	s_waitcnt vmcnt(0)
	v_add_f64 v[99:100], v[109:110], -v[99:100]
	buffer_store_dword v99, off, s[0:3], 0 offset:352
	buffer_store_dword v100, off, s[0:3], 0 offset:356
	v_cmpx_lt_u32_e32 43, v0
	s_cbranch_execz .LBB111_211
; %bb.210:
	s_clause 0x1
	buffer_load_dword v99, off, s[0:3], 0 offset:344
	buffer_load_dword v100, off, s[0:3], 0 offset:348
	buffer_store_dword v98, off, s[0:3], 0 offset:344
	buffer_store_dword v98, off, s[0:3], 0 offset:348
	s_waitcnt vmcnt(0)
	ds_write_b64 v97, v[99:100]
.LBB111_211:
	s_or_b32 exec_lo, exec_lo, s4
	s_waitcnt lgkmcnt(0)
	s_waitcnt_vscnt null, 0x0
	s_barrier
	buffer_gl0_inv
	s_clause 0x9
	buffer_load_dword v107, off, s[0:3], 0 offset:352
	buffer_load_dword v108, off, s[0:3], 0 offset:356
	;; [unrolled: 1-line block ×10, first 2 shown]
	ds_read_b128 v[99:102], v98 offset:736
	ds_read_b128 v[103:106], v98 offset:752
	s_mov_b32 s4, exec_lo
	s_waitcnt vmcnt(8) lgkmcnt(1)
	v_fma_f64 v[98:99], v[107:108], v[99:100], 0
	s_waitcnt vmcnt(6)
	v_fma_f64 v[98:99], v[109:110], v[101:102], v[98:99]
	s_waitcnt vmcnt(4) lgkmcnt(0)
	v_fma_f64 v[98:99], v[111:112], v[103:104], v[98:99]
	s_waitcnt vmcnt(2)
	v_fma_f64 v[98:99], v[113:114], v[105:106], v[98:99]
	s_waitcnt vmcnt(0)
	v_add_f64 v[98:99], v[115:116], -v[98:99]
	buffer_store_dword v98, off, s[0:3], 0 offset:344
	buffer_store_dword v99, off, s[0:3], 0 offset:348
	v_cmpx_lt_u32_e32 42, v0
	s_cbranch_execz .LBB111_213
; %bb.212:
	s_clause 0x1
	buffer_load_dword v98, off, s[0:3], 0 offset:336
	buffer_load_dword v99, off, s[0:3], 0 offset:340
	v_mov_b32_e32 v100, 0
	buffer_store_dword v100, off, s[0:3], 0 offset:336
	buffer_store_dword v100, off, s[0:3], 0 offset:340
	s_waitcnt vmcnt(0)
	ds_write_b64 v97, v[98:99]
.LBB111_213:
	s_or_b32 exec_lo, exec_lo, s4
	s_waitcnt lgkmcnt(0)
	s_waitcnt_vscnt null, 0x0
	s_barrier
	buffer_gl0_inv
	s_clause 0xb
	buffer_load_dword v107, off, s[0:3], 0 offset:344
	buffer_load_dword v108, off, s[0:3], 0 offset:348
	;; [unrolled: 1-line block ×12, first 2 shown]
	v_mov_b32_e32 v98, 0
	ds_read2_b64 v[99:102], v98 offset0:91 offset1:92
	ds_read2_b64 v[103:106], v98 offset0:93 offset1:94
	s_mov_b32 s4, exec_lo
	s_waitcnt vmcnt(10) lgkmcnt(1)
	v_fma_f64 v[99:100], v[107:108], v[99:100], 0
	s_waitcnt vmcnt(8)
	v_fma_f64 v[99:100], v[109:110], v[101:102], v[99:100]
	ds_read_b64 v[101:102], v98 offset:760
	s_waitcnt vmcnt(6) lgkmcnt(1)
	v_fma_f64 v[99:100], v[111:112], v[103:104], v[99:100]
	s_waitcnt vmcnt(4)
	v_fma_f64 v[99:100], v[113:114], v[105:106], v[99:100]
	s_waitcnt vmcnt(2) lgkmcnt(0)
	v_fma_f64 v[99:100], v[115:116], v[101:102], v[99:100]
	s_waitcnt vmcnt(0)
	v_add_f64 v[99:100], v[117:118], -v[99:100]
	buffer_store_dword v99, off, s[0:3], 0 offset:336
	buffer_store_dword v100, off, s[0:3], 0 offset:340
	v_cmpx_lt_u32_e32 41, v0
	s_cbranch_execz .LBB111_215
; %bb.214:
	s_clause 0x1
	buffer_load_dword v99, off, s[0:3], 0 offset:328
	buffer_load_dword v100, off, s[0:3], 0 offset:332
	buffer_store_dword v98, off, s[0:3], 0 offset:328
	buffer_store_dword v98, off, s[0:3], 0 offset:332
	s_waitcnt vmcnt(0)
	ds_write_b64 v97, v[99:100]
.LBB111_215:
	s_or_b32 exec_lo, exec_lo, s4
	s_waitcnt lgkmcnt(0)
	s_waitcnt_vscnt null, 0x0
	s_barrier
	buffer_gl0_inv
	s_clause 0xd
	buffer_load_dword v107, off, s[0:3], 0 offset:336
	buffer_load_dword v108, off, s[0:3], 0 offset:340
	buffer_load_dword v109, off, s[0:3], 0 offset:344
	buffer_load_dword v110, off, s[0:3], 0 offset:348
	buffer_load_dword v111, off, s[0:3], 0 offset:352
	buffer_load_dword v112, off, s[0:3], 0 offset:356
	buffer_load_dword v113, off, s[0:3], 0 offset:360
	buffer_load_dword v114, off, s[0:3], 0 offset:364
	buffer_load_dword v115, off, s[0:3], 0 offset:368
	buffer_load_dword v116, off, s[0:3], 0 offset:372
	buffer_load_dword v117, off, s[0:3], 0 offset:376
	buffer_load_dword v118, off, s[0:3], 0 offset:380
	buffer_load_dword v119, off, s[0:3], 0 offset:328
	buffer_load_dword v120, off, s[0:3], 0 offset:332
	ds_read_b128 v[99:102], v98 offset:720
	ds_read_b128 v[103:106], v98 offset:736
	s_mov_b32 s4, exec_lo
	s_waitcnt vmcnt(12) lgkmcnt(1)
	v_fma_f64 v[99:100], v[107:108], v[99:100], 0
	s_waitcnt vmcnt(10)
	v_fma_f64 v[99:100], v[109:110], v[101:102], v[99:100]
	s_waitcnt vmcnt(8) lgkmcnt(0)
	v_fma_f64 v[99:100], v[111:112], v[103:104], v[99:100]
	s_waitcnt vmcnt(6)
	v_fma_f64 v[102:103], v[113:114], v[105:106], v[99:100]
	ds_read_b128 v[98:101], v98 offset:752
	s_waitcnt vmcnt(4) lgkmcnt(0)
	v_fma_f64 v[98:99], v[115:116], v[98:99], v[102:103]
	s_waitcnt vmcnt(2)
	v_fma_f64 v[98:99], v[117:118], v[100:101], v[98:99]
	s_waitcnt vmcnt(0)
	v_add_f64 v[98:99], v[119:120], -v[98:99]
	buffer_store_dword v98, off, s[0:3], 0 offset:328
	buffer_store_dword v99, off, s[0:3], 0 offset:332
	v_cmpx_lt_u32_e32 40, v0
	s_cbranch_execz .LBB111_217
; %bb.216:
	s_clause 0x1
	buffer_load_dword v98, off, s[0:3], 0 offset:320
	buffer_load_dword v99, off, s[0:3], 0 offset:324
	v_mov_b32_e32 v100, 0
	buffer_store_dword v100, off, s[0:3], 0 offset:320
	buffer_store_dword v100, off, s[0:3], 0 offset:324
	s_waitcnt vmcnt(0)
	ds_write_b64 v97, v[98:99]
.LBB111_217:
	s_or_b32 exec_lo, exec_lo, s4
	s_waitcnt lgkmcnt(0)
	s_waitcnt_vscnt null, 0x0
	s_barrier
	buffer_gl0_inv
	s_clause 0xf
	buffer_load_dword v107, off, s[0:3], 0 offset:328
	buffer_load_dword v108, off, s[0:3], 0 offset:332
	;; [unrolled: 1-line block ×16, first 2 shown]
	v_mov_b32_e32 v98, 0
	ds_read2_b64 v[99:102], v98 offset0:89 offset1:90
	ds_read2_b64 v[103:106], v98 offset0:91 offset1:92
	s_mov_b32 s4, exec_lo
	s_waitcnt vmcnt(14) lgkmcnt(1)
	v_fma_f64 v[99:100], v[107:108], v[99:100], 0
	s_waitcnt vmcnt(12)
	v_fma_f64 v[99:100], v[109:110], v[101:102], v[99:100]
	s_waitcnt vmcnt(10) lgkmcnt(0)
	v_fma_f64 v[99:100], v[111:112], v[103:104], v[99:100]
	s_waitcnt vmcnt(8)
	v_fma_f64 v[103:104], v[113:114], v[105:106], v[99:100]
	ds_read2_b64 v[99:102], v98 offset0:93 offset1:94
	ds_read_b64 v[105:106], v98 offset:760
	s_waitcnt vmcnt(6) lgkmcnt(1)
	v_fma_f64 v[99:100], v[115:116], v[99:100], v[103:104]
	s_waitcnt vmcnt(4)
	v_fma_f64 v[99:100], v[117:118], v[101:102], v[99:100]
	s_waitcnt vmcnt(2) lgkmcnt(0)
	v_fma_f64 v[99:100], v[119:120], v[105:106], v[99:100]
	s_waitcnt vmcnt(0)
	v_add_f64 v[99:100], v[121:122], -v[99:100]
	buffer_store_dword v99, off, s[0:3], 0 offset:320
	buffer_store_dword v100, off, s[0:3], 0 offset:324
	v_cmpx_lt_u32_e32 39, v0
	s_cbranch_execz .LBB111_219
; %bb.218:
	s_clause 0x1
	buffer_load_dword v99, off, s[0:3], 0 offset:312
	buffer_load_dword v100, off, s[0:3], 0 offset:316
	buffer_store_dword v98, off, s[0:3], 0 offset:312
	buffer_store_dword v98, off, s[0:3], 0 offset:316
	s_waitcnt vmcnt(0)
	ds_write_b64 v97, v[99:100]
.LBB111_219:
	s_or_b32 exec_lo, exec_lo, s4
	s_waitcnt lgkmcnt(0)
	s_waitcnt_vscnt null, 0x0
	s_barrier
	buffer_gl0_inv
	s_clause 0x11
	buffer_load_dword v107, off, s[0:3], 0 offset:320
	buffer_load_dword v108, off, s[0:3], 0 offset:324
	;; [unrolled: 1-line block ×18, first 2 shown]
	ds_read_b128 v[99:102], v98 offset:704
	ds_read_b128 v[103:106], v98 offset:720
	s_mov_b32 s4, exec_lo
	s_waitcnt vmcnt(16) lgkmcnt(1)
	v_fma_f64 v[99:100], v[107:108], v[99:100], 0
	s_waitcnt vmcnt(14)
	v_fma_f64 v[99:100], v[109:110], v[101:102], v[99:100]
	s_waitcnt vmcnt(12) lgkmcnt(0)
	v_fma_f64 v[99:100], v[111:112], v[103:104], v[99:100]
	s_waitcnt vmcnt(10)
	v_fma_f64 v[107:108], v[113:114], v[105:106], v[99:100]
	ds_read_b128 v[99:102], v98 offset:736
	ds_read_b128 v[103:106], v98 offset:752
	s_waitcnt vmcnt(8) lgkmcnt(1)
	v_fma_f64 v[98:99], v[115:116], v[99:100], v[107:108]
	s_waitcnt vmcnt(6)
	v_fma_f64 v[98:99], v[117:118], v[101:102], v[98:99]
	s_waitcnt vmcnt(4) lgkmcnt(0)
	v_fma_f64 v[98:99], v[119:120], v[103:104], v[98:99]
	s_waitcnt vmcnt(2)
	v_fma_f64 v[98:99], v[121:122], v[105:106], v[98:99]
	s_waitcnt vmcnt(0)
	v_add_f64 v[98:99], v[123:124], -v[98:99]
	buffer_store_dword v98, off, s[0:3], 0 offset:312
	buffer_store_dword v99, off, s[0:3], 0 offset:316
	v_cmpx_lt_u32_e32 38, v0
	s_cbranch_execz .LBB111_221
; %bb.220:
	s_clause 0x1
	buffer_load_dword v98, off, s[0:3], 0 offset:304
	buffer_load_dword v99, off, s[0:3], 0 offset:308
	v_mov_b32_e32 v100, 0
	buffer_store_dword v100, off, s[0:3], 0 offset:304
	buffer_store_dword v100, off, s[0:3], 0 offset:308
	s_waitcnt vmcnt(0)
	ds_write_b64 v97, v[98:99]
.LBB111_221:
	s_or_b32 exec_lo, exec_lo, s4
	s_waitcnt lgkmcnt(0)
	s_waitcnt_vscnt null, 0x0
	s_barrier
	buffer_gl0_inv
	s_clause 0x13
	buffer_load_dword v103, off, s[0:3], 0 offset:312
	buffer_load_dword v104, off, s[0:3], 0 offset:316
	;; [unrolled: 1-line block ×20, first 2 shown]
	v_mov_b32_e32 v98, 0
	s_mov_b32 s4, exec_lo
	ds_read2_b64 v[99:102], v98 offset0:87 offset1:88
	s_waitcnt vmcnt(18) lgkmcnt(0)
	v_fma_f64 v[99:100], v[103:104], v[99:100], 0
	s_waitcnt vmcnt(16)
	v_fma_f64 v[103:104], v[105:106], v[101:102], v[99:100]
	ds_read2_b64 v[99:102], v98 offset0:89 offset1:90
	s_waitcnt vmcnt(14) lgkmcnt(0)
	v_fma_f64 v[99:100], v[107:108], v[99:100], v[103:104]
	s_waitcnt vmcnt(12)
	v_fma_f64 v[103:104], v[109:110], v[101:102], v[99:100]
	;; [unrolled: 5-line block ×4, first 2 shown]
	ds_read_b64 v[101:102], v98 offset:760
	s_waitcnt vmcnt(2) lgkmcnt(0)
	v_fma_f64 v[99:100], v[119:120], v[101:102], v[99:100]
	s_waitcnt vmcnt(0)
	v_add_f64 v[99:100], v[121:122], -v[99:100]
	buffer_store_dword v99, off, s[0:3], 0 offset:304
	buffer_store_dword v100, off, s[0:3], 0 offset:308
	v_cmpx_lt_u32_e32 37, v0
	s_cbranch_execz .LBB111_223
; %bb.222:
	s_clause 0x1
	buffer_load_dword v99, off, s[0:3], 0 offset:296
	buffer_load_dword v100, off, s[0:3], 0 offset:300
	buffer_store_dword v98, off, s[0:3], 0 offset:296
	buffer_store_dword v98, off, s[0:3], 0 offset:300
	s_waitcnt vmcnt(0)
	ds_write_b64 v97, v[99:100]
.LBB111_223:
	s_or_b32 exec_lo, exec_lo, s4
	s_waitcnt lgkmcnt(0)
	s_waitcnt_vscnt null, 0x0
	s_barrier
	buffer_gl0_inv
	s_clause 0x15
	buffer_load_dword v103, off, s[0:3], 0 offset:304
	buffer_load_dword v104, off, s[0:3], 0 offset:308
	;; [unrolled: 1-line block ×22, first 2 shown]
	ds_read_b128 v[99:102], v98 offset:688
	s_mov_b32 s4, exec_lo
	s_waitcnt vmcnt(20) lgkmcnt(0)
	v_fma_f64 v[99:100], v[103:104], v[99:100], 0
	s_waitcnt vmcnt(18)
	v_fma_f64 v[103:104], v[105:106], v[101:102], v[99:100]
	ds_read_b128 v[99:102], v98 offset:704
	s_waitcnt vmcnt(16) lgkmcnt(0)
	v_fma_f64 v[99:100], v[107:108], v[99:100], v[103:104]
	s_waitcnt vmcnt(14)
	v_fma_f64 v[103:104], v[109:110], v[101:102], v[99:100]
	ds_read_b128 v[99:102], v98 offset:720
	;; [unrolled: 5-line block ×4, first 2 shown]
	s_waitcnt vmcnt(4) lgkmcnt(0)
	v_fma_f64 v[98:99], v[119:120], v[98:99], v[102:103]
	s_waitcnt vmcnt(2)
	v_fma_f64 v[98:99], v[121:122], v[100:101], v[98:99]
	s_waitcnt vmcnt(0)
	v_add_f64 v[98:99], v[123:124], -v[98:99]
	buffer_store_dword v98, off, s[0:3], 0 offset:296
	buffer_store_dword v99, off, s[0:3], 0 offset:300
	v_cmpx_lt_u32_e32 36, v0
	s_cbranch_execz .LBB111_225
; %bb.224:
	s_clause 0x1
	buffer_load_dword v98, off, s[0:3], 0 offset:288
	buffer_load_dword v99, off, s[0:3], 0 offset:292
	v_mov_b32_e32 v100, 0
	buffer_store_dword v100, off, s[0:3], 0 offset:288
	buffer_store_dword v100, off, s[0:3], 0 offset:292
	s_waitcnt vmcnt(0)
	ds_write_b64 v97, v[98:99]
.LBB111_225:
	s_or_b32 exec_lo, exec_lo, s4
	s_waitcnt lgkmcnt(0)
	s_waitcnt_vscnt null, 0x0
	s_barrier
	buffer_gl0_inv
	s_clause 0x17
	buffer_load_dword v103, off, s[0:3], 0 offset:296
	buffer_load_dword v104, off, s[0:3], 0 offset:300
	;; [unrolled: 1-line block ×24, first 2 shown]
	v_mov_b32_e32 v98, 0
	s_mov_b32 s4, exec_lo
	ds_read2_b64 v[99:102], v98 offset0:85 offset1:86
	s_waitcnt vmcnt(22) lgkmcnt(0)
	v_fma_f64 v[99:100], v[103:104], v[99:100], 0
	s_waitcnt vmcnt(20)
	v_fma_f64 v[103:104], v[105:106], v[101:102], v[99:100]
	ds_read2_b64 v[99:102], v98 offset0:87 offset1:88
	s_waitcnt vmcnt(18) lgkmcnt(0)
	v_fma_f64 v[99:100], v[107:108], v[99:100], v[103:104]
	s_waitcnt vmcnt(16)
	v_fma_f64 v[103:104], v[109:110], v[101:102], v[99:100]
	;; [unrolled: 5-line block ×5, first 2 shown]
	ds_read_b64 v[101:102], v98 offset:760
	s_waitcnt vmcnt(2) lgkmcnt(0)
	v_fma_f64 v[99:100], v[123:124], v[101:102], v[99:100]
	s_waitcnt vmcnt(0)
	v_add_f64 v[99:100], v[125:126], -v[99:100]
	buffer_store_dword v100, off, s[0:3], 0 offset:292
	buffer_store_dword v99, off, s[0:3], 0 offset:288
	v_cmpx_lt_u32_e32 35, v0
	s_cbranch_execz .LBB111_227
; %bb.226:
	s_clause 0x1
	buffer_load_dword v99, off, s[0:3], 0 offset:280
	buffer_load_dword v100, off, s[0:3], 0 offset:284
	buffer_store_dword v98, off, s[0:3], 0 offset:280
	buffer_store_dword v98, off, s[0:3], 0 offset:284
	s_waitcnt vmcnt(0)
	ds_write_b64 v97, v[99:100]
.LBB111_227:
	s_or_b32 exec_lo, exec_lo, s4
	s_waitcnt lgkmcnt(0)
	s_waitcnt_vscnt null, 0x0
	s_barrier
	buffer_gl0_inv
	s_clause 0x19
	buffer_load_dword v107, off, s[0:3], 0 offset:288
	buffer_load_dword v108, off, s[0:3], 0 offset:292
	;; [unrolled: 1-line block ×26, first 2 shown]
	ds_read_b128 v[99:102], v98 offset:672
	ds_read_b128 v[103:106], v98 offset:688
	s_mov_b32 s4, exec_lo
	s_waitcnt vmcnt(24) lgkmcnt(1)
	v_fma_f64 v[99:100], v[107:108], v[99:100], 0
	s_waitcnt vmcnt(22)
	v_fma_f64 v[99:100], v[109:110], v[101:102], v[99:100]
	s_waitcnt vmcnt(20) lgkmcnt(0)
	v_fma_f64 v[99:100], v[111:112], v[103:104], v[99:100]
	s_waitcnt vmcnt(18)
	v_fma_f64 v[107:108], v[113:114], v[105:106], v[99:100]
	ds_read_b128 v[99:102], v98 offset:704
	ds_read_b128 v[103:106], v98 offset:720
	s_waitcnt vmcnt(16) lgkmcnt(1)
	v_fma_f64 v[99:100], v[115:116], v[99:100], v[107:108]
	s_waitcnt vmcnt(14)
	v_fma_f64 v[99:100], v[117:118], v[101:102], v[99:100]
	s_waitcnt vmcnt(12) lgkmcnt(0)
	v_fma_f64 v[99:100], v[119:120], v[103:104], v[99:100]
	s_waitcnt vmcnt(7)
	v_fma_f64 v[107:108], v[121:122], v[105:106], v[99:100]
	ds_read_b128 v[99:102], v98 offset:736
	ds_read_b128 v[103:106], v98 offset:752
	s_waitcnt vmcnt(6) lgkmcnt(1)
	v_fma_f64 v[98:99], v[127:128], v[99:100], v[107:108]
	s_waitcnt vmcnt(5)
	v_fma_f64 v[98:99], v[125:126], v[101:102], v[98:99]
	s_waitcnt vmcnt(4) lgkmcnt(0)
	v_fma_f64 v[98:99], v[123:124], v[103:104], v[98:99]
	s_waitcnt vmcnt(2)
	v_fma_f64 v[98:99], v[129:130], v[105:106], v[98:99]
	s_waitcnt vmcnt(0)
	v_add_f64 v[98:99], v[131:132], -v[98:99]
	buffer_store_dword v99, off, s[0:3], 0 offset:284
	buffer_store_dword v98, off, s[0:3], 0 offset:280
	v_cmpx_lt_u32_e32 34, v0
	s_cbranch_execz .LBB111_229
; %bb.228:
	s_clause 0x1
	buffer_load_dword v98, off, s[0:3], 0 offset:272
	buffer_load_dword v99, off, s[0:3], 0 offset:276
	v_mov_b32_e32 v100, 0
	buffer_store_dword v100, off, s[0:3], 0 offset:272
	buffer_store_dword v100, off, s[0:3], 0 offset:276
	s_waitcnt vmcnt(0)
	ds_write_b64 v97, v[98:99]
.LBB111_229:
	s_or_b32 exec_lo, exec_lo, s4
	s_waitcnt lgkmcnt(0)
	s_waitcnt_vscnt null, 0x0
	s_barrier
	buffer_gl0_inv
	s_clause 0x1b
	buffer_load_dword v107, off, s[0:3], 0 offset:280
	buffer_load_dword v108, off, s[0:3], 0 offset:284
	;; [unrolled: 1-line block ×28, first 2 shown]
	v_mov_b32_e32 v98, 0
	ds_read2_b64 v[99:102], v98 offset0:83 offset1:84
	ds_read2_b64 v[103:106], v98 offset0:85 offset1:86
	s_mov_b32 s4, exec_lo
	s_waitcnt vmcnt(26) lgkmcnt(1)
	v_fma_f64 v[99:100], v[107:108], v[99:100], 0
	s_waitcnt vmcnt(24)
	v_fma_f64 v[99:100], v[109:110], v[101:102], v[99:100]
	s_waitcnt vmcnt(22) lgkmcnt(0)
	v_fma_f64 v[99:100], v[111:112], v[103:104], v[99:100]
	s_waitcnt vmcnt(20)
	v_fma_f64 v[107:108], v[113:114], v[105:106], v[99:100]
	ds_read2_b64 v[99:102], v98 offset0:87 offset1:88
	ds_read2_b64 v[103:106], v98 offset0:89 offset1:90
	s_waitcnt vmcnt(18) lgkmcnt(1)
	v_fma_f64 v[99:100], v[115:116], v[99:100], v[107:108]
	s_waitcnt vmcnt(16)
	v_fma_f64 v[99:100], v[117:118], v[101:102], v[99:100]
	s_waitcnt vmcnt(14) lgkmcnt(0)
	v_fma_f64 v[99:100], v[119:120], v[103:104], v[99:100]
	s_waitcnt vmcnt(9)
	v_fma_f64 v[107:108], v[121:122], v[105:106], v[99:100]
	ds_read2_b64 v[99:102], v98 offset0:91 offset1:92
	ds_read2_b64 v[103:106], v98 offset0:93 offset1:94
	s_waitcnt vmcnt(8) lgkmcnt(1)
	v_fma_f64 v[99:100], v[127:128], v[99:100], v[107:108]
	s_waitcnt vmcnt(7)
	v_fma_f64 v[99:100], v[125:126], v[101:102], v[99:100]
	ds_read_b64 v[101:102], v98 offset:760
	s_waitcnt vmcnt(6) lgkmcnt(1)
	v_fma_f64 v[99:100], v[123:124], v[103:104], v[99:100]
	s_waitcnt vmcnt(3)
	v_fma_f64 v[99:100], v[129:130], v[105:106], v[99:100]
	s_waitcnt vmcnt(2) lgkmcnt(0)
	v_fma_f64 v[99:100], v[131:132], v[101:102], v[99:100]
	s_waitcnt vmcnt(0)
	v_add_f64 v[99:100], v[133:134], -v[99:100]
	buffer_store_dword v100, off, s[0:3], 0 offset:276
	buffer_store_dword v99, off, s[0:3], 0 offset:272
	v_cmpx_lt_u32_e32 33, v0
	s_cbranch_execz .LBB111_231
; %bb.230:
	s_clause 0x1
	buffer_load_dword v99, off, s[0:3], 0 offset:264
	buffer_load_dword v100, off, s[0:3], 0 offset:268
	buffer_store_dword v98, off, s[0:3], 0 offset:264
	buffer_store_dword v98, off, s[0:3], 0 offset:268
	s_waitcnt vmcnt(0)
	ds_write_b64 v97, v[99:100]
.LBB111_231:
	s_or_b32 exec_lo, exec_lo, s4
	s_waitcnt lgkmcnt(0)
	s_waitcnt_vscnt null, 0x0
	s_barrier
	buffer_gl0_inv
	s_clause 0x1b
	buffer_load_dword v107, off, s[0:3], 0 offset:272
	buffer_load_dword v108, off, s[0:3], 0 offset:276
	;; [unrolled: 1-line block ×28, first 2 shown]
	ds_read_b128 v[99:102], v98 offset:656
	s_clause 0x1
	buffer_load_dword v135, off, s[0:3], 0 offset:264
	buffer_load_dword v136, off, s[0:3], 0 offset:268
	ds_read_b128 v[103:106], v98 offset:672
	s_mov_b32 s4, exec_lo
	s_waitcnt vmcnt(28) lgkmcnt(1)
	v_fma_f64 v[99:100], v[107:108], v[99:100], 0
	s_waitcnt vmcnt(26)
	v_fma_f64 v[99:100], v[109:110], v[101:102], v[99:100]
	s_waitcnt vmcnt(24) lgkmcnt(0)
	v_fma_f64 v[99:100], v[111:112], v[103:104], v[99:100]
	s_waitcnt vmcnt(22)
	v_fma_f64 v[107:108], v[113:114], v[105:106], v[99:100]
	ds_read_b128 v[99:102], v98 offset:688
	ds_read_b128 v[103:106], v98 offset:704
	s_waitcnt vmcnt(20) lgkmcnt(1)
	v_fma_f64 v[99:100], v[115:116], v[99:100], v[107:108]
	s_waitcnt vmcnt(18)
	v_fma_f64 v[99:100], v[117:118], v[101:102], v[99:100]
	s_waitcnt vmcnt(16) lgkmcnt(0)
	v_fma_f64 v[99:100], v[119:120], v[103:104], v[99:100]
	s_waitcnt vmcnt(11)
	v_fma_f64 v[107:108], v[121:122], v[105:106], v[99:100]
	ds_read_b128 v[99:102], v98 offset:720
	ds_read_b128 v[103:106], v98 offset:736
	s_waitcnt vmcnt(10) lgkmcnt(1)
	v_fma_f64 v[99:100], v[127:128], v[99:100], v[107:108]
	s_waitcnt vmcnt(9)
	v_fma_f64 v[99:100], v[125:126], v[101:102], v[99:100]
	s_waitcnt vmcnt(8) lgkmcnt(0)
	v_fma_f64 v[99:100], v[123:124], v[103:104], v[99:100]
	s_waitcnt vmcnt(4)
	v_fma_f64 v[102:103], v[129:130], v[105:106], v[99:100]
	ds_read_b128 v[98:101], v98 offset:752
	s_waitcnt vmcnt(3) lgkmcnt(0)
	v_fma_f64 v[98:99], v[133:134], v[98:99], v[102:103]
	s_waitcnt vmcnt(2)
	v_fma_f64 v[98:99], v[131:132], v[100:101], v[98:99]
	s_waitcnt vmcnt(0)
	v_add_f64 v[98:99], v[135:136], -v[98:99]
	buffer_store_dword v99, off, s[0:3], 0 offset:268
	buffer_store_dword v98, off, s[0:3], 0 offset:264
	v_cmpx_lt_u32_e32 32, v0
	s_cbranch_execz .LBB111_233
; %bb.232:
	s_clause 0x1
	buffer_load_dword v98, off, s[0:3], 0 offset:256
	buffer_load_dword v99, off, s[0:3], 0 offset:260
	v_mov_b32_e32 v100, 0
	buffer_store_dword v100, off, s[0:3], 0 offset:256
	buffer_store_dword v100, off, s[0:3], 0 offset:260
	s_waitcnt vmcnt(0)
	ds_write_b64 v97, v[98:99]
.LBB111_233:
	s_or_b32 exec_lo, exec_lo, s4
	s_waitcnt lgkmcnt(0)
	s_waitcnt_vscnt null, 0x0
	s_barrier
	buffer_gl0_inv
	s_clause 0x1c
	buffer_load_dword v107, off, s[0:3], 0 offset:264
	buffer_load_dword v108, off, s[0:3], 0 offset:268
	;; [unrolled: 1-line block ×29, first 2 shown]
	v_mov_b32_e32 v98, 0
	buffer_load_dword v132, off, s[0:3], 0 offset:380
	s_mov_b32 s4, exec_lo
	ds_read2_b64 v[99:102], v98 offset0:81 offset1:82
	ds_read2_b64 v[103:106], v98 offset0:83 offset1:84
	s_waitcnt vmcnt(28) lgkmcnt(1)
	v_fma_f64 v[99:100], v[107:108], v[99:100], 0
	s_clause 0x1
	buffer_load_dword v107, off, s[0:3], 0 offset:256
	buffer_load_dword v108, off, s[0:3], 0 offset:260
	s_waitcnt vmcnt(28)
	v_fma_f64 v[99:100], v[109:110], v[101:102], v[99:100]
	s_waitcnt vmcnt(26) lgkmcnt(0)
	v_fma_f64 v[99:100], v[111:112], v[103:104], v[99:100]
	s_waitcnt vmcnt(24)
	v_fma_f64 v[109:110], v[113:114], v[105:106], v[99:100]
	ds_read2_b64 v[99:102], v98 offset0:85 offset1:86
	ds_read2_b64 v[103:106], v98 offset0:87 offset1:88
	s_waitcnt vmcnt(22) lgkmcnt(1)
	v_fma_f64 v[99:100], v[115:116], v[99:100], v[109:110]
	s_waitcnt vmcnt(20)
	v_fma_f64 v[99:100], v[117:118], v[101:102], v[99:100]
	s_waitcnt vmcnt(18) lgkmcnt(0)
	v_fma_f64 v[99:100], v[119:120], v[103:104], v[99:100]
	s_waitcnt vmcnt(13)
	v_fma_f64 v[109:110], v[121:122], v[105:106], v[99:100]
	ds_read2_b64 v[99:102], v98 offset0:89 offset1:90
	ds_read2_b64 v[103:106], v98 offset0:91 offset1:92
	s_waitcnt vmcnt(12) lgkmcnt(1)
	v_fma_f64 v[99:100], v[127:128], v[99:100], v[109:110]
	s_waitcnt vmcnt(11)
	v_fma_f64 v[99:100], v[125:126], v[101:102], v[99:100]
	s_waitcnt vmcnt(10) lgkmcnt(0)
	v_fma_f64 v[99:100], v[123:124], v[103:104], v[99:100]
	s_waitcnt vmcnt(5)
	v_fma_f64 v[103:104], v[129:130], v[105:106], v[99:100]
	ds_read2_b64 v[99:102], v98 offset0:93 offset1:94
	ds_read_b64 v[105:106], v98 offset:760
	s_waitcnt vmcnt(4) lgkmcnt(1)
	v_fma_f64 v[99:100], v[135:136], v[99:100], v[103:104]
	s_waitcnt vmcnt(3)
	v_fma_f64 v[99:100], v[133:134], v[101:102], v[99:100]
	s_waitcnt vmcnt(2) lgkmcnt(0)
	v_fma_f64 v[99:100], v[131:132], v[105:106], v[99:100]
	s_waitcnt vmcnt(0)
	v_add_f64 v[99:100], v[107:108], -v[99:100]
	buffer_store_dword v100, off, s[0:3], 0 offset:260
	buffer_store_dword v99, off, s[0:3], 0 offset:256
	v_cmpx_lt_u32_e32 31, v0
	s_cbranch_execz .LBB111_235
; %bb.234:
	s_clause 0x1
	buffer_load_dword v99, off, s[0:3], 0 offset:248
	buffer_load_dword v100, off, s[0:3], 0 offset:252
	buffer_store_dword v98, off, s[0:3], 0 offset:248
	buffer_store_dword v98, off, s[0:3], 0 offset:252
	s_waitcnt vmcnt(0)
	ds_write_b64 v97, v[99:100]
.LBB111_235:
	s_or_b32 exec_lo, exec_lo, s4
	s_waitcnt lgkmcnt(0)
	s_waitcnt_vscnt null, 0x0
	s_barrier
	buffer_gl0_inv
	s_clause 0x1c
	buffer_load_dword v107, off, s[0:3], 0 offset:256
	buffer_load_dword v108, off, s[0:3], 0 offset:260
	;; [unrolled: 1-line block ×29, first 2 shown]
	ds_read_b128 v[99:102], v98 offset:640
	ds_read_b128 v[103:106], v98 offset:656
	buffer_load_dword v132, off, s[0:3], 0 offset:372
	s_mov_b32 s4, exec_lo
	s_waitcnt vmcnt(28) lgkmcnt(1)
	v_fma_f64 v[99:100], v[107:108], v[99:100], 0
	s_clause 0x1
	buffer_load_dword v108, off, s[0:3], 0 offset:380
	buffer_load_dword v107, off, s[0:3], 0 offset:376
	s_waitcnt vmcnt(28)
	v_fma_f64 v[99:100], v[109:110], v[101:102], v[99:100]
	s_clause 0x1
	buffer_load_dword v109, off, s[0:3], 0 offset:248
	buffer_load_dword v110, off, s[0:3], 0 offset:252
	s_waitcnt vmcnt(28) lgkmcnt(0)
	v_fma_f64 v[99:100], v[111:112], v[103:104], v[99:100]
	s_waitcnt vmcnt(26)
	v_fma_f64 v[111:112], v[113:114], v[105:106], v[99:100]
	ds_read_b128 v[99:102], v98 offset:672
	ds_read_b128 v[103:106], v98 offset:688
	s_waitcnt vmcnt(24) lgkmcnt(1)
	v_fma_f64 v[99:100], v[115:116], v[99:100], v[111:112]
	s_waitcnt vmcnt(22)
	v_fma_f64 v[99:100], v[117:118], v[101:102], v[99:100]
	s_waitcnt vmcnt(20) lgkmcnt(0)
	v_fma_f64 v[99:100], v[119:120], v[103:104], v[99:100]
	s_waitcnt vmcnt(15)
	v_fma_f64 v[111:112], v[121:122], v[105:106], v[99:100]
	ds_read_b128 v[99:102], v98 offset:704
	ds_read_b128 v[103:106], v98 offset:720
	s_waitcnt vmcnt(14) lgkmcnt(1)
	v_fma_f64 v[99:100], v[127:128], v[99:100], v[111:112]
	s_waitcnt vmcnt(13)
	v_fma_f64 v[99:100], v[125:126], v[101:102], v[99:100]
	;; [unrolled: 10-line block ×3, first 2 shown]
	s_waitcnt vmcnt(4) lgkmcnt(0)
	v_fma_f64 v[98:99], v[131:132], v[103:104], v[98:99]
	s_waitcnt vmcnt(2)
	v_fma_f64 v[98:99], v[107:108], v[105:106], v[98:99]
	s_waitcnt vmcnt(0)
	v_add_f64 v[98:99], v[109:110], -v[98:99]
	buffer_store_dword v99, off, s[0:3], 0 offset:252
	buffer_store_dword v98, off, s[0:3], 0 offset:248
	v_cmpx_lt_u32_e32 30, v0
	s_cbranch_execz .LBB111_237
; %bb.236:
	s_clause 0x1
	buffer_load_dword v98, off, s[0:3], 0 offset:240
	buffer_load_dword v99, off, s[0:3], 0 offset:244
	v_mov_b32_e32 v100, 0
	buffer_store_dword v100, off, s[0:3], 0 offset:240
	buffer_store_dword v100, off, s[0:3], 0 offset:244
	s_waitcnt vmcnt(0)
	ds_write_b64 v97, v[98:99]
.LBB111_237:
	s_or_b32 exec_lo, exec_lo, s4
	s_waitcnt lgkmcnt(0)
	s_waitcnt_vscnt null, 0x0
	s_barrier
	buffer_gl0_inv
	s_clause 0x1c
	buffer_load_dword v107, off, s[0:3], 0 offset:248
	buffer_load_dword v108, off, s[0:3], 0 offset:252
	;; [unrolled: 1-line block ×29, first 2 shown]
	v_mov_b32_e32 v98, 0
	buffer_load_dword v132, off, s[0:3], 0 offset:364
	s_mov_b32 s4, exec_lo
	ds_read2_b64 v[99:102], v98 offset0:79 offset1:80
	ds_read2_b64 v[103:106], v98 offset0:81 offset1:82
	s_waitcnt vmcnt(28) lgkmcnt(1)
	v_fma_f64 v[99:100], v[107:108], v[99:100], 0
	s_clause 0x3
	buffer_load_dword v108, off, s[0:3], 0 offset:372
	buffer_load_dword v137, off, s[0:3], 0 offset:376
	;; [unrolled: 1-line block ×4, first 2 shown]
	s_waitcnt vmcnt(30)
	v_fma_f64 v[99:100], v[109:110], v[101:102], v[99:100]
	s_clause 0x1
	buffer_load_dword v109, off, s[0:3], 0 offset:240
	buffer_load_dword v110, off, s[0:3], 0 offset:244
	s_waitcnt vmcnt(30) lgkmcnt(0)
	v_fma_f64 v[99:100], v[111:112], v[103:104], v[99:100]
	s_waitcnt vmcnt(28)
	v_fma_f64 v[111:112], v[113:114], v[105:106], v[99:100]
	ds_read2_b64 v[99:102], v98 offset0:83 offset1:84
	ds_read2_b64 v[103:106], v98 offset0:85 offset1:86
	s_waitcnt vmcnt(26) lgkmcnt(1)
	v_fma_f64 v[99:100], v[115:116], v[99:100], v[111:112]
	s_waitcnt vmcnt(24)
	v_fma_f64 v[99:100], v[117:118], v[101:102], v[99:100]
	s_waitcnt vmcnt(22) lgkmcnt(0)
	v_fma_f64 v[99:100], v[119:120], v[103:104], v[99:100]
	s_waitcnt vmcnt(17)
	v_fma_f64 v[111:112], v[121:122], v[105:106], v[99:100]
	ds_read2_b64 v[99:102], v98 offset0:87 offset1:88
	ds_read2_b64 v[103:106], v98 offset0:89 offset1:90
	s_waitcnt vmcnt(16) lgkmcnt(1)
	v_fma_f64 v[99:100], v[127:128], v[99:100], v[111:112]
	s_waitcnt vmcnt(15)
	v_fma_f64 v[99:100], v[125:126], v[101:102], v[99:100]
	;; [unrolled: 10-line block ×3, first 2 shown]
	ds_read_b64 v[101:102], v98 offset:760
	s_waitcnt vmcnt(6) lgkmcnt(1)
	v_fma_f64 v[99:100], v[131:132], v[103:104], v[99:100]
	s_waitcnt vmcnt(3)
	v_fma_f64 v[99:100], v[107:108], v[105:106], v[99:100]
	s_waitcnt vmcnt(2) lgkmcnt(0)
	v_fma_f64 v[99:100], v[137:138], v[101:102], v[99:100]
	s_waitcnt vmcnt(0)
	v_add_f64 v[99:100], v[109:110], -v[99:100]
	buffer_store_dword v100, off, s[0:3], 0 offset:244
	buffer_store_dword v99, off, s[0:3], 0 offset:240
	v_cmpx_lt_u32_e32 29, v0
	s_cbranch_execz .LBB111_239
; %bb.238:
	s_clause 0x1
	buffer_load_dword v99, off, s[0:3], 0 offset:232
	buffer_load_dword v100, off, s[0:3], 0 offset:236
	buffer_store_dword v98, off, s[0:3], 0 offset:232
	buffer_store_dword v98, off, s[0:3], 0 offset:236
	s_waitcnt vmcnt(0)
	ds_write_b64 v97, v[99:100]
.LBB111_239:
	s_or_b32 exec_lo, exec_lo, s4
	s_waitcnt lgkmcnt(0)
	s_waitcnt_vscnt null, 0x0
	s_barrier
	buffer_gl0_inv
	s_clause 0x1c
	buffer_load_dword v107, off, s[0:3], 0 offset:240
	buffer_load_dword v108, off, s[0:3], 0 offset:244
	;; [unrolled: 1-line block ×29, first 2 shown]
	ds_read_b128 v[99:102], v98 offset:624
	ds_read_b128 v[103:106], v98 offset:640
	buffer_load_dword v132, off, s[0:3], 0 offset:356
	s_mov_b32 s4, exec_lo
	s_waitcnt vmcnt(28) lgkmcnt(1)
	v_fma_f64 v[99:100], v[107:108], v[99:100], 0
	s_clause 0x5
	buffer_load_dword v108, off, s[0:3], 0 offset:364
	buffer_load_dword v137, off, s[0:3], 0 offset:376
	;; [unrolled: 1-line block ×6, first 2 shown]
	s_waitcnt vmcnt(32)
	v_fma_f64 v[99:100], v[109:110], v[101:102], v[99:100]
	s_waitcnt vmcnt(30) lgkmcnt(0)
	v_fma_f64 v[99:100], v[111:112], v[103:104], v[99:100]
	s_waitcnt vmcnt(28)
	v_fma_f64 v[109:110], v[113:114], v[105:106], v[99:100]
	ds_read_b128 v[99:102], v98 offset:656
	s_clause 0x1
	buffer_load_dword v111, off, s[0:3], 0 offset:232
	buffer_load_dword v112, off, s[0:3], 0 offset:236
	ds_read_b128 v[103:106], v98 offset:672
	s_waitcnt vmcnt(28) lgkmcnt(1)
	v_fma_f64 v[99:100], v[115:116], v[99:100], v[109:110]
	s_waitcnt vmcnt(26)
	v_fma_f64 v[99:100], v[117:118], v[101:102], v[99:100]
	s_waitcnt vmcnt(24) lgkmcnt(0)
	v_fma_f64 v[99:100], v[119:120], v[103:104], v[99:100]
	s_waitcnt vmcnt(19)
	v_fma_f64 v[109:110], v[121:122], v[105:106], v[99:100]
	ds_read_b128 v[99:102], v98 offset:688
	ds_read_b128 v[103:106], v98 offset:704
	s_waitcnt vmcnt(18) lgkmcnt(1)
	v_fma_f64 v[99:100], v[127:128], v[99:100], v[109:110]
	s_waitcnt vmcnt(17)
	v_fma_f64 v[99:100], v[125:126], v[101:102], v[99:100]
	s_waitcnt vmcnt(16) lgkmcnt(0)
	v_fma_f64 v[99:100], v[123:124], v[103:104], v[99:100]
	s_waitcnt vmcnt(11)
	v_fma_f64 v[109:110], v[129:130], v[105:106], v[99:100]
	ds_read_b128 v[99:102], v98 offset:720
	;; [unrolled: 10-line block ×3, first 2 shown]
	s_waitcnt vmcnt(3) lgkmcnt(0)
	v_fma_f64 v[98:99], v[139:140], v[98:99], v[102:103]
	s_waitcnt vmcnt(2)
	v_fma_f64 v[98:99], v[137:138], v[100:101], v[98:99]
	s_waitcnt vmcnt(0)
	v_add_f64 v[98:99], v[111:112], -v[98:99]
	buffer_store_dword v99, off, s[0:3], 0 offset:236
	buffer_store_dword v98, off, s[0:3], 0 offset:232
	v_cmpx_lt_u32_e32 28, v0
	s_cbranch_execz .LBB111_241
; %bb.240:
	s_clause 0x1
	buffer_load_dword v98, off, s[0:3], 0 offset:224
	buffer_load_dword v99, off, s[0:3], 0 offset:228
	v_mov_b32_e32 v100, 0
	buffer_store_dword v100, off, s[0:3], 0 offset:224
	buffer_store_dword v100, off, s[0:3], 0 offset:228
	s_waitcnt vmcnt(0)
	ds_write_b64 v97, v[98:99]
.LBB111_241:
	s_or_b32 exec_lo, exec_lo, s4
	s_waitcnt lgkmcnt(0)
	s_waitcnt_vscnt null, 0x0
	s_barrier
	buffer_gl0_inv
	s_clause 0x1c
	buffer_load_dword v107, off, s[0:3], 0 offset:232
	buffer_load_dword v108, off, s[0:3], 0 offset:236
	buffer_load_dword v109, off, s[0:3], 0 offset:240
	buffer_load_dword v110, off, s[0:3], 0 offset:244
	buffer_load_dword v111, off, s[0:3], 0 offset:248
	buffer_load_dword v112, off, s[0:3], 0 offset:252
	buffer_load_dword v113, off, s[0:3], 0 offset:256
	buffer_load_dword v114, off, s[0:3], 0 offset:260
	buffer_load_dword v115, off, s[0:3], 0 offset:264
	buffer_load_dword v116, off, s[0:3], 0 offset:268
	buffer_load_dword v117, off, s[0:3], 0 offset:272
	buffer_load_dword v118, off, s[0:3], 0 offset:276
	buffer_load_dword v119, off, s[0:3], 0 offset:280
	buffer_load_dword v120, off, s[0:3], 0 offset:284
	buffer_load_dword v122, off, s[0:3], 0 offset:292
	buffer_load_dword v123, off, s[0:3], 0 offset:312
	buffer_load_dword v125, off, s[0:3], 0 offset:304
	buffer_load_dword v127, off, s[0:3], 0 offset:296
	buffer_load_dword v121, off, s[0:3], 0 offset:288
	buffer_load_dword v128, off, s[0:3], 0 offset:300
	buffer_load_dword v126, off, s[0:3], 0 offset:308
	buffer_load_dword v124, off, s[0:3], 0 offset:316
	buffer_load_dword v130, off, s[0:3], 0 offset:324
	buffer_load_dword v131, off, s[0:3], 0 offset:344
	buffer_load_dword v133, off, s[0:3], 0 offset:336
	buffer_load_dword v135, off, s[0:3], 0 offset:328
	buffer_load_dword v129, off, s[0:3], 0 offset:320
	buffer_load_dword v136, off, s[0:3], 0 offset:332
	buffer_load_dword v134, off, s[0:3], 0 offset:340
	v_mov_b32_e32 v98, 0
	buffer_load_dword v132, off, s[0:3], 0 offset:348
	s_mov_b32 s4, exec_lo
	ds_read2_b64 v[99:102], v98 offset0:77 offset1:78
	ds_read2_b64 v[103:106], v98 offset0:79 offset1:80
	s_waitcnt vmcnt(28) lgkmcnt(1)
	v_fma_f64 v[99:100], v[107:108], v[99:100], 0
	s_clause 0x7
	buffer_load_dword v108, off, s[0:3], 0 offset:356
	buffer_load_dword v137, off, s[0:3], 0 offset:376
	;; [unrolled: 1-line block ×8, first 2 shown]
	s_waitcnt vmcnt(34)
	v_fma_f64 v[99:100], v[109:110], v[101:102], v[99:100]
	s_waitcnt vmcnt(32) lgkmcnt(0)
	v_fma_f64 v[99:100], v[111:112], v[103:104], v[99:100]
	s_waitcnt vmcnt(30)
	v_fma_f64 v[109:110], v[113:114], v[105:106], v[99:100]
	ds_read2_b64 v[99:102], v98 offset0:81 offset1:82
	ds_read2_b64 v[103:106], v98 offset0:83 offset1:84
	s_waitcnt vmcnt(28) lgkmcnt(1)
	v_fma_f64 v[99:100], v[115:116], v[99:100], v[109:110]
	s_clause 0x1
	buffer_load_dword v109, off, s[0:3], 0 offset:224
	buffer_load_dword v110, off, s[0:3], 0 offset:228
	s_waitcnt vmcnt(28)
	v_fma_f64 v[99:100], v[117:118], v[101:102], v[99:100]
	s_waitcnt vmcnt(26) lgkmcnt(0)
	v_fma_f64 v[99:100], v[119:120], v[103:104], v[99:100]
	s_waitcnt vmcnt(21)
	v_fma_f64 v[111:112], v[121:122], v[105:106], v[99:100]
	ds_read2_b64 v[99:102], v98 offset0:85 offset1:86
	ds_read2_b64 v[103:106], v98 offset0:87 offset1:88
	s_waitcnt vmcnt(20) lgkmcnt(1)
	v_fma_f64 v[99:100], v[127:128], v[99:100], v[111:112]
	s_waitcnt vmcnt(19)
	v_fma_f64 v[99:100], v[125:126], v[101:102], v[99:100]
	s_waitcnt vmcnt(18) lgkmcnt(0)
	v_fma_f64 v[99:100], v[123:124], v[103:104], v[99:100]
	s_waitcnt vmcnt(13)
	v_fma_f64 v[111:112], v[129:130], v[105:106], v[99:100]
	ds_read2_b64 v[99:102], v98 offset0:89 offset1:90
	ds_read2_b64 v[103:106], v98 offset0:91 offset1:92
	s_waitcnt vmcnt(12) lgkmcnt(1)
	v_fma_f64 v[99:100], v[135:136], v[99:100], v[111:112]
	s_waitcnt vmcnt(11)
	v_fma_f64 v[99:100], v[133:134], v[101:102], v[99:100]
	s_waitcnt vmcnt(10) lgkmcnt(0)
	v_fma_f64 v[99:100], v[131:132], v[103:104], v[99:100]
	s_waitcnt vmcnt(5)
	v_fma_f64 v[103:104], v[107:108], v[105:106], v[99:100]
	ds_read2_b64 v[99:102], v98 offset0:93 offset1:94
	ds_read_b64 v[105:106], v98 offset:760
	s_waitcnt vmcnt(4) lgkmcnt(1)
	v_fma_f64 v[99:100], v[141:142], v[99:100], v[103:104]
	s_waitcnt vmcnt(3)
	v_fma_f64 v[99:100], v[139:140], v[101:102], v[99:100]
	s_waitcnt vmcnt(2) lgkmcnt(0)
	v_fma_f64 v[99:100], v[137:138], v[105:106], v[99:100]
	s_waitcnt vmcnt(0)
	v_add_f64 v[99:100], v[109:110], -v[99:100]
	buffer_store_dword v100, off, s[0:3], 0 offset:228
	buffer_store_dword v99, off, s[0:3], 0 offset:224
	v_cmpx_lt_u32_e32 27, v0
	s_cbranch_execz .LBB111_243
; %bb.242:
	s_clause 0x1
	buffer_load_dword v99, off, s[0:3], 0 offset:216
	buffer_load_dword v100, off, s[0:3], 0 offset:220
	buffer_store_dword v98, off, s[0:3], 0 offset:216
	buffer_store_dword v98, off, s[0:3], 0 offset:220
	s_waitcnt vmcnt(0)
	ds_write_b64 v97, v[99:100]
.LBB111_243:
	s_or_b32 exec_lo, exec_lo, s4
	s_waitcnt lgkmcnt(0)
	s_waitcnt_vscnt null, 0x0
	s_barrier
	buffer_gl0_inv
	s_clause 0x1c
	buffer_load_dword v107, off, s[0:3], 0 offset:224
	buffer_load_dword v108, off, s[0:3], 0 offset:228
	;; [unrolled: 1-line block ×29, first 2 shown]
	ds_read_b128 v[99:102], v98 offset:608
	ds_read_b128 v[103:106], v98 offset:624
	buffer_load_dword v132, off, s[0:3], 0 offset:340
	s_mov_b32 s4, exec_lo
	s_waitcnt vmcnt(28) lgkmcnt(1)
	v_fma_f64 v[99:100], v[107:108], v[99:100], 0
	s_clause 0x7
	buffer_load_dword v108, off, s[0:3], 0 offset:348
	buffer_load_dword v137, off, s[0:3], 0 offset:368
	buffer_load_dword v139, off, s[0:3], 0 offset:360
	buffer_load_dword v141, off, s[0:3], 0 offset:352
	buffer_load_dword v107, off, s[0:3], 0 offset:344
	buffer_load_dword v142, off, s[0:3], 0 offset:356
	buffer_load_dword v140, off, s[0:3], 0 offset:364
	buffer_load_dword v138, off, s[0:3], 0 offset:372
	s_waitcnt vmcnt(34)
	v_fma_f64 v[99:100], v[109:110], v[101:102], v[99:100]
	s_waitcnt vmcnt(32) lgkmcnt(0)
	v_fma_f64 v[99:100], v[111:112], v[103:104], v[99:100]
	s_waitcnt vmcnt(30)
	v_fma_f64 v[109:110], v[113:114], v[105:106], v[99:100]
	ds_read_b128 v[99:102], v98 offset:640
	ds_read_b128 v[103:106], v98 offset:656
	s_waitcnt vmcnt(28) lgkmcnt(1)
	v_fma_f64 v[99:100], v[115:116], v[99:100], v[109:110]
	s_clause 0x3
	buffer_load_dword v110, off, s[0:3], 0 offset:380
	buffer_load_dword v109, off, s[0:3], 0 offset:376
	;; [unrolled: 1-line block ×4, first 2 shown]
	s_waitcnt vmcnt(30)
	v_fma_f64 v[99:100], v[117:118], v[101:102], v[99:100]
	s_waitcnt vmcnt(28) lgkmcnt(0)
	v_fma_f64 v[99:100], v[119:120], v[103:104], v[99:100]
	s_waitcnt vmcnt(23)
	v_fma_f64 v[113:114], v[121:122], v[105:106], v[99:100]
	ds_read_b128 v[99:102], v98 offset:672
	ds_read_b128 v[103:106], v98 offset:688
	s_waitcnt vmcnt(22) lgkmcnt(1)
	v_fma_f64 v[99:100], v[127:128], v[99:100], v[113:114]
	s_waitcnt vmcnt(21)
	v_fma_f64 v[99:100], v[125:126], v[101:102], v[99:100]
	s_waitcnt vmcnt(20) lgkmcnt(0)
	v_fma_f64 v[99:100], v[123:124], v[103:104], v[99:100]
	s_waitcnt vmcnt(15)
	v_fma_f64 v[113:114], v[129:130], v[105:106], v[99:100]
	ds_read_b128 v[99:102], v98 offset:704
	ds_read_b128 v[103:106], v98 offset:720
	s_waitcnt vmcnt(14) lgkmcnt(1)
	v_fma_f64 v[99:100], v[135:136], v[99:100], v[113:114]
	s_waitcnt vmcnt(13)
	v_fma_f64 v[99:100], v[133:134], v[101:102], v[99:100]
	s_waitcnt vmcnt(12) lgkmcnt(0)
	v_fma_f64 v[99:100], v[131:132], v[103:104], v[99:100]
	s_waitcnt vmcnt(7)
	v_fma_f64 v[107:108], v[107:108], v[105:106], v[99:100]
	ds_read_b128 v[99:102], v98 offset:736
	ds_read_b128 v[103:106], v98 offset:752
	s_waitcnt vmcnt(6) lgkmcnt(1)
	v_fma_f64 v[98:99], v[141:142], v[99:100], v[107:108]
	s_waitcnt vmcnt(5)
	v_fma_f64 v[98:99], v[139:140], v[101:102], v[98:99]
	s_waitcnt vmcnt(4) lgkmcnt(0)
	v_fma_f64 v[98:99], v[137:138], v[103:104], v[98:99]
	s_waitcnt vmcnt(2)
	v_fma_f64 v[98:99], v[109:110], v[105:106], v[98:99]
	s_waitcnt vmcnt(0)
	v_add_f64 v[98:99], v[111:112], -v[98:99]
	buffer_store_dword v99, off, s[0:3], 0 offset:220
	buffer_store_dword v98, off, s[0:3], 0 offset:216
	v_cmpx_lt_u32_e32 26, v0
	s_cbranch_execz .LBB111_245
; %bb.244:
	s_clause 0x1
	buffer_load_dword v98, off, s[0:3], 0 offset:208
	buffer_load_dword v99, off, s[0:3], 0 offset:212
	v_mov_b32_e32 v100, 0
	buffer_store_dword v100, off, s[0:3], 0 offset:208
	buffer_store_dword v100, off, s[0:3], 0 offset:212
	s_waitcnt vmcnt(0)
	ds_write_b64 v97, v[98:99]
.LBB111_245:
	s_or_b32 exec_lo, exec_lo, s4
	s_waitcnt lgkmcnt(0)
	s_waitcnt_vscnt null, 0x0
	s_barrier
	buffer_gl0_inv
	s_clause 0x1c
	buffer_load_dword v107, off, s[0:3], 0 offset:216
	buffer_load_dword v108, off, s[0:3], 0 offset:220
	;; [unrolled: 1-line block ×29, first 2 shown]
	v_mov_b32_e32 v98, 0
	buffer_load_dword v132, off, s[0:3], 0 offset:332
	s_mov_b32 s4, exec_lo
	ds_read2_b64 v[99:102], v98 offset0:75 offset1:76
	ds_read2_b64 v[103:106], v98 offset0:77 offset1:78
	s_waitcnt vmcnt(28) lgkmcnt(1)
	v_fma_f64 v[99:100], v[107:108], v[99:100], 0
	s_clause 0x7
	buffer_load_dword v108, off, s[0:3], 0 offset:340
	buffer_load_dword v137, off, s[0:3], 0 offset:360
	;; [unrolled: 1-line block ×8, first 2 shown]
	s_waitcnt vmcnt(34)
	v_fma_f64 v[99:100], v[109:110], v[101:102], v[99:100]
	s_waitcnt vmcnt(32) lgkmcnt(0)
	v_fma_f64 v[99:100], v[111:112], v[103:104], v[99:100]
	s_waitcnt vmcnt(30)
	v_fma_f64 v[109:110], v[113:114], v[105:106], v[99:100]
	ds_read2_b64 v[99:102], v98 offset0:79 offset1:80
	ds_read2_b64 v[103:106], v98 offset0:81 offset1:82
	s_waitcnt vmcnt(28) lgkmcnt(1)
	v_fma_f64 v[99:100], v[115:116], v[99:100], v[109:110]
	s_clause 0x5
	buffer_load_dword v110, off, s[0:3], 0 offset:372
	buffer_load_dword v111, off, s[0:3], 0 offset:376
	;; [unrolled: 1-line block ×6, first 2 shown]
	s_waitcnt vmcnt(32)
	v_fma_f64 v[99:100], v[117:118], v[101:102], v[99:100]
	s_waitcnt vmcnt(30) lgkmcnt(0)
	v_fma_f64 v[99:100], v[119:120], v[103:104], v[99:100]
	s_waitcnt vmcnt(25)
	v_fma_f64 v[115:116], v[121:122], v[105:106], v[99:100]
	ds_read2_b64 v[99:102], v98 offset0:83 offset1:84
	ds_read2_b64 v[103:106], v98 offset0:85 offset1:86
	s_waitcnt vmcnt(24) lgkmcnt(1)
	v_fma_f64 v[99:100], v[127:128], v[99:100], v[115:116]
	s_waitcnt vmcnt(23)
	v_fma_f64 v[99:100], v[125:126], v[101:102], v[99:100]
	s_waitcnt vmcnt(22) lgkmcnt(0)
	v_fma_f64 v[99:100], v[123:124], v[103:104], v[99:100]
	s_waitcnt vmcnt(17)
	v_fma_f64 v[115:116], v[129:130], v[105:106], v[99:100]
	ds_read2_b64 v[99:102], v98 offset0:87 offset1:88
	ds_read2_b64 v[103:106], v98 offset0:89 offset1:90
	s_waitcnt vmcnt(16) lgkmcnt(1)
	v_fma_f64 v[99:100], v[135:136], v[99:100], v[115:116]
	;; [unrolled: 10-line block ×3, first 2 shown]
	s_waitcnt vmcnt(7)
	v_fma_f64 v[99:100], v[139:140], v[101:102], v[99:100]
	ds_read_b64 v[101:102], v98 offset:760
	s_waitcnt vmcnt(6) lgkmcnt(1)
	v_fma_f64 v[99:100], v[137:138], v[103:104], v[99:100]
	s_waitcnt vmcnt(3)
	v_fma_f64 v[99:100], v[109:110], v[105:106], v[99:100]
	s_waitcnt vmcnt(2) lgkmcnt(0)
	v_fma_f64 v[99:100], v[111:112], v[101:102], v[99:100]
	s_waitcnt vmcnt(0)
	v_add_f64 v[99:100], v[113:114], -v[99:100]
	buffer_store_dword v100, off, s[0:3], 0 offset:212
	buffer_store_dword v99, off, s[0:3], 0 offset:208
	v_cmpx_lt_u32_e32 25, v0
	s_cbranch_execz .LBB111_247
; %bb.246:
	s_clause 0x1
	buffer_load_dword v99, off, s[0:3], 0 offset:200
	buffer_load_dword v100, off, s[0:3], 0 offset:204
	buffer_store_dword v98, off, s[0:3], 0 offset:200
	buffer_store_dword v98, off, s[0:3], 0 offset:204
	s_waitcnt vmcnt(0)
	ds_write_b64 v97, v[99:100]
.LBB111_247:
	s_or_b32 exec_lo, exec_lo, s4
	s_waitcnt lgkmcnt(0)
	s_waitcnt_vscnt null, 0x0
	s_barrier
	buffer_gl0_inv
	s_clause 0x1c
	buffer_load_dword v107, off, s[0:3], 0 offset:208
	buffer_load_dword v108, off, s[0:3], 0 offset:212
	;; [unrolled: 1-line block ×29, first 2 shown]
	ds_read_b128 v[99:102], v98 offset:592
	ds_read_b128 v[103:106], v98 offset:608
	buffer_load_dword v132, off, s[0:3], 0 offset:324
	s_mov_b32 s4, exec_lo
	s_waitcnt vmcnt(28) lgkmcnt(1)
	v_fma_f64 v[99:100], v[107:108], v[99:100], 0
	s_clause 0x7
	buffer_load_dword v108, off, s[0:3], 0 offset:332
	buffer_load_dword v137, off, s[0:3], 0 offset:352
	;; [unrolled: 1-line block ×8, first 2 shown]
	s_waitcnt vmcnt(34)
	v_fma_f64 v[99:100], v[109:110], v[101:102], v[99:100]
	s_waitcnt vmcnt(32) lgkmcnt(0)
	v_fma_f64 v[99:100], v[111:112], v[103:104], v[99:100]
	s_waitcnt vmcnt(30)
	v_fma_f64 v[109:110], v[113:114], v[105:106], v[99:100]
	ds_read_b128 v[99:102], v98 offset:624
	ds_read_b128 v[103:106], v98 offset:640
	s_waitcnt vmcnt(28) lgkmcnt(1)
	v_fma_f64 v[99:100], v[115:116], v[99:100], v[109:110]
	s_clause 0x5
	buffer_load_dword v110, off, s[0:3], 0 offset:364
	buffer_load_dword v111, off, s[0:3], 0 offset:376
	;; [unrolled: 1-line block ×6, first 2 shown]
	s_waitcnt vmcnt(32)
	v_fma_f64 v[99:100], v[117:118], v[101:102], v[99:100]
	s_waitcnt vmcnt(30) lgkmcnt(0)
	v_fma_f64 v[99:100], v[119:120], v[103:104], v[99:100]
	s_waitcnt vmcnt(25)
	v_fma_f64 v[115:116], v[121:122], v[105:106], v[99:100]
	ds_read_b128 v[99:102], v98 offset:656
	s_clause 0x1
	buffer_load_dword v117, off, s[0:3], 0 offset:200
	buffer_load_dword v118, off, s[0:3], 0 offset:204
	ds_read_b128 v[103:106], v98 offset:672
	s_waitcnt vmcnt(26) lgkmcnt(1)
	v_fma_f64 v[99:100], v[127:128], v[99:100], v[115:116]
	s_waitcnt vmcnt(25)
	v_fma_f64 v[99:100], v[125:126], v[101:102], v[99:100]
	s_waitcnt vmcnt(24) lgkmcnt(0)
	v_fma_f64 v[99:100], v[123:124], v[103:104], v[99:100]
	s_waitcnt vmcnt(19)
	v_fma_f64 v[115:116], v[129:130], v[105:106], v[99:100]
	ds_read_b128 v[99:102], v98 offset:688
	ds_read_b128 v[103:106], v98 offset:704
	s_waitcnt vmcnt(18) lgkmcnt(1)
	v_fma_f64 v[99:100], v[135:136], v[99:100], v[115:116]
	s_waitcnt vmcnt(17)
	v_fma_f64 v[99:100], v[133:134], v[101:102], v[99:100]
	s_waitcnt vmcnt(16) lgkmcnt(0)
	v_fma_f64 v[99:100], v[131:132], v[103:104], v[99:100]
	s_waitcnt vmcnt(11)
	v_fma_f64 v[107:108], v[107:108], v[105:106], v[99:100]
	ds_read_b128 v[99:102], v98 offset:720
	;; [unrolled: 10-line block ×3, first 2 shown]
	s_waitcnt vmcnt(3) lgkmcnt(0)
	v_fma_f64 v[98:99], v[113:114], v[98:99], v[102:103]
	s_waitcnt vmcnt(2)
	v_fma_f64 v[98:99], v[111:112], v[100:101], v[98:99]
	s_waitcnt vmcnt(0)
	v_add_f64 v[98:99], v[117:118], -v[98:99]
	buffer_store_dword v99, off, s[0:3], 0 offset:204
	buffer_store_dword v98, off, s[0:3], 0 offset:200
	v_cmpx_lt_u32_e32 24, v0
	s_cbranch_execz .LBB111_249
; %bb.248:
	s_clause 0x1
	buffer_load_dword v98, off, s[0:3], 0 offset:192
	buffer_load_dword v99, off, s[0:3], 0 offset:196
	v_mov_b32_e32 v100, 0
	buffer_store_dword v100, off, s[0:3], 0 offset:192
	buffer_store_dword v100, off, s[0:3], 0 offset:196
	s_waitcnt vmcnt(0)
	ds_write_b64 v97, v[98:99]
.LBB111_249:
	s_or_b32 exec_lo, exec_lo, s4
	s_waitcnt lgkmcnt(0)
	s_waitcnt_vscnt null, 0x0
	s_barrier
	buffer_gl0_inv
	s_clause 0x1c
	buffer_load_dword v107, off, s[0:3], 0 offset:200
	buffer_load_dword v108, off, s[0:3], 0 offset:204
	;; [unrolled: 1-line block ×29, first 2 shown]
	v_mov_b32_e32 v98, 0
	buffer_load_dword v132, off, s[0:3], 0 offset:316
	s_mov_b32 s4, exec_lo
	ds_read2_b64 v[99:102], v98 offset0:73 offset1:74
	ds_read2_b64 v[103:106], v98 offset0:75 offset1:76
	s_waitcnt vmcnt(28) lgkmcnt(1)
	v_fma_f64 v[99:100], v[107:108], v[99:100], 0
	s_clause 0x7
	buffer_load_dword v108, off, s[0:3], 0 offset:324
	buffer_load_dword v137, off, s[0:3], 0 offset:344
	;; [unrolled: 1-line block ×8, first 2 shown]
	s_waitcnt vmcnt(34)
	v_fma_f64 v[99:100], v[109:110], v[101:102], v[99:100]
	s_waitcnt vmcnt(32) lgkmcnt(0)
	v_fma_f64 v[99:100], v[111:112], v[103:104], v[99:100]
	s_waitcnt vmcnt(30)
	v_fma_f64 v[109:110], v[113:114], v[105:106], v[99:100]
	ds_read2_b64 v[99:102], v98 offset0:77 offset1:78
	ds_read2_b64 v[103:106], v98 offset0:79 offset1:80
	s_waitcnt vmcnt(28) lgkmcnt(1)
	v_fma_f64 v[99:100], v[115:116], v[99:100], v[109:110]
	s_clause 0x7
	buffer_load_dword v110, off, s[0:3], 0 offset:356
	buffer_load_dword v111, off, s[0:3], 0 offset:376
	;; [unrolled: 1-line block ×8, first 2 shown]
	s_waitcnt vmcnt(34)
	v_fma_f64 v[99:100], v[117:118], v[101:102], v[99:100]
	s_waitcnt vmcnt(32) lgkmcnt(0)
	v_fma_f64 v[99:100], v[119:120], v[103:104], v[99:100]
	s_waitcnt vmcnt(27)
	v_fma_f64 v[117:118], v[121:122], v[105:106], v[99:100]
	ds_read2_b64 v[99:102], v98 offset0:81 offset1:82
	ds_read2_b64 v[103:106], v98 offset0:83 offset1:84
	s_waitcnt vmcnt(26) lgkmcnt(1)
	v_fma_f64 v[99:100], v[127:128], v[99:100], v[117:118]
	s_clause 0x1
	buffer_load_dword v117, off, s[0:3], 0 offset:192
	buffer_load_dword v118, off, s[0:3], 0 offset:196
	s_waitcnt vmcnt(27)
	v_fma_f64 v[99:100], v[125:126], v[101:102], v[99:100]
	s_waitcnt vmcnt(26) lgkmcnt(0)
	v_fma_f64 v[99:100], v[123:124], v[103:104], v[99:100]
	s_waitcnt vmcnt(21)
	v_fma_f64 v[119:120], v[129:130], v[105:106], v[99:100]
	ds_read2_b64 v[99:102], v98 offset0:85 offset1:86
	ds_read2_b64 v[103:106], v98 offset0:87 offset1:88
	s_waitcnt vmcnt(20) lgkmcnt(1)
	v_fma_f64 v[99:100], v[135:136], v[99:100], v[119:120]
	s_waitcnt vmcnt(19)
	v_fma_f64 v[99:100], v[133:134], v[101:102], v[99:100]
	s_waitcnt vmcnt(18) lgkmcnt(0)
	v_fma_f64 v[99:100], v[131:132], v[103:104], v[99:100]
	s_waitcnt vmcnt(13)
	v_fma_f64 v[107:108], v[107:108], v[105:106], v[99:100]
	ds_read2_b64 v[99:102], v98 offset0:89 offset1:90
	ds_read2_b64 v[103:106], v98 offset0:91 offset1:92
	s_waitcnt vmcnt(12) lgkmcnt(1)
	v_fma_f64 v[99:100], v[141:142], v[99:100], v[107:108]
	s_waitcnt vmcnt(11)
	v_fma_f64 v[99:100], v[139:140], v[101:102], v[99:100]
	s_waitcnt vmcnt(10) lgkmcnt(0)
	v_fma_f64 v[99:100], v[137:138], v[103:104], v[99:100]
	s_waitcnt vmcnt(5)
	v_fma_f64 v[103:104], v[109:110], v[105:106], v[99:100]
	ds_read2_b64 v[99:102], v98 offset0:93 offset1:94
	ds_read_b64 v[105:106], v98 offset:760
	s_waitcnt vmcnt(4) lgkmcnt(1)
	v_fma_f64 v[99:100], v[115:116], v[99:100], v[103:104]
	s_waitcnt vmcnt(3)
	v_fma_f64 v[99:100], v[113:114], v[101:102], v[99:100]
	s_waitcnt vmcnt(2) lgkmcnt(0)
	v_fma_f64 v[99:100], v[111:112], v[105:106], v[99:100]
	s_waitcnt vmcnt(0)
	v_add_f64 v[99:100], v[117:118], -v[99:100]
	buffer_store_dword v100, off, s[0:3], 0 offset:196
	buffer_store_dword v99, off, s[0:3], 0 offset:192
	v_cmpx_lt_u32_e32 23, v0
	s_cbranch_execz .LBB111_251
; %bb.250:
	s_clause 0x1
	buffer_load_dword v99, off, s[0:3], 0 offset:184
	buffer_load_dword v100, off, s[0:3], 0 offset:188
	buffer_store_dword v98, off, s[0:3], 0 offset:184
	buffer_store_dword v98, off, s[0:3], 0 offset:188
	s_waitcnt vmcnt(0)
	ds_write_b64 v97, v[99:100]
.LBB111_251:
	s_or_b32 exec_lo, exec_lo, s4
	s_waitcnt lgkmcnt(0)
	s_waitcnt_vscnt null, 0x0
	s_barrier
	buffer_gl0_inv
	s_clause 0x1c
	buffer_load_dword v107, off, s[0:3], 0 offset:192
	buffer_load_dword v108, off, s[0:3], 0 offset:196
	;; [unrolled: 1-line block ×29, first 2 shown]
	ds_read_b128 v[99:102], v98 offset:576
	ds_read_b128 v[103:106], v98 offset:592
	buffer_load_dword v132, off, s[0:3], 0 offset:308
	s_mov_b32 s4, exec_lo
	s_waitcnt vmcnt(28) lgkmcnt(1)
	v_fma_f64 v[99:100], v[107:108], v[99:100], 0
	s_clause 0x7
	buffer_load_dword v108, off, s[0:3], 0 offset:316
	buffer_load_dword v137, off, s[0:3], 0 offset:336
	;; [unrolled: 1-line block ×8, first 2 shown]
	s_waitcnt vmcnt(34)
	v_fma_f64 v[99:100], v[109:110], v[101:102], v[99:100]
	s_waitcnt vmcnt(32) lgkmcnt(0)
	v_fma_f64 v[99:100], v[111:112], v[103:104], v[99:100]
	s_waitcnt vmcnt(30)
	v_fma_f64 v[109:110], v[113:114], v[105:106], v[99:100]
	ds_read_b128 v[99:102], v98 offset:608
	ds_read_b128 v[103:106], v98 offset:624
	s_waitcnt vmcnt(28) lgkmcnt(1)
	v_fma_f64 v[99:100], v[115:116], v[99:100], v[109:110]
	s_clause 0x7
	buffer_load_dword v110, off, s[0:3], 0 offset:348
	buffer_load_dword v111, off, s[0:3], 0 offset:368
	;; [unrolled: 1-line block ×8, first 2 shown]
	s_waitcnt vmcnt(34)
	v_fma_f64 v[99:100], v[117:118], v[101:102], v[99:100]
	s_waitcnt vmcnt(32) lgkmcnt(0)
	v_fma_f64 v[99:100], v[119:120], v[103:104], v[99:100]
	s_waitcnt vmcnt(27)
	v_fma_f64 v[117:118], v[121:122], v[105:106], v[99:100]
	ds_read_b128 v[99:102], v98 offset:640
	ds_read_b128 v[103:106], v98 offset:656
	s_waitcnt vmcnt(26) lgkmcnt(1)
	v_fma_f64 v[99:100], v[127:128], v[99:100], v[117:118]
	s_clause 0x3
	buffer_load_dword v118, off, s[0:3], 0 offset:380
	buffer_load_dword v117, off, s[0:3], 0 offset:376
	;; [unrolled: 1-line block ×4, first 2 shown]
	s_waitcnt vmcnt(29)
	v_fma_f64 v[99:100], v[125:126], v[101:102], v[99:100]
	s_waitcnt vmcnt(28) lgkmcnt(0)
	v_fma_f64 v[99:100], v[123:124], v[103:104], v[99:100]
	s_waitcnt vmcnt(23)
	v_fma_f64 v[121:122], v[129:130], v[105:106], v[99:100]
	ds_read_b128 v[99:102], v98 offset:672
	ds_read_b128 v[103:106], v98 offset:688
	s_waitcnt vmcnt(22) lgkmcnt(1)
	v_fma_f64 v[99:100], v[135:136], v[99:100], v[121:122]
	s_waitcnt vmcnt(21)
	v_fma_f64 v[99:100], v[133:134], v[101:102], v[99:100]
	s_waitcnt vmcnt(20) lgkmcnt(0)
	v_fma_f64 v[99:100], v[131:132], v[103:104], v[99:100]
	s_waitcnt vmcnt(15)
	v_fma_f64 v[107:108], v[107:108], v[105:106], v[99:100]
	ds_read_b128 v[99:102], v98 offset:704
	ds_read_b128 v[103:106], v98 offset:720
	s_waitcnt vmcnt(14) lgkmcnt(1)
	v_fma_f64 v[99:100], v[141:142], v[99:100], v[107:108]
	;; [unrolled: 10-line block ×3, first 2 shown]
	s_waitcnt vmcnt(5)
	v_fma_f64 v[98:99], v[113:114], v[101:102], v[98:99]
	s_waitcnt vmcnt(4) lgkmcnt(0)
	v_fma_f64 v[98:99], v[111:112], v[103:104], v[98:99]
	s_waitcnt vmcnt(2)
	v_fma_f64 v[98:99], v[117:118], v[105:106], v[98:99]
	s_waitcnt vmcnt(0)
	v_add_f64 v[98:99], v[119:120], -v[98:99]
	buffer_store_dword v99, off, s[0:3], 0 offset:188
	buffer_store_dword v98, off, s[0:3], 0 offset:184
	v_cmpx_lt_u32_e32 22, v0
	s_cbranch_execz .LBB111_253
; %bb.252:
	s_clause 0x1
	buffer_load_dword v98, off, s[0:3], 0 offset:176
	buffer_load_dword v99, off, s[0:3], 0 offset:180
	v_mov_b32_e32 v100, 0
	buffer_store_dword v100, off, s[0:3], 0 offset:176
	buffer_store_dword v100, off, s[0:3], 0 offset:180
	s_waitcnt vmcnt(0)
	ds_write_b64 v97, v[98:99]
.LBB111_253:
	s_or_b32 exec_lo, exec_lo, s4
	s_waitcnt lgkmcnt(0)
	s_waitcnt_vscnt null, 0x0
	s_barrier
	buffer_gl0_inv
	s_clause 0x1c
	buffer_load_dword v107, off, s[0:3], 0 offset:184
	buffer_load_dword v108, off, s[0:3], 0 offset:188
	;; [unrolled: 1-line block ×29, first 2 shown]
	v_mov_b32_e32 v98, 0
	buffer_load_dword v132, off, s[0:3], 0 offset:300
	s_mov_b32 s4, exec_lo
	ds_read2_b64 v[99:102], v98 offset0:71 offset1:72
	ds_read2_b64 v[103:106], v98 offset0:73 offset1:74
	s_waitcnt vmcnt(28) lgkmcnt(1)
	v_fma_f64 v[99:100], v[107:108], v[99:100], 0
	s_clause 0x7
	buffer_load_dword v108, off, s[0:3], 0 offset:308
	buffer_load_dword v137, off, s[0:3], 0 offset:328
	;; [unrolled: 1-line block ×8, first 2 shown]
	s_waitcnt vmcnt(34)
	v_fma_f64 v[99:100], v[109:110], v[101:102], v[99:100]
	s_waitcnt vmcnt(32) lgkmcnt(0)
	v_fma_f64 v[99:100], v[111:112], v[103:104], v[99:100]
	s_waitcnt vmcnt(30)
	v_fma_f64 v[109:110], v[113:114], v[105:106], v[99:100]
	ds_read2_b64 v[99:102], v98 offset0:75 offset1:76
	ds_read2_b64 v[103:106], v98 offset0:77 offset1:78
	s_waitcnt vmcnt(28) lgkmcnt(1)
	v_fma_f64 v[99:100], v[115:116], v[99:100], v[109:110]
	s_clause 0x7
	buffer_load_dword v110, off, s[0:3], 0 offset:340
	buffer_load_dword v111, off, s[0:3], 0 offset:360
	;; [unrolled: 1-line block ×8, first 2 shown]
	s_waitcnt vmcnt(34)
	v_fma_f64 v[99:100], v[117:118], v[101:102], v[99:100]
	s_waitcnt vmcnt(32) lgkmcnt(0)
	v_fma_f64 v[99:100], v[119:120], v[103:104], v[99:100]
	s_waitcnt vmcnt(27)
	v_fma_f64 v[117:118], v[121:122], v[105:106], v[99:100]
	ds_read2_b64 v[99:102], v98 offset0:79 offset1:80
	ds_read2_b64 v[103:106], v98 offset0:81 offset1:82
	s_waitcnt vmcnt(26) lgkmcnt(1)
	v_fma_f64 v[99:100], v[127:128], v[99:100], v[117:118]
	s_clause 0x5
	buffer_load_dword v118, off, s[0:3], 0 offset:372
	buffer_load_dword v119, off, s[0:3], 0 offset:376
	;; [unrolled: 1-line block ×6, first 2 shown]
	s_waitcnt vmcnt(31)
	v_fma_f64 v[99:100], v[125:126], v[101:102], v[99:100]
	s_waitcnt vmcnt(30) lgkmcnt(0)
	v_fma_f64 v[99:100], v[123:124], v[103:104], v[99:100]
	s_waitcnt vmcnt(25)
	v_fma_f64 v[123:124], v[129:130], v[105:106], v[99:100]
	ds_read2_b64 v[99:102], v98 offset0:83 offset1:84
	ds_read2_b64 v[103:106], v98 offset0:85 offset1:86
	s_waitcnt vmcnt(24) lgkmcnt(1)
	v_fma_f64 v[99:100], v[135:136], v[99:100], v[123:124]
	s_waitcnt vmcnt(23)
	v_fma_f64 v[99:100], v[133:134], v[101:102], v[99:100]
	s_waitcnt vmcnt(22) lgkmcnt(0)
	v_fma_f64 v[99:100], v[131:132], v[103:104], v[99:100]
	s_waitcnt vmcnt(17)
	v_fma_f64 v[107:108], v[107:108], v[105:106], v[99:100]
	ds_read2_b64 v[99:102], v98 offset0:87 offset1:88
	ds_read2_b64 v[103:106], v98 offset0:89 offset1:90
	s_waitcnt vmcnt(16) lgkmcnt(1)
	v_fma_f64 v[99:100], v[141:142], v[99:100], v[107:108]
	;; [unrolled: 10-line block ×3, first 2 shown]
	s_waitcnt vmcnt(7)
	v_fma_f64 v[99:100], v[113:114], v[101:102], v[99:100]
	ds_read_b64 v[101:102], v98 offset:760
	s_waitcnt vmcnt(6) lgkmcnt(1)
	v_fma_f64 v[99:100], v[111:112], v[103:104], v[99:100]
	s_waitcnt vmcnt(3)
	v_fma_f64 v[99:100], v[117:118], v[105:106], v[99:100]
	s_waitcnt vmcnt(2) lgkmcnt(0)
	v_fma_f64 v[99:100], v[119:120], v[101:102], v[99:100]
	s_waitcnt vmcnt(0)
	v_add_f64 v[99:100], v[121:122], -v[99:100]
	buffer_store_dword v100, off, s[0:3], 0 offset:180
	buffer_store_dword v99, off, s[0:3], 0 offset:176
	v_cmpx_lt_u32_e32 21, v0
	s_cbranch_execz .LBB111_255
; %bb.254:
	s_clause 0x1
	buffer_load_dword v99, off, s[0:3], 0 offset:168
	buffer_load_dword v100, off, s[0:3], 0 offset:172
	buffer_store_dword v98, off, s[0:3], 0 offset:168
	buffer_store_dword v98, off, s[0:3], 0 offset:172
	s_waitcnt vmcnt(0)
	ds_write_b64 v97, v[99:100]
.LBB111_255:
	s_or_b32 exec_lo, exec_lo, s4
	s_waitcnt lgkmcnt(0)
	s_waitcnt_vscnt null, 0x0
	s_barrier
	buffer_gl0_inv
	s_clause 0x1c
	buffer_load_dword v107, off, s[0:3], 0 offset:176
	buffer_load_dword v108, off, s[0:3], 0 offset:180
	;; [unrolled: 1-line block ×29, first 2 shown]
	ds_read_b128 v[99:102], v98 offset:560
	ds_read_b128 v[103:106], v98 offset:576
	buffer_load_dword v132, off, s[0:3], 0 offset:292
	s_mov_b32 s4, exec_lo
	s_waitcnt vmcnt(28) lgkmcnt(1)
	v_fma_f64 v[99:100], v[107:108], v[99:100], 0
	s_clause 0x7
	buffer_load_dword v108, off, s[0:3], 0 offset:300
	buffer_load_dword v137, off, s[0:3], 0 offset:320
	buffer_load_dword v139, off, s[0:3], 0 offset:312
	buffer_load_dword v141, off, s[0:3], 0 offset:304
	buffer_load_dword v107, off, s[0:3], 0 offset:296
	buffer_load_dword v142, off, s[0:3], 0 offset:308
	buffer_load_dword v140, off, s[0:3], 0 offset:316
	buffer_load_dword v138, off, s[0:3], 0 offset:324
	s_waitcnt vmcnt(34)
	v_fma_f64 v[99:100], v[109:110], v[101:102], v[99:100]
	s_waitcnt vmcnt(32) lgkmcnt(0)
	v_fma_f64 v[99:100], v[111:112], v[103:104], v[99:100]
	s_waitcnt vmcnt(30)
	v_fma_f64 v[109:110], v[113:114], v[105:106], v[99:100]
	ds_read_b128 v[99:102], v98 offset:592
	ds_read_b128 v[103:106], v98 offset:608
	s_waitcnt vmcnt(28) lgkmcnt(1)
	v_fma_f64 v[99:100], v[115:116], v[99:100], v[109:110]
	s_clause 0x7
	buffer_load_dword v110, off, s[0:3], 0 offset:332
	buffer_load_dword v111, off, s[0:3], 0 offset:352
	;; [unrolled: 1-line block ×8, first 2 shown]
	s_waitcnt vmcnt(34)
	v_fma_f64 v[99:100], v[117:118], v[101:102], v[99:100]
	s_waitcnt vmcnt(32) lgkmcnt(0)
	v_fma_f64 v[99:100], v[119:120], v[103:104], v[99:100]
	s_waitcnt vmcnt(27)
	v_fma_f64 v[117:118], v[121:122], v[105:106], v[99:100]
	ds_read_b128 v[99:102], v98 offset:624
	ds_read_b128 v[103:106], v98 offset:640
	s_waitcnt vmcnt(26) lgkmcnt(1)
	v_fma_f64 v[99:100], v[127:128], v[99:100], v[117:118]
	s_clause 0x5
	buffer_load_dword v118, off, s[0:3], 0 offset:364
	buffer_load_dword v119, off, s[0:3], 0 offset:376
	;; [unrolled: 1-line block ×6, first 2 shown]
	s_waitcnt vmcnt(31)
	v_fma_f64 v[99:100], v[125:126], v[101:102], v[99:100]
	s_waitcnt vmcnt(30) lgkmcnt(0)
	v_fma_f64 v[99:100], v[123:124], v[103:104], v[99:100]
	s_waitcnt vmcnt(25)
	v_fma_f64 v[123:124], v[129:130], v[105:106], v[99:100]
	ds_read_b128 v[99:102], v98 offset:656
	s_clause 0x1
	buffer_load_dword v125, off, s[0:3], 0 offset:168
	buffer_load_dword v126, off, s[0:3], 0 offset:172
	ds_read_b128 v[103:106], v98 offset:672
	s_waitcnt vmcnt(26) lgkmcnt(1)
	v_fma_f64 v[99:100], v[135:136], v[99:100], v[123:124]
	s_waitcnt vmcnt(25)
	v_fma_f64 v[99:100], v[133:134], v[101:102], v[99:100]
	s_waitcnt vmcnt(24) lgkmcnt(0)
	v_fma_f64 v[99:100], v[131:132], v[103:104], v[99:100]
	s_waitcnt vmcnt(19)
	v_fma_f64 v[107:108], v[107:108], v[105:106], v[99:100]
	ds_read_b128 v[99:102], v98 offset:688
	ds_read_b128 v[103:106], v98 offset:704
	s_waitcnt vmcnt(18) lgkmcnt(1)
	v_fma_f64 v[99:100], v[141:142], v[99:100], v[107:108]
	s_waitcnt vmcnt(17)
	v_fma_f64 v[99:100], v[139:140], v[101:102], v[99:100]
	s_waitcnt vmcnt(16) lgkmcnt(0)
	v_fma_f64 v[99:100], v[137:138], v[103:104], v[99:100]
	s_waitcnt vmcnt(11)
	v_fma_f64 v[107:108], v[109:110], v[105:106], v[99:100]
	ds_read_b128 v[99:102], v98 offset:720
	;; [unrolled: 10-line block ×3, first 2 shown]
	s_waitcnt vmcnt(3) lgkmcnt(0)
	v_fma_f64 v[98:99], v[121:122], v[98:99], v[102:103]
	s_waitcnt vmcnt(2)
	v_fma_f64 v[98:99], v[119:120], v[100:101], v[98:99]
	s_waitcnt vmcnt(0)
	v_add_f64 v[98:99], v[125:126], -v[98:99]
	buffer_store_dword v99, off, s[0:3], 0 offset:172
	buffer_store_dword v98, off, s[0:3], 0 offset:168
	v_cmpx_lt_u32_e32 20, v0
	s_cbranch_execz .LBB111_257
; %bb.256:
	s_clause 0x1
	buffer_load_dword v98, off, s[0:3], 0 offset:160
	buffer_load_dword v99, off, s[0:3], 0 offset:164
	v_mov_b32_e32 v100, 0
	buffer_store_dword v100, off, s[0:3], 0 offset:160
	buffer_store_dword v100, off, s[0:3], 0 offset:164
	s_waitcnt vmcnt(0)
	ds_write_b64 v97, v[98:99]
.LBB111_257:
	s_or_b32 exec_lo, exec_lo, s4
	s_waitcnt lgkmcnt(0)
	s_waitcnt_vscnt null, 0x0
	s_barrier
	buffer_gl0_inv
	s_clause 0x1c
	buffer_load_dword v107, off, s[0:3], 0 offset:168
	buffer_load_dword v108, off, s[0:3], 0 offset:172
	;; [unrolled: 1-line block ×29, first 2 shown]
	v_mov_b32_e32 v98, 0
	buffer_load_dword v132, off, s[0:3], 0 offset:284
	s_mov_b32 s4, exec_lo
	ds_read2_b64 v[99:102], v98 offset0:69 offset1:70
	ds_read2_b64 v[103:106], v98 offset0:71 offset1:72
	s_waitcnt vmcnt(28) lgkmcnt(1)
	v_fma_f64 v[99:100], v[107:108], v[99:100], 0
	s_clause 0x7
	buffer_load_dword v108, off, s[0:3], 0 offset:292
	buffer_load_dword v137, off, s[0:3], 0 offset:312
	buffer_load_dword v139, off, s[0:3], 0 offset:304
	buffer_load_dword v141, off, s[0:3], 0 offset:296
	buffer_load_dword v107, off, s[0:3], 0 offset:288
	buffer_load_dword v142, off, s[0:3], 0 offset:300
	buffer_load_dword v140, off, s[0:3], 0 offset:308
	buffer_load_dword v138, off, s[0:3], 0 offset:316
	s_waitcnt vmcnt(34)
	v_fma_f64 v[99:100], v[109:110], v[101:102], v[99:100]
	s_waitcnt vmcnt(32) lgkmcnt(0)
	v_fma_f64 v[99:100], v[111:112], v[103:104], v[99:100]
	s_waitcnt vmcnt(30)
	v_fma_f64 v[109:110], v[113:114], v[105:106], v[99:100]
	ds_read2_b64 v[99:102], v98 offset0:73 offset1:74
	ds_read2_b64 v[103:106], v98 offset0:75 offset1:76
	s_waitcnt vmcnt(28) lgkmcnt(1)
	v_fma_f64 v[99:100], v[115:116], v[99:100], v[109:110]
	s_clause 0x7
	buffer_load_dword v110, off, s[0:3], 0 offset:324
	buffer_load_dword v111, off, s[0:3], 0 offset:344
	buffer_load_dword v113, off, s[0:3], 0 offset:336
	buffer_load_dword v115, off, s[0:3], 0 offset:328
	buffer_load_dword v109, off, s[0:3], 0 offset:320
	buffer_load_dword v116, off, s[0:3], 0 offset:332
	buffer_load_dword v114, off, s[0:3], 0 offset:340
	buffer_load_dword v112, off, s[0:3], 0 offset:348
	s_waitcnt vmcnt(34)
	v_fma_f64 v[99:100], v[117:118], v[101:102], v[99:100]
	s_waitcnt vmcnt(32) lgkmcnt(0)
	v_fma_f64 v[99:100], v[119:120], v[103:104], v[99:100]
	s_waitcnt vmcnt(27)
	v_fma_f64 v[117:118], v[121:122], v[105:106], v[99:100]
	ds_read2_b64 v[99:102], v98 offset0:77 offset1:78
	ds_read2_b64 v[103:106], v98 offset0:79 offset1:80
	s_waitcnt vmcnt(26) lgkmcnt(1)
	v_fma_f64 v[99:100], v[127:128], v[99:100], v[117:118]
	s_clause 0x7
	buffer_load_dword v118, off, s[0:3], 0 offset:356
	buffer_load_dword v119, off, s[0:3], 0 offset:376
	buffer_load_dword v121, off, s[0:3], 0 offset:368
	buffer_load_dword v127, off, s[0:3], 0 offset:360
	buffer_load_dword v117, off, s[0:3], 0 offset:352
	buffer_load_dword v128, off, s[0:3], 0 offset:364
	buffer_load_dword v122, off, s[0:3], 0 offset:372
	buffer_load_dword v120, off, s[0:3], 0 offset:380
	s_waitcnt vmcnt(33)
	v_fma_f64 v[99:100], v[125:126], v[101:102], v[99:100]
	s_waitcnt vmcnt(32) lgkmcnt(0)
	v_fma_f64 v[99:100], v[123:124], v[103:104], v[99:100]
	s_waitcnt vmcnt(27)
	v_fma_f64 v[123:124], v[129:130], v[105:106], v[99:100]
	ds_read2_b64 v[99:102], v98 offset0:81 offset1:82
	ds_read2_b64 v[103:106], v98 offset0:83 offset1:84
	s_waitcnt vmcnt(26) lgkmcnt(1)
	v_fma_f64 v[99:100], v[135:136], v[99:100], v[123:124]
	s_clause 0x1
	buffer_load_dword v123, off, s[0:3], 0 offset:160
	buffer_load_dword v124, off, s[0:3], 0 offset:164
	s_waitcnt vmcnt(27)
	v_fma_f64 v[99:100], v[133:134], v[101:102], v[99:100]
	s_waitcnt vmcnt(26) lgkmcnt(0)
	v_fma_f64 v[99:100], v[131:132], v[103:104], v[99:100]
	s_waitcnt vmcnt(21)
	v_fma_f64 v[107:108], v[107:108], v[105:106], v[99:100]
	ds_read2_b64 v[99:102], v98 offset0:85 offset1:86
	ds_read2_b64 v[103:106], v98 offset0:87 offset1:88
	s_waitcnt vmcnt(20) lgkmcnt(1)
	v_fma_f64 v[99:100], v[141:142], v[99:100], v[107:108]
	s_waitcnt vmcnt(19)
	v_fma_f64 v[99:100], v[139:140], v[101:102], v[99:100]
	s_waitcnt vmcnt(18) lgkmcnt(0)
	v_fma_f64 v[99:100], v[137:138], v[103:104], v[99:100]
	s_waitcnt vmcnt(13)
	v_fma_f64 v[107:108], v[109:110], v[105:106], v[99:100]
	ds_read2_b64 v[99:102], v98 offset0:89 offset1:90
	ds_read2_b64 v[103:106], v98 offset0:91 offset1:92
	s_waitcnt vmcnt(12) lgkmcnt(1)
	v_fma_f64 v[99:100], v[115:116], v[99:100], v[107:108]
	s_waitcnt vmcnt(11)
	v_fma_f64 v[99:100], v[113:114], v[101:102], v[99:100]
	s_waitcnt vmcnt(10) lgkmcnt(0)
	v_fma_f64 v[99:100], v[111:112], v[103:104], v[99:100]
	s_waitcnt vmcnt(5)
	v_fma_f64 v[103:104], v[117:118], v[105:106], v[99:100]
	ds_read2_b64 v[99:102], v98 offset0:93 offset1:94
	ds_read_b64 v[105:106], v98 offset:760
	s_waitcnt vmcnt(4) lgkmcnt(1)
	v_fma_f64 v[99:100], v[127:128], v[99:100], v[103:104]
	s_waitcnt vmcnt(3)
	v_fma_f64 v[99:100], v[121:122], v[101:102], v[99:100]
	s_waitcnt vmcnt(2) lgkmcnt(0)
	v_fma_f64 v[99:100], v[119:120], v[105:106], v[99:100]
	s_waitcnt vmcnt(0)
	v_add_f64 v[99:100], v[123:124], -v[99:100]
	buffer_store_dword v100, off, s[0:3], 0 offset:164
	buffer_store_dword v99, off, s[0:3], 0 offset:160
	v_cmpx_lt_u32_e32 19, v0
	s_cbranch_execz .LBB111_259
; %bb.258:
	s_clause 0x1
	buffer_load_dword v99, off, s[0:3], 0 offset:152
	buffer_load_dword v100, off, s[0:3], 0 offset:156
	buffer_store_dword v98, off, s[0:3], 0 offset:152
	buffer_store_dword v98, off, s[0:3], 0 offset:156
	s_waitcnt vmcnt(0)
	ds_write_b64 v97, v[99:100]
.LBB111_259:
	s_or_b32 exec_lo, exec_lo, s4
	s_waitcnt lgkmcnt(0)
	s_waitcnt_vscnt null, 0x0
	s_barrier
	buffer_gl0_inv
	s_clause 0x1c
	buffer_load_dword v107, off, s[0:3], 0 offset:160
	buffer_load_dword v108, off, s[0:3], 0 offset:164
	;; [unrolled: 1-line block ×29, first 2 shown]
	ds_read_b128 v[99:102], v98 offset:544
	ds_read_b128 v[103:106], v98 offset:560
	buffer_load_dword v132, off, s[0:3], 0 offset:276
	s_mov_b32 s4, exec_lo
	s_waitcnt vmcnt(28) lgkmcnt(1)
	v_fma_f64 v[99:100], v[107:108], v[99:100], 0
	s_clause 0x7
	buffer_load_dword v108, off, s[0:3], 0 offset:284
	buffer_load_dword v137, off, s[0:3], 0 offset:304
	buffer_load_dword v139, off, s[0:3], 0 offset:296
	buffer_load_dword v141, off, s[0:3], 0 offset:288
	buffer_load_dword v107, off, s[0:3], 0 offset:280
	buffer_load_dword v142, off, s[0:3], 0 offset:292
	buffer_load_dword v140, off, s[0:3], 0 offset:300
	buffer_load_dword v138, off, s[0:3], 0 offset:308
	s_waitcnt vmcnt(34)
	v_fma_f64 v[99:100], v[109:110], v[101:102], v[99:100]
	s_waitcnt vmcnt(32) lgkmcnt(0)
	v_fma_f64 v[99:100], v[111:112], v[103:104], v[99:100]
	s_waitcnt vmcnt(30)
	v_fma_f64 v[109:110], v[113:114], v[105:106], v[99:100]
	ds_read_b128 v[99:102], v98 offset:576
	ds_read_b128 v[103:106], v98 offset:592
	s_waitcnt vmcnt(28) lgkmcnt(1)
	v_fma_f64 v[99:100], v[115:116], v[99:100], v[109:110]
	s_clause 0x7
	buffer_load_dword v110, off, s[0:3], 0 offset:316
	buffer_load_dword v111, off, s[0:3], 0 offset:336
	buffer_load_dword v113, off, s[0:3], 0 offset:328
	buffer_load_dword v115, off, s[0:3], 0 offset:320
	buffer_load_dword v109, off, s[0:3], 0 offset:312
	buffer_load_dword v116, off, s[0:3], 0 offset:324
	buffer_load_dword v114, off, s[0:3], 0 offset:332
	buffer_load_dword v112, off, s[0:3], 0 offset:340
	s_waitcnt vmcnt(34)
	v_fma_f64 v[99:100], v[117:118], v[101:102], v[99:100]
	s_waitcnt vmcnt(32) lgkmcnt(0)
	v_fma_f64 v[99:100], v[119:120], v[103:104], v[99:100]
	s_waitcnt vmcnt(27)
	v_fma_f64 v[117:118], v[121:122], v[105:106], v[99:100]
	ds_read_b128 v[99:102], v98 offset:608
	ds_read_b128 v[103:106], v98 offset:624
	;; [unrolled: 19-line block ×3, first 2 shown]
	s_waitcnt vmcnt(26) lgkmcnt(1)
	v_fma_f64 v[99:100], v[135:136], v[99:100], v[123:124]
	s_clause 0x3
	buffer_load_dword v124, off, s[0:3], 0 offset:380
	buffer_load_dword v123, off, s[0:3], 0 offset:376
	;; [unrolled: 1-line block ×4, first 2 shown]
	s_waitcnt vmcnt(29)
	v_fma_f64 v[99:100], v[133:134], v[101:102], v[99:100]
	s_waitcnt vmcnt(28) lgkmcnt(0)
	v_fma_f64 v[99:100], v[131:132], v[103:104], v[99:100]
	s_waitcnt vmcnt(23)
	v_fma_f64 v[107:108], v[107:108], v[105:106], v[99:100]
	ds_read_b128 v[99:102], v98 offset:672
	ds_read_b128 v[103:106], v98 offset:688
	s_waitcnt vmcnt(22) lgkmcnt(1)
	v_fma_f64 v[99:100], v[141:142], v[99:100], v[107:108]
	s_waitcnt vmcnt(21)
	v_fma_f64 v[99:100], v[139:140], v[101:102], v[99:100]
	s_waitcnt vmcnt(20) lgkmcnt(0)
	v_fma_f64 v[99:100], v[137:138], v[103:104], v[99:100]
	s_waitcnt vmcnt(15)
	v_fma_f64 v[107:108], v[109:110], v[105:106], v[99:100]
	ds_read_b128 v[99:102], v98 offset:704
	ds_read_b128 v[103:106], v98 offset:720
	s_waitcnt vmcnt(14) lgkmcnt(1)
	v_fma_f64 v[99:100], v[115:116], v[99:100], v[107:108]
	;; [unrolled: 10-line block ×3, first 2 shown]
	s_waitcnt vmcnt(5)
	v_fma_f64 v[98:99], v[121:122], v[101:102], v[98:99]
	s_waitcnt vmcnt(4) lgkmcnt(0)
	v_fma_f64 v[98:99], v[119:120], v[103:104], v[98:99]
	s_waitcnt vmcnt(2)
	v_fma_f64 v[98:99], v[123:124], v[105:106], v[98:99]
	s_waitcnt vmcnt(0)
	v_add_f64 v[98:99], v[125:126], -v[98:99]
	buffer_store_dword v99, off, s[0:3], 0 offset:156
	buffer_store_dword v98, off, s[0:3], 0 offset:152
	v_cmpx_lt_u32_e32 18, v0
	s_cbranch_execz .LBB111_261
; %bb.260:
	s_clause 0x1
	buffer_load_dword v98, off, s[0:3], 0 offset:144
	buffer_load_dword v99, off, s[0:3], 0 offset:148
	v_mov_b32_e32 v100, 0
	buffer_store_dword v100, off, s[0:3], 0 offset:144
	buffer_store_dword v100, off, s[0:3], 0 offset:148
	s_waitcnt vmcnt(0)
	ds_write_b64 v97, v[98:99]
.LBB111_261:
	s_or_b32 exec_lo, exec_lo, s4
	s_waitcnt lgkmcnt(0)
	s_waitcnt_vscnt null, 0x0
	s_barrier
	buffer_gl0_inv
	s_clause 0x1c
	buffer_load_dword v107, off, s[0:3], 0 offset:152
	buffer_load_dword v108, off, s[0:3], 0 offset:156
	;; [unrolled: 1-line block ×29, first 2 shown]
	v_mov_b32_e32 v98, 0
	buffer_load_dword v132, off, s[0:3], 0 offset:268
	s_mov_b32 s4, exec_lo
	ds_read2_b64 v[99:102], v98 offset0:67 offset1:68
	ds_read2_b64 v[103:106], v98 offset0:69 offset1:70
	s_waitcnt vmcnt(28) lgkmcnt(1)
	v_fma_f64 v[99:100], v[107:108], v[99:100], 0
	s_clause 0x7
	buffer_load_dword v108, off, s[0:3], 0 offset:276
	buffer_load_dword v137, off, s[0:3], 0 offset:296
	buffer_load_dword v139, off, s[0:3], 0 offset:288
	buffer_load_dword v141, off, s[0:3], 0 offset:280
	buffer_load_dword v107, off, s[0:3], 0 offset:272
	buffer_load_dword v142, off, s[0:3], 0 offset:284
	buffer_load_dword v140, off, s[0:3], 0 offset:292
	buffer_load_dword v138, off, s[0:3], 0 offset:300
	s_waitcnt vmcnt(34)
	v_fma_f64 v[99:100], v[109:110], v[101:102], v[99:100]
	s_waitcnt vmcnt(32) lgkmcnt(0)
	v_fma_f64 v[99:100], v[111:112], v[103:104], v[99:100]
	s_waitcnt vmcnt(30)
	v_fma_f64 v[109:110], v[113:114], v[105:106], v[99:100]
	ds_read2_b64 v[99:102], v98 offset0:71 offset1:72
	ds_read2_b64 v[103:106], v98 offset0:73 offset1:74
	s_waitcnt vmcnt(28) lgkmcnt(1)
	v_fma_f64 v[99:100], v[115:116], v[99:100], v[109:110]
	s_clause 0x7
	buffer_load_dword v110, off, s[0:3], 0 offset:308
	buffer_load_dword v111, off, s[0:3], 0 offset:328
	buffer_load_dword v113, off, s[0:3], 0 offset:320
	buffer_load_dword v115, off, s[0:3], 0 offset:312
	buffer_load_dword v109, off, s[0:3], 0 offset:304
	buffer_load_dword v116, off, s[0:3], 0 offset:316
	buffer_load_dword v114, off, s[0:3], 0 offset:324
	buffer_load_dword v112, off, s[0:3], 0 offset:332
	s_waitcnt vmcnt(34)
	v_fma_f64 v[99:100], v[117:118], v[101:102], v[99:100]
	s_waitcnt vmcnt(32) lgkmcnt(0)
	v_fma_f64 v[99:100], v[119:120], v[103:104], v[99:100]
	s_waitcnt vmcnt(27)
	v_fma_f64 v[117:118], v[121:122], v[105:106], v[99:100]
	;; [unrolled: 19-line block ×3, first 2 shown]
	ds_read2_b64 v[99:102], v98 offset0:79 offset1:80
	ds_read2_b64 v[103:106], v98 offset0:81 offset1:82
	s_waitcnt vmcnt(26) lgkmcnt(1)
	v_fma_f64 v[99:100], v[135:136], v[99:100], v[123:124]
	s_clause 0x5
	buffer_load_dword v124, off, s[0:3], 0 offset:372
	buffer_load_dword v125, off, s[0:3], 0 offset:376
	buffer_load_dword v123, off, s[0:3], 0 offset:368
	buffer_load_dword v126, off, s[0:3], 0 offset:380
	buffer_load_dword v129, off, s[0:3], 0 offset:144
	buffer_load_dword v130, off, s[0:3], 0 offset:148
	s_waitcnt vmcnt(31)
	v_fma_f64 v[99:100], v[133:134], v[101:102], v[99:100]
	s_waitcnt vmcnt(30) lgkmcnt(0)
	v_fma_f64 v[99:100], v[131:132], v[103:104], v[99:100]
	s_waitcnt vmcnt(25)
	v_fma_f64 v[107:108], v[107:108], v[105:106], v[99:100]
	ds_read2_b64 v[99:102], v98 offset0:83 offset1:84
	ds_read2_b64 v[103:106], v98 offset0:85 offset1:86
	s_waitcnt vmcnt(24) lgkmcnt(1)
	v_fma_f64 v[99:100], v[141:142], v[99:100], v[107:108]
	s_waitcnt vmcnt(23)
	v_fma_f64 v[99:100], v[139:140], v[101:102], v[99:100]
	s_waitcnt vmcnt(22) lgkmcnt(0)
	v_fma_f64 v[99:100], v[137:138], v[103:104], v[99:100]
	s_waitcnt vmcnt(17)
	v_fma_f64 v[107:108], v[109:110], v[105:106], v[99:100]
	ds_read2_b64 v[99:102], v98 offset0:87 offset1:88
	ds_read2_b64 v[103:106], v98 offset0:89 offset1:90
	s_waitcnt vmcnt(16) lgkmcnt(1)
	v_fma_f64 v[99:100], v[115:116], v[99:100], v[107:108]
	;; [unrolled: 10-line block ×3, first 2 shown]
	s_waitcnt vmcnt(7)
	v_fma_f64 v[99:100], v[121:122], v[101:102], v[99:100]
	ds_read_b64 v[101:102], v98 offset:760
	s_waitcnt vmcnt(6) lgkmcnt(1)
	v_fma_f64 v[99:100], v[119:120], v[103:104], v[99:100]
	s_waitcnt vmcnt(3)
	v_fma_f64 v[99:100], v[123:124], v[105:106], v[99:100]
	s_waitcnt vmcnt(2) lgkmcnt(0)
	v_fma_f64 v[99:100], v[125:126], v[101:102], v[99:100]
	s_waitcnt vmcnt(0)
	v_add_f64 v[99:100], v[129:130], -v[99:100]
	buffer_store_dword v100, off, s[0:3], 0 offset:148
	buffer_store_dword v99, off, s[0:3], 0 offset:144
	v_cmpx_lt_u32_e32 17, v0
	s_cbranch_execz .LBB111_263
; %bb.262:
	s_clause 0x1
	buffer_load_dword v99, off, s[0:3], 0 offset:136
	buffer_load_dword v100, off, s[0:3], 0 offset:140
	buffer_store_dword v98, off, s[0:3], 0 offset:136
	buffer_store_dword v98, off, s[0:3], 0 offset:140
	s_waitcnt vmcnt(0)
	ds_write_b64 v97, v[99:100]
.LBB111_263:
	s_or_b32 exec_lo, exec_lo, s4
	s_waitcnt lgkmcnt(0)
	s_waitcnt_vscnt null, 0x0
	s_barrier
	buffer_gl0_inv
	s_clause 0x1c
	buffer_load_dword v107, off, s[0:3], 0 offset:144
	buffer_load_dword v108, off, s[0:3], 0 offset:148
	;; [unrolled: 1-line block ×29, first 2 shown]
	ds_read_b128 v[99:102], v98 offset:528
	ds_read_b128 v[103:106], v98 offset:544
	buffer_load_dword v132, off, s[0:3], 0 offset:260
	s_mov_b32 s4, exec_lo
	s_waitcnt vmcnt(28) lgkmcnt(1)
	v_fma_f64 v[99:100], v[107:108], v[99:100], 0
	s_clause 0x7
	buffer_load_dword v108, off, s[0:3], 0 offset:268
	buffer_load_dword v137, off, s[0:3], 0 offset:288
	buffer_load_dword v139, off, s[0:3], 0 offset:280
	buffer_load_dword v141, off, s[0:3], 0 offset:272
	buffer_load_dword v107, off, s[0:3], 0 offset:264
	buffer_load_dword v142, off, s[0:3], 0 offset:276
	buffer_load_dword v140, off, s[0:3], 0 offset:284
	buffer_load_dword v138, off, s[0:3], 0 offset:292
	s_waitcnt vmcnt(34)
	v_fma_f64 v[99:100], v[109:110], v[101:102], v[99:100]
	s_waitcnt vmcnt(32) lgkmcnt(0)
	v_fma_f64 v[99:100], v[111:112], v[103:104], v[99:100]
	s_waitcnt vmcnt(30)
	v_fma_f64 v[109:110], v[113:114], v[105:106], v[99:100]
	ds_read_b128 v[99:102], v98 offset:560
	ds_read_b128 v[103:106], v98 offset:576
	s_waitcnt vmcnt(28) lgkmcnt(1)
	v_fma_f64 v[99:100], v[115:116], v[99:100], v[109:110]
	s_clause 0x7
	buffer_load_dword v110, off, s[0:3], 0 offset:300
	buffer_load_dword v111, off, s[0:3], 0 offset:320
	buffer_load_dword v113, off, s[0:3], 0 offset:312
	buffer_load_dword v115, off, s[0:3], 0 offset:304
	buffer_load_dword v109, off, s[0:3], 0 offset:296
	buffer_load_dword v116, off, s[0:3], 0 offset:308
	buffer_load_dword v114, off, s[0:3], 0 offset:316
	buffer_load_dword v112, off, s[0:3], 0 offset:324
	s_waitcnt vmcnt(34)
	v_fma_f64 v[99:100], v[117:118], v[101:102], v[99:100]
	s_waitcnt vmcnt(32) lgkmcnt(0)
	v_fma_f64 v[99:100], v[119:120], v[103:104], v[99:100]
	s_waitcnt vmcnt(27)
	v_fma_f64 v[117:118], v[121:122], v[105:106], v[99:100]
	ds_read_b128 v[99:102], v98 offset:592
	ds_read_b128 v[103:106], v98 offset:608
	;; [unrolled: 19-line block ×3, first 2 shown]
	s_waitcnt vmcnt(26) lgkmcnt(1)
	v_fma_f64 v[99:100], v[135:136], v[99:100], v[123:124]
	s_clause 0x5
	buffer_load_dword v124, off, s[0:3], 0 offset:364
	buffer_load_dword v125, off, s[0:3], 0 offset:376
	;; [unrolled: 1-line block ×6, first 2 shown]
	s_waitcnt vmcnt(31)
	v_fma_f64 v[99:100], v[133:134], v[101:102], v[99:100]
	s_waitcnt vmcnt(30) lgkmcnt(0)
	v_fma_f64 v[99:100], v[131:132], v[103:104], v[99:100]
	s_waitcnt vmcnt(25)
	v_fma_f64 v[107:108], v[107:108], v[105:106], v[99:100]
	ds_read_b128 v[99:102], v98 offset:656
	s_clause 0x1
	buffer_load_dword v131, off, s[0:3], 0 offset:136
	buffer_load_dword v132, off, s[0:3], 0 offset:140
	ds_read_b128 v[103:106], v98 offset:672
	s_waitcnt vmcnt(26) lgkmcnt(1)
	v_fma_f64 v[99:100], v[141:142], v[99:100], v[107:108]
	s_waitcnt vmcnt(25)
	v_fma_f64 v[99:100], v[139:140], v[101:102], v[99:100]
	s_waitcnt vmcnt(24) lgkmcnt(0)
	v_fma_f64 v[99:100], v[137:138], v[103:104], v[99:100]
	s_waitcnt vmcnt(19)
	v_fma_f64 v[107:108], v[109:110], v[105:106], v[99:100]
	ds_read_b128 v[99:102], v98 offset:688
	ds_read_b128 v[103:106], v98 offset:704
	s_waitcnt vmcnt(18) lgkmcnt(1)
	v_fma_f64 v[99:100], v[115:116], v[99:100], v[107:108]
	s_waitcnt vmcnt(17)
	v_fma_f64 v[99:100], v[113:114], v[101:102], v[99:100]
	s_waitcnt vmcnt(16) lgkmcnt(0)
	v_fma_f64 v[99:100], v[111:112], v[103:104], v[99:100]
	s_waitcnt vmcnt(11)
	v_fma_f64 v[107:108], v[117:118], v[105:106], v[99:100]
	ds_read_b128 v[99:102], v98 offset:720
	;; [unrolled: 10-line block ×3, first 2 shown]
	s_waitcnt vmcnt(3) lgkmcnt(0)
	v_fma_f64 v[98:99], v[129:130], v[98:99], v[102:103]
	s_waitcnt vmcnt(2)
	v_fma_f64 v[98:99], v[125:126], v[100:101], v[98:99]
	s_waitcnt vmcnt(0)
	v_add_f64 v[98:99], v[131:132], -v[98:99]
	buffer_store_dword v99, off, s[0:3], 0 offset:140
	buffer_store_dword v98, off, s[0:3], 0 offset:136
	v_cmpx_lt_u32_e32 16, v0
	s_cbranch_execz .LBB111_265
; %bb.264:
	s_clause 0x1
	buffer_load_dword v98, off, s[0:3], 0 offset:128
	buffer_load_dword v99, off, s[0:3], 0 offset:132
	v_mov_b32_e32 v100, 0
	buffer_store_dword v100, off, s[0:3], 0 offset:128
	buffer_store_dword v100, off, s[0:3], 0 offset:132
	s_waitcnt vmcnt(0)
	ds_write_b64 v97, v[98:99]
.LBB111_265:
	s_or_b32 exec_lo, exec_lo, s4
	s_waitcnt lgkmcnt(0)
	s_waitcnt_vscnt null, 0x0
	s_barrier
	buffer_gl0_inv
	s_clause 0x1c
	buffer_load_dword v107, off, s[0:3], 0 offset:136
	buffer_load_dword v108, off, s[0:3], 0 offset:140
	;; [unrolled: 1-line block ×29, first 2 shown]
	v_mov_b32_e32 v98, 0
	buffer_load_dword v132, off, s[0:3], 0 offset:252
	s_mov_b32 s4, exec_lo
	ds_read2_b64 v[99:102], v98 offset0:65 offset1:66
	ds_read2_b64 v[103:106], v98 offset0:67 offset1:68
	s_waitcnt vmcnt(28) lgkmcnt(1)
	v_fma_f64 v[99:100], v[107:108], v[99:100], 0
	s_clause 0x7
	buffer_load_dword v108, off, s[0:3], 0 offset:260
	buffer_load_dword v137, off, s[0:3], 0 offset:280
	buffer_load_dword v139, off, s[0:3], 0 offset:272
	buffer_load_dword v141, off, s[0:3], 0 offset:264
	buffer_load_dword v107, off, s[0:3], 0 offset:256
	buffer_load_dword v142, off, s[0:3], 0 offset:268
	buffer_load_dword v140, off, s[0:3], 0 offset:276
	buffer_load_dword v138, off, s[0:3], 0 offset:284
	s_waitcnt vmcnt(34)
	v_fma_f64 v[99:100], v[109:110], v[101:102], v[99:100]
	s_waitcnt vmcnt(32) lgkmcnt(0)
	v_fma_f64 v[99:100], v[111:112], v[103:104], v[99:100]
	s_waitcnt vmcnt(30)
	v_fma_f64 v[109:110], v[113:114], v[105:106], v[99:100]
	ds_read2_b64 v[99:102], v98 offset0:69 offset1:70
	ds_read2_b64 v[103:106], v98 offset0:71 offset1:72
	s_waitcnt vmcnt(28) lgkmcnt(1)
	v_fma_f64 v[99:100], v[115:116], v[99:100], v[109:110]
	s_clause 0x7
	buffer_load_dword v110, off, s[0:3], 0 offset:292
	buffer_load_dword v111, off, s[0:3], 0 offset:312
	buffer_load_dword v113, off, s[0:3], 0 offset:304
	buffer_load_dword v115, off, s[0:3], 0 offset:296
	buffer_load_dword v109, off, s[0:3], 0 offset:288
	buffer_load_dword v116, off, s[0:3], 0 offset:300
	buffer_load_dword v114, off, s[0:3], 0 offset:308
	buffer_load_dword v112, off, s[0:3], 0 offset:316
	s_waitcnt vmcnt(34)
	v_fma_f64 v[99:100], v[117:118], v[101:102], v[99:100]
	s_waitcnt vmcnt(32) lgkmcnt(0)
	v_fma_f64 v[99:100], v[119:120], v[103:104], v[99:100]
	s_waitcnt vmcnt(27)
	v_fma_f64 v[117:118], v[121:122], v[105:106], v[99:100]
	;; [unrolled: 19-line block ×4, first 2 shown]
	ds_read2_b64 v[99:102], v98 offset0:81 offset1:82
	ds_read2_b64 v[103:106], v98 offset0:83 offset1:84
	s_waitcnt vmcnt(26) lgkmcnt(1)
	v_fma_f64 v[99:100], v[141:142], v[99:100], v[107:108]
	s_clause 0x1
	buffer_load_dword v107, off, s[0:3], 0 offset:128
	buffer_load_dword v108, off, s[0:3], 0 offset:132
	s_waitcnt vmcnt(27)
	v_fma_f64 v[99:100], v[139:140], v[101:102], v[99:100]
	s_waitcnt vmcnt(26) lgkmcnt(0)
	v_fma_f64 v[99:100], v[137:138], v[103:104], v[99:100]
	s_waitcnt vmcnt(21)
	v_fma_f64 v[109:110], v[109:110], v[105:106], v[99:100]
	ds_read2_b64 v[99:102], v98 offset0:85 offset1:86
	ds_read2_b64 v[103:106], v98 offset0:87 offset1:88
	s_waitcnt vmcnt(20) lgkmcnt(1)
	v_fma_f64 v[99:100], v[115:116], v[99:100], v[109:110]
	s_waitcnt vmcnt(19)
	v_fma_f64 v[99:100], v[113:114], v[101:102], v[99:100]
	s_waitcnt vmcnt(18) lgkmcnt(0)
	v_fma_f64 v[99:100], v[111:112], v[103:104], v[99:100]
	s_waitcnt vmcnt(13)
	v_fma_f64 v[109:110], v[117:118], v[105:106], v[99:100]
	ds_read2_b64 v[99:102], v98 offset0:89 offset1:90
	ds_read2_b64 v[103:106], v98 offset0:91 offset1:92
	s_waitcnt vmcnt(12) lgkmcnt(1)
	v_fma_f64 v[99:100], v[127:128], v[99:100], v[109:110]
	s_waitcnt vmcnt(11)
	v_fma_f64 v[99:100], v[121:122], v[101:102], v[99:100]
	s_waitcnt vmcnt(10) lgkmcnt(0)
	v_fma_f64 v[99:100], v[119:120], v[103:104], v[99:100]
	s_waitcnt vmcnt(5)
	v_fma_f64 v[103:104], v[123:124], v[105:106], v[99:100]
	ds_read2_b64 v[99:102], v98 offset0:93 offset1:94
	ds_read_b64 v[105:106], v98 offset:760
	s_waitcnt vmcnt(4) lgkmcnt(1)
	v_fma_f64 v[99:100], v[135:136], v[99:100], v[103:104]
	s_waitcnt vmcnt(3)
	v_fma_f64 v[99:100], v[129:130], v[101:102], v[99:100]
	s_waitcnt vmcnt(2) lgkmcnt(0)
	v_fma_f64 v[99:100], v[125:126], v[105:106], v[99:100]
	s_waitcnt vmcnt(0)
	v_add_f64 v[99:100], v[107:108], -v[99:100]
	buffer_store_dword v100, off, s[0:3], 0 offset:132
	buffer_store_dword v99, off, s[0:3], 0 offset:128
	v_cmpx_lt_u32_e32 15, v0
	s_cbranch_execz .LBB111_267
; %bb.266:
	s_clause 0x1
	buffer_load_dword v99, off, s[0:3], 0 offset:120
	buffer_load_dword v100, off, s[0:3], 0 offset:124
	buffer_store_dword v98, off, s[0:3], 0 offset:120
	buffer_store_dword v98, off, s[0:3], 0 offset:124
	s_waitcnt vmcnt(0)
	ds_write_b64 v97, v[99:100]
.LBB111_267:
	s_or_b32 exec_lo, exec_lo, s4
	s_waitcnt lgkmcnt(0)
	s_waitcnt_vscnt null, 0x0
	s_barrier
	buffer_gl0_inv
	s_clause 0x1c
	buffer_load_dword v107, off, s[0:3], 0 offset:128
	buffer_load_dword v108, off, s[0:3], 0 offset:132
	;; [unrolled: 1-line block ×29, first 2 shown]
	ds_read_b128 v[99:102], v98 offset:512
	ds_read_b128 v[103:106], v98 offset:528
	buffer_load_dword v132, off, s[0:3], 0 offset:244
	s_mov_b32 s4, exec_lo
	s_waitcnt vmcnt(28) lgkmcnt(1)
	v_fma_f64 v[99:100], v[107:108], v[99:100], 0
	s_clause 0x7
	buffer_load_dword v108, off, s[0:3], 0 offset:252
	buffer_load_dword v137, off, s[0:3], 0 offset:272
	buffer_load_dword v139, off, s[0:3], 0 offset:264
	buffer_load_dword v141, off, s[0:3], 0 offset:256
	buffer_load_dword v107, off, s[0:3], 0 offset:248
	buffer_load_dword v142, off, s[0:3], 0 offset:260
	buffer_load_dword v140, off, s[0:3], 0 offset:268
	buffer_load_dword v138, off, s[0:3], 0 offset:276
	s_waitcnt vmcnt(34)
	v_fma_f64 v[99:100], v[109:110], v[101:102], v[99:100]
	s_waitcnt vmcnt(32) lgkmcnt(0)
	v_fma_f64 v[99:100], v[111:112], v[103:104], v[99:100]
	s_waitcnt vmcnt(30)
	v_fma_f64 v[109:110], v[113:114], v[105:106], v[99:100]
	ds_read_b128 v[99:102], v98 offset:544
	ds_read_b128 v[103:106], v98 offset:560
	s_waitcnt vmcnt(28) lgkmcnt(1)
	v_fma_f64 v[99:100], v[115:116], v[99:100], v[109:110]
	s_clause 0x7
	buffer_load_dword v110, off, s[0:3], 0 offset:284
	buffer_load_dword v111, off, s[0:3], 0 offset:304
	buffer_load_dword v113, off, s[0:3], 0 offset:296
	buffer_load_dword v115, off, s[0:3], 0 offset:288
	buffer_load_dword v109, off, s[0:3], 0 offset:280
	buffer_load_dword v116, off, s[0:3], 0 offset:292
	buffer_load_dword v114, off, s[0:3], 0 offset:300
	buffer_load_dword v112, off, s[0:3], 0 offset:308
	s_waitcnt vmcnt(34)
	v_fma_f64 v[99:100], v[117:118], v[101:102], v[99:100]
	s_waitcnt vmcnt(32) lgkmcnt(0)
	v_fma_f64 v[99:100], v[119:120], v[103:104], v[99:100]
	s_waitcnt vmcnt(27)
	v_fma_f64 v[117:118], v[121:122], v[105:106], v[99:100]
	ds_read_b128 v[99:102], v98 offset:576
	ds_read_b128 v[103:106], v98 offset:592
	;; [unrolled: 19-line block ×4, first 2 shown]
	s_waitcnt vmcnt(26) lgkmcnt(1)
	v_fma_f64 v[99:100], v[141:142], v[99:100], v[107:108]
	s_clause 0x3
	buffer_load_dword v108, off, s[0:3], 0 offset:380
	buffer_load_dword v107, off, s[0:3], 0 offset:376
	;; [unrolled: 1-line block ×4, first 2 shown]
	s_waitcnt vmcnt(29)
	v_fma_f64 v[99:100], v[139:140], v[101:102], v[99:100]
	s_waitcnt vmcnt(28) lgkmcnt(0)
	v_fma_f64 v[99:100], v[137:138], v[103:104], v[99:100]
	s_waitcnt vmcnt(23)
	v_fma_f64 v[109:110], v[109:110], v[105:106], v[99:100]
	ds_read_b128 v[99:102], v98 offset:672
	ds_read_b128 v[103:106], v98 offset:688
	s_waitcnt vmcnt(22) lgkmcnt(1)
	v_fma_f64 v[99:100], v[115:116], v[99:100], v[109:110]
	s_waitcnt vmcnt(21)
	v_fma_f64 v[99:100], v[113:114], v[101:102], v[99:100]
	s_waitcnt vmcnt(20) lgkmcnt(0)
	v_fma_f64 v[99:100], v[111:112], v[103:104], v[99:100]
	s_waitcnt vmcnt(15)
	v_fma_f64 v[109:110], v[117:118], v[105:106], v[99:100]
	ds_read_b128 v[99:102], v98 offset:704
	ds_read_b128 v[103:106], v98 offset:720
	s_waitcnt vmcnt(14) lgkmcnt(1)
	v_fma_f64 v[99:100], v[127:128], v[99:100], v[109:110]
	;; [unrolled: 10-line block ×3, first 2 shown]
	s_waitcnt vmcnt(5)
	v_fma_f64 v[98:99], v[129:130], v[101:102], v[98:99]
	s_waitcnt vmcnt(4) lgkmcnt(0)
	v_fma_f64 v[98:99], v[125:126], v[103:104], v[98:99]
	s_waitcnt vmcnt(2)
	v_fma_f64 v[98:99], v[107:108], v[105:106], v[98:99]
	s_waitcnt vmcnt(0)
	v_add_f64 v[98:99], v[131:132], -v[98:99]
	buffer_store_dword v99, off, s[0:3], 0 offset:124
	buffer_store_dword v98, off, s[0:3], 0 offset:120
	v_cmpx_lt_u32_e32 14, v0
	s_cbranch_execz .LBB111_269
; %bb.268:
	s_clause 0x1
	buffer_load_dword v98, off, s[0:3], 0 offset:112
	buffer_load_dword v99, off, s[0:3], 0 offset:116
	v_mov_b32_e32 v100, 0
	buffer_store_dword v100, off, s[0:3], 0 offset:112
	buffer_store_dword v100, off, s[0:3], 0 offset:116
	s_waitcnt vmcnt(0)
	ds_write_b64 v97, v[98:99]
.LBB111_269:
	s_or_b32 exec_lo, exec_lo, s4
	s_waitcnt lgkmcnt(0)
	s_waitcnt_vscnt null, 0x0
	s_barrier
	buffer_gl0_inv
	s_clause 0x1c
	buffer_load_dword v107, off, s[0:3], 0 offset:120
	buffer_load_dword v108, off, s[0:3], 0 offset:124
	;; [unrolled: 1-line block ×29, first 2 shown]
	v_mov_b32_e32 v98, 0
	buffer_load_dword v132, off, s[0:3], 0 offset:236
	s_mov_b32 s4, exec_lo
	ds_read2_b64 v[99:102], v98 offset0:63 offset1:64
	ds_read2_b64 v[103:106], v98 offset0:65 offset1:66
	s_waitcnt vmcnt(28) lgkmcnt(1)
	v_fma_f64 v[99:100], v[107:108], v[99:100], 0
	s_clause 0x7
	buffer_load_dword v108, off, s[0:3], 0 offset:244
	buffer_load_dword v137, off, s[0:3], 0 offset:264
	buffer_load_dword v139, off, s[0:3], 0 offset:256
	buffer_load_dword v141, off, s[0:3], 0 offset:248
	buffer_load_dword v107, off, s[0:3], 0 offset:240
	buffer_load_dword v142, off, s[0:3], 0 offset:252
	buffer_load_dword v140, off, s[0:3], 0 offset:260
	buffer_load_dword v138, off, s[0:3], 0 offset:268
	s_waitcnt vmcnt(34)
	v_fma_f64 v[99:100], v[109:110], v[101:102], v[99:100]
	s_waitcnt vmcnt(32) lgkmcnt(0)
	v_fma_f64 v[99:100], v[111:112], v[103:104], v[99:100]
	s_waitcnt vmcnt(30)
	v_fma_f64 v[109:110], v[113:114], v[105:106], v[99:100]
	ds_read2_b64 v[99:102], v98 offset0:67 offset1:68
	ds_read2_b64 v[103:106], v98 offset0:69 offset1:70
	s_waitcnt vmcnt(28) lgkmcnt(1)
	v_fma_f64 v[99:100], v[115:116], v[99:100], v[109:110]
	s_clause 0x7
	buffer_load_dword v110, off, s[0:3], 0 offset:276
	buffer_load_dword v111, off, s[0:3], 0 offset:296
	buffer_load_dword v113, off, s[0:3], 0 offset:288
	buffer_load_dword v115, off, s[0:3], 0 offset:280
	buffer_load_dword v109, off, s[0:3], 0 offset:272
	buffer_load_dword v116, off, s[0:3], 0 offset:284
	buffer_load_dword v114, off, s[0:3], 0 offset:292
	buffer_load_dword v112, off, s[0:3], 0 offset:300
	s_waitcnt vmcnt(34)
	v_fma_f64 v[99:100], v[117:118], v[101:102], v[99:100]
	s_waitcnt vmcnt(32) lgkmcnt(0)
	v_fma_f64 v[99:100], v[119:120], v[103:104], v[99:100]
	s_waitcnt vmcnt(27)
	v_fma_f64 v[117:118], v[121:122], v[105:106], v[99:100]
	ds_read2_b64 v[99:102], v98 offset0:71 offset1:72
	ds_read2_b64 v[103:106], v98 offset0:73 offset1:74
	s_waitcnt vmcnt(26) lgkmcnt(1)
	v_fma_f64 v[99:100], v[127:128], v[99:100], v[117:118]
	s_clause 0x7
	buffer_load_dword v118, off, s[0:3], 0 offset:308
	buffer_load_dword v119, off, s[0:3], 0 offset:328
	buffer_load_dword v121, off, s[0:3], 0 offset:320
	buffer_load_dword v127, off, s[0:3], 0 offset:312
	buffer_load_dword v117, off, s[0:3], 0 offset:304
	buffer_load_dword v128, off, s[0:3], 0 offset:316
	buffer_load_dword v122, off, s[0:3], 0 offset:324
	buffer_load_dword v120, off, s[0:3], 0 offset:332
	s_waitcnt vmcnt(33)
	v_fma_f64 v[99:100], v[125:126], v[101:102], v[99:100]
	s_waitcnt vmcnt(32) lgkmcnt(0)
	v_fma_f64 v[99:100], v[123:124], v[103:104], v[99:100]
	s_waitcnt vmcnt(27)
	v_fma_f64 v[123:124], v[129:130], v[105:106], v[99:100]
	ds_read2_b64 v[99:102], v98 offset0:75 offset1:76
	ds_read2_b64 v[103:106], v98 offset0:77 offset1:78
	s_waitcnt vmcnt(26) lgkmcnt(1)
	v_fma_f64 v[99:100], v[135:136], v[99:100], v[123:124]
	s_clause 0x7
	buffer_load_dword v124, off, s[0:3], 0 offset:340
	buffer_load_dword v125, off, s[0:3], 0 offset:360
	buffer_load_dword v129, off, s[0:3], 0 offset:352
	buffer_load_dword v135, off, s[0:3], 0 offset:344
	buffer_load_dword v123, off, s[0:3], 0 offset:336
	buffer_load_dword v136, off, s[0:3], 0 offset:348
	buffer_load_dword v130, off, s[0:3], 0 offset:356
	buffer_load_dword v126, off, s[0:3], 0 offset:364
	s_waitcnt vmcnt(33)
	v_fma_f64 v[99:100], v[133:134], v[101:102], v[99:100]
	s_waitcnt vmcnt(32) lgkmcnt(0)
	v_fma_f64 v[99:100], v[131:132], v[103:104], v[99:100]
	s_waitcnt vmcnt(27)
	v_fma_f64 v[107:108], v[107:108], v[105:106], v[99:100]
	ds_read2_b64 v[99:102], v98 offset0:79 offset1:80
	ds_read2_b64 v[103:106], v98 offset0:81 offset1:82
	s_waitcnt vmcnt(26) lgkmcnt(1)
	v_fma_f64 v[99:100], v[141:142], v[99:100], v[107:108]
	s_clause 0x5
	buffer_load_dword v108, off, s[0:3], 0 offset:372
	buffer_load_dword v131, off, s[0:3], 0 offset:376
	;; [unrolled: 1-line block ×6, first 2 shown]
	s_waitcnt vmcnt(31)
	v_fma_f64 v[99:100], v[139:140], v[101:102], v[99:100]
	s_waitcnt vmcnt(30) lgkmcnt(0)
	v_fma_f64 v[99:100], v[137:138], v[103:104], v[99:100]
	s_waitcnt vmcnt(25)
	v_fma_f64 v[109:110], v[109:110], v[105:106], v[99:100]
	ds_read2_b64 v[99:102], v98 offset0:83 offset1:84
	ds_read2_b64 v[103:106], v98 offset0:85 offset1:86
	s_waitcnt vmcnt(24) lgkmcnt(1)
	v_fma_f64 v[99:100], v[115:116], v[99:100], v[109:110]
	s_waitcnt vmcnt(23)
	v_fma_f64 v[99:100], v[113:114], v[101:102], v[99:100]
	s_waitcnt vmcnt(22) lgkmcnt(0)
	v_fma_f64 v[99:100], v[111:112], v[103:104], v[99:100]
	s_waitcnt vmcnt(17)
	v_fma_f64 v[109:110], v[117:118], v[105:106], v[99:100]
	ds_read2_b64 v[99:102], v98 offset0:87 offset1:88
	ds_read2_b64 v[103:106], v98 offset0:89 offset1:90
	s_waitcnt vmcnt(16) lgkmcnt(1)
	v_fma_f64 v[99:100], v[127:128], v[99:100], v[109:110]
	;; [unrolled: 10-line block ×3, first 2 shown]
	s_waitcnt vmcnt(7)
	v_fma_f64 v[99:100], v[129:130], v[101:102], v[99:100]
	ds_read_b64 v[101:102], v98 offset:760
	s_waitcnt vmcnt(6) lgkmcnt(1)
	v_fma_f64 v[99:100], v[125:126], v[103:104], v[99:100]
	s_waitcnt vmcnt(3)
	v_fma_f64 v[99:100], v[107:108], v[105:106], v[99:100]
	s_waitcnt vmcnt(2) lgkmcnt(0)
	v_fma_f64 v[99:100], v[131:132], v[101:102], v[99:100]
	s_waitcnt vmcnt(0)
	v_add_f64 v[99:100], v[133:134], -v[99:100]
	buffer_store_dword v100, off, s[0:3], 0 offset:116
	buffer_store_dword v99, off, s[0:3], 0 offset:112
	v_cmpx_lt_u32_e32 13, v0
	s_cbranch_execz .LBB111_271
; %bb.270:
	s_clause 0x1
	buffer_load_dword v99, off, s[0:3], 0 offset:104
	buffer_load_dword v100, off, s[0:3], 0 offset:108
	buffer_store_dword v98, off, s[0:3], 0 offset:104
	buffer_store_dword v98, off, s[0:3], 0 offset:108
	s_waitcnt vmcnt(0)
	ds_write_b64 v97, v[99:100]
.LBB111_271:
	s_or_b32 exec_lo, exec_lo, s4
	s_waitcnt lgkmcnt(0)
	s_waitcnt_vscnt null, 0x0
	s_barrier
	buffer_gl0_inv
	s_clause 0x1c
	buffer_load_dword v107, off, s[0:3], 0 offset:112
	buffer_load_dword v108, off, s[0:3], 0 offset:116
	;; [unrolled: 1-line block ×29, first 2 shown]
	ds_read_b128 v[99:102], v98 offset:496
	ds_read_b128 v[103:106], v98 offset:512
	buffer_load_dword v132, off, s[0:3], 0 offset:228
	s_mov_b32 s4, exec_lo
	s_waitcnt vmcnt(28) lgkmcnt(1)
	v_fma_f64 v[99:100], v[107:108], v[99:100], 0
	s_clause 0x7
	buffer_load_dword v108, off, s[0:3], 0 offset:236
	buffer_load_dword v137, off, s[0:3], 0 offset:256
	buffer_load_dword v139, off, s[0:3], 0 offset:248
	buffer_load_dword v141, off, s[0:3], 0 offset:240
	buffer_load_dword v107, off, s[0:3], 0 offset:232
	buffer_load_dword v142, off, s[0:3], 0 offset:244
	buffer_load_dword v140, off, s[0:3], 0 offset:252
	buffer_load_dword v138, off, s[0:3], 0 offset:260
	s_waitcnt vmcnt(34)
	v_fma_f64 v[99:100], v[109:110], v[101:102], v[99:100]
	s_waitcnt vmcnt(32) lgkmcnt(0)
	v_fma_f64 v[99:100], v[111:112], v[103:104], v[99:100]
	s_waitcnt vmcnt(30)
	v_fma_f64 v[109:110], v[113:114], v[105:106], v[99:100]
	ds_read_b128 v[99:102], v98 offset:528
	ds_read_b128 v[103:106], v98 offset:544
	s_waitcnt vmcnt(28) lgkmcnt(1)
	v_fma_f64 v[99:100], v[115:116], v[99:100], v[109:110]
	s_clause 0x7
	buffer_load_dword v110, off, s[0:3], 0 offset:268
	buffer_load_dword v111, off, s[0:3], 0 offset:288
	buffer_load_dword v113, off, s[0:3], 0 offset:280
	buffer_load_dword v115, off, s[0:3], 0 offset:272
	buffer_load_dword v109, off, s[0:3], 0 offset:264
	buffer_load_dword v116, off, s[0:3], 0 offset:276
	buffer_load_dword v114, off, s[0:3], 0 offset:284
	buffer_load_dword v112, off, s[0:3], 0 offset:292
	s_waitcnt vmcnt(34)
	v_fma_f64 v[99:100], v[117:118], v[101:102], v[99:100]
	s_waitcnt vmcnt(32) lgkmcnt(0)
	v_fma_f64 v[99:100], v[119:120], v[103:104], v[99:100]
	s_waitcnt vmcnt(27)
	v_fma_f64 v[117:118], v[121:122], v[105:106], v[99:100]
	ds_read_b128 v[99:102], v98 offset:560
	ds_read_b128 v[103:106], v98 offset:576
	;; [unrolled: 19-line block ×4, first 2 shown]
	s_waitcnt vmcnt(26) lgkmcnt(1)
	v_fma_f64 v[99:100], v[141:142], v[99:100], v[107:108]
	s_clause 0x5
	buffer_load_dword v108, off, s[0:3], 0 offset:364
	buffer_load_dword v131, off, s[0:3], 0 offset:376
	;; [unrolled: 1-line block ×6, first 2 shown]
	s_waitcnt vmcnt(31)
	v_fma_f64 v[99:100], v[139:140], v[101:102], v[99:100]
	s_waitcnt vmcnt(30) lgkmcnt(0)
	v_fma_f64 v[99:100], v[137:138], v[103:104], v[99:100]
	s_waitcnt vmcnt(25)
	v_fma_f64 v[109:110], v[109:110], v[105:106], v[99:100]
	ds_read_b128 v[99:102], v98 offset:656
	s_clause 0x1
	buffer_load_dword v137, off, s[0:3], 0 offset:104
	buffer_load_dword v138, off, s[0:3], 0 offset:108
	ds_read_b128 v[103:106], v98 offset:672
	s_waitcnt vmcnt(26) lgkmcnt(1)
	v_fma_f64 v[99:100], v[115:116], v[99:100], v[109:110]
	s_waitcnt vmcnt(25)
	v_fma_f64 v[99:100], v[113:114], v[101:102], v[99:100]
	s_waitcnt vmcnt(24) lgkmcnt(0)
	v_fma_f64 v[99:100], v[111:112], v[103:104], v[99:100]
	s_waitcnt vmcnt(19)
	v_fma_f64 v[109:110], v[117:118], v[105:106], v[99:100]
	ds_read_b128 v[99:102], v98 offset:688
	ds_read_b128 v[103:106], v98 offset:704
	s_waitcnt vmcnt(18) lgkmcnt(1)
	v_fma_f64 v[99:100], v[127:128], v[99:100], v[109:110]
	s_waitcnt vmcnt(17)
	v_fma_f64 v[99:100], v[121:122], v[101:102], v[99:100]
	s_waitcnt vmcnt(16) lgkmcnt(0)
	v_fma_f64 v[99:100], v[119:120], v[103:104], v[99:100]
	s_waitcnt vmcnt(11)
	v_fma_f64 v[109:110], v[123:124], v[105:106], v[99:100]
	ds_read_b128 v[99:102], v98 offset:720
	;; [unrolled: 10-line block ×3, first 2 shown]
	s_waitcnt vmcnt(3) lgkmcnt(0)
	v_fma_f64 v[98:99], v[133:134], v[98:99], v[102:103]
	s_waitcnt vmcnt(2)
	v_fma_f64 v[98:99], v[131:132], v[100:101], v[98:99]
	s_waitcnt vmcnt(0)
	v_add_f64 v[98:99], v[137:138], -v[98:99]
	buffer_store_dword v99, off, s[0:3], 0 offset:108
	buffer_store_dword v98, off, s[0:3], 0 offset:104
	v_cmpx_lt_u32_e32 12, v0
	s_cbranch_execz .LBB111_273
; %bb.272:
	s_clause 0x1
	buffer_load_dword v98, off, s[0:3], 0 offset:96
	buffer_load_dword v99, off, s[0:3], 0 offset:100
	v_mov_b32_e32 v100, 0
	buffer_store_dword v100, off, s[0:3], 0 offset:96
	buffer_store_dword v100, off, s[0:3], 0 offset:100
	s_waitcnt vmcnt(0)
	ds_write_b64 v97, v[98:99]
.LBB111_273:
	s_or_b32 exec_lo, exec_lo, s4
	s_waitcnt lgkmcnt(0)
	s_waitcnt_vscnt null, 0x0
	s_barrier
	buffer_gl0_inv
	s_clause 0x1c
	buffer_load_dword v107, off, s[0:3], 0 offset:104
	buffer_load_dword v108, off, s[0:3], 0 offset:108
	;; [unrolled: 1-line block ×29, first 2 shown]
	v_mov_b32_e32 v98, 0
	buffer_load_dword v132, off, s[0:3], 0 offset:220
	s_mov_b32 s4, exec_lo
	ds_read2_b64 v[99:102], v98 offset0:61 offset1:62
	ds_read2_b64 v[103:106], v98 offset0:63 offset1:64
	s_waitcnt vmcnt(28) lgkmcnt(1)
	v_fma_f64 v[99:100], v[107:108], v[99:100], 0
	s_clause 0x7
	buffer_load_dword v108, off, s[0:3], 0 offset:228
	buffer_load_dword v137, off, s[0:3], 0 offset:248
	buffer_load_dword v139, off, s[0:3], 0 offset:240
	buffer_load_dword v141, off, s[0:3], 0 offset:232
	buffer_load_dword v107, off, s[0:3], 0 offset:224
	buffer_load_dword v142, off, s[0:3], 0 offset:236
	buffer_load_dword v140, off, s[0:3], 0 offset:244
	buffer_load_dword v138, off, s[0:3], 0 offset:252
	s_waitcnt vmcnt(34)
	v_fma_f64 v[99:100], v[109:110], v[101:102], v[99:100]
	s_waitcnt vmcnt(32) lgkmcnt(0)
	v_fma_f64 v[99:100], v[111:112], v[103:104], v[99:100]
	s_waitcnt vmcnt(30)
	v_fma_f64 v[109:110], v[113:114], v[105:106], v[99:100]
	ds_read2_b64 v[99:102], v98 offset0:65 offset1:66
	ds_read2_b64 v[103:106], v98 offset0:67 offset1:68
	s_waitcnt vmcnt(28) lgkmcnt(1)
	v_fma_f64 v[99:100], v[115:116], v[99:100], v[109:110]
	s_clause 0x7
	buffer_load_dword v110, off, s[0:3], 0 offset:260
	buffer_load_dword v111, off, s[0:3], 0 offset:280
	buffer_load_dword v113, off, s[0:3], 0 offset:272
	buffer_load_dword v115, off, s[0:3], 0 offset:264
	buffer_load_dword v109, off, s[0:3], 0 offset:256
	buffer_load_dword v116, off, s[0:3], 0 offset:268
	buffer_load_dword v114, off, s[0:3], 0 offset:276
	buffer_load_dword v112, off, s[0:3], 0 offset:284
	s_waitcnt vmcnt(34)
	v_fma_f64 v[99:100], v[117:118], v[101:102], v[99:100]
	s_waitcnt vmcnt(32) lgkmcnt(0)
	v_fma_f64 v[99:100], v[119:120], v[103:104], v[99:100]
	s_waitcnt vmcnt(27)
	v_fma_f64 v[117:118], v[121:122], v[105:106], v[99:100]
	;; [unrolled: 19-line block ×5, first 2 shown]
	ds_read2_b64 v[99:102], v98 offset0:81 offset1:82
	ds_read2_b64 v[103:106], v98 offset0:83 offset1:84
	s_waitcnt vmcnt(26) lgkmcnt(1)
	v_fma_f64 v[99:100], v[115:116], v[99:100], v[109:110]
	s_clause 0x1
	buffer_load_dword v109, off, s[0:3], 0 offset:96
	buffer_load_dword v110, off, s[0:3], 0 offset:100
	s_waitcnt vmcnt(27)
	v_fma_f64 v[99:100], v[113:114], v[101:102], v[99:100]
	s_waitcnt vmcnt(26) lgkmcnt(0)
	v_fma_f64 v[99:100], v[111:112], v[103:104], v[99:100]
	s_waitcnt vmcnt(21)
	v_fma_f64 v[111:112], v[117:118], v[105:106], v[99:100]
	ds_read2_b64 v[99:102], v98 offset0:85 offset1:86
	ds_read2_b64 v[103:106], v98 offset0:87 offset1:88
	s_waitcnt vmcnt(20) lgkmcnt(1)
	v_fma_f64 v[99:100], v[127:128], v[99:100], v[111:112]
	s_waitcnt vmcnt(19)
	v_fma_f64 v[99:100], v[121:122], v[101:102], v[99:100]
	s_waitcnt vmcnt(18) lgkmcnt(0)
	v_fma_f64 v[99:100], v[119:120], v[103:104], v[99:100]
	s_waitcnt vmcnt(13)
	v_fma_f64 v[111:112], v[123:124], v[105:106], v[99:100]
	ds_read2_b64 v[99:102], v98 offset0:89 offset1:90
	ds_read2_b64 v[103:106], v98 offset0:91 offset1:92
	s_waitcnt vmcnt(12) lgkmcnt(1)
	v_fma_f64 v[99:100], v[135:136], v[99:100], v[111:112]
	s_waitcnt vmcnt(11)
	v_fma_f64 v[99:100], v[129:130], v[101:102], v[99:100]
	s_waitcnt vmcnt(10) lgkmcnt(0)
	v_fma_f64 v[99:100], v[125:126], v[103:104], v[99:100]
	s_waitcnt vmcnt(5)
	v_fma_f64 v[103:104], v[107:108], v[105:106], v[99:100]
	ds_read2_b64 v[99:102], v98 offset0:93 offset1:94
	ds_read_b64 v[105:106], v98 offset:760
	s_waitcnt vmcnt(4) lgkmcnt(1)
	v_fma_f64 v[99:100], v[141:142], v[99:100], v[103:104]
	s_waitcnt vmcnt(3)
	v_fma_f64 v[99:100], v[133:134], v[101:102], v[99:100]
	s_waitcnt vmcnt(2) lgkmcnt(0)
	v_fma_f64 v[99:100], v[131:132], v[105:106], v[99:100]
	s_waitcnt vmcnt(0)
	v_add_f64 v[99:100], v[109:110], -v[99:100]
	buffer_store_dword v100, off, s[0:3], 0 offset:100
	buffer_store_dword v99, off, s[0:3], 0 offset:96
	v_cmpx_lt_u32_e32 11, v0
	s_cbranch_execz .LBB111_275
; %bb.274:
	s_clause 0x1
	buffer_load_dword v99, off, s[0:3], 0 offset:88
	buffer_load_dword v100, off, s[0:3], 0 offset:92
	buffer_store_dword v98, off, s[0:3], 0 offset:88
	buffer_store_dword v98, off, s[0:3], 0 offset:92
	s_waitcnt vmcnt(0)
	ds_write_b64 v97, v[99:100]
.LBB111_275:
	s_or_b32 exec_lo, exec_lo, s4
	s_waitcnt lgkmcnt(0)
	s_waitcnt_vscnt null, 0x0
	s_barrier
	buffer_gl0_inv
	s_clause 0x1c
	buffer_load_dword v107, off, s[0:3], 0 offset:96
	buffer_load_dword v108, off, s[0:3], 0 offset:100
	;; [unrolled: 1-line block ×29, first 2 shown]
	ds_read_b128 v[99:102], v98 offset:480
	ds_read_b128 v[103:106], v98 offset:496
	buffer_load_dword v132, off, s[0:3], 0 offset:212
	s_mov_b32 s4, exec_lo
	s_waitcnt vmcnt(28) lgkmcnt(1)
	v_fma_f64 v[99:100], v[107:108], v[99:100], 0
	s_clause 0x7
	buffer_load_dword v108, off, s[0:3], 0 offset:220
	buffer_load_dword v137, off, s[0:3], 0 offset:240
	buffer_load_dword v139, off, s[0:3], 0 offset:232
	buffer_load_dword v141, off, s[0:3], 0 offset:224
	buffer_load_dword v107, off, s[0:3], 0 offset:216
	buffer_load_dword v142, off, s[0:3], 0 offset:228
	buffer_load_dword v140, off, s[0:3], 0 offset:236
	buffer_load_dword v138, off, s[0:3], 0 offset:244
	s_waitcnt vmcnt(34)
	v_fma_f64 v[99:100], v[109:110], v[101:102], v[99:100]
	s_waitcnt vmcnt(32) lgkmcnt(0)
	v_fma_f64 v[99:100], v[111:112], v[103:104], v[99:100]
	s_waitcnt vmcnt(30)
	v_fma_f64 v[109:110], v[113:114], v[105:106], v[99:100]
	ds_read_b128 v[99:102], v98 offset:512
	ds_read_b128 v[103:106], v98 offset:528
	s_waitcnt vmcnt(28) lgkmcnt(1)
	v_fma_f64 v[99:100], v[115:116], v[99:100], v[109:110]
	s_clause 0x7
	buffer_load_dword v110, off, s[0:3], 0 offset:252
	buffer_load_dword v111, off, s[0:3], 0 offset:272
	buffer_load_dword v113, off, s[0:3], 0 offset:264
	buffer_load_dword v115, off, s[0:3], 0 offset:256
	buffer_load_dword v109, off, s[0:3], 0 offset:248
	buffer_load_dword v116, off, s[0:3], 0 offset:260
	buffer_load_dword v114, off, s[0:3], 0 offset:268
	buffer_load_dword v112, off, s[0:3], 0 offset:276
	s_waitcnt vmcnt(34)
	v_fma_f64 v[99:100], v[117:118], v[101:102], v[99:100]
	s_waitcnt vmcnt(32) lgkmcnt(0)
	v_fma_f64 v[99:100], v[119:120], v[103:104], v[99:100]
	s_waitcnt vmcnt(27)
	v_fma_f64 v[117:118], v[121:122], v[105:106], v[99:100]
	ds_read_b128 v[99:102], v98 offset:544
	ds_read_b128 v[103:106], v98 offset:560
	;; [unrolled: 19-line block ×5, first 2 shown]
	s_waitcnt vmcnt(26) lgkmcnt(1)
	v_fma_f64 v[99:100], v[115:116], v[99:100], v[109:110]
	s_clause 0x1
	buffer_load_dword v110, off, s[0:3], 0 offset:380
	buffer_load_dword v109, off, s[0:3], 0 offset:376
	s_waitcnt vmcnt(27)
	v_fma_f64 v[99:100], v[113:114], v[101:102], v[99:100]
	s_clause 0x1
	buffer_load_dword v113, off, s[0:3], 0 offset:88
	buffer_load_dword v114, off, s[0:3], 0 offset:92
	s_waitcnt vmcnt(28) lgkmcnt(0)
	v_fma_f64 v[99:100], v[111:112], v[103:104], v[99:100]
	s_waitcnt vmcnt(23)
	v_fma_f64 v[111:112], v[117:118], v[105:106], v[99:100]
	ds_read_b128 v[99:102], v98 offset:672
	ds_read_b128 v[103:106], v98 offset:688
	s_waitcnt vmcnt(22) lgkmcnt(1)
	v_fma_f64 v[99:100], v[127:128], v[99:100], v[111:112]
	s_waitcnt vmcnt(21)
	v_fma_f64 v[99:100], v[121:122], v[101:102], v[99:100]
	s_waitcnt vmcnt(20) lgkmcnt(0)
	v_fma_f64 v[99:100], v[119:120], v[103:104], v[99:100]
	s_waitcnt vmcnt(15)
	v_fma_f64 v[111:112], v[123:124], v[105:106], v[99:100]
	ds_read_b128 v[99:102], v98 offset:704
	ds_read_b128 v[103:106], v98 offset:720
	s_waitcnt vmcnt(14) lgkmcnt(1)
	v_fma_f64 v[99:100], v[135:136], v[99:100], v[111:112]
	s_waitcnt vmcnt(13)
	v_fma_f64 v[99:100], v[129:130], v[101:102], v[99:100]
	;; [unrolled: 10-line block ×3, first 2 shown]
	s_waitcnt vmcnt(4) lgkmcnt(0)
	v_fma_f64 v[98:99], v[131:132], v[103:104], v[98:99]
	s_waitcnt vmcnt(2)
	v_fma_f64 v[98:99], v[109:110], v[105:106], v[98:99]
	s_waitcnt vmcnt(0)
	v_add_f64 v[98:99], v[113:114], -v[98:99]
	buffer_store_dword v99, off, s[0:3], 0 offset:92
	buffer_store_dword v98, off, s[0:3], 0 offset:88
	v_cmpx_lt_u32_e32 10, v0
	s_cbranch_execz .LBB111_277
; %bb.276:
	s_clause 0x1
	buffer_load_dword v98, off, s[0:3], 0 offset:80
	buffer_load_dword v99, off, s[0:3], 0 offset:84
	v_mov_b32_e32 v100, 0
	buffer_store_dword v100, off, s[0:3], 0 offset:80
	buffer_store_dword v100, off, s[0:3], 0 offset:84
	s_waitcnt vmcnt(0)
	ds_write_b64 v97, v[98:99]
.LBB111_277:
	s_or_b32 exec_lo, exec_lo, s4
	s_waitcnt lgkmcnt(0)
	s_waitcnt_vscnt null, 0x0
	s_barrier
	buffer_gl0_inv
	s_clause 0x1c
	buffer_load_dword v107, off, s[0:3], 0 offset:88
	buffer_load_dword v108, off, s[0:3], 0 offset:92
	buffer_load_dword v109, off, s[0:3], 0 offset:96
	buffer_load_dword v110, off, s[0:3], 0 offset:100
	buffer_load_dword v111, off, s[0:3], 0 offset:104
	buffer_load_dword v112, off, s[0:3], 0 offset:108
	buffer_load_dword v113, off, s[0:3], 0 offset:112
	buffer_load_dword v114, off, s[0:3], 0 offset:116
	buffer_load_dword v115, off, s[0:3], 0 offset:120
	buffer_load_dword v116, off, s[0:3], 0 offset:124
	buffer_load_dword v117, off, s[0:3], 0 offset:128
	buffer_load_dword v118, off, s[0:3], 0 offset:132
	buffer_load_dword v119, off, s[0:3], 0 offset:136
	buffer_load_dword v120, off, s[0:3], 0 offset:140
	buffer_load_dword v122, off, s[0:3], 0 offset:148
	buffer_load_dword v123, off, s[0:3], 0 offset:168
	buffer_load_dword v125, off, s[0:3], 0 offset:160
	buffer_load_dword v127, off, s[0:3], 0 offset:152
	buffer_load_dword v121, off, s[0:3], 0 offset:144
	buffer_load_dword v128, off, s[0:3], 0 offset:156
	buffer_load_dword v126, off, s[0:3], 0 offset:164
	buffer_load_dword v124, off, s[0:3], 0 offset:172
	buffer_load_dword v130, off, s[0:3], 0 offset:180
	buffer_load_dword v131, off, s[0:3], 0 offset:200
	buffer_load_dword v133, off, s[0:3], 0 offset:192
	buffer_load_dword v135, off, s[0:3], 0 offset:184
	buffer_load_dword v129, off, s[0:3], 0 offset:176
	buffer_load_dword v136, off, s[0:3], 0 offset:188
	buffer_load_dword v134, off, s[0:3], 0 offset:196
	v_mov_b32_e32 v98, 0
	buffer_load_dword v132, off, s[0:3], 0 offset:204
	s_mov_b32 s4, exec_lo
	ds_read2_b64 v[99:102], v98 offset0:59 offset1:60
	ds_read2_b64 v[103:106], v98 offset0:61 offset1:62
	s_waitcnt vmcnt(28) lgkmcnt(1)
	v_fma_f64 v[99:100], v[107:108], v[99:100], 0
	s_clause 0x7
	buffer_load_dword v108, off, s[0:3], 0 offset:212
	buffer_load_dword v137, off, s[0:3], 0 offset:232
	buffer_load_dword v139, off, s[0:3], 0 offset:224
	buffer_load_dword v141, off, s[0:3], 0 offset:216
	buffer_load_dword v107, off, s[0:3], 0 offset:208
	buffer_load_dword v142, off, s[0:3], 0 offset:220
	buffer_load_dword v140, off, s[0:3], 0 offset:228
	buffer_load_dword v138, off, s[0:3], 0 offset:236
	s_waitcnt vmcnt(34)
	v_fma_f64 v[99:100], v[109:110], v[101:102], v[99:100]
	s_waitcnt vmcnt(32) lgkmcnt(0)
	v_fma_f64 v[99:100], v[111:112], v[103:104], v[99:100]
	s_waitcnt vmcnt(30)
	v_fma_f64 v[109:110], v[113:114], v[105:106], v[99:100]
	ds_read2_b64 v[99:102], v98 offset0:63 offset1:64
	ds_read2_b64 v[103:106], v98 offset0:65 offset1:66
	s_waitcnt vmcnt(28) lgkmcnt(1)
	v_fma_f64 v[99:100], v[115:116], v[99:100], v[109:110]
	s_clause 0x7
	buffer_load_dword v110, off, s[0:3], 0 offset:244
	buffer_load_dword v111, off, s[0:3], 0 offset:264
	buffer_load_dword v113, off, s[0:3], 0 offset:256
	buffer_load_dword v115, off, s[0:3], 0 offset:248
	buffer_load_dword v109, off, s[0:3], 0 offset:240
	buffer_load_dword v116, off, s[0:3], 0 offset:252
	buffer_load_dword v114, off, s[0:3], 0 offset:260
	buffer_load_dword v112, off, s[0:3], 0 offset:268
	s_waitcnt vmcnt(34)
	v_fma_f64 v[99:100], v[117:118], v[101:102], v[99:100]
	s_waitcnt vmcnt(32) lgkmcnt(0)
	v_fma_f64 v[99:100], v[119:120], v[103:104], v[99:100]
	s_waitcnt vmcnt(27)
	v_fma_f64 v[117:118], v[121:122], v[105:106], v[99:100]
	;; [unrolled: 19-line block ×5, first 2 shown]
	ds_read2_b64 v[99:102], v98 offset0:79 offset1:80
	ds_read2_b64 v[103:106], v98 offset0:81 offset1:82
	s_waitcnt vmcnt(26) lgkmcnt(1)
	v_fma_f64 v[99:100], v[115:116], v[99:100], v[109:110]
	s_clause 0x3
	buffer_load_dword v110, off, s[0:3], 0 offset:372
	buffer_load_dword v115, off, s[0:3], 0 offset:376
	;; [unrolled: 1-line block ×4, first 2 shown]
	s_waitcnt vmcnt(29)
	v_fma_f64 v[99:100], v[113:114], v[101:102], v[99:100]
	s_waitcnt vmcnt(28) lgkmcnt(0)
	v_fma_f64 v[99:100], v[111:112], v[103:104], v[99:100]
	s_clause 0x1
	buffer_load_dword v111, off, s[0:3], 0 offset:80
	buffer_load_dword v112, off, s[0:3], 0 offset:84
	s_waitcnt vmcnt(25)
	v_fma_f64 v[113:114], v[117:118], v[105:106], v[99:100]
	ds_read2_b64 v[99:102], v98 offset0:83 offset1:84
	ds_read2_b64 v[103:106], v98 offset0:85 offset1:86
	s_waitcnt vmcnt(24) lgkmcnt(1)
	v_fma_f64 v[99:100], v[127:128], v[99:100], v[113:114]
	s_waitcnt vmcnt(23)
	v_fma_f64 v[99:100], v[121:122], v[101:102], v[99:100]
	s_waitcnt vmcnt(22) lgkmcnt(0)
	v_fma_f64 v[99:100], v[119:120], v[103:104], v[99:100]
	s_waitcnt vmcnt(17)
	v_fma_f64 v[113:114], v[123:124], v[105:106], v[99:100]
	ds_read2_b64 v[99:102], v98 offset0:87 offset1:88
	ds_read2_b64 v[103:106], v98 offset0:89 offset1:90
	s_waitcnt vmcnt(16) lgkmcnt(1)
	v_fma_f64 v[99:100], v[135:136], v[99:100], v[113:114]
	s_waitcnt vmcnt(15)
	v_fma_f64 v[99:100], v[129:130], v[101:102], v[99:100]
	s_waitcnt vmcnt(14) lgkmcnt(0)
	v_fma_f64 v[99:100], v[125:126], v[103:104], v[99:100]
	s_waitcnt vmcnt(9)
	v_fma_f64 v[107:108], v[107:108], v[105:106], v[99:100]
	ds_read2_b64 v[99:102], v98 offset0:91 offset1:92
	ds_read2_b64 v[103:106], v98 offset0:93 offset1:94
	s_waitcnt vmcnt(8) lgkmcnt(1)
	v_fma_f64 v[99:100], v[141:142], v[99:100], v[107:108]
	s_waitcnt vmcnt(7)
	v_fma_f64 v[99:100], v[133:134], v[101:102], v[99:100]
	ds_read_b64 v[101:102], v98 offset:760
	s_waitcnt vmcnt(6) lgkmcnt(1)
	v_fma_f64 v[99:100], v[131:132], v[103:104], v[99:100]
	s_waitcnt vmcnt(3)
	v_fma_f64 v[99:100], v[109:110], v[105:106], v[99:100]
	s_waitcnt vmcnt(2) lgkmcnt(0)
	v_fma_f64 v[99:100], v[115:116], v[101:102], v[99:100]
	s_waitcnt vmcnt(0)
	v_add_f64 v[99:100], v[111:112], -v[99:100]
	buffer_store_dword v100, off, s[0:3], 0 offset:84
	buffer_store_dword v99, off, s[0:3], 0 offset:80
	v_cmpx_lt_u32_e32 9, v0
	s_cbranch_execz .LBB111_279
; %bb.278:
	s_clause 0x1
	buffer_load_dword v99, off, s[0:3], 0 offset:72
	buffer_load_dword v100, off, s[0:3], 0 offset:76
	buffer_store_dword v98, off, s[0:3], 0 offset:72
	buffer_store_dword v98, off, s[0:3], 0 offset:76
	s_waitcnt vmcnt(0)
	ds_write_b64 v97, v[99:100]
.LBB111_279:
	s_or_b32 exec_lo, exec_lo, s4
	s_waitcnt lgkmcnt(0)
	s_waitcnt_vscnt null, 0x0
	s_barrier
	buffer_gl0_inv
	s_clause 0x1c
	buffer_load_dword v107, off, s[0:3], 0 offset:80
	buffer_load_dword v108, off, s[0:3], 0 offset:84
	;; [unrolled: 1-line block ×29, first 2 shown]
	ds_read_b128 v[99:102], v98 offset:464
	ds_read_b128 v[103:106], v98 offset:480
	buffer_load_dword v132, off, s[0:3], 0 offset:196
	s_mov_b32 s4, exec_lo
	s_waitcnt vmcnt(28) lgkmcnt(1)
	v_fma_f64 v[99:100], v[107:108], v[99:100], 0
	s_clause 0x7
	buffer_load_dword v108, off, s[0:3], 0 offset:204
	buffer_load_dword v137, off, s[0:3], 0 offset:224
	buffer_load_dword v139, off, s[0:3], 0 offset:216
	buffer_load_dword v141, off, s[0:3], 0 offset:208
	buffer_load_dword v107, off, s[0:3], 0 offset:200
	buffer_load_dword v142, off, s[0:3], 0 offset:212
	buffer_load_dword v140, off, s[0:3], 0 offset:220
	buffer_load_dword v138, off, s[0:3], 0 offset:228
	s_waitcnt vmcnt(34)
	v_fma_f64 v[99:100], v[109:110], v[101:102], v[99:100]
	s_waitcnt vmcnt(32) lgkmcnt(0)
	v_fma_f64 v[99:100], v[111:112], v[103:104], v[99:100]
	s_waitcnt vmcnt(30)
	v_fma_f64 v[109:110], v[113:114], v[105:106], v[99:100]
	ds_read_b128 v[99:102], v98 offset:496
	ds_read_b128 v[103:106], v98 offset:512
	s_waitcnt vmcnt(28) lgkmcnt(1)
	v_fma_f64 v[99:100], v[115:116], v[99:100], v[109:110]
	s_clause 0x7
	buffer_load_dword v110, off, s[0:3], 0 offset:236
	buffer_load_dword v111, off, s[0:3], 0 offset:256
	buffer_load_dword v113, off, s[0:3], 0 offset:248
	buffer_load_dword v115, off, s[0:3], 0 offset:240
	buffer_load_dword v109, off, s[0:3], 0 offset:232
	buffer_load_dword v116, off, s[0:3], 0 offset:244
	buffer_load_dword v114, off, s[0:3], 0 offset:252
	buffer_load_dword v112, off, s[0:3], 0 offset:260
	s_waitcnt vmcnt(34)
	v_fma_f64 v[99:100], v[117:118], v[101:102], v[99:100]
	s_waitcnt vmcnt(32) lgkmcnt(0)
	v_fma_f64 v[99:100], v[119:120], v[103:104], v[99:100]
	s_waitcnt vmcnt(27)
	v_fma_f64 v[117:118], v[121:122], v[105:106], v[99:100]
	ds_read_b128 v[99:102], v98 offset:528
	ds_read_b128 v[103:106], v98 offset:544
	;; [unrolled: 19-line block ×5, first 2 shown]
	s_waitcnt vmcnt(26) lgkmcnt(1)
	v_fma_f64 v[99:100], v[115:116], v[99:100], v[109:110]
	s_clause 0x5
	buffer_load_dword v110, off, s[0:3], 0 offset:364
	buffer_load_dword v115, off, s[0:3], 0 offset:376
	;; [unrolled: 1-line block ×6, first 2 shown]
	s_waitcnt vmcnt(31)
	v_fma_f64 v[99:100], v[113:114], v[101:102], v[99:100]
	s_waitcnt vmcnt(30) lgkmcnt(0)
	v_fma_f64 v[99:100], v[111:112], v[103:104], v[99:100]
	s_waitcnt vmcnt(25)
	v_fma_f64 v[111:112], v[117:118], v[105:106], v[99:100]
	ds_read_b128 v[99:102], v98 offset:656
	s_clause 0x1
	buffer_load_dword v113, off, s[0:3], 0 offset:72
	buffer_load_dword v114, off, s[0:3], 0 offset:76
	ds_read_b128 v[103:106], v98 offset:672
	s_waitcnt vmcnt(26) lgkmcnt(1)
	v_fma_f64 v[99:100], v[127:128], v[99:100], v[111:112]
	s_waitcnt vmcnt(25)
	v_fma_f64 v[99:100], v[121:122], v[101:102], v[99:100]
	s_waitcnt vmcnt(24) lgkmcnt(0)
	v_fma_f64 v[99:100], v[119:120], v[103:104], v[99:100]
	s_waitcnt vmcnt(19)
	v_fma_f64 v[111:112], v[123:124], v[105:106], v[99:100]
	ds_read_b128 v[99:102], v98 offset:688
	ds_read_b128 v[103:106], v98 offset:704
	s_waitcnt vmcnt(18) lgkmcnt(1)
	v_fma_f64 v[99:100], v[135:136], v[99:100], v[111:112]
	s_waitcnt vmcnt(17)
	v_fma_f64 v[99:100], v[129:130], v[101:102], v[99:100]
	s_waitcnt vmcnt(16) lgkmcnt(0)
	v_fma_f64 v[99:100], v[125:126], v[103:104], v[99:100]
	s_waitcnt vmcnt(11)
	v_fma_f64 v[107:108], v[107:108], v[105:106], v[99:100]
	ds_read_b128 v[99:102], v98 offset:720
	;; [unrolled: 10-line block ×3, first 2 shown]
	s_waitcnt vmcnt(3) lgkmcnt(0)
	v_fma_f64 v[98:99], v[137:138], v[98:99], v[102:103]
	s_waitcnt vmcnt(2)
	v_fma_f64 v[98:99], v[115:116], v[100:101], v[98:99]
	s_waitcnt vmcnt(0)
	v_add_f64 v[98:99], v[113:114], -v[98:99]
	buffer_store_dword v99, off, s[0:3], 0 offset:76
	buffer_store_dword v98, off, s[0:3], 0 offset:72
	v_cmpx_lt_u32_e32 8, v0
	s_cbranch_execz .LBB111_281
; %bb.280:
	s_clause 0x1
	buffer_load_dword v98, off, s[0:3], 0 offset:64
	buffer_load_dword v99, off, s[0:3], 0 offset:68
	v_mov_b32_e32 v100, 0
	buffer_store_dword v100, off, s[0:3], 0 offset:64
	buffer_store_dword v100, off, s[0:3], 0 offset:68
	s_waitcnt vmcnt(0)
	ds_write_b64 v97, v[98:99]
.LBB111_281:
	s_or_b32 exec_lo, exec_lo, s4
	s_waitcnt lgkmcnt(0)
	s_waitcnt_vscnt null, 0x0
	s_barrier
	buffer_gl0_inv
	s_clause 0x1c
	buffer_load_dword v107, off, s[0:3], 0 offset:72
	buffer_load_dword v108, off, s[0:3], 0 offset:76
	;; [unrolled: 1-line block ×29, first 2 shown]
	v_mov_b32_e32 v98, 0
	buffer_load_dword v132, off, s[0:3], 0 offset:188
	s_mov_b32 s4, exec_lo
	ds_read2_b64 v[99:102], v98 offset0:57 offset1:58
	ds_read2_b64 v[103:106], v98 offset0:59 offset1:60
	s_waitcnt vmcnt(28) lgkmcnt(1)
	v_fma_f64 v[99:100], v[107:108], v[99:100], 0
	s_clause 0x7
	buffer_load_dword v108, off, s[0:3], 0 offset:196
	buffer_load_dword v137, off, s[0:3], 0 offset:216
	buffer_load_dword v139, off, s[0:3], 0 offset:208
	buffer_load_dword v141, off, s[0:3], 0 offset:200
	buffer_load_dword v107, off, s[0:3], 0 offset:192
	buffer_load_dword v142, off, s[0:3], 0 offset:204
	buffer_load_dword v140, off, s[0:3], 0 offset:212
	buffer_load_dword v138, off, s[0:3], 0 offset:220
	s_waitcnt vmcnt(34)
	v_fma_f64 v[99:100], v[109:110], v[101:102], v[99:100]
	s_waitcnt vmcnt(32) lgkmcnt(0)
	v_fma_f64 v[99:100], v[111:112], v[103:104], v[99:100]
	s_waitcnt vmcnt(30)
	v_fma_f64 v[109:110], v[113:114], v[105:106], v[99:100]
	ds_read2_b64 v[99:102], v98 offset0:61 offset1:62
	ds_read2_b64 v[103:106], v98 offset0:63 offset1:64
	s_waitcnt vmcnt(28) lgkmcnt(1)
	v_fma_f64 v[99:100], v[115:116], v[99:100], v[109:110]
	s_clause 0x7
	buffer_load_dword v110, off, s[0:3], 0 offset:228
	buffer_load_dword v111, off, s[0:3], 0 offset:248
	buffer_load_dword v113, off, s[0:3], 0 offset:240
	buffer_load_dword v115, off, s[0:3], 0 offset:232
	buffer_load_dword v109, off, s[0:3], 0 offset:224
	buffer_load_dword v116, off, s[0:3], 0 offset:236
	buffer_load_dword v114, off, s[0:3], 0 offset:244
	buffer_load_dword v112, off, s[0:3], 0 offset:252
	s_waitcnt vmcnt(34)
	v_fma_f64 v[99:100], v[117:118], v[101:102], v[99:100]
	s_waitcnt vmcnt(32) lgkmcnt(0)
	v_fma_f64 v[99:100], v[119:120], v[103:104], v[99:100]
	s_waitcnt vmcnt(27)
	v_fma_f64 v[117:118], v[121:122], v[105:106], v[99:100]
	;; [unrolled: 19-line block ×6, first 2 shown]
	ds_read2_b64 v[99:102], v98 offset0:81 offset1:82
	ds_read2_b64 v[103:106], v98 offset0:83 offset1:84
	s_waitcnt vmcnt(26) lgkmcnt(1)
	v_fma_f64 v[99:100], v[127:128], v[99:100], v[111:112]
	s_clause 0x1
	buffer_load_dword v111, off, s[0:3], 0 offset:64
	buffer_load_dword v112, off, s[0:3], 0 offset:68
	s_waitcnt vmcnt(27)
	v_fma_f64 v[99:100], v[121:122], v[101:102], v[99:100]
	s_waitcnt vmcnt(26) lgkmcnt(0)
	v_fma_f64 v[99:100], v[119:120], v[103:104], v[99:100]
	s_waitcnt vmcnt(21)
	v_fma_f64 v[113:114], v[123:124], v[105:106], v[99:100]
	ds_read2_b64 v[99:102], v98 offset0:85 offset1:86
	ds_read2_b64 v[103:106], v98 offset0:87 offset1:88
	s_waitcnt vmcnt(20) lgkmcnt(1)
	v_fma_f64 v[99:100], v[135:136], v[99:100], v[113:114]
	s_waitcnt vmcnt(19)
	v_fma_f64 v[99:100], v[129:130], v[101:102], v[99:100]
	s_waitcnt vmcnt(18) lgkmcnt(0)
	v_fma_f64 v[99:100], v[125:126], v[103:104], v[99:100]
	s_waitcnt vmcnt(13)
	v_fma_f64 v[107:108], v[107:108], v[105:106], v[99:100]
	ds_read2_b64 v[99:102], v98 offset0:89 offset1:90
	ds_read2_b64 v[103:106], v98 offset0:91 offset1:92
	s_waitcnt vmcnt(12) lgkmcnt(1)
	v_fma_f64 v[99:100], v[141:142], v[99:100], v[107:108]
	s_waitcnt vmcnt(11)
	v_fma_f64 v[99:100], v[133:134], v[101:102], v[99:100]
	s_waitcnt vmcnt(10) lgkmcnt(0)
	v_fma_f64 v[99:100], v[131:132], v[103:104], v[99:100]
	s_waitcnt vmcnt(5)
	v_fma_f64 v[103:104], v[109:110], v[105:106], v[99:100]
	ds_read2_b64 v[99:102], v98 offset0:93 offset1:94
	ds_read_b64 v[105:106], v98 offset:760
	s_waitcnt vmcnt(4) lgkmcnt(1)
	v_fma_f64 v[99:100], v[139:140], v[99:100], v[103:104]
	s_waitcnt vmcnt(3)
	v_fma_f64 v[99:100], v[137:138], v[101:102], v[99:100]
	s_waitcnt vmcnt(2) lgkmcnt(0)
	v_fma_f64 v[99:100], v[115:116], v[105:106], v[99:100]
	s_waitcnt vmcnt(0)
	v_add_f64 v[99:100], v[111:112], -v[99:100]
	buffer_store_dword v100, off, s[0:3], 0 offset:68
	buffer_store_dword v99, off, s[0:3], 0 offset:64
	v_cmpx_lt_u32_e32 7, v0
	s_cbranch_execz .LBB111_283
; %bb.282:
	s_clause 0x1
	buffer_load_dword v99, off, s[0:3], 0 offset:56
	buffer_load_dword v100, off, s[0:3], 0 offset:60
	buffer_store_dword v98, off, s[0:3], 0 offset:56
	buffer_store_dword v98, off, s[0:3], 0 offset:60
	s_waitcnt vmcnt(0)
	ds_write_b64 v97, v[99:100]
.LBB111_283:
	s_or_b32 exec_lo, exec_lo, s4
	s_waitcnt lgkmcnt(0)
	s_waitcnt_vscnt null, 0x0
	s_barrier
	buffer_gl0_inv
	s_clause 0x1c
	buffer_load_dword v107, off, s[0:3], 0 offset:64
	buffer_load_dword v108, off, s[0:3], 0 offset:68
	;; [unrolled: 1-line block ×29, first 2 shown]
	ds_read_b128 v[99:102], v98 offset:448
	ds_read_b128 v[103:106], v98 offset:464
	buffer_load_dword v132, off, s[0:3], 0 offset:180
	s_mov_b32 s4, exec_lo
	s_waitcnt vmcnt(28) lgkmcnt(1)
	v_fma_f64 v[99:100], v[107:108], v[99:100], 0
	s_clause 0x7
	buffer_load_dword v108, off, s[0:3], 0 offset:188
	buffer_load_dword v137, off, s[0:3], 0 offset:208
	buffer_load_dword v139, off, s[0:3], 0 offset:200
	buffer_load_dword v141, off, s[0:3], 0 offset:192
	buffer_load_dword v107, off, s[0:3], 0 offset:184
	buffer_load_dword v142, off, s[0:3], 0 offset:196
	buffer_load_dword v140, off, s[0:3], 0 offset:204
	buffer_load_dword v138, off, s[0:3], 0 offset:212
	s_waitcnt vmcnt(34)
	v_fma_f64 v[99:100], v[109:110], v[101:102], v[99:100]
	s_waitcnt vmcnt(32) lgkmcnt(0)
	v_fma_f64 v[99:100], v[111:112], v[103:104], v[99:100]
	s_waitcnt vmcnt(30)
	v_fma_f64 v[109:110], v[113:114], v[105:106], v[99:100]
	ds_read_b128 v[99:102], v98 offset:480
	ds_read_b128 v[103:106], v98 offset:496
	s_waitcnt vmcnt(28) lgkmcnt(1)
	v_fma_f64 v[99:100], v[115:116], v[99:100], v[109:110]
	s_clause 0x7
	buffer_load_dword v110, off, s[0:3], 0 offset:220
	buffer_load_dword v111, off, s[0:3], 0 offset:240
	buffer_load_dword v113, off, s[0:3], 0 offset:232
	buffer_load_dword v115, off, s[0:3], 0 offset:224
	buffer_load_dword v109, off, s[0:3], 0 offset:216
	buffer_load_dword v116, off, s[0:3], 0 offset:228
	buffer_load_dword v114, off, s[0:3], 0 offset:236
	buffer_load_dword v112, off, s[0:3], 0 offset:244
	s_waitcnt vmcnt(34)
	v_fma_f64 v[99:100], v[117:118], v[101:102], v[99:100]
	s_waitcnt vmcnt(32) lgkmcnt(0)
	v_fma_f64 v[99:100], v[119:120], v[103:104], v[99:100]
	s_waitcnt vmcnt(27)
	v_fma_f64 v[117:118], v[121:122], v[105:106], v[99:100]
	ds_read_b128 v[99:102], v98 offset:512
	ds_read_b128 v[103:106], v98 offset:528
	;; [unrolled: 19-line block ×6, first 2 shown]
	s_waitcnt vmcnt(26) lgkmcnt(1)
	v_fma_f64 v[99:100], v[127:128], v[99:100], v[111:112]
	s_clause 0x3
	buffer_load_dword v112, off, s[0:3], 0 offset:380
	buffer_load_dword v111, off, s[0:3], 0 offset:376
	;; [unrolled: 1-line block ×4, first 2 shown]
	s_waitcnt vmcnt(29)
	v_fma_f64 v[99:100], v[121:122], v[101:102], v[99:100]
	s_waitcnt vmcnt(28) lgkmcnt(0)
	v_fma_f64 v[99:100], v[119:120], v[103:104], v[99:100]
	s_waitcnt vmcnt(23)
	v_fma_f64 v[117:118], v[123:124], v[105:106], v[99:100]
	ds_read_b128 v[99:102], v98 offset:672
	ds_read_b128 v[103:106], v98 offset:688
	s_waitcnt vmcnt(22) lgkmcnt(1)
	v_fma_f64 v[99:100], v[135:136], v[99:100], v[117:118]
	s_waitcnt vmcnt(21)
	v_fma_f64 v[99:100], v[129:130], v[101:102], v[99:100]
	s_waitcnt vmcnt(20) lgkmcnt(0)
	v_fma_f64 v[99:100], v[125:126], v[103:104], v[99:100]
	s_waitcnt vmcnt(15)
	v_fma_f64 v[107:108], v[107:108], v[105:106], v[99:100]
	ds_read_b128 v[99:102], v98 offset:704
	ds_read_b128 v[103:106], v98 offset:720
	s_waitcnt vmcnt(14) lgkmcnt(1)
	v_fma_f64 v[99:100], v[141:142], v[99:100], v[107:108]
	;; [unrolled: 10-line block ×3, first 2 shown]
	s_waitcnt vmcnt(5)
	v_fma_f64 v[98:99], v[137:138], v[101:102], v[98:99]
	s_waitcnt vmcnt(4) lgkmcnt(0)
	v_fma_f64 v[98:99], v[115:116], v[103:104], v[98:99]
	s_waitcnt vmcnt(2)
	v_fma_f64 v[98:99], v[111:112], v[105:106], v[98:99]
	s_waitcnt vmcnt(0)
	v_add_f64 v[98:99], v[113:114], -v[98:99]
	buffer_store_dword v99, off, s[0:3], 0 offset:60
	buffer_store_dword v98, off, s[0:3], 0 offset:56
	v_cmpx_lt_u32_e32 6, v0
	s_cbranch_execz .LBB111_285
; %bb.284:
	s_clause 0x1
	buffer_load_dword v98, off, s[0:3], 0 offset:48
	buffer_load_dword v99, off, s[0:3], 0 offset:52
	v_mov_b32_e32 v100, 0
	buffer_store_dword v100, off, s[0:3], 0 offset:48
	buffer_store_dword v100, off, s[0:3], 0 offset:52
	s_waitcnt vmcnt(0)
	ds_write_b64 v97, v[98:99]
.LBB111_285:
	s_or_b32 exec_lo, exec_lo, s4
	s_waitcnt lgkmcnt(0)
	s_waitcnt_vscnt null, 0x0
	s_barrier
	buffer_gl0_inv
	s_clause 0x1c
	buffer_load_dword v107, off, s[0:3], 0 offset:56
	buffer_load_dword v108, off, s[0:3], 0 offset:60
	;; [unrolled: 1-line block ×29, first 2 shown]
	v_mov_b32_e32 v98, 0
	buffer_load_dword v132, off, s[0:3], 0 offset:172
	s_mov_b32 s4, exec_lo
	ds_read2_b64 v[99:102], v98 offset0:55 offset1:56
	ds_read2_b64 v[103:106], v98 offset0:57 offset1:58
	s_waitcnt vmcnt(28) lgkmcnt(1)
	v_fma_f64 v[99:100], v[107:108], v[99:100], 0
	s_clause 0x7
	buffer_load_dword v108, off, s[0:3], 0 offset:180
	buffer_load_dword v137, off, s[0:3], 0 offset:200
	buffer_load_dword v139, off, s[0:3], 0 offset:192
	buffer_load_dword v141, off, s[0:3], 0 offset:184
	buffer_load_dword v107, off, s[0:3], 0 offset:176
	buffer_load_dword v142, off, s[0:3], 0 offset:188
	buffer_load_dword v140, off, s[0:3], 0 offset:196
	buffer_load_dword v138, off, s[0:3], 0 offset:204
	s_waitcnt vmcnt(34)
	v_fma_f64 v[99:100], v[109:110], v[101:102], v[99:100]
	s_waitcnt vmcnt(32) lgkmcnt(0)
	v_fma_f64 v[99:100], v[111:112], v[103:104], v[99:100]
	s_waitcnt vmcnt(30)
	v_fma_f64 v[109:110], v[113:114], v[105:106], v[99:100]
	ds_read2_b64 v[99:102], v98 offset0:59 offset1:60
	ds_read2_b64 v[103:106], v98 offset0:61 offset1:62
	s_waitcnt vmcnt(28) lgkmcnt(1)
	v_fma_f64 v[99:100], v[115:116], v[99:100], v[109:110]
	s_clause 0x7
	buffer_load_dword v110, off, s[0:3], 0 offset:212
	buffer_load_dword v111, off, s[0:3], 0 offset:232
	buffer_load_dword v113, off, s[0:3], 0 offset:224
	buffer_load_dword v115, off, s[0:3], 0 offset:216
	buffer_load_dword v109, off, s[0:3], 0 offset:208
	buffer_load_dword v116, off, s[0:3], 0 offset:220
	buffer_load_dword v114, off, s[0:3], 0 offset:228
	buffer_load_dword v112, off, s[0:3], 0 offset:236
	s_waitcnt vmcnt(34)
	v_fma_f64 v[99:100], v[117:118], v[101:102], v[99:100]
	s_waitcnt vmcnt(32) lgkmcnt(0)
	v_fma_f64 v[99:100], v[119:120], v[103:104], v[99:100]
	s_waitcnt vmcnt(27)
	v_fma_f64 v[117:118], v[121:122], v[105:106], v[99:100]
	;; [unrolled: 19-line block ×6, first 2 shown]
	ds_read2_b64 v[99:102], v98 offset0:79 offset1:80
	ds_read2_b64 v[103:106], v98 offset0:81 offset1:82
	s_waitcnt vmcnt(26) lgkmcnt(1)
	v_fma_f64 v[99:100], v[127:128], v[99:100], v[111:112]
	s_clause 0x5
	buffer_load_dword v112, off, s[0:3], 0 offset:372
	buffer_load_dword v113, off, s[0:3], 0 offset:376
	;; [unrolled: 1-line block ×6, first 2 shown]
	s_waitcnt vmcnt(31)
	v_fma_f64 v[99:100], v[121:122], v[101:102], v[99:100]
	s_waitcnt vmcnt(30) lgkmcnt(0)
	v_fma_f64 v[99:100], v[119:120], v[103:104], v[99:100]
	s_waitcnt vmcnt(25)
	v_fma_f64 v[119:120], v[123:124], v[105:106], v[99:100]
	ds_read2_b64 v[99:102], v98 offset0:83 offset1:84
	ds_read2_b64 v[103:106], v98 offset0:85 offset1:86
	s_waitcnt vmcnt(24) lgkmcnt(1)
	v_fma_f64 v[99:100], v[135:136], v[99:100], v[119:120]
	s_waitcnt vmcnt(23)
	v_fma_f64 v[99:100], v[129:130], v[101:102], v[99:100]
	s_waitcnt vmcnt(22) lgkmcnt(0)
	v_fma_f64 v[99:100], v[125:126], v[103:104], v[99:100]
	s_waitcnt vmcnt(17)
	v_fma_f64 v[107:108], v[107:108], v[105:106], v[99:100]
	ds_read2_b64 v[99:102], v98 offset0:87 offset1:88
	ds_read2_b64 v[103:106], v98 offset0:89 offset1:90
	s_waitcnt vmcnt(16) lgkmcnt(1)
	v_fma_f64 v[99:100], v[141:142], v[99:100], v[107:108]
	;; [unrolled: 10-line block ×3, first 2 shown]
	s_waitcnt vmcnt(7)
	v_fma_f64 v[99:100], v[137:138], v[101:102], v[99:100]
	ds_read_b64 v[101:102], v98 offset:760
	s_waitcnt vmcnt(6) lgkmcnt(1)
	v_fma_f64 v[99:100], v[115:116], v[103:104], v[99:100]
	s_waitcnt vmcnt(3)
	v_fma_f64 v[99:100], v[111:112], v[105:106], v[99:100]
	s_waitcnt vmcnt(2) lgkmcnt(0)
	v_fma_f64 v[99:100], v[113:114], v[101:102], v[99:100]
	s_waitcnt vmcnt(0)
	v_add_f64 v[99:100], v[117:118], -v[99:100]
	buffer_store_dword v100, off, s[0:3], 0 offset:52
	buffer_store_dword v99, off, s[0:3], 0 offset:48
	v_cmpx_lt_u32_e32 5, v0
	s_cbranch_execz .LBB111_287
; %bb.286:
	s_clause 0x1
	buffer_load_dword v99, off, s[0:3], 0 offset:40
	buffer_load_dword v100, off, s[0:3], 0 offset:44
	buffer_store_dword v98, off, s[0:3], 0 offset:40
	buffer_store_dword v98, off, s[0:3], 0 offset:44
	s_waitcnt vmcnt(0)
	ds_write_b64 v97, v[99:100]
.LBB111_287:
	s_or_b32 exec_lo, exec_lo, s4
	s_waitcnt lgkmcnt(0)
	s_waitcnt_vscnt null, 0x0
	s_barrier
	buffer_gl0_inv
	s_clause 0x1c
	buffer_load_dword v107, off, s[0:3], 0 offset:48
	buffer_load_dword v108, off, s[0:3], 0 offset:52
	buffer_load_dword v109, off, s[0:3], 0 offset:56
	buffer_load_dword v110, off, s[0:3], 0 offset:60
	buffer_load_dword v111, off, s[0:3], 0 offset:64
	buffer_load_dword v112, off, s[0:3], 0 offset:68
	buffer_load_dword v113, off, s[0:3], 0 offset:72
	buffer_load_dword v114, off, s[0:3], 0 offset:76
	buffer_load_dword v115, off, s[0:3], 0 offset:80
	buffer_load_dword v116, off, s[0:3], 0 offset:84
	buffer_load_dword v117, off, s[0:3], 0 offset:88
	buffer_load_dword v118, off, s[0:3], 0 offset:92
	buffer_load_dword v119, off, s[0:3], 0 offset:96
	buffer_load_dword v120, off, s[0:3], 0 offset:100
	buffer_load_dword v122, off, s[0:3], 0 offset:108
	buffer_load_dword v123, off, s[0:3], 0 offset:128
	buffer_load_dword v125, off, s[0:3], 0 offset:120
	buffer_load_dword v127, off, s[0:3], 0 offset:112
	buffer_load_dword v121, off, s[0:3], 0 offset:104
	buffer_load_dword v128, off, s[0:3], 0 offset:116
	buffer_load_dword v126, off, s[0:3], 0 offset:124
	buffer_load_dword v124, off, s[0:3], 0 offset:132
	buffer_load_dword v130, off, s[0:3], 0 offset:140
	buffer_load_dword v131, off, s[0:3], 0 offset:160
	buffer_load_dword v133, off, s[0:3], 0 offset:152
	buffer_load_dword v135, off, s[0:3], 0 offset:144
	buffer_load_dword v129, off, s[0:3], 0 offset:136
	buffer_load_dword v136, off, s[0:3], 0 offset:148
	buffer_load_dword v134, off, s[0:3], 0 offset:156
	ds_read_b128 v[99:102], v98 offset:432
	ds_read_b128 v[103:106], v98 offset:448
	buffer_load_dword v132, off, s[0:3], 0 offset:164
	s_mov_b32 s4, exec_lo
	s_waitcnt vmcnt(28) lgkmcnt(1)
	v_fma_f64 v[99:100], v[107:108], v[99:100], 0
	s_clause 0x7
	buffer_load_dword v108, off, s[0:3], 0 offset:172
	buffer_load_dword v137, off, s[0:3], 0 offset:192
	buffer_load_dword v139, off, s[0:3], 0 offset:184
	buffer_load_dword v141, off, s[0:3], 0 offset:176
	buffer_load_dword v107, off, s[0:3], 0 offset:168
	buffer_load_dword v142, off, s[0:3], 0 offset:180
	buffer_load_dword v140, off, s[0:3], 0 offset:188
	buffer_load_dword v138, off, s[0:3], 0 offset:196
	s_waitcnt vmcnt(34)
	v_fma_f64 v[99:100], v[109:110], v[101:102], v[99:100]
	s_waitcnt vmcnt(32) lgkmcnt(0)
	v_fma_f64 v[99:100], v[111:112], v[103:104], v[99:100]
	s_waitcnt vmcnt(30)
	v_fma_f64 v[109:110], v[113:114], v[105:106], v[99:100]
	ds_read_b128 v[99:102], v98 offset:464
	ds_read_b128 v[103:106], v98 offset:480
	s_waitcnt vmcnt(28) lgkmcnt(1)
	v_fma_f64 v[99:100], v[115:116], v[99:100], v[109:110]
	s_clause 0x7
	buffer_load_dword v110, off, s[0:3], 0 offset:204
	buffer_load_dword v111, off, s[0:3], 0 offset:224
	buffer_load_dword v113, off, s[0:3], 0 offset:216
	buffer_load_dword v115, off, s[0:3], 0 offset:208
	buffer_load_dword v109, off, s[0:3], 0 offset:200
	buffer_load_dword v116, off, s[0:3], 0 offset:212
	buffer_load_dword v114, off, s[0:3], 0 offset:220
	buffer_load_dword v112, off, s[0:3], 0 offset:228
	s_waitcnt vmcnt(34)
	v_fma_f64 v[99:100], v[117:118], v[101:102], v[99:100]
	s_waitcnt vmcnt(32) lgkmcnt(0)
	v_fma_f64 v[99:100], v[119:120], v[103:104], v[99:100]
	s_waitcnt vmcnt(27)
	v_fma_f64 v[117:118], v[121:122], v[105:106], v[99:100]
	ds_read_b128 v[99:102], v98 offset:496
	ds_read_b128 v[103:106], v98 offset:512
	;; [unrolled: 19-line block ×6, first 2 shown]
	s_waitcnt vmcnt(26) lgkmcnt(1)
	v_fma_f64 v[99:100], v[127:128], v[99:100], v[111:112]
	s_clause 0x5
	buffer_load_dword v112, off, s[0:3], 0 offset:364
	buffer_load_dword v113, off, s[0:3], 0 offset:376
	;; [unrolled: 1-line block ×6, first 2 shown]
	s_waitcnt vmcnt(31)
	v_fma_f64 v[99:100], v[121:122], v[101:102], v[99:100]
	s_waitcnt vmcnt(30) lgkmcnt(0)
	v_fma_f64 v[99:100], v[119:120], v[103:104], v[99:100]
	s_waitcnt vmcnt(25)
	v_fma_f64 v[119:120], v[123:124], v[105:106], v[99:100]
	ds_read_b128 v[99:102], v98 offset:656
	s_clause 0x1
	buffer_load_dword v121, off, s[0:3], 0 offset:40
	buffer_load_dword v122, off, s[0:3], 0 offset:44
	ds_read_b128 v[103:106], v98 offset:672
	s_waitcnt vmcnt(26) lgkmcnt(1)
	v_fma_f64 v[99:100], v[135:136], v[99:100], v[119:120]
	s_waitcnt vmcnt(25)
	v_fma_f64 v[99:100], v[129:130], v[101:102], v[99:100]
	s_waitcnt vmcnt(24) lgkmcnt(0)
	v_fma_f64 v[99:100], v[125:126], v[103:104], v[99:100]
	s_waitcnt vmcnt(19)
	v_fma_f64 v[107:108], v[107:108], v[105:106], v[99:100]
	ds_read_b128 v[99:102], v98 offset:688
	ds_read_b128 v[103:106], v98 offset:704
	s_waitcnt vmcnt(18) lgkmcnt(1)
	v_fma_f64 v[99:100], v[141:142], v[99:100], v[107:108]
	s_waitcnt vmcnt(17)
	v_fma_f64 v[99:100], v[133:134], v[101:102], v[99:100]
	s_waitcnt vmcnt(16) lgkmcnt(0)
	v_fma_f64 v[99:100], v[131:132], v[103:104], v[99:100]
	s_waitcnt vmcnt(11)
	v_fma_f64 v[107:108], v[109:110], v[105:106], v[99:100]
	ds_read_b128 v[99:102], v98 offset:720
	;; [unrolled: 10-line block ×3, first 2 shown]
	s_waitcnt vmcnt(3) lgkmcnt(0)
	v_fma_f64 v[98:99], v[117:118], v[98:99], v[102:103]
	s_waitcnt vmcnt(2)
	v_fma_f64 v[98:99], v[113:114], v[100:101], v[98:99]
	s_waitcnt vmcnt(0)
	v_add_f64 v[98:99], v[121:122], -v[98:99]
	buffer_store_dword v99, off, s[0:3], 0 offset:44
	buffer_store_dword v98, off, s[0:3], 0 offset:40
	v_cmpx_lt_u32_e32 4, v0
	s_cbranch_execz .LBB111_289
; %bb.288:
	s_clause 0x1
	buffer_load_dword v98, off, s[0:3], 0 offset:32
	buffer_load_dword v99, off, s[0:3], 0 offset:36
	v_mov_b32_e32 v100, 0
	buffer_store_dword v100, off, s[0:3], 0 offset:32
	buffer_store_dword v100, off, s[0:3], 0 offset:36
	s_waitcnt vmcnt(0)
	ds_write_b64 v97, v[98:99]
.LBB111_289:
	s_or_b32 exec_lo, exec_lo, s4
	s_waitcnt lgkmcnt(0)
	s_waitcnt_vscnt null, 0x0
	s_barrier
	buffer_gl0_inv
	s_clause 0x1c
	buffer_load_dword v107, off, s[0:3], 0 offset:40
	buffer_load_dword v108, off, s[0:3], 0 offset:44
	;; [unrolled: 1-line block ×29, first 2 shown]
	v_mov_b32_e32 v98, 0
	buffer_load_dword v132, off, s[0:3], 0 offset:156
	s_mov_b32 s4, exec_lo
	ds_read2_b64 v[99:102], v98 offset0:53 offset1:54
	ds_read2_b64 v[103:106], v98 offset0:55 offset1:56
	s_waitcnt vmcnt(28) lgkmcnt(1)
	v_fma_f64 v[99:100], v[107:108], v[99:100], 0
	s_clause 0x7
	buffer_load_dword v108, off, s[0:3], 0 offset:164
	buffer_load_dword v137, off, s[0:3], 0 offset:184
	buffer_load_dword v139, off, s[0:3], 0 offset:176
	buffer_load_dword v141, off, s[0:3], 0 offset:168
	buffer_load_dword v107, off, s[0:3], 0 offset:160
	buffer_load_dword v142, off, s[0:3], 0 offset:172
	buffer_load_dword v140, off, s[0:3], 0 offset:180
	buffer_load_dword v138, off, s[0:3], 0 offset:188
	s_waitcnt vmcnt(34)
	v_fma_f64 v[99:100], v[109:110], v[101:102], v[99:100]
	s_waitcnt vmcnt(32) lgkmcnt(0)
	v_fma_f64 v[99:100], v[111:112], v[103:104], v[99:100]
	s_waitcnt vmcnt(30)
	v_fma_f64 v[109:110], v[113:114], v[105:106], v[99:100]
	ds_read2_b64 v[99:102], v98 offset0:57 offset1:58
	ds_read2_b64 v[103:106], v98 offset0:59 offset1:60
	s_waitcnt vmcnt(28) lgkmcnt(1)
	v_fma_f64 v[99:100], v[115:116], v[99:100], v[109:110]
	s_clause 0x7
	buffer_load_dword v110, off, s[0:3], 0 offset:196
	buffer_load_dword v111, off, s[0:3], 0 offset:216
	buffer_load_dword v113, off, s[0:3], 0 offset:208
	buffer_load_dword v115, off, s[0:3], 0 offset:200
	buffer_load_dword v109, off, s[0:3], 0 offset:192
	buffer_load_dword v116, off, s[0:3], 0 offset:204
	buffer_load_dword v114, off, s[0:3], 0 offset:212
	buffer_load_dword v112, off, s[0:3], 0 offset:220
	s_waitcnt vmcnt(34)
	v_fma_f64 v[99:100], v[117:118], v[101:102], v[99:100]
	s_waitcnt vmcnt(32) lgkmcnt(0)
	v_fma_f64 v[99:100], v[119:120], v[103:104], v[99:100]
	s_waitcnt vmcnt(27)
	v_fma_f64 v[117:118], v[121:122], v[105:106], v[99:100]
	;; [unrolled: 19-line block ×7, first 2 shown]
	ds_read2_b64 v[99:102], v98 offset0:81 offset1:82
	ds_read2_b64 v[103:106], v98 offset0:83 offset1:84
	s_waitcnt vmcnt(26) lgkmcnt(1)
	v_fma_f64 v[99:100], v[135:136], v[99:100], v[119:120]
	s_clause 0x1
	buffer_load_dword v119, off, s[0:3], 0 offset:32
	buffer_load_dword v120, off, s[0:3], 0 offset:36
	s_waitcnt vmcnt(27)
	v_fma_f64 v[99:100], v[129:130], v[101:102], v[99:100]
	s_waitcnt vmcnt(26) lgkmcnt(0)
	v_fma_f64 v[99:100], v[125:126], v[103:104], v[99:100]
	s_waitcnt vmcnt(21)
	v_fma_f64 v[107:108], v[107:108], v[105:106], v[99:100]
	ds_read2_b64 v[99:102], v98 offset0:85 offset1:86
	ds_read2_b64 v[103:106], v98 offset0:87 offset1:88
	s_waitcnt vmcnt(20) lgkmcnt(1)
	v_fma_f64 v[99:100], v[141:142], v[99:100], v[107:108]
	s_waitcnt vmcnt(19)
	v_fma_f64 v[99:100], v[133:134], v[101:102], v[99:100]
	s_waitcnt vmcnt(18) lgkmcnt(0)
	v_fma_f64 v[99:100], v[131:132], v[103:104], v[99:100]
	s_waitcnt vmcnt(13)
	v_fma_f64 v[107:108], v[109:110], v[105:106], v[99:100]
	ds_read2_b64 v[99:102], v98 offset0:89 offset1:90
	ds_read2_b64 v[103:106], v98 offset0:91 offset1:92
	s_waitcnt vmcnt(12) lgkmcnt(1)
	v_fma_f64 v[99:100], v[139:140], v[99:100], v[107:108]
	s_waitcnt vmcnt(11)
	v_fma_f64 v[99:100], v[137:138], v[101:102], v[99:100]
	s_waitcnt vmcnt(10) lgkmcnt(0)
	v_fma_f64 v[99:100], v[115:116], v[103:104], v[99:100]
	s_waitcnt vmcnt(5)
	v_fma_f64 v[103:104], v[111:112], v[105:106], v[99:100]
	ds_read2_b64 v[99:102], v98 offset0:93 offset1:94
	ds_read_b64 v[105:106], v98 offset:760
	s_waitcnt vmcnt(4) lgkmcnt(1)
	v_fma_f64 v[99:100], v[127:128], v[99:100], v[103:104]
	s_waitcnt vmcnt(3)
	v_fma_f64 v[99:100], v[117:118], v[101:102], v[99:100]
	s_waitcnt vmcnt(2) lgkmcnt(0)
	v_fma_f64 v[99:100], v[113:114], v[105:106], v[99:100]
	s_waitcnt vmcnt(0)
	v_add_f64 v[99:100], v[119:120], -v[99:100]
	buffer_store_dword v100, off, s[0:3], 0 offset:36
	buffer_store_dword v99, off, s[0:3], 0 offset:32
	v_cmpx_lt_u32_e32 3, v0
	s_cbranch_execz .LBB111_291
; %bb.290:
	s_clause 0x1
	buffer_load_dword v99, off, s[0:3], 0 offset:24
	buffer_load_dword v100, off, s[0:3], 0 offset:28
	buffer_store_dword v98, off, s[0:3], 0 offset:24
	buffer_store_dword v98, off, s[0:3], 0 offset:28
	s_waitcnt vmcnt(0)
	ds_write_b64 v97, v[99:100]
.LBB111_291:
	s_or_b32 exec_lo, exec_lo, s4
	s_waitcnt lgkmcnt(0)
	s_waitcnt_vscnt null, 0x0
	s_barrier
	buffer_gl0_inv
	s_clause 0x1c
	buffer_load_dword v107, off, s[0:3], 0 offset:32
	buffer_load_dword v108, off, s[0:3], 0 offset:36
	buffer_load_dword v109, off, s[0:3], 0 offset:40
	buffer_load_dword v110, off, s[0:3], 0 offset:44
	buffer_load_dword v111, off, s[0:3], 0 offset:48
	buffer_load_dword v112, off, s[0:3], 0 offset:52
	buffer_load_dword v113, off, s[0:3], 0 offset:56
	buffer_load_dword v114, off, s[0:3], 0 offset:60
	buffer_load_dword v115, off, s[0:3], 0 offset:64
	buffer_load_dword v116, off, s[0:3], 0 offset:68
	buffer_load_dword v117, off, s[0:3], 0 offset:72
	buffer_load_dword v118, off, s[0:3], 0 offset:76
	buffer_load_dword v119, off, s[0:3], 0 offset:80
	buffer_load_dword v120, off, s[0:3], 0 offset:84
	buffer_load_dword v122, off, s[0:3], 0 offset:92
	buffer_load_dword v123, off, s[0:3], 0 offset:112
	buffer_load_dword v125, off, s[0:3], 0 offset:104
	buffer_load_dword v127, off, s[0:3], 0 offset:96
	buffer_load_dword v121, off, s[0:3], 0 offset:88
	buffer_load_dword v128, off, s[0:3], 0 offset:100
	buffer_load_dword v126, off, s[0:3], 0 offset:108
	buffer_load_dword v124, off, s[0:3], 0 offset:116
	buffer_load_dword v130, off, s[0:3], 0 offset:124
	buffer_load_dword v131, off, s[0:3], 0 offset:144
	buffer_load_dword v133, off, s[0:3], 0 offset:136
	buffer_load_dword v135, off, s[0:3], 0 offset:128
	buffer_load_dword v129, off, s[0:3], 0 offset:120
	buffer_load_dword v136, off, s[0:3], 0 offset:132
	buffer_load_dword v134, off, s[0:3], 0 offset:140
	ds_read_b128 v[99:102], v98 offset:416
	ds_read_b128 v[103:106], v98 offset:432
	buffer_load_dword v132, off, s[0:3], 0 offset:148
	s_mov_b32 s4, exec_lo
	s_waitcnt vmcnt(28) lgkmcnt(1)
	v_fma_f64 v[99:100], v[107:108], v[99:100], 0
	s_clause 0x7
	buffer_load_dword v108, off, s[0:3], 0 offset:156
	buffer_load_dword v137, off, s[0:3], 0 offset:176
	buffer_load_dword v139, off, s[0:3], 0 offset:168
	buffer_load_dword v141, off, s[0:3], 0 offset:160
	buffer_load_dword v107, off, s[0:3], 0 offset:152
	buffer_load_dword v142, off, s[0:3], 0 offset:164
	buffer_load_dword v140, off, s[0:3], 0 offset:172
	buffer_load_dword v138, off, s[0:3], 0 offset:180
	s_waitcnt vmcnt(34)
	v_fma_f64 v[99:100], v[109:110], v[101:102], v[99:100]
	s_waitcnt vmcnt(32) lgkmcnt(0)
	v_fma_f64 v[99:100], v[111:112], v[103:104], v[99:100]
	s_waitcnt vmcnt(30)
	v_fma_f64 v[109:110], v[113:114], v[105:106], v[99:100]
	ds_read_b128 v[99:102], v98 offset:448
	ds_read_b128 v[103:106], v98 offset:464
	s_waitcnt vmcnt(28) lgkmcnt(1)
	v_fma_f64 v[99:100], v[115:116], v[99:100], v[109:110]
	s_clause 0x7
	buffer_load_dword v110, off, s[0:3], 0 offset:188
	buffer_load_dword v111, off, s[0:3], 0 offset:208
	buffer_load_dword v113, off, s[0:3], 0 offset:200
	buffer_load_dword v115, off, s[0:3], 0 offset:192
	buffer_load_dword v109, off, s[0:3], 0 offset:184
	buffer_load_dword v116, off, s[0:3], 0 offset:196
	buffer_load_dword v114, off, s[0:3], 0 offset:204
	buffer_load_dword v112, off, s[0:3], 0 offset:212
	s_waitcnt vmcnt(34)
	v_fma_f64 v[99:100], v[117:118], v[101:102], v[99:100]
	s_waitcnt vmcnt(32) lgkmcnt(0)
	v_fma_f64 v[99:100], v[119:120], v[103:104], v[99:100]
	s_waitcnt vmcnt(27)
	v_fma_f64 v[117:118], v[121:122], v[105:106], v[99:100]
	ds_read_b128 v[99:102], v98 offset:480
	ds_read_b128 v[103:106], v98 offset:496
	s_waitcnt vmcnt(26) lgkmcnt(1)
	v_fma_f64 v[99:100], v[127:128], v[99:100], v[117:118]
	s_clause 0x7
	buffer_load_dword v118, off, s[0:3], 0 offset:220
	buffer_load_dword v119, off, s[0:3], 0 offset:240
	buffer_load_dword v121, off, s[0:3], 0 offset:232
	buffer_load_dword v127, off, s[0:3], 0 offset:224
	buffer_load_dword v117, off, s[0:3], 0 offset:216
	buffer_load_dword v128, off, s[0:3], 0 offset:228
	buffer_load_dword v122, off, s[0:3], 0 offset:236
	buffer_load_dword v120, off, s[0:3], 0 offset:244
	s_waitcnt vmcnt(33)
	v_fma_f64 v[99:100], v[125:126], v[101:102], v[99:100]
	s_waitcnt vmcnt(32) lgkmcnt(0)
	v_fma_f64 v[99:100], v[123:124], v[103:104], v[99:100]
	s_waitcnt vmcnt(27)
	v_fma_f64 v[123:124], v[129:130], v[105:106], v[99:100]
	ds_read_b128 v[99:102], v98 offset:512
	ds_read_b128 v[103:106], v98 offset:528
	s_waitcnt vmcnt(26) lgkmcnt(1)
	v_fma_f64 v[99:100], v[135:136], v[99:100], v[123:124]
	s_clause 0x7
	buffer_load_dword v124, off, s[0:3], 0 offset:252
	buffer_load_dword v125, off, s[0:3], 0 offset:272
	buffer_load_dword v129, off, s[0:3], 0 offset:264
	buffer_load_dword v135, off, s[0:3], 0 offset:256
	buffer_load_dword v123, off, s[0:3], 0 offset:248
	buffer_load_dword v136, off, s[0:3], 0 offset:260
	buffer_load_dword v130, off, s[0:3], 0 offset:268
	buffer_load_dword v126, off, s[0:3], 0 offset:276
	s_waitcnt vmcnt(33)
	v_fma_f64 v[99:100], v[133:134], v[101:102], v[99:100]
	s_waitcnt vmcnt(32) lgkmcnt(0)
	v_fma_f64 v[99:100], v[131:132], v[103:104], v[99:100]
	s_waitcnt vmcnt(27)
	v_fma_f64 v[107:108], v[107:108], v[105:106], v[99:100]
	ds_read_b128 v[99:102], v98 offset:544
	ds_read_b128 v[103:106], v98 offset:560
	s_waitcnt vmcnt(26) lgkmcnt(1)
	v_fma_f64 v[99:100], v[141:142], v[99:100], v[107:108]
	s_clause 0x7
	buffer_load_dword v108, off, s[0:3], 0 offset:284
	buffer_load_dword v131, off, s[0:3], 0 offset:304
	buffer_load_dword v133, off, s[0:3], 0 offset:296
	buffer_load_dword v141, off, s[0:3], 0 offset:288
	buffer_load_dword v107, off, s[0:3], 0 offset:280
	buffer_load_dword v142, off, s[0:3], 0 offset:292
	buffer_load_dword v134, off, s[0:3], 0 offset:300
	buffer_load_dword v132, off, s[0:3], 0 offset:308
	s_waitcnt vmcnt(33)
	v_fma_f64 v[99:100], v[139:140], v[101:102], v[99:100]
	s_waitcnt vmcnt(32) lgkmcnt(0)
	v_fma_f64 v[99:100], v[137:138], v[103:104], v[99:100]
	s_waitcnt vmcnt(27)
	v_fma_f64 v[109:110], v[109:110], v[105:106], v[99:100]
	ds_read_b128 v[99:102], v98 offset:576
	ds_read_b128 v[103:106], v98 offset:592
	s_waitcnt vmcnt(26) lgkmcnt(1)
	v_fma_f64 v[99:100], v[115:116], v[99:100], v[109:110]
	s_clause 0x7
	buffer_load_dword v110, off, s[0:3], 0 offset:316
	buffer_load_dword v115, off, s[0:3], 0 offset:336
	buffer_load_dword v137, off, s[0:3], 0 offset:328
	buffer_load_dword v139, off, s[0:3], 0 offset:320
	buffer_load_dword v109, off, s[0:3], 0 offset:312
	buffer_load_dword v140, off, s[0:3], 0 offset:324
	buffer_load_dword v138, off, s[0:3], 0 offset:332
	buffer_load_dword v116, off, s[0:3], 0 offset:340
	s_waitcnt vmcnt(33)
	v_fma_f64 v[99:100], v[113:114], v[101:102], v[99:100]
	s_waitcnt vmcnt(32) lgkmcnt(0)
	v_fma_f64 v[99:100], v[111:112], v[103:104], v[99:100]
	s_waitcnt vmcnt(27)
	v_fma_f64 v[111:112], v[117:118], v[105:106], v[99:100]
	ds_read_b128 v[99:102], v98 offset:608
	ds_read_b128 v[103:106], v98 offset:624
	s_waitcnt vmcnt(26) lgkmcnt(1)
	v_fma_f64 v[99:100], v[127:128], v[99:100], v[111:112]
	s_clause 0x7
	buffer_load_dword v112, off, s[0:3], 0 offset:348
	buffer_load_dword v113, off, s[0:3], 0 offset:368
	buffer_load_dword v117, off, s[0:3], 0 offset:360
	buffer_load_dword v127, off, s[0:3], 0 offset:352
	buffer_load_dword v111, off, s[0:3], 0 offset:344
	buffer_load_dword v128, off, s[0:3], 0 offset:356
	buffer_load_dword v118, off, s[0:3], 0 offset:364
	buffer_load_dword v114, off, s[0:3], 0 offset:372
	s_waitcnt vmcnt(33)
	v_fma_f64 v[99:100], v[121:122], v[101:102], v[99:100]
	s_waitcnt vmcnt(32) lgkmcnt(0)
	v_fma_f64 v[99:100], v[119:120], v[103:104], v[99:100]
	s_waitcnt vmcnt(27)
	v_fma_f64 v[119:120], v[123:124], v[105:106], v[99:100]
	ds_read_b128 v[99:102], v98 offset:640
	ds_read_b128 v[103:106], v98 offset:656
	s_waitcnt vmcnt(26) lgkmcnt(1)
	v_fma_f64 v[99:100], v[135:136], v[99:100], v[119:120]
	s_clause 0x3
	buffer_load_dword v120, off, s[0:3], 0 offset:380
	buffer_load_dword v119, off, s[0:3], 0 offset:376
	;; [unrolled: 1-line block ×4, first 2 shown]
	s_waitcnt vmcnt(29)
	v_fma_f64 v[99:100], v[129:130], v[101:102], v[99:100]
	s_waitcnt vmcnt(28) lgkmcnt(0)
	v_fma_f64 v[99:100], v[125:126], v[103:104], v[99:100]
	s_waitcnt vmcnt(23)
	v_fma_f64 v[107:108], v[107:108], v[105:106], v[99:100]
	ds_read_b128 v[99:102], v98 offset:672
	ds_read_b128 v[103:106], v98 offset:688
	s_waitcnt vmcnt(22) lgkmcnt(1)
	v_fma_f64 v[99:100], v[141:142], v[99:100], v[107:108]
	s_waitcnt vmcnt(21)
	v_fma_f64 v[99:100], v[133:134], v[101:102], v[99:100]
	s_waitcnt vmcnt(20) lgkmcnt(0)
	v_fma_f64 v[99:100], v[131:132], v[103:104], v[99:100]
	s_waitcnt vmcnt(15)
	v_fma_f64 v[107:108], v[109:110], v[105:106], v[99:100]
	ds_read_b128 v[99:102], v98 offset:704
	ds_read_b128 v[103:106], v98 offset:720
	s_waitcnt vmcnt(14) lgkmcnt(1)
	v_fma_f64 v[99:100], v[139:140], v[99:100], v[107:108]
	;; [unrolled: 10-line block ×3, first 2 shown]
	s_waitcnt vmcnt(5)
	v_fma_f64 v[98:99], v[117:118], v[101:102], v[98:99]
	s_waitcnt vmcnt(4) lgkmcnt(0)
	v_fma_f64 v[98:99], v[113:114], v[103:104], v[98:99]
	s_waitcnt vmcnt(2)
	v_fma_f64 v[98:99], v[119:120], v[105:106], v[98:99]
	s_waitcnt vmcnt(0)
	v_add_f64 v[98:99], v[121:122], -v[98:99]
	buffer_store_dword v99, off, s[0:3], 0 offset:28
	buffer_store_dword v98, off, s[0:3], 0 offset:24
	v_cmpx_lt_u32_e32 2, v0
	s_cbranch_execz .LBB111_293
; %bb.292:
	s_clause 0x1
	buffer_load_dword v98, off, s[0:3], 0 offset:16
	buffer_load_dword v99, off, s[0:3], 0 offset:20
	v_mov_b32_e32 v100, 0
	buffer_store_dword v100, off, s[0:3], 0 offset:16
	buffer_store_dword v100, off, s[0:3], 0 offset:20
	s_waitcnt vmcnt(0)
	ds_write_b64 v97, v[98:99]
.LBB111_293:
	s_or_b32 exec_lo, exec_lo, s4
	s_waitcnt lgkmcnt(0)
	s_waitcnt_vscnt null, 0x0
	s_barrier
	buffer_gl0_inv
	s_clause 0x1c
	buffer_load_dword v107, off, s[0:3], 0 offset:24
	buffer_load_dword v108, off, s[0:3], 0 offset:28
	;; [unrolled: 1-line block ×29, first 2 shown]
	v_mov_b32_e32 v98, 0
	buffer_load_dword v132, off, s[0:3], 0 offset:140
	s_mov_b32 s4, exec_lo
	ds_read2_b64 v[99:102], v98 offset0:51 offset1:52
	ds_read2_b64 v[103:106], v98 offset0:53 offset1:54
	s_waitcnt vmcnt(28) lgkmcnt(1)
	v_fma_f64 v[99:100], v[107:108], v[99:100], 0
	s_clause 0x7
	buffer_load_dword v108, off, s[0:3], 0 offset:148
	buffer_load_dword v137, off, s[0:3], 0 offset:168
	buffer_load_dword v139, off, s[0:3], 0 offset:160
	buffer_load_dword v141, off, s[0:3], 0 offset:152
	buffer_load_dword v107, off, s[0:3], 0 offset:144
	buffer_load_dword v142, off, s[0:3], 0 offset:156
	buffer_load_dword v140, off, s[0:3], 0 offset:164
	buffer_load_dword v138, off, s[0:3], 0 offset:172
	s_waitcnt vmcnt(34)
	v_fma_f64 v[99:100], v[109:110], v[101:102], v[99:100]
	s_waitcnt vmcnt(32) lgkmcnt(0)
	v_fma_f64 v[99:100], v[111:112], v[103:104], v[99:100]
	s_waitcnt vmcnt(30)
	v_fma_f64 v[109:110], v[113:114], v[105:106], v[99:100]
	ds_read2_b64 v[99:102], v98 offset0:55 offset1:56
	ds_read2_b64 v[103:106], v98 offset0:57 offset1:58
	s_waitcnt vmcnt(28) lgkmcnt(1)
	v_fma_f64 v[99:100], v[115:116], v[99:100], v[109:110]
	s_clause 0x7
	buffer_load_dword v110, off, s[0:3], 0 offset:180
	buffer_load_dword v111, off, s[0:3], 0 offset:200
	buffer_load_dword v113, off, s[0:3], 0 offset:192
	buffer_load_dword v115, off, s[0:3], 0 offset:184
	buffer_load_dword v109, off, s[0:3], 0 offset:176
	buffer_load_dword v116, off, s[0:3], 0 offset:188
	buffer_load_dword v114, off, s[0:3], 0 offset:196
	buffer_load_dword v112, off, s[0:3], 0 offset:204
	s_waitcnt vmcnt(34)
	v_fma_f64 v[99:100], v[117:118], v[101:102], v[99:100]
	s_waitcnt vmcnt(32) lgkmcnt(0)
	v_fma_f64 v[99:100], v[119:120], v[103:104], v[99:100]
	s_waitcnt vmcnt(27)
	v_fma_f64 v[117:118], v[121:122], v[105:106], v[99:100]
	;; [unrolled: 19-line block ×7, first 2 shown]
	ds_read2_b64 v[99:102], v98 offset0:79 offset1:80
	ds_read2_b64 v[103:106], v98 offset0:81 offset1:82
	s_waitcnt vmcnt(26) lgkmcnt(1)
	v_fma_f64 v[99:100], v[135:136], v[99:100], v[119:120]
	s_clause 0x5
	buffer_load_dword v120, off, s[0:3], 0 offset:372
	buffer_load_dword v121, off, s[0:3], 0 offset:376
	;; [unrolled: 1-line block ×6, first 2 shown]
	s_waitcnt vmcnt(31)
	v_fma_f64 v[99:100], v[129:130], v[101:102], v[99:100]
	s_waitcnt vmcnt(30) lgkmcnt(0)
	v_fma_f64 v[99:100], v[125:126], v[103:104], v[99:100]
	s_waitcnt vmcnt(25)
	v_fma_f64 v[107:108], v[107:108], v[105:106], v[99:100]
	ds_read2_b64 v[99:102], v98 offset0:83 offset1:84
	ds_read2_b64 v[103:106], v98 offset0:85 offset1:86
	s_waitcnt vmcnt(24) lgkmcnt(1)
	v_fma_f64 v[99:100], v[141:142], v[99:100], v[107:108]
	s_waitcnt vmcnt(23)
	v_fma_f64 v[99:100], v[133:134], v[101:102], v[99:100]
	s_waitcnt vmcnt(22) lgkmcnt(0)
	v_fma_f64 v[99:100], v[131:132], v[103:104], v[99:100]
	s_waitcnt vmcnt(17)
	v_fma_f64 v[107:108], v[109:110], v[105:106], v[99:100]
	ds_read2_b64 v[99:102], v98 offset0:87 offset1:88
	ds_read2_b64 v[103:106], v98 offset0:89 offset1:90
	s_waitcnt vmcnt(16) lgkmcnt(1)
	v_fma_f64 v[99:100], v[139:140], v[99:100], v[107:108]
	;; [unrolled: 10-line block ×3, first 2 shown]
	s_waitcnt vmcnt(7)
	v_fma_f64 v[99:100], v[117:118], v[101:102], v[99:100]
	ds_read_b64 v[101:102], v98 offset:760
	s_waitcnt vmcnt(6) lgkmcnt(1)
	v_fma_f64 v[99:100], v[113:114], v[103:104], v[99:100]
	s_waitcnt vmcnt(3)
	v_fma_f64 v[99:100], v[119:120], v[105:106], v[99:100]
	s_waitcnt vmcnt(2) lgkmcnt(0)
	v_fma_f64 v[99:100], v[121:122], v[101:102], v[99:100]
	s_waitcnt vmcnt(0)
	v_add_f64 v[99:100], v[123:124], -v[99:100]
	buffer_store_dword v100, off, s[0:3], 0 offset:20
	buffer_store_dword v99, off, s[0:3], 0 offset:16
	v_cmpx_lt_u32_e32 1, v0
	s_cbranch_execz .LBB111_295
; %bb.294:
	s_clause 0x1
	buffer_load_dword v99, off, s[0:3], 0 offset:8
	buffer_load_dword v100, off, s[0:3], 0 offset:12
	buffer_store_dword v98, off, s[0:3], 0 offset:8
	buffer_store_dword v98, off, s[0:3], 0 offset:12
	s_waitcnt vmcnt(0)
	ds_write_b64 v97, v[99:100]
.LBB111_295:
	s_or_b32 exec_lo, exec_lo, s4
	s_waitcnt lgkmcnt(0)
	s_waitcnt_vscnt null, 0x0
	s_barrier
	buffer_gl0_inv
	s_clause 0x1c
	buffer_load_dword v107, off, s[0:3], 0 offset:16
	buffer_load_dword v108, off, s[0:3], 0 offset:20
	;; [unrolled: 1-line block ×29, first 2 shown]
	ds_read_b128 v[99:102], v98 offset:400
	ds_read_b128 v[103:106], v98 offset:416
	buffer_load_dword v132, off, s[0:3], 0 offset:132
	s_mov_b32 s4, exec_lo
	s_waitcnt vmcnt(28) lgkmcnt(1)
	v_fma_f64 v[99:100], v[107:108], v[99:100], 0
	s_clause 0x7
	buffer_load_dword v108, off, s[0:3], 0 offset:140
	buffer_load_dword v137, off, s[0:3], 0 offset:160
	buffer_load_dword v139, off, s[0:3], 0 offset:152
	buffer_load_dword v141, off, s[0:3], 0 offset:144
	buffer_load_dword v107, off, s[0:3], 0 offset:136
	buffer_load_dword v142, off, s[0:3], 0 offset:148
	buffer_load_dword v140, off, s[0:3], 0 offset:156
	buffer_load_dword v138, off, s[0:3], 0 offset:164
	s_waitcnt vmcnt(34)
	v_fma_f64 v[99:100], v[109:110], v[101:102], v[99:100]
	s_waitcnt vmcnt(32) lgkmcnt(0)
	v_fma_f64 v[99:100], v[111:112], v[103:104], v[99:100]
	s_waitcnt vmcnt(30)
	v_fma_f64 v[109:110], v[113:114], v[105:106], v[99:100]
	ds_read_b128 v[99:102], v98 offset:432
	ds_read_b128 v[103:106], v98 offset:448
	s_waitcnt vmcnt(28) lgkmcnt(1)
	v_fma_f64 v[99:100], v[115:116], v[99:100], v[109:110]
	s_clause 0x7
	buffer_load_dword v110, off, s[0:3], 0 offset:172
	buffer_load_dword v111, off, s[0:3], 0 offset:192
	buffer_load_dword v113, off, s[0:3], 0 offset:184
	buffer_load_dword v115, off, s[0:3], 0 offset:176
	buffer_load_dword v109, off, s[0:3], 0 offset:168
	buffer_load_dword v116, off, s[0:3], 0 offset:180
	buffer_load_dword v114, off, s[0:3], 0 offset:188
	buffer_load_dword v112, off, s[0:3], 0 offset:196
	s_waitcnt vmcnt(34)
	v_fma_f64 v[99:100], v[117:118], v[101:102], v[99:100]
	s_waitcnt vmcnt(32) lgkmcnt(0)
	v_fma_f64 v[99:100], v[119:120], v[103:104], v[99:100]
	s_waitcnt vmcnt(27)
	v_fma_f64 v[117:118], v[121:122], v[105:106], v[99:100]
	ds_read_b128 v[99:102], v98 offset:464
	ds_read_b128 v[103:106], v98 offset:480
	;; [unrolled: 19-line block ×7, first 2 shown]
	s_waitcnt vmcnt(26) lgkmcnt(1)
	v_fma_f64 v[99:100], v[135:136], v[99:100], v[119:120]
	s_clause 0x5
	buffer_load_dword v120, off, s[0:3], 0 offset:364
	buffer_load_dword v121, off, s[0:3], 0 offset:376
	;; [unrolled: 1-line block ×6, first 2 shown]
	s_waitcnt vmcnt(31)
	v_fma_f64 v[99:100], v[129:130], v[101:102], v[99:100]
	s_waitcnt vmcnt(30) lgkmcnt(0)
	v_fma_f64 v[99:100], v[125:126], v[103:104], v[99:100]
	s_waitcnt vmcnt(25)
	v_fma_f64 v[107:108], v[107:108], v[105:106], v[99:100]
	ds_read_b128 v[99:102], v98 offset:656
	s_clause 0x1
	buffer_load_dword v125, off, s[0:3], 0 offset:8
	buffer_load_dword v126, off, s[0:3], 0 offset:12
	ds_read_b128 v[103:106], v98 offset:672
	s_waitcnt vmcnt(26) lgkmcnt(1)
	v_fma_f64 v[99:100], v[141:142], v[99:100], v[107:108]
	s_waitcnt vmcnt(25)
	v_fma_f64 v[99:100], v[133:134], v[101:102], v[99:100]
	s_waitcnt vmcnt(24) lgkmcnt(0)
	v_fma_f64 v[99:100], v[131:132], v[103:104], v[99:100]
	s_waitcnt vmcnt(19)
	v_fma_f64 v[107:108], v[109:110], v[105:106], v[99:100]
	ds_read_b128 v[99:102], v98 offset:688
	ds_read_b128 v[103:106], v98 offset:704
	s_waitcnt vmcnt(18) lgkmcnt(1)
	v_fma_f64 v[99:100], v[139:140], v[99:100], v[107:108]
	s_waitcnt vmcnt(17)
	v_fma_f64 v[99:100], v[137:138], v[101:102], v[99:100]
	s_waitcnt vmcnt(16) lgkmcnt(0)
	v_fma_f64 v[99:100], v[115:116], v[103:104], v[99:100]
	s_waitcnt vmcnt(11)
	v_fma_f64 v[107:108], v[111:112], v[105:106], v[99:100]
	ds_read_b128 v[99:102], v98 offset:720
	;; [unrolled: 10-line block ×3, first 2 shown]
	s_waitcnt vmcnt(3) lgkmcnt(0)
	v_fma_f64 v[98:99], v[123:124], v[98:99], v[102:103]
	s_waitcnt vmcnt(2)
	v_fma_f64 v[98:99], v[121:122], v[100:101], v[98:99]
	s_waitcnt vmcnt(0)
	v_add_f64 v[98:99], v[125:126], -v[98:99]
	buffer_store_dword v99, off, s[0:3], 0 offset:12
	buffer_store_dword v98, off, s[0:3], 0 offset:8
	v_cmpx_ne_u32_e32 0, v0
	s_cbranch_execz .LBB111_297
; %bb.296:
	s_clause 0x1
	buffer_load_dword v98, off, s[0:3], 0
	buffer_load_dword v99, off, s[0:3], 0 offset:4
	v_mov_b32_e32 v0, 0
	buffer_store_dword v0, off, s[0:3], 0
	buffer_store_dword v0, off, s[0:3], 0 offset:4
	s_waitcnt vmcnt(0)
	ds_write_b64 v97, v[98:99]
.LBB111_297:
	s_or_b32 exec_lo, exec_lo, s4
	s_waitcnt lgkmcnt(0)
	s_waitcnt_vscnt null, 0x0
	s_barrier
	buffer_gl0_inv
	s_clause 0x1c
	buffer_load_dword v105, off, s[0:3], 0 offset:8
	buffer_load_dword v106, off, s[0:3], 0 offset:12
	;; [unrolled: 1-line block ×29, first 2 shown]
	v_mov_b32_e32 v0, 0
	buffer_load_dword v130, off, s[0:3], 0 offset:124
	s_and_b32 vcc_lo, exec_lo, s16
	ds_read2_b64 v[97:100], v0 offset0:49 offset1:50
	ds_read2_b64 v[101:104], v0 offset0:51 offset1:52
	s_waitcnt vmcnt(28) lgkmcnt(1)
	v_fma_f64 v[97:98], v[105:106], v[97:98], 0
	s_clause 0x7
	buffer_load_dword v106, off, s[0:3], 0 offset:132
	buffer_load_dword v135, off, s[0:3], 0 offset:152
	buffer_load_dword v137, off, s[0:3], 0 offset:144
	buffer_load_dword v139, off, s[0:3], 0 offset:136
	buffer_load_dword v105, off, s[0:3], 0 offset:128
	buffer_load_dword v140, off, s[0:3], 0 offset:140
	buffer_load_dword v138, off, s[0:3], 0 offset:148
	buffer_load_dword v136, off, s[0:3], 0 offset:156
	s_waitcnt vmcnt(34)
	v_fma_f64 v[97:98], v[107:108], v[99:100], v[97:98]
	s_waitcnt vmcnt(32) lgkmcnt(0)
	v_fma_f64 v[97:98], v[109:110], v[101:102], v[97:98]
	s_waitcnt vmcnt(30)
	v_fma_f64 v[107:108], v[111:112], v[103:104], v[97:98]
	ds_read2_b64 v[97:100], v0 offset0:53 offset1:54
	ds_read2_b64 v[101:104], v0 offset0:55 offset1:56
	s_waitcnt vmcnt(28) lgkmcnt(1)
	v_fma_f64 v[97:98], v[113:114], v[97:98], v[107:108]
	s_clause 0x7
	buffer_load_dword v108, off, s[0:3], 0 offset:164
	buffer_load_dword v109, off, s[0:3], 0 offset:184
	buffer_load_dword v111, off, s[0:3], 0 offset:176
	buffer_load_dword v113, off, s[0:3], 0 offset:168
	buffer_load_dword v107, off, s[0:3], 0 offset:160
	buffer_load_dword v114, off, s[0:3], 0 offset:172
	buffer_load_dword v112, off, s[0:3], 0 offset:180
	buffer_load_dword v110, off, s[0:3], 0 offset:188
	s_waitcnt vmcnt(34)
	v_fma_f64 v[97:98], v[115:116], v[99:100], v[97:98]
	s_waitcnt vmcnt(32) lgkmcnt(0)
	v_fma_f64 v[97:98], v[117:118], v[101:102], v[97:98]
	s_waitcnt vmcnt(27)
	v_fma_f64 v[115:116], v[119:120], v[103:104], v[97:98]
	;; [unrolled: 19-line block ×7, first 2 shown]
	ds_read2_b64 v[97:100], v0 offset0:77 offset1:78
	ds_read2_b64 v[101:104], v0 offset0:79 offset1:80
	s_waitcnt vmcnt(26) lgkmcnt(1)
	v_fma_f64 v[117:118], v[133:134], v[97:98], v[117:118]
	s_clause 0x6
	buffer_load_dword v120, off, s[0:3], 0 offset:356
	buffer_load_dword v121, off, s[0:3], 0 offset:376
	;; [unrolled: 1-line block ×7, first 2 shown]
	s_waitcnt vmcnt(32)
	v_fma_f64 v[98:99], v[127:128], v[99:100], v[117:118]
	s_waitcnt vmcnt(31) lgkmcnt(0)
	v_fma_f64 v[99:100], v[123:124], v[101:102], v[98:99]
	buffer_load_dword v98, off, s[0:3], 0 offset:372
	s_waitcnt vmcnt(27)
	v_fma_f64 v[117:118], v[105:106], v[103:104], v[99:100]
	ds_read2_b64 v[99:102], v0 offset0:81 offset1:82
	ds_read2_b64 v[103:106], v0 offset0:83 offset1:84
	s_waitcnt vmcnt(26) lgkmcnt(1)
	v_fma_f64 v[99:100], v[139:140], v[99:100], v[117:118]
	s_clause 0x1
	buffer_load_dword v117, off, s[0:3], 0
	buffer_load_dword v118, off, s[0:3], 0 offset:4
	s_waitcnt vmcnt(27)
	v_fma_f64 v[99:100], v[131:132], v[101:102], v[99:100]
	s_waitcnt vmcnt(26) lgkmcnt(0)
	v_fma_f64 v[99:100], v[129:130], v[103:104], v[99:100]
	s_waitcnt vmcnt(21)
	v_fma_f64 v[107:108], v[107:108], v[105:106], v[99:100]
	ds_read2_b64 v[99:102], v0 offset0:85 offset1:86
	ds_read2_b64 v[103:106], v0 offset0:87 offset1:88
	s_waitcnt vmcnt(20) lgkmcnt(1)
	v_fma_f64 v[99:100], v[137:138], v[99:100], v[107:108]
	s_waitcnt vmcnt(19)
	v_fma_f64 v[99:100], v[135:136], v[101:102], v[99:100]
	s_waitcnt vmcnt(18) lgkmcnt(0)
	v_fma_f64 v[99:100], v[113:114], v[103:104], v[99:100]
	s_waitcnt vmcnt(13)
	v_fma_f64 v[107:108], v[109:110], v[105:106], v[99:100]
	ds_read2_b64 v[99:102], v0 offset0:89 offset1:90
	ds_read2_b64 v[103:106], v0 offset0:91 offset1:92
	s_waitcnt vmcnt(12) lgkmcnt(1)
	v_fma_f64 v[99:100], v[125:126], v[99:100], v[107:108]
	s_waitcnt vmcnt(11)
	v_fma_f64 v[99:100], v[115:116], v[101:102], v[99:100]
	s_waitcnt vmcnt(10) lgkmcnt(0)
	v_fma_f64 v[99:100], v[111:112], v[103:104], v[99:100]
	s_waitcnt vmcnt(5)
	v_fma_f64 v[103:104], v[119:120], v[105:106], v[99:100]
	ds_read2_b64 v[99:102], v0 offset0:93 offset1:94
	ds_read_b64 v[105:106], v0 offset:760
	s_waitcnt vmcnt(4) lgkmcnt(1)
	v_fma_f64 v[99:100], v[133:134], v[99:100], v[103:104]
	s_waitcnt vmcnt(2)
	v_fma_f64 v[99:100], v[97:98], v[101:102], v[99:100]
	s_waitcnt lgkmcnt(0)
	v_fma_f64 v[99:100], v[121:122], v[105:106], v[99:100]
	s_waitcnt vmcnt(0)
	v_add_f64 v[99:100], v[117:118], -v[99:100]
	buffer_store_dword v100, off, s[0:3], 0 offset:4
	buffer_store_dword v99, off, s[0:3], 0
	s_cbranch_vccz .LBB111_392
; %bb.298:
	global_load_dword v0, v0, s[12:13] offset:184
	s_waitcnt vmcnt(0)
	v_add_nc_u32_e32 v0, -1, v0
	v_cmp_ne_u32_e32 vcc_lo, 46, v0
	s_cbranch_vccz .LBB111_300
; %bb.299:
	v_lshlrev_b32_e32 v0, 3, v0
	s_clause 0x1
	buffer_load_dword v99, v0, s[0:3], 0 offen offset:4
	buffer_load_dword v100, v0, s[0:3], 0 offen
	s_waitcnt vmcnt(1)
	buffer_store_dword v99, off, s[0:3], 0 offset:372
	s_waitcnt vmcnt(0)
	buffer_store_dword v100, off, s[0:3], 0 offset:368
	buffer_store_dword v98, v0, s[0:3], 0 offen offset:4
	buffer_store_dword v97, v0, s[0:3], 0 offen
.LBB111_300:
	v_mov_b32_e32 v0, 0
	global_load_dword v97, v0, s[12:13] offset:180
	s_waitcnt vmcnt(0)
	v_add_nc_u32_e32 v97, -1, v97
	v_cmp_eq_u32_e32 vcc_lo, 45, v97
	s_cbranch_vccnz .LBB111_302
; %bb.301:
	v_lshlrev_b32_e32 v97, 3, v97
	s_clause 0x3
	buffer_load_dword v98, v97, s[0:3], 0 offen
	buffer_load_dword v99, v97, s[0:3], 0 offen offset:4
	buffer_load_dword v100, off, s[0:3], 0 offset:360
	buffer_load_dword v101, off, s[0:3], 0 offset:364
	s_waitcnt vmcnt(3)
	buffer_store_dword v98, off, s[0:3], 0 offset:360
	s_waitcnt vmcnt(2)
	buffer_store_dword v99, off, s[0:3], 0 offset:364
	s_waitcnt vmcnt(1)
	buffer_store_dword v100, v97, s[0:3], 0 offen
	s_waitcnt vmcnt(0)
	buffer_store_dword v101, v97, s[0:3], 0 offen offset:4
.LBB111_302:
	global_load_dword v0, v0, s[12:13] offset:176
	s_waitcnt vmcnt(0)
	v_add_nc_u32_e32 v0, -1, v0
	v_cmp_eq_u32_e32 vcc_lo, 44, v0
	s_cbranch_vccnz .LBB111_304
; %bb.303:
	v_lshlrev_b32_e32 v0, 3, v0
	s_clause 0x3
	buffer_load_dword v97, v0, s[0:3], 0 offen
	buffer_load_dword v98, v0, s[0:3], 0 offen offset:4
	buffer_load_dword v99, off, s[0:3], 0 offset:356
	buffer_load_dword v100, off, s[0:3], 0 offset:352
	s_waitcnt vmcnt(3)
	buffer_store_dword v97, off, s[0:3], 0 offset:352
	s_waitcnt vmcnt(2)
	buffer_store_dword v98, off, s[0:3], 0 offset:356
	s_waitcnt vmcnt(1)
	buffer_store_dword v99, v0, s[0:3], 0 offen offset:4
	s_waitcnt vmcnt(0)
	buffer_store_dword v100, v0, s[0:3], 0 offen
.LBB111_304:
	v_mov_b32_e32 v0, 0
	global_load_dword v97, v0, s[12:13] offset:172
	s_waitcnt vmcnt(0)
	v_add_nc_u32_e32 v97, -1, v97
	v_cmp_eq_u32_e32 vcc_lo, 43, v97
	s_cbranch_vccnz .LBB111_306
; %bb.305:
	v_lshlrev_b32_e32 v97, 3, v97
	s_clause 0x3
	buffer_load_dword v98, v97, s[0:3], 0 offen
	buffer_load_dword v99, v97, s[0:3], 0 offen offset:4
	buffer_load_dword v100, off, s[0:3], 0 offset:344
	buffer_load_dword v101, off, s[0:3], 0 offset:348
	s_waitcnt vmcnt(3)
	buffer_store_dword v98, off, s[0:3], 0 offset:344
	s_waitcnt vmcnt(2)
	buffer_store_dword v99, off, s[0:3], 0 offset:348
	s_waitcnt vmcnt(1)
	buffer_store_dword v100, v97, s[0:3], 0 offen
	s_waitcnt vmcnt(0)
	buffer_store_dword v101, v97, s[0:3], 0 offen offset:4
.LBB111_306:
	global_load_dword v0, v0, s[12:13] offset:168
	s_waitcnt vmcnt(0)
	v_add_nc_u32_e32 v0, -1, v0
	v_cmp_eq_u32_e32 vcc_lo, 42, v0
	s_cbranch_vccnz .LBB111_308
; %bb.307:
	v_lshlrev_b32_e32 v0, 3, v0
	s_clause 0x3
	buffer_load_dword v97, v0, s[0:3], 0 offen
	buffer_load_dword v98, v0, s[0:3], 0 offen offset:4
	buffer_load_dword v99, off, s[0:3], 0 offset:340
	buffer_load_dword v100, off, s[0:3], 0 offset:336
	s_waitcnt vmcnt(3)
	buffer_store_dword v97, off, s[0:3], 0 offset:336
	s_waitcnt vmcnt(2)
	buffer_store_dword v98, off, s[0:3], 0 offset:340
	s_waitcnt vmcnt(1)
	buffer_store_dword v99, v0, s[0:3], 0 offen offset:4
	s_waitcnt vmcnt(0)
	buffer_store_dword v100, v0, s[0:3], 0 offen
.LBB111_308:
	;; [unrolled: 43-line block ×22, first 2 shown]
	v_mov_b32_e32 v0, 0
	global_load_dword v97, v0, s[12:13] offset:4
	s_waitcnt vmcnt(0)
	v_add_nc_u32_e32 v97, -1, v97
	v_cmp_eq_u32_e32 vcc_lo, 1, v97
	s_cbranch_vccnz .LBB111_390
; %bb.389:
	v_lshlrev_b32_e32 v97, 3, v97
	s_clause 0x3
	buffer_load_dword v98, v97, s[0:3], 0 offen
	buffer_load_dword v99, v97, s[0:3], 0 offen offset:4
	buffer_load_dword v100, off, s[0:3], 0 offset:8
	buffer_load_dword v101, off, s[0:3], 0 offset:12
	s_waitcnt vmcnt(3)
	buffer_store_dword v98, off, s[0:3], 0 offset:8
	s_waitcnt vmcnt(2)
	buffer_store_dword v99, off, s[0:3], 0 offset:12
	s_waitcnt vmcnt(1)
	buffer_store_dword v100, v97, s[0:3], 0 offen
	s_waitcnt vmcnt(0)
	buffer_store_dword v101, v97, s[0:3], 0 offen offset:4
.LBB111_390:
	global_load_dword v0, v0, s[12:13]
	s_clause 0x1
	buffer_load_dword v99, off, s[0:3], 0
	buffer_load_dword v100, off, s[0:3], 0 offset:4
	s_waitcnt vmcnt(2)
	v_add_nc_u32_e32 v0, -1, v0
	v_cmp_eq_u32_e32 vcc_lo, 0, v0
	s_cbranch_vccnz .LBB111_392
; %bb.391:
	v_lshlrev_b32_e32 v0, 3, v0
	s_clause 0x1
	buffer_load_dword v97, v0, s[0:3], 0 offen offset:4
	buffer_load_dword v98, v0, s[0:3], 0 offen
	s_waitcnt vmcnt(1)
	buffer_store_dword v97, off, s[0:3], 0 offset:4
	s_waitcnt vmcnt(0)
	buffer_store_dword v98, off, s[0:3], 0
	buffer_store_dword v100, v0, s[0:3], 0 offen offset:4
	buffer_store_dword v99, v0, s[0:3], 0 offen
	s_clause 0x1
	buffer_load_dword v99, off, s[0:3], 0
	buffer_load_dword v100, off, s[0:3], 0 offset:4
.LBB111_392:
	s_waitcnt vmcnt(0)
	flat_store_dwordx2 v[1:2], v[99:100]
	s_clause 0x1
	buffer_load_dword v0, off, s[0:3], 0 offset:8
	buffer_load_dword v1, off, s[0:3], 0 offset:12
	s_waitcnt vmcnt(0)
	flat_store_dwordx2 v[3:4], v[0:1]
	s_clause 0x1
	buffer_load_dword v0, off, s[0:3], 0 offset:16
	buffer_load_dword v1, off, s[0:3], 0 offset:20
	;; [unrolled: 5-line block ×47, first 2 shown]
	s_waitcnt vmcnt(0)
	flat_store_dwordx2 v[95:96], v[0:1]
	s_endpgm
	.section	.rodata,"a",@progbits
	.p2align	6, 0x0
	.amdhsa_kernel _ZN9rocsolver6v33100L18getri_kernel_smallILi48EdPKPdEEvT1_iilPiilS6_bb
		.amdhsa_group_segment_fixed_size 776
		.amdhsa_private_segment_fixed_size 400
		.amdhsa_kernarg_size 60
		.amdhsa_user_sgpr_count 6
		.amdhsa_user_sgpr_private_segment_buffer 1
		.amdhsa_user_sgpr_dispatch_ptr 0
		.amdhsa_user_sgpr_queue_ptr 0
		.amdhsa_user_sgpr_kernarg_segment_ptr 1
		.amdhsa_user_sgpr_dispatch_id 0
		.amdhsa_user_sgpr_flat_scratch_init 0
		.amdhsa_user_sgpr_private_segment_size 0
		.amdhsa_wavefront_size32 1
		.amdhsa_uses_dynamic_stack 0
		.amdhsa_system_sgpr_private_segment_wavefront_offset 1
		.amdhsa_system_sgpr_workgroup_id_x 1
		.amdhsa_system_sgpr_workgroup_id_y 0
		.amdhsa_system_sgpr_workgroup_id_z 0
		.amdhsa_system_sgpr_workgroup_info 0
		.amdhsa_system_vgpr_workitem_id 0
		.amdhsa_next_free_vgpr 143
		.amdhsa_next_free_sgpr 20
		.amdhsa_reserve_vcc 1
		.amdhsa_reserve_flat_scratch 0
		.amdhsa_float_round_mode_32 0
		.amdhsa_float_round_mode_16_64 0
		.amdhsa_float_denorm_mode_32 3
		.amdhsa_float_denorm_mode_16_64 3
		.amdhsa_dx10_clamp 1
		.amdhsa_ieee_mode 1
		.amdhsa_fp16_overflow 0
		.amdhsa_workgroup_processor_mode 1
		.amdhsa_memory_ordered 1
		.amdhsa_forward_progress 1
		.amdhsa_shared_vgpr_count 0
		.amdhsa_exception_fp_ieee_invalid_op 0
		.amdhsa_exception_fp_denorm_src 0
		.amdhsa_exception_fp_ieee_div_zero 0
		.amdhsa_exception_fp_ieee_overflow 0
		.amdhsa_exception_fp_ieee_underflow 0
		.amdhsa_exception_fp_ieee_inexact 0
		.amdhsa_exception_int_div_zero 0
	.end_amdhsa_kernel
	.section	.text._ZN9rocsolver6v33100L18getri_kernel_smallILi48EdPKPdEEvT1_iilPiilS6_bb,"axG",@progbits,_ZN9rocsolver6v33100L18getri_kernel_smallILi48EdPKPdEEvT1_iilPiilS6_bb,comdat
.Lfunc_end111:
	.size	_ZN9rocsolver6v33100L18getri_kernel_smallILi48EdPKPdEEvT1_iilPiilS6_bb, .Lfunc_end111-_ZN9rocsolver6v33100L18getri_kernel_smallILi48EdPKPdEEvT1_iilPiilS6_bb
                                        ; -- End function
	.set _ZN9rocsolver6v33100L18getri_kernel_smallILi48EdPKPdEEvT1_iilPiilS6_bb.num_vgpr, 143
	.set _ZN9rocsolver6v33100L18getri_kernel_smallILi48EdPKPdEEvT1_iilPiilS6_bb.num_agpr, 0
	.set _ZN9rocsolver6v33100L18getri_kernel_smallILi48EdPKPdEEvT1_iilPiilS6_bb.numbered_sgpr, 20
	.set _ZN9rocsolver6v33100L18getri_kernel_smallILi48EdPKPdEEvT1_iilPiilS6_bb.num_named_barrier, 0
	.set _ZN9rocsolver6v33100L18getri_kernel_smallILi48EdPKPdEEvT1_iilPiilS6_bb.private_seg_size, 400
	.set _ZN9rocsolver6v33100L18getri_kernel_smallILi48EdPKPdEEvT1_iilPiilS6_bb.uses_vcc, 1
	.set _ZN9rocsolver6v33100L18getri_kernel_smallILi48EdPKPdEEvT1_iilPiilS6_bb.uses_flat_scratch, 0
	.set _ZN9rocsolver6v33100L18getri_kernel_smallILi48EdPKPdEEvT1_iilPiilS6_bb.has_dyn_sized_stack, 0
	.set _ZN9rocsolver6v33100L18getri_kernel_smallILi48EdPKPdEEvT1_iilPiilS6_bb.has_recursion, 0
	.set _ZN9rocsolver6v33100L18getri_kernel_smallILi48EdPKPdEEvT1_iilPiilS6_bb.has_indirect_call, 0
	.section	.AMDGPU.csdata,"",@progbits
; Kernel info:
; codeLenInByte = 63968
; TotalNumSgprs: 22
; NumVgprs: 143
; ScratchSize: 400
; MemoryBound: 1
; FloatMode: 240
; IeeeMode: 1
; LDSByteSize: 776 bytes/workgroup (compile time only)
; SGPRBlocks: 0
; VGPRBlocks: 17
; NumSGPRsForWavesPerEU: 22
; NumVGPRsForWavesPerEU: 143
; Occupancy: 7
; WaveLimiterHint : 1
; COMPUTE_PGM_RSRC2:SCRATCH_EN: 1
; COMPUTE_PGM_RSRC2:USER_SGPR: 6
; COMPUTE_PGM_RSRC2:TRAP_HANDLER: 0
; COMPUTE_PGM_RSRC2:TGID_X_EN: 1
; COMPUTE_PGM_RSRC2:TGID_Y_EN: 0
; COMPUTE_PGM_RSRC2:TGID_Z_EN: 0
; COMPUTE_PGM_RSRC2:TIDIG_COMP_CNT: 0
	.section	.text._ZN9rocsolver6v33100L18getri_kernel_smallILi49EdPKPdEEvT1_iilPiilS6_bb,"axG",@progbits,_ZN9rocsolver6v33100L18getri_kernel_smallILi49EdPKPdEEvT1_iilPiilS6_bb,comdat
	.globl	_ZN9rocsolver6v33100L18getri_kernel_smallILi49EdPKPdEEvT1_iilPiilS6_bb ; -- Begin function _ZN9rocsolver6v33100L18getri_kernel_smallILi49EdPKPdEEvT1_iilPiilS6_bb
	.p2align	8
	.type	_ZN9rocsolver6v33100L18getri_kernel_smallILi49EdPKPdEEvT1_iilPiilS6_bb,@function
_ZN9rocsolver6v33100L18getri_kernel_smallILi49EdPKPdEEvT1_iilPiilS6_bb: ; @_ZN9rocsolver6v33100L18getri_kernel_smallILi49EdPKPdEEvT1_iilPiilS6_bb
; %bb.0:
	s_add_u32 s0, s0, s7
	s_addc_u32 s1, s1, 0
	s_mov_b32 s7, exec_lo
	v_cmpx_gt_u32_e32 49, v0
	s_cbranch_execz .LBB112_206
; %bb.1:
	s_clause 0x2
	s_load_dword s17, s[4:5], 0x38
	s_load_dwordx2 s[12:13], s[4:5], 0x0
	s_load_dwordx4 s[8:11], s[4:5], 0x28
	s_waitcnt lgkmcnt(0)
	s_bitcmp1_b32 s17, 8
	s_cselect_b32 s16, -1, 0
	s_ashr_i32 s7, s6, 31
	s_lshl_b64 s[14:15], s[6:7], 3
	s_add_u32 s12, s12, s14
	s_addc_u32 s13, s13, s15
	s_load_dwordx2 s[14:15], s[12:13], 0x0
	s_bfe_u32 s12, s17, 0x10008
	s_cmp_eq_u32 s12, 0
                                        ; implicit-def: $sgpr12_sgpr13
	s_cbranch_scc1 .LBB112_3
; %bb.2:
	s_clause 0x1
	s_load_dword s12, s[4:5], 0x20
	s_load_dwordx2 s[18:19], s[4:5], 0x18
	s_mul_i32 s13, s8, s7
	s_mul_hi_u32 s17, s8, s6
	s_mul_i32 s9, s9, s6
	s_add_i32 s13, s17, s13
	s_mul_i32 s8, s8, s6
	s_add_i32 s9, s13, s9
	s_lshl_b64 s[8:9], s[8:9], 2
	s_waitcnt lgkmcnt(0)
	s_ashr_i32 s13, s12, 31
	s_add_u32 s17, s18, s8
	s_addc_u32 s18, s19, s9
	s_lshl_b64 s[8:9], s[12:13], 2
	s_add_u32 s12, s17, s8
	s_addc_u32 s13, s18, s9
.LBB112_3:
	s_clause 0x1
	s_load_dwordx2 s[8:9], s[4:5], 0x8
	s_load_dword s17, s[4:5], 0x38
	v_lshlrev_b32_e32 v101, 3, v0
	s_waitcnt lgkmcnt(0)
	s_ashr_i32 s5, s8, 31
	s_mov_b32 s4, s8
	v_add3_u32 v9, s9, s9, v0
	s_lshl_b64 s[4:5], s[4:5], 3
	s_add_u32 s4, s14, s4
	s_addc_u32 s5, s15, s5
	v_add_co_u32 v1, s8, s4, v101
	v_add_co_ci_u32_e64 v2, null, s5, 0, s8
	s_mov_b32 s14, s9
	s_ashr_i32 s15, s9, 31
	v_ashrrev_i32_e32 v10, 31, v9
	flat_load_dwordx2 v[5:6], v[1:2]
	s_lshl_b64 s[14:15], s[14:15], 3
	v_add_nc_u32_e32 v12, s9, v9
	v_add_co_u32 v3, vcc_lo, v1, s14
	v_add_co_ci_u32_e64 v4, null, s15, v2, vcc_lo
	v_ashrrev_i32_e32 v13, 31, v12
	s_bitcmp0_b32 s17, 0
	s_waitcnt vmcnt(0) lgkmcnt(0)
	buffer_store_dword v6, off, s[0:3], 0 offset:4
	buffer_store_dword v5, off, s[0:3], 0
	flat_load_dwordx2 v[7:8], v[3:4]
	v_lshlrev_b64 v[5:6], 3, v[9:10]
	s_waitcnt vmcnt(0) lgkmcnt(0)
	buffer_store_dword v8, off, s[0:3], 0 offset:12
	buffer_store_dword v7, off, s[0:3], 0 offset:8
	v_add_co_u32 v5, vcc_lo, s4, v5
	v_add_co_ci_u32_e64 v6, null, s5, v6, vcc_lo
	v_lshlrev_b64 v[7:8], 3, v[12:13]
	flat_load_dwordx2 v[10:11], v[5:6]
	s_waitcnt vmcnt(0) lgkmcnt(0)
	buffer_store_dword v11, off, s[0:3], 0 offset:20
	buffer_store_dword v10, off, s[0:3], 0 offset:16
	v_add_co_u32 v7, vcc_lo, s4, v7
	v_add_co_ci_u32_e64 v8, null, s5, v8, vcc_lo
	v_add_nc_u32_e32 v11, s9, v12
	flat_load_dwordx2 v[13:14], v[7:8]
	s_waitcnt vmcnt(0) lgkmcnt(0)
	buffer_store_dword v14, off, s[0:3], 0 offset:28
	buffer_store_dword v13, off, s[0:3], 0 offset:24
	v_ashrrev_i32_e32 v12, 31, v11
	v_add_nc_u32_e32 v15, s9, v11
	v_lshlrev_b64 v[9:10], 3, v[11:12]
	v_ashrrev_i32_e32 v16, 31, v15
	v_add_nc_u32_e32 v18, s9, v15
	v_add_co_u32 v9, vcc_lo, s4, v9
	v_add_co_ci_u32_e64 v10, null, s5, v10, vcc_lo
	v_lshlrev_b64 v[11:12], 3, v[15:16]
	v_ashrrev_i32_e32 v19, 31, v18
	flat_load_dwordx2 v[13:14], v[9:10]
	s_waitcnt vmcnt(0) lgkmcnt(0)
	buffer_store_dword v14, off, s[0:3], 0 offset:36
	buffer_store_dword v13, off, s[0:3], 0 offset:32
	v_add_co_u32 v11, vcc_lo, s4, v11
	v_add_co_ci_u32_e64 v12, null, s5, v12, vcc_lo
	v_lshlrev_b64 v[13:14], 3, v[18:19]
	flat_load_dwordx2 v[16:17], v[11:12]
	s_waitcnt vmcnt(0) lgkmcnt(0)
	buffer_store_dword v17, off, s[0:3], 0 offset:44
	buffer_store_dword v16, off, s[0:3], 0 offset:40
	v_add_co_u32 v13, vcc_lo, s4, v13
	v_add_co_ci_u32_e64 v14, null, s5, v14, vcc_lo
	v_add_nc_u32_e32 v17, s9, v18
	flat_load_dwordx2 v[19:20], v[13:14]
	s_waitcnt vmcnt(0) lgkmcnt(0)
	buffer_store_dword v20, off, s[0:3], 0 offset:52
	buffer_store_dword v19, off, s[0:3], 0 offset:48
	v_ashrrev_i32_e32 v18, 31, v17
	v_add_nc_u32_e32 v21, s9, v17
	v_lshlrev_b64 v[15:16], 3, v[17:18]
	v_ashrrev_i32_e32 v22, 31, v21
	v_add_nc_u32_e32 v24, s9, v21
	v_add_co_u32 v15, vcc_lo, s4, v15
	v_add_co_ci_u32_e64 v16, null, s5, v16, vcc_lo
	v_lshlrev_b64 v[17:18], 3, v[21:22]
	v_ashrrev_i32_e32 v25, 31, v24
	flat_load_dwordx2 v[19:20], v[15:16]
	;; [unrolled: 27-line block ×14, first 2 shown]
	s_waitcnt vmcnt(0) lgkmcnt(0)
	buffer_store_dword v92, off, s[0:3], 0 offset:348
	buffer_store_dword v91, off, s[0:3], 0 offset:344
	v_add_co_u32 v89, vcc_lo, s4, v89
	v_add_co_ci_u32_e64 v90, null, s5, v90, vcc_lo
	v_lshlrev_b64 v[91:92], 3, v[96:97]
	flat_load_dwordx2 v[94:95], v[89:90]
	s_waitcnt vmcnt(0) lgkmcnt(0)
	buffer_store_dword v95, off, s[0:3], 0 offset:356
	buffer_store_dword v94, off, s[0:3], 0 offset:352
	v_add_co_u32 v91, vcc_lo, s4, v91
	v_add_co_ci_u32_e64 v92, null, s5, v92, vcc_lo
	v_add_nc_u32_e32 v95, s9, v96
	flat_load_dwordx2 v[97:98], v[91:92]
	s_waitcnt vmcnt(0) lgkmcnt(0)
	buffer_store_dword v98, off, s[0:3], 0 offset:364
	buffer_store_dword v97, off, s[0:3], 0 offset:360
	v_ashrrev_i32_e32 v96, 31, v95
	v_add_nc_u32_e32 v99, s9, v95
	v_lshlrev_b64 v[93:94], 3, v[95:96]
	v_ashrrev_i32_e32 v100, 31, v99
	v_add_co_u32 v93, vcc_lo, s4, v93
	v_add_co_ci_u32_e64 v94, null, s5, v94, vcc_lo
	v_lshlrev_b64 v[95:96], 3, v[99:100]
	flat_load_dwordx2 v[97:98], v[93:94]
	s_waitcnt vmcnt(0) lgkmcnt(0)
	buffer_store_dword v98, off, s[0:3], 0 offset:372
	buffer_store_dword v97, off, s[0:3], 0 offset:368
	v_add_co_u32 v95, vcc_lo, s4, v95
	v_add_co_ci_u32_e64 v96, null, s5, v96, vcc_lo
	v_add_nc_u32_e32 v97, s9, v99
	flat_load_dwordx2 v[102:103], v[95:96]
	s_waitcnt vmcnt(0) lgkmcnt(0)
	buffer_store_dword v103, off, s[0:3], 0 offset:380
	buffer_store_dword v102, off, s[0:3], 0 offset:376
	v_ashrrev_i32_e32 v98, 31, v97
	v_lshlrev_b64 v[97:98], 3, v[97:98]
	v_add_co_u32 v97, vcc_lo, s4, v97
	v_add_co_ci_u32_e64 v98, null, s5, v98, vcc_lo
	s_mov_b32 s5, -1
	flat_load_dwordx2 v[99:100], v[97:98]
	s_waitcnt vmcnt(0) lgkmcnt(0)
	buffer_store_dword v100, off, s[0:3], 0 offset:388
	buffer_store_dword v99, off, s[0:3], 0 offset:384
	s_cbranch_scc1 .LBB112_204
; %bb.4:
	v_cmp_eq_u32_e64 s4, 0, v0
	s_and_saveexec_b32 s5, s4
; %bb.5:
	v_mov_b32_e32 v99, 0
	ds_write_b32 v99, v99 offset:392
; %bb.6:
	s_or_b32 exec_lo, exec_lo, s5
	v_lshl_add_u32 v99, v0, 3, 0
	s_waitcnt lgkmcnt(0)
	s_waitcnt_vscnt null, 0x0
	s_barrier
	buffer_gl0_inv
	s_mov_b32 s8, exec_lo
	s_clause 0x1
	buffer_load_dword v102, v99, s[0:3], 0 offen
	buffer_load_dword v103, v99, s[0:3], 0 offen offset:4
	s_waitcnt vmcnt(0)
	v_cmpx_eq_f64_e32 0, v[102:103]
	s_cbranch_execz .LBB112_10
; %bb.7:
	v_mov_b32_e32 v100, 0
	s_mov_b32 s9, 0
	ds_read_b32 v102, v100 offset:392
	s_waitcnt lgkmcnt(0)
	v_readfirstlane_b32 s5, v102
	v_add_nc_u32_e32 v102, 1, v0
	s_cmp_eq_u32 s5, 0
	v_cmp_gt_i32_e32 vcc_lo, s5, v102
	s_cselect_b32 s14, -1, 0
	s_or_b32 s14, s14, vcc_lo
	s_and_b32 exec_lo, exec_lo, s14
	s_cbranch_execz .LBB112_10
; %bb.8:
	v_mov_b32_e32 v103, s5
.LBB112_9:                              ; =>This Inner Loop Header: Depth=1
	ds_cmpst_rtn_b32 v103, v100, v103, v102 offset:392
	s_waitcnt lgkmcnt(0)
	v_cmp_ne_u32_e32 vcc_lo, 0, v103
	v_cmp_le_i32_e64 s5, v103, v102
	s_and_b32 s5, vcc_lo, s5
	s_and_b32 s5, exec_lo, s5
	s_or_b32 s9, s5, s9
	s_andn2_b32 exec_lo, exec_lo, s9
	s_cbranch_execnz .LBB112_9
.LBB112_10:
	s_or_b32 exec_lo, exec_lo, s8
	v_mov_b32_e32 v100, 0
	s_barrier
	buffer_gl0_inv
	ds_read_b32 v102, v100 offset:392
	s_and_saveexec_b32 s5, s4
	s_cbranch_execz .LBB112_12
; %bb.11:
	s_lshl_b64 s[8:9], s[6:7], 2
	s_add_u32 s8, s10, s8
	s_addc_u32 s9, s11, s9
	s_waitcnt lgkmcnt(0)
	global_store_dword v100, v102, s[8:9]
.LBB112_12:
	s_or_b32 exec_lo, exec_lo, s5
	s_waitcnt lgkmcnt(0)
	v_cmp_ne_u32_e32 vcc_lo, 0, v102
	s_mov_b32 s5, 0
	s_cbranch_vccnz .LBB112_204
; %bb.13:
	s_clause 0x1
	buffer_load_dword v102, v99, s[0:3], 0 offen
	buffer_load_dword v103, v99, s[0:3], 0 offen offset:4
	s_waitcnt vmcnt(0)
	v_div_scale_f64 v[104:105], null, v[102:103], v[102:103], 1.0
	v_div_scale_f64 v[110:111], vcc_lo, 1.0, v[102:103], 1.0
	v_rcp_f64_e32 v[106:107], v[104:105]
	v_fma_f64 v[108:109], -v[104:105], v[106:107], 1.0
	v_fma_f64 v[106:107], v[106:107], v[108:109], v[106:107]
	v_fma_f64 v[108:109], -v[104:105], v[106:107], 1.0
	v_fma_f64 v[106:107], v[106:107], v[108:109], v[106:107]
	v_mul_f64 v[108:109], v[110:111], v[106:107]
	v_fma_f64 v[104:105], -v[104:105], v[108:109], v[110:111]
	v_div_fmas_f64 v[104:105], v[104:105], v[106:107], v[108:109]
	v_div_fixup_f64 v[103:104], v[104:105], v[102:103], 1.0
	v_add_nc_u32_e32 v102, 0x190, v101
	buffer_store_dword v104, v99, s[0:3], 0 offen offset:4
	buffer_store_dword v103, v99, s[0:3], 0 offen
	s_clause 0x1
	buffer_load_dword v106, off, s[0:3], 0 offset:12
	buffer_load_dword v105, off, s[0:3], 0 offset:8
	v_xor_b32_e32 v104, 0x80000000, v104
	s_waitcnt vmcnt(0)
	ds_write2_b64 v101, v[103:104], v[105:106] offset1:50
	s_waitcnt lgkmcnt(0)
	s_waitcnt_vscnt null, 0x0
	s_barrier
	buffer_gl0_inv
	s_and_saveexec_b32 s5, s4
	s_cbranch_execz .LBB112_15
; %bb.14:
	s_clause 0x1
	buffer_load_dword v103, v99, s[0:3], 0 offen
	buffer_load_dword v104, v99, s[0:3], 0 offen offset:4
	ds_read_b64 v[105:106], v102
	v_mov_b32_e32 v100, 0
	ds_read_b64 v[107:108], v100 offset:8
	s_waitcnt vmcnt(0) lgkmcnt(1)
	v_fma_f64 v[103:104], v[103:104], v[105:106], 0
	s_waitcnt lgkmcnt(0)
	v_mul_f64 v[103:104], v[103:104], v[107:108]
	buffer_store_dword v103, off, s[0:3], 0 offset:8
	buffer_store_dword v104, off, s[0:3], 0 offset:12
.LBB112_15:
	s_or_b32 exec_lo, exec_lo, s5
	s_waitcnt_vscnt null, 0x0
	s_barrier
	buffer_gl0_inv
	s_clause 0x1
	buffer_load_dword v103, off, s[0:3], 0 offset:16
	buffer_load_dword v104, off, s[0:3], 0 offset:20
	s_mov_b32 s5, exec_lo
	s_waitcnt vmcnt(0)
	ds_write_b64 v102, v[103:104]
	s_waitcnt lgkmcnt(0)
	s_barrier
	buffer_gl0_inv
	v_cmpx_gt_u32_e32 2, v0
	s_cbranch_execz .LBB112_19
; %bb.16:
	s_clause 0x1
	buffer_load_dword v103, v99, s[0:3], 0 offen
	buffer_load_dword v104, v99, s[0:3], 0 offen offset:4
	ds_read_b64 v[99:100], v102
	s_waitcnt vmcnt(0) lgkmcnt(0)
	v_fma_f64 v[99:100], v[103:104], v[99:100], 0
	s_and_saveexec_b32 s8, s4
	s_cbranch_execz .LBB112_18
; %bb.17:
	s_clause 0x1
	buffer_load_dword v103, off, s[0:3], 0 offset:8
	buffer_load_dword v104, off, s[0:3], 0 offset:12
	v_mov_b32_e32 v105, 0
	ds_read_b64 v[105:106], v105 offset:408
	s_waitcnt vmcnt(0) lgkmcnt(0)
	v_fma_f64 v[99:100], v[103:104], v[105:106], v[99:100]
.LBB112_18:
	s_or_b32 exec_lo, exec_lo, s8
	v_mov_b32_e32 v103, 0
	ds_read_b64 v[103:104], v103 offset:16
	s_waitcnt lgkmcnt(0)
	v_mul_f64 v[99:100], v[99:100], v[103:104]
	buffer_store_dword v100, off, s[0:3], 0 offset:20
	buffer_store_dword v99, off, s[0:3], 0 offset:16
.LBB112_19:
	s_or_b32 exec_lo, exec_lo, s5
	s_waitcnt_vscnt null, 0x0
	s_barrier
	buffer_gl0_inv
	s_clause 0x1
	buffer_load_dword v99, off, s[0:3], 0 offset:24
	buffer_load_dword v100, off, s[0:3], 0 offset:28
	v_add_nc_u32_e32 v103, -1, v0
	s_mov_b32 s4, exec_lo
	s_waitcnt vmcnt(0)
	ds_write_b64 v102, v[99:100]
	s_waitcnt lgkmcnt(0)
	s_barrier
	buffer_gl0_inv
	v_cmpx_gt_u32_e32 3, v0
	s_cbranch_execz .LBB112_23
; %bb.20:
	v_mov_b32_e32 v99, 0
	v_add_nc_u32_e32 v104, -1, v0
	v_add_nc_u32_e32 v105, 0x190, v101
	v_mov_b32_e32 v100, 0
	v_mov_b32_e32 v106, v101
	s_mov_b32 s5, 0
.LBB112_21:                             ; =>This Inner Loop Header: Depth=1
	s_clause 0x1
	buffer_load_dword v107, v106, s[0:3], 0 offen
	buffer_load_dword v108, v106, s[0:3], 0 offen offset:4
	ds_read_b64 v[109:110], v105
	v_add_nc_u32_e32 v104, 1, v104
	v_add_nc_u32_e32 v105, 8, v105
	v_add_nc_u32_e32 v106, 8, v106
	v_cmp_lt_u32_e32 vcc_lo, 1, v104
	s_or_b32 s5, vcc_lo, s5
	s_waitcnt vmcnt(0) lgkmcnt(0)
	v_fma_f64 v[99:100], v[107:108], v[109:110], v[99:100]
	s_andn2_b32 exec_lo, exec_lo, s5
	s_cbranch_execnz .LBB112_21
; %bb.22:
	s_or_b32 exec_lo, exec_lo, s5
	v_mov_b32_e32 v104, 0
	ds_read_b64 v[104:105], v104 offset:24
	s_waitcnt lgkmcnt(0)
	v_mul_f64 v[99:100], v[99:100], v[104:105]
	buffer_store_dword v100, off, s[0:3], 0 offset:28
	buffer_store_dword v99, off, s[0:3], 0 offset:24
.LBB112_23:
	s_or_b32 exec_lo, exec_lo, s4
	s_waitcnt_vscnt null, 0x0
	s_barrier
	buffer_gl0_inv
	s_clause 0x1
	buffer_load_dword v99, off, s[0:3], 0 offset:32
	buffer_load_dword v100, off, s[0:3], 0 offset:36
	s_mov_b32 s4, exec_lo
	s_waitcnt vmcnt(0)
	ds_write_b64 v102, v[99:100]
	s_waitcnt lgkmcnt(0)
	s_barrier
	buffer_gl0_inv
	v_cmpx_gt_u32_e32 4, v0
	s_cbranch_execz .LBB112_27
; %bb.24:
	v_mov_b32_e32 v99, 0
	v_add_nc_u32_e32 v104, -1, v0
	v_add_nc_u32_e32 v105, 0x190, v101
	v_mov_b32_e32 v100, 0
	v_mov_b32_e32 v106, v101
	s_mov_b32 s5, 0
.LBB112_25:                             ; =>This Inner Loop Header: Depth=1
	s_clause 0x1
	buffer_load_dword v107, v106, s[0:3], 0 offen
	buffer_load_dword v108, v106, s[0:3], 0 offen offset:4
	ds_read_b64 v[109:110], v105
	v_add_nc_u32_e32 v104, 1, v104
	v_add_nc_u32_e32 v105, 8, v105
	v_add_nc_u32_e32 v106, 8, v106
	v_cmp_lt_u32_e32 vcc_lo, 2, v104
	s_or_b32 s5, vcc_lo, s5
	s_waitcnt vmcnt(0) lgkmcnt(0)
	v_fma_f64 v[99:100], v[107:108], v[109:110], v[99:100]
	s_andn2_b32 exec_lo, exec_lo, s5
	s_cbranch_execnz .LBB112_25
; %bb.26:
	s_or_b32 exec_lo, exec_lo, s5
	v_mov_b32_e32 v104, 0
	ds_read_b64 v[104:105], v104 offset:32
	s_waitcnt lgkmcnt(0)
	v_mul_f64 v[99:100], v[99:100], v[104:105]
	buffer_store_dword v100, off, s[0:3], 0 offset:36
	buffer_store_dword v99, off, s[0:3], 0 offset:32
.LBB112_27:
	s_or_b32 exec_lo, exec_lo, s4
	s_waitcnt_vscnt null, 0x0
	s_barrier
	buffer_gl0_inv
	s_clause 0x1
	buffer_load_dword v99, off, s[0:3], 0 offset:40
	buffer_load_dword v100, off, s[0:3], 0 offset:44
	;; [unrolled: 45-line block ×20, first 2 shown]
	s_mov_b32 s4, exec_lo
	s_waitcnt vmcnt(0)
	ds_write_b64 v102, v[99:100]
	s_waitcnt lgkmcnt(0)
	s_barrier
	buffer_gl0_inv
	v_cmpx_gt_u32_e32 23, v0
	s_cbranch_execz .LBB112_103
; %bb.100:
	v_mov_b32_e32 v99, 0
	v_add_nc_u32_e32 v104, -1, v0
	v_add_nc_u32_e32 v105, 0x190, v101
	v_mov_b32_e32 v100, 0
	v_mov_b32_e32 v106, v101
	s_mov_b32 s5, 0
.LBB112_101:                            ; =>This Inner Loop Header: Depth=1
	s_clause 0x1
	buffer_load_dword v107, v106, s[0:3], 0 offen
	buffer_load_dword v108, v106, s[0:3], 0 offen offset:4
	ds_read_b64 v[109:110], v105
	v_add_nc_u32_e32 v104, 1, v104
	v_add_nc_u32_e32 v105, 8, v105
	v_add_nc_u32_e32 v106, 8, v106
	v_cmp_lt_u32_e32 vcc_lo, 21, v104
	s_or_b32 s5, vcc_lo, s5
	s_waitcnt vmcnt(0) lgkmcnt(0)
	v_fma_f64 v[99:100], v[107:108], v[109:110], v[99:100]
	s_andn2_b32 exec_lo, exec_lo, s5
	s_cbranch_execnz .LBB112_101
; %bb.102:
	s_or_b32 exec_lo, exec_lo, s5
	v_mov_b32_e32 v104, 0
	ds_read_b64 v[104:105], v104 offset:184
	s_waitcnt lgkmcnt(0)
	v_mul_f64 v[99:100], v[99:100], v[104:105]
	buffer_store_dword v100, off, s[0:3], 0 offset:188
	buffer_store_dword v99, off, s[0:3], 0 offset:184
.LBB112_103:
	s_or_b32 exec_lo, exec_lo, s4
	s_waitcnt_vscnt null, 0x0
	s_barrier
	buffer_gl0_inv
	s_clause 0x1
	buffer_load_dword v99, off, s[0:3], 0 offset:192
	buffer_load_dword v100, off, s[0:3], 0 offset:196
	s_mov_b32 s4, exec_lo
	s_waitcnt vmcnt(0)
	ds_write_b64 v102, v[99:100]
	s_waitcnt lgkmcnt(0)
	s_barrier
	buffer_gl0_inv
	v_cmpx_gt_u32_e32 24, v0
	s_cbranch_execz .LBB112_107
; %bb.104:
	v_mov_b32_e32 v99, 0
	v_add_nc_u32_e32 v104, -1, v0
	v_add_nc_u32_e32 v105, 0x190, v101
	v_mov_b32_e32 v100, 0
	v_mov_b32_e32 v106, v101
	s_mov_b32 s5, 0
.LBB112_105:                            ; =>This Inner Loop Header: Depth=1
	s_clause 0x1
	buffer_load_dword v107, v106, s[0:3], 0 offen
	buffer_load_dword v108, v106, s[0:3], 0 offen offset:4
	ds_read_b64 v[109:110], v105
	v_add_nc_u32_e32 v104, 1, v104
	v_add_nc_u32_e32 v105, 8, v105
	v_add_nc_u32_e32 v106, 8, v106
	v_cmp_lt_u32_e32 vcc_lo, 22, v104
	s_or_b32 s5, vcc_lo, s5
	s_waitcnt vmcnt(0) lgkmcnt(0)
	v_fma_f64 v[99:100], v[107:108], v[109:110], v[99:100]
	s_andn2_b32 exec_lo, exec_lo, s5
	s_cbranch_execnz .LBB112_105
; %bb.106:
	s_or_b32 exec_lo, exec_lo, s5
	v_mov_b32_e32 v104, 0
	ds_read_b64 v[104:105], v104 offset:192
	s_waitcnt lgkmcnt(0)
	v_mul_f64 v[99:100], v[99:100], v[104:105]
	buffer_store_dword v100, off, s[0:3], 0 offset:196
	buffer_store_dword v99, off, s[0:3], 0 offset:192
.LBB112_107:
	s_or_b32 exec_lo, exec_lo, s4
	s_waitcnt_vscnt null, 0x0
	s_barrier
	buffer_gl0_inv
	s_clause 0x1
	buffer_load_dword v99, off, s[0:3], 0 offset:200
	buffer_load_dword v100, off, s[0:3], 0 offset:204
	;; [unrolled: 45-line block ×25, first 2 shown]
	s_mov_b32 s4, exec_lo
	s_waitcnt vmcnt(0)
	ds_write_b64 v102, v[99:100]
	s_waitcnt lgkmcnt(0)
	s_barrier
	buffer_gl0_inv
	v_cmpx_ne_u32_e32 48, v0
	s_cbranch_execz .LBB112_203
; %bb.200:
	v_mov_b32_e32 v99, 0
	v_mov_b32_e32 v100, 0
	s_mov_b32 s5, 0
.LBB112_201:                            ; =>This Inner Loop Header: Depth=1
	s_clause 0x1
	buffer_load_dword v104, v101, s[0:3], 0 offen
	buffer_load_dword v105, v101, s[0:3], 0 offen offset:4
	ds_read_b64 v[106:107], v102
	v_add_nc_u32_e32 v103, 1, v103
	v_add_nc_u32_e32 v102, 8, v102
	;; [unrolled: 1-line block ×3, first 2 shown]
	v_cmp_lt_u32_e32 vcc_lo, 46, v103
	s_or_b32 s5, vcc_lo, s5
	s_waitcnt vmcnt(0) lgkmcnt(0)
	v_fma_f64 v[99:100], v[104:105], v[106:107], v[99:100]
	s_andn2_b32 exec_lo, exec_lo, s5
	s_cbranch_execnz .LBB112_201
; %bb.202:
	s_or_b32 exec_lo, exec_lo, s5
	v_mov_b32_e32 v101, 0
	ds_read_b64 v[101:102], v101 offset:384
	s_waitcnt lgkmcnt(0)
	v_mul_f64 v[99:100], v[99:100], v[101:102]
	buffer_store_dword v100, off, s[0:3], 0 offset:388
	buffer_store_dword v99, off, s[0:3], 0 offset:384
.LBB112_203:
	s_or_b32 exec_lo, exec_lo, s4
	s_mov_b32 s5, -1
	s_waitcnt_vscnt null, 0x0
	s_barrier
	buffer_gl0_inv
.LBB112_204:
	s_and_b32 vcc_lo, exec_lo, s5
	s_cbranch_vccz .LBB112_206
; %bb.205:
	s_lshl_b64 s[4:5], s[6:7], 2
	v_mov_b32_e32 v99, 0
	s_add_u32 s4, s10, s4
	s_addc_u32 s5, s11, s5
	global_load_dword v99, v99, s[4:5]
	s_waitcnt vmcnt(0)
	v_cmp_ne_u32_e32 vcc_lo, 0, v99
	s_cbranch_vccz .LBB112_207
.LBB112_206:
	s_endpgm
.LBB112_207:
	v_lshl_add_u32 v99, v0, 3, 0x190
	s_mov_b32 s4, exec_lo
	v_cmpx_eq_u32_e32 48, v0
	s_cbranch_execz .LBB112_209
; %bb.208:
	s_clause 0x1
	buffer_load_dword v100, off, s[0:3], 0 offset:376
	buffer_load_dword v101, off, s[0:3], 0 offset:380
	v_mov_b32_e32 v102, 0
	buffer_store_dword v102, off, s[0:3], 0 offset:376
	buffer_store_dword v102, off, s[0:3], 0 offset:380
	s_waitcnt vmcnt(0)
	ds_write_b64 v99, v[100:101]
.LBB112_209:
	s_or_b32 exec_lo, exec_lo, s4
	s_waitcnt lgkmcnt(0)
	s_waitcnt_vscnt null, 0x0
	s_barrier
	buffer_gl0_inv
	s_clause 0x3
	buffer_load_dword v101, off, s[0:3], 0 offset:384
	buffer_load_dword v102, off, s[0:3], 0 offset:388
	;; [unrolled: 1-line block ×4, first 2 shown]
	v_mov_b32_e32 v100, 0
	s_mov_b32 s4, exec_lo
	ds_read_b64 v[105:106], v100 offset:784
	s_waitcnt vmcnt(2) lgkmcnt(0)
	v_fma_f64 v[101:102], v[101:102], v[105:106], 0
	s_waitcnt vmcnt(0)
	v_add_f64 v[101:102], v[103:104], -v[101:102]
	buffer_store_dword v101, off, s[0:3], 0 offset:376
	buffer_store_dword v102, off, s[0:3], 0 offset:380
	v_cmpx_lt_u32_e32 46, v0
	s_cbranch_execz .LBB112_211
; %bb.210:
	s_clause 0x1
	buffer_load_dword v101, off, s[0:3], 0 offset:368
	buffer_load_dword v102, off, s[0:3], 0 offset:372
	buffer_store_dword v100, off, s[0:3], 0 offset:368
	buffer_store_dword v100, off, s[0:3], 0 offset:372
	s_waitcnt vmcnt(0)
	ds_write_b64 v99, v[101:102]
.LBB112_211:
	s_or_b32 exec_lo, exec_lo, s4
	s_waitcnt lgkmcnt(0)
	s_waitcnt_vscnt null, 0x0
	s_barrier
	buffer_gl0_inv
	s_clause 0x5
	buffer_load_dword v104, off, s[0:3], 0 offset:376
	buffer_load_dword v105, off, s[0:3], 0 offset:380
	;; [unrolled: 1-line block ×6, first 2 shown]
	ds_read2_b64 v[100:103], v100 offset0:97 offset1:98
	s_mov_b32 s4, exec_lo
	s_waitcnt vmcnt(4) lgkmcnt(0)
	v_fma_f64 v[100:101], v[104:105], v[100:101], 0
	s_waitcnt vmcnt(2)
	v_fma_f64 v[100:101], v[106:107], v[102:103], v[100:101]
	s_waitcnt vmcnt(0)
	v_add_f64 v[100:101], v[108:109], -v[100:101]
	buffer_store_dword v100, off, s[0:3], 0 offset:368
	buffer_store_dword v101, off, s[0:3], 0 offset:372
	v_cmpx_lt_u32_e32 45, v0
	s_cbranch_execz .LBB112_213
; %bb.212:
	s_clause 0x1
	buffer_load_dword v100, off, s[0:3], 0 offset:360
	buffer_load_dword v101, off, s[0:3], 0 offset:364
	v_mov_b32_e32 v102, 0
	buffer_store_dword v102, off, s[0:3], 0 offset:360
	buffer_store_dword v102, off, s[0:3], 0 offset:364
	s_waitcnt vmcnt(0)
	ds_write_b64 v99, v[100:101]
.LBB112_213:
	s_or_b32 exec_lo, exec_lo, s4
	s_waitcnt lgkmcnt(0)
	s_waitcnt_vscnt null, 0x0
	s_barrier
	buffer_gl0_inv
	s_clause 0x7
	buffer_load_dword v105, off, s[0:3], 0 offset:368
	buffer_load_dword v106, off, s[0:3], 0 offset:372
	;; [unrolled: 1-line block ×8, first 2 shown]
	v_mov_b32_e32 v100, 0
	ds_read_b128 v[101:104], v100 offset:768
	ds_read_b64 v[113:114], v100 offset:784
	s_mov_b32 s4, exec_lo
	s_waitcnt vmcnt(6) lgkmcnt(1)
	v_fma_f64 v[101:102], v[105:106], v[101:102], 0
	s_waitcnt vmcnt(4)
	v_fma_f64 v[101:102], v[107:108], v[103:104], v[101:102]
	s_waitcnt vmcnt(2) lgkmcnt(0)
	v_fma_f64 v[101:102], v[109:110], v[113:114], v[101:102]
	s_waitcnt vmcnt(0)
	v_add_f64 v[101:102], v[111:112], -v[101:102]
	buffer_store_dword v101, off, s[0:3], 0 offset:360
	buffer_store_dword v102, off, s[0:3], 0 offset:364
	v_cmpx_lt_u32_e32 44, v0
	s_cbranch_execz .LBB112_215
; %bb.214:
	s_clause 0x1
	buffer_load_dword v101, off, s[0:3], 0 offset:352
	buffer_load_dword v102, off, s[0:3], 0 offset:356
	buffer_store_dword v100, off, s[0:3], 0 offset:352
	buffer_store_dword v100, off, s[0:3], 0 offset:356
	s_waitcnt vmcnt(0)
	ds_write_b64 v99, v[101:102]
.LBB112_215:
	s_or_b32 exec_lo, exec_lo, s4
	s_waitcnt lgkmcnt(0)
	s_waitcnt_vscnt null, 0x0
	s_barrier
	buffer_gl0_inv
	s_clause 0x9
	buffer_load_dword v109, off, s[0:3], 0 offset:360
	buffer_load_dword v110, off, s[0:3], 0 offset:364
	;; [unrolled: 1-line block ×10, first 2 shown]
	ds_read2_b64 v[101:104], v100 offset0:95 offset1:96
	ds_read2_b64 v[105:108], v100 offset0:97 offset1:98
	s_mov_b32 s4, exec_lo
	s_waitcnt vmcnt(8) lgkmcnt(1)
	v_fma_f64 v[100:101], v[109:110], v[101:102], 0
	s_waitcnt vmcnt(6)
	v_fma_f64 v[100:101], v[111:112], v[103:104], v[100:101]
	s_waitcnt vmcnt(4) lgkmcnt(0)
	v_fma_f64 v[100:101], v[113:114], v[105:106], v[100:101]
	s_waitcnt vmcnt(2)
	v_fma_f64 v[100:101], v[115:116], v[107:108], v[100:101]
	s_waitcnt vmcnt(0)
	v_add_f64 v[100:101], v[117:118], -v[100:101]
	buffer_store_dword v100, off, s[0:3], 0 offset:352
	buffer_store_dword v101, off, s[0:3], 0 offset:356
	v_cmpx_lt_u32_e32 43, v0
	s_cbranch_execz .LBB112_217
; %bb.216:
	s_clause 0x1
	buffer_load_dword v100, off, s[0:3], 0 offset:344
	buffer_load_dword v101, off, s[0:3], 0 offset:348
	v_mov_b32_e32 v102, 0
	buffer_store_dword v102, off, s[0:3], 0 offset:344
	buffer_store_dword v102, off, s[0:3], 0 offset:348
	s_waitcnt vmcnt(0)
	ds_write_b64 v99, v[100:101]
.LBB112_217:
	s_or_b32 exec_lo, exec_lo, s4
	s_waitcnt lgkmcnt(0)
	s_waitcnt_vscnt null, 0x0
	s_barrier
	buffer_gl0_inv
	s_clause 0xb
	buffer_load_dword v109, off, s[0:3], 0 offset:352
	buffer_load_dword v110, off, s[0:3], 0 offset:356
	;; [unrolled: 1-line block ×12, first 2 shown]
	v_mov_b32_e32 v100, 0
	ds_read_b128 v[101:104], v100 offset:752
	ds_read_b128 v[105:108], v100 offset:768
	s_mov_b32 s4, exec_lo
	s_waitcnt vmcnt(10) lgkmcnt(1)
	v_fma_f64 v[101:102], v[109:110], v[101:102], 0
	s_waitcnt vmcnt(8)
	v_fma_f64 v[101:102], v[111:112], v[103:104], v[101:102]
	ds_read_b64 v[103:104], v100 offset:784
	s_waitcnt vmcnt(6) lgkmcnt(1)
	v_fma_f64 v[101:102], v[113:114], v[105:106], v[101:102]
	s_waitcnt vmcnt(4)
	v_fma_f64 v[101:102], v[115:116], v[107:108], v[101:102]
	s_waitcnt vmcnt(2) lgkmcnt(0)
	v_fma_f64 v[101:102], v[117:118], v[103:104], v[101:102]
	s_waitcnt vmcnt(0)
	v_add_f64 v[101:102], v[119:120], -v[101:102]
	buffer_store_dword v101, off, s[0:3], 0 offset:344
	buffer_store_dword v102, off, s[0:3], 0 offset:348
	v_cmpx_lt_u32_e32 42, v0
	s_cbranch_execz .LBB112_219
; %bb.218:
	s_clause 0x1
	buffer_load_dword v101, off, s[0:3], 0 offset:336
	buffer_load_dword v102, off, s[0:3], 0 offset:340
	buffer_store_dword v100, off, s[0:3], 0 offset:336
	buffer_store_dword v100, off, s[0:3], 0 offset:340
	s_waitcnt vmcnt(0)
	ds_write_b64 v99, v[101:102]
.LBB112_219:
	s_or_b32 exec_lo, exec_lo, s4
	s_waitcnt lgkmcnt(0)
	s_waitcnt_vscnt null, 0x0
	s_barrier
	buffer_gl0_inv
	s_clause 0xd
	buffer_load_dword v109, off, s[0:3], 0 offset:344
	buffer_load_dword v110, off, s[0:3], 0 offset:348
	;; [unrolled: 1-line block ×14, first 2 shown]
	ds_read2_b64 v[101:104], v100 offset0:93 offset1:94
	ds_read2_b64 v[105:108], v100 offset0:95 offset1:96
	s_mov_b32 s4, exec_lo
	s_waitcnt vmcnt(12) lgkmcnt(1)
	v_fma_f64 v[101:102], v[109:110], v[101:102], 0
	s_waitcnt vmcnt(10)
	v_fma_f64 v[101:102], v[111:112], v[103:104], v[101:102]
	s_waitcnt vmcnt(8) lgkmcnt(0)
	v_fma_f64 v[101:102], v[113:114], v[105:106], v[101:102]
	s_waitcnt vmcnt(6)
	v_fma_f64 v[104:105], v[115:116], v[107:108], v[101:102]
	ds_read2_b64 v[100:103], v100 offset0:97 offset1:98
	s_waitcnt vmcnt(4) lgkmcnt(0)
	v_fma_f64 v[100:101], v[117:118], v[100:101], v[104:105]
	s_waitcnt vmcnt(2)
	v_fma_f64 v[100:101], v[119:120], v[102:103], v[100:101]
	s_waitcnt vmcnt(0)
	v_add_f64 v[100:101], v[121:122], -v[100:101]
	buffer_store_dword v100, off, s[0:3], 0 offset:336
	buffer_store_dword v101, off, s[0:3], 0 offset:340
	v_cmpx_lt_u32_e32 41, v0
	s_cbranch_execz .LBB112_221
; %bb.220:
	s_clause 0x1
	buffer_load_dword v100, off, s[0:3], 0 offset:328
	buffer_load_dword v101, off, s[0:3], 0 offset:332
	v_mov_b32_e32 v102, 0
	buffer_store_dword v102, off, s[0:3], 0 offset:328
	buffer_store_dword v102, off, s[0:3], 0 offset:332
	s_waitcnt vmcnt(0)
	ds_write_b64 v99, v[100:101]
.LBB112_221:
	s_or_b32 exec_lo, exec_lo, s4
	s_waitcnt lgkmcnt(0)
	s_waitcnt_vscnt null, 0x0
	s_barrier
	buffer_gl0_inv
	s_clause 0xf
	buffer_load_dword v109, off, s[0:3], 0 offset:336
	buffer_load_dword v110, off, s[0:3], 0 offset:340
	;; [unrolled: 1-line block ×16, first 2 shown]
	v_mov_b32_e32 v100, 0
	ds_read_b128 v[101:104], v100 offset:736
	ds_read_b128 v[105:108], v100 offset:752
	s_mov_b32 s4, exec_lo
	s_waitcnt vmcnt(14) lgkmcnt(1)
	v_fma_f64 v[101:102], v[109:110], v[101:102], 0
	s_waitcnt vmcnt(12)
	v_fma_f64 v[101:102], v[111:112], v[103:104], v[101:102]
	s_waitcnt vmcnt(10) lgkmcnt(0)
	v_fma_f64 v[101:102], v[113:114], v[105:106], v[101:102]
	s_waitcnt vmcnt(8)
	v_fma_f64 v[105:106], v[115:116], v[107:108], v[101:102]
	ds_read_b128 v[101:104], v100 offset:768
	ds_read_b64 v[107:108], v100 offset:784
	s_waitcnt vmcnt(6) lgkmcnt(1)
	v_fma_f64 v[101:102], v[117:118], v[101:102], v[105:106]
	s_waitcnt vmcnt(4)
	v_fma_f64 v[101:102], v[119:120], v[103:104], v[101:102]
	s_waitcnt vmcnt(2) lgkmcnt(0)
	v_fma_f64 v[101:102], v[121:122], v[107:108], v[101:102]
	s_waitcnt vmcnt(0)
	v_add_f64 v[101:102], v[123:124], -v[101:102]
	buffer_store_dword v101, off, s[0:3], 0 offset:328
	buffer_store_dword v102, off, s[0:3], 0 offset:332
	v_cmpx_lt_u32_e32 40, v0
	s_cbranch_execz .LBB112_223
; %bb.222:
	s_clause 0x1
	buffer_load_dword v101, off, s[0:3], 0 offset:320
	buffer_load_dword v102, off, s[0:3], 0 offset:324
	buffer_store_dword v100, off, s[0:3], 0 offset:320
	buffer_store_dword v100, off, s[0:3], 0 offset:324
	s_waitcnt vmcnt(0)
	ds_write_b64 v99, v[101:102]
.LBB112_223:
	s_or_b32 exec_lo, exec_lo, s4
	s_waitcnt lgkmcnt(0)
	s_waitcnt_vscnt null, 0x0
	s_barrier
	buffer_gl0_inv
	s_clause 0x11
	buffer_load_dword v105, off, s[0:3], 0 offset:328
	buffer_load_dword v106, off, s[0:3], 0 offset:332
	;; [unrolled: 1-line block ×18, first 2 shown]
	ds_read2_b64 v[101:104], v100 offset0:91 offset1:92
	s_mov_b32 s4, exec_lo
	s_waitcnt vmcnt(16) lgkmcnt(0)
	v_fma_f64 v[101:102], v[105:106], v[101:102], 0
	s_waitcnt vmcnt(14)
	v_fma_f64 v[105:106], v[107:108], v[103:104], v[101:102]
	ds_read2_b64 v[101:104], v100 offset0:93 offset1:94
	s_waitcnt vmcnt(12) lgkmcnt(0)
	v_fma_f64 v[101:102], v[109:110], v[101:102], v[105:106]
	s_waitcnt vmcnt(10)
	v_fma_f64 v[105:106], v[111:112], v[103:104], v[101:102]
	ds_read2_b64 v[101:104], v100 offset0:95 offset1:96
	;; [unrolled: 5-line block ×3, first 2 shown]
	s_waitcnt vmcnt(4) lgkmcnt(0)
	v_fma_f64 v[100:101], v[117:118], v[100:101], v[104:105]
	s_waitcnt vmcnt(2)
	v_fma_f64 v[100:101], v[119:120], v[102:103], v[100:101]
	s_waitcnt vmcnt(0)
	v_add_f64 v[100:101], v[121:122], -v[100:101]
	buffer_store_dword v100, off, s[0:3], 0 offset:320
	buffer_store_dword v101, off, s[0:3], 0 offset:324
	v_cmpx_lt_u32_e32 39, v0
	s_cbranch_execz .LBB112_225
; %bb.224:
	s_clause 0x1
	buffer_load_dword v100, off, s[0:3], 0 offset:312
	buffer_load_dword v101, off, s[0:3], 0 offset:316
	v_mov_b32_e32 v102, 0
	buffer_store_dword v102, off, s[0:3], 0 offset:312
	buffer_store_dword v102, off, s[0:3], 0 offset:316
	s_waitcnt vmcnt(0)
	ds_write_b64 v99, v[100:101]
.LBB112_225:
	s_or_b32 exec_lo, exec_lo, s4
	s_waitcnt lgkmcnt(0)
	s_waitcnt_vscnt null, 0x0
	s_barrier
	buffer_gl0_inv
	s_clause 0x13
	buffer_load_dword v105, off, s[0:3], 0 offset:320
	buffer_load_dword v106, off, s[0:3], 0 offset:324
	;; [unrolled: 1-line block ×20, first 2 shown]
	v_mov_b32_e32 v100, 0
	s_mov_b32 s4, exec_lo
	ds_read_b128 v[101:104], v100 offset:720
	s_waitcnt vmcnt(18) lgkmcnt(0)
	v_fma_f64 v[101:102], v[105:106], v[101:102], 0
	s_waitcnt vmcnt(16)
	v_fma_f64 v[105:106], v[107:108], v[103:104], v[101:102]
	ds_read_b128 v[101:104], v100 offset:736
	s_waitcnt vmcnt(14) lgkmcnt(0)
	v_fma_f64 v[101:102], v[109:110], v[101:102], v[105:106]
	s_waitcnt vmcnt(12)
	v_fma_f64 v[105:106], v[111:112], v[103:104], v[101:102]
	;; [unrolled: 5-line block ×4, first 2 shown]
	ds_read_b64 v[103:104], v100 offset:784
	s_waitcnt vmcnt(2) lgkmcnt(0)
	v_fma_f64 v[101:102], v[121:122], v[103:104], v[101:102]
	s_waitcnt vmcnt(0)
	v_add_f64 v[101:102], v[123:124], -v[101:102]
	buffer_store_dword v101, off, s[0:3], 0 offset:312
	buffer_store_dword v102, off, s[0:3], 0 offset:316
	v_cmpx_lt_u32_e32 38, v0
	s_cbranch_execz .LBB112_227
; %bb.226:
	s_clause 0x1
	buffer_load_dword v101, off, s[0:3], 0 offset:304
	buffer_load_dword v102, off, s[0:3], 0 offset:308
	buffer_store_dword v100, off, s[0:3], 0 offset:304
	buffer_store_dword v100, off, s[0:3], 0 offset:308
	s_waitcnt vmcnt(0)
	ds_write_b64 v99, v[101:102]
.LBB112_227:
	s_or_b32 exec_lo, exec_lo, s4
	s_waitcnt lgkmcnt(0)
	s_waitcnt_vscnt null, 0x0
	s_barrier
	buffer_gl0_inv
	s_clause 0x15
	buffer_load_dword v105, off, s[0:3], 0 offset:312
	buffer_load_dword v106, off, s[0:3], 0 offset:316
	buffer_load_dword v107, off, s[0:3], 0 offset:320
	buffer_load_dword v108, off, s[0:3], 0 offset:324
	buffer_load_dword v109, off, s[0:3], 0 offset:328
	buffer_load_dword v110, off, s[0:3], 0 offset:332
	buffer_load_dword v111, off, s[0:3], 0 offset:336
	buffer_load_dword v112, off, s[0:3], 0 offset:340
	buffer_load_dword v113, off, s[0:3], 0 offset:344
	buffer_load_dword v114, off, s[0:3], 0 offset:348
	buffer_load_dword v115, off, s[0:3], 0 offset:352
	buffer_load_dword v116, off, s[0:3], 0 offset:356
	buffer_load_dword v117, off, s[0:3], 0 offset:360
	buffer_load_dword v118, off, s[0:3], 0 offset:364
	buffer_load_dword v120, off, s[0:3], 0 offset:372
	buffer_load_dword v119, off, s[0:3], 0 offset:368
	buffer_load_dword v121, off, s[0:3], 0 offset:376
	buffer_load_dword v122, off, s[0:3], 0 offset:380
	buffer_load_dword v123, off, s[0:3], 0 offset:384
	buffer_load_dword v124, off, s[0:3], 0 offset:388
	buffer_load_dword v125, off, s[0:3], 0 offset:304
	buffer_load_dword v126, off, s[0:3], 0 offset:308
	ds_read2_b64 v[101:104], v100 offset0:89 offset1:90
	s_mov_b32 s4, exec_lo
	s_waitcnt vmcnt(20) lgkmcnt(0)
	v_fma_f64 v[101:102], v[105:106], v[101:102], 0
	s_waitcnt vmcnt(18)
	v_fma_f64 v[105:106], v[107:108], v[103:104], v[101:102]
	ds_read2_b64 v[101:104], v100 offset0:91 offset1:92
	s_waitcnt vmcnt(16) lgkmcnt(0)
	v_fma_f64 v[101:102], v[109:110], v[101:102], v[105:106]
	s_waitcnt vmcnt(14)
	v_fma_f64 v[105:106], v[111:112], v[103:104], v[101:102]
	ds_read2_b64 v[101:104], v100 offset0:93 offset1:94
	;; [unrolled: 5-line block ×4, first 2 shown]
	s_waitcnt vmcnt(4) lgkmcnt(0)
	v_fma_f64 v[100:101], v[121:122], v[100:101], v[104:105]
	s_waitcnt vmcnt(2)
	v_fma_f64 v[100:101], v[123:124], v[102:103], v[100:101]
	s_waitcnt vmcnt(0)
	v_add_f64 v[100:101], v[125:126], -v[100:101]
	buffer_store_dword v100, off, s[0:3], 0 offset:304
	buffer_store_dword v101, off, s[0:3], 0 offset:308
	v_cmpx_lt_u32_e32 37, v0
	s_cbranch_execz .LBB112_229
; %bb.228:
	s_clause 0x1
	buffer_load_dword v100, off, s[0:3], 0 offset:296
	buffer_load_dword v101, off, s[0:3], 0 offset:300
	v_mov_b32_e32 v102, 0
	buffer_store_dword v102, off, s[0:3], 0 offset:296
	buffer_store_dword v102, off, s[0:3], 0 offset:300
	s_waitcnt vmcnt(0)
	ds_write_b64 v99, v[100:101]
.LBB112_229:
	s_or_b32 exec_lo, exec_lo, s4
	s_waitcnt lgkmcnt(0)
	s_waitcnt_vscnt null, 0x0
	s_barrier
	buffer_gl0_inv
	s_clause 0x17
	buffer_load_dword v109, off, s[0:3], 0 offset:304
	buffer_load_dword v110, off, s[0:3], 0 offset:308
	;; [unrolled: 1-line block ×24, first 2 shown]
	v_mov_b32_e32 v100, 0
	ds_read_b128 v[101:104], v100 offset:704
	ds_read_b128 v[105:108], v100 offset:720
	s_mov_b32 s4, exec_lo
	s_waitcnt vmcnt(22) lgkmcnt(1)
	v_fma_f64 v[101:102], v[109:110], v[101:102], 0
	s_waitcnt vmcnt(20)
	v_fma_f64 v[101:102], v[111:112], v[103:104], v[101:102]
	s_waitcnt vmcnt(18) lgkmcnt(0)
	v_fma_f64 v[101:102], v[113:114], v[105:106], v[101:102]
	s_waitcnt vmcnt(16)
	v_fma_f64 v[109:110], v[115:116], v[107:108], v[101:102]
	ds_read_b128 v[101:104], v100 offset:736
	ds_read_b128 v[105:108], v100 offset:752
	s_waitcnt vmcnt(14) lgkmcnt(1)
	v_fma_f64 v[101:102], v[117:118], v[101:102], v[109:110]
	s_waitcnt vmcnt(12)
	v_fma_f64 v[101:102], v[119:120], v[103:104], v[101:102]
	s_waitcnt vmcnt(10) lgkmcnt(0)
	v_fma_f64 v[101:102], v[121:122], v[105:106], v[101:102]
	s_waitcnt vmcnt(5)
	v_fma_f64 v[105:106], v[123:124], v[107:108], v[101:102]
	ds_read_b128 v[101:104], v100 offset:768
	ds_read_b64 v[107:108], v100 offset:784
	s_waitcnt vmcnt(4) lgkmcnt(1)
	v_fma_f64 v[101:102], v[129:130], v[101:102], v[105:106]
	s_waitcnt vmcnt(3)
	v_fma_f64 v[101:102], v[127:128], v[103:104], v[101:102]
	s_waitcnt vmcnt(2) lgkmcnt(0)
	v_fma_f64 v[101:102], v[125:126], v[107:108], v[101:102]
	s_waitcnt vmcnt(0)
	v_add_f64 v[101:102], v[131:132], -v[101:102]
	buffer_store_dword v102, off, s[0:3], 0 offset:300
	buffer_store_dword v101, off, s[0:3], 0 offset:296
	v_cmpx_lt_u32_e32 36, v0
	s_cbranch_execz .LBB112_231
; %bb.230:
	s_clause 0x1
	buffer_load_dword v101, off, s[0:3], 0 offset:288
	buffer_load_dword v102, off, s[0:3], 0 offset:292
	buffer_store_dword v100, off, s[0:3], 0 offset:288
	buffer_store_dword v100, off, s[0:3], 0 offset:292
	s_waitcnt vmcnt(0)
	ds_write_b64 v99, v[101:102]
.LBB112_231:
	s_or_b32 exec_lo, exec_lo, s4
	s_waitcnt lgkmcnt(0)
	s_waitcnt_vscnt null, 0x0
	s_barrier
	buffer_gl0_inv
	s_clause 0x19
	buffer_load_dword v109, off, s[0:3], 0 offset:296
	buffer_load_dword v110, off, s[0:3], 0 offset:300
	;; [unrolled: 1-line block ×26, first 2 shown]
	ds_read2_b64 v[101:104], v100 offset0:87 offset1:88
	ds_read2_b64 v[105:108], v100 offset0:89 offset1:90
	s_mov_b32 s4, exec_lo
	s_waitcnt vmcnt(24) lgkmcnt(1)
	v_fma_f64 v[101:102], v[109:110], v[101:102], 0
	s_waitcnt vmcnt(22)
	v_fma_f64 v[101:102], v[111:112], v[103:104], v[101:102]
	s_waitcnt vmcnt(20) lgkmcnt(0)
	v_fma_f64 v[101:102], v[113:114], v[105:106], v[101:102]
	s_waitcnt vmcnt(18)
	v_fma_f64 v[109:110], v[115:116], v[107:108], v[101:102]
	ds_read2_b64 v[101:104], v100 offset0:91 offset1:92
	ds_read2_b64 v[105:108], v100 offset0:93 offset1:94
	s_waitcnt vmcnt(16) lgkmcnt(1)
	v_fma_f64 v[101:102], v[117:118], v[101:102], v[109:110]
	s_waitcnt vmcnt(14)
	v_fma_f64 v[101:102], v[119:120], v[103:104], v[101:102]
	s_waitcnt vmcnt(12) lgkmcnt(0)
	v_fma_f64 v[101:102], v[121:122], v[105:106], v[101:102]
	s_waitcnt vmcnt(7)
	v_fma_f64 v[109:110], v[123:124], v[107:108], v[101:102]
	ds_read2_b64 v[101:104], v100 offset0:95 offset1:96
	ds_read2_b64 v[105:108], v100 offset0:97 offset1:98
	s_waitcnt vmcnt(6) lgkmcnt(1)
	v_fma_f64 v[100:101], v[129:130], v[101:102], v[109:110]
	s_waitcnt vmcnt(5)
	v_fma_f64 v[100:101], v[127:128], v[103:104], v[100:101]
	s_waitcnt vmcnt(4) lgkmcnt(0)
	v_fma_f64 v[100:101], v[125:126], v[105:106], v[100:101]
	s_waitcnt vmcnt(2)
	v_fma_f64 v[100:101], v[131:132], v[107:108], v[100:101]
	s_waitcnt vmcnt(0)
	v_add_f64 v[100:101], v[133:134], -v[100:101]
	buffer_store_dword v101, off, s[0:3], 0 offset:292
	buffer_store_dword v100, off, s[0:3], 0 offset:288
	v_cmpx_lt_u32_e32 35, v0
	s_cbranch_execz .LBB112_233
; %bb.232:
	s_clause 0x1
	buffer_load_dword v100, off, s[0:3], 0 offset:280
	buffer_load_dword v101, off, s[0:3], 0 offset:284
	v_mov_b32_e32 v102, 0
	buffer_store_dword v102, off, s[0:3], 0 offset:280
	buffer_store_dword v102, off, s[0:3], 0 offset:284
	s_waitcnt vmcnt(0)
	ds_write_b64 v99, v[100:101]
.LBB112_233:
	s_or_b32 exec_lo, exec_lo, s4
	s_waitcnt lgkmcnt(0)
	s_waitcnt_vscnt null, 0x0
	s_barrier
	buffer_gl0_inv
	s_clause 0x1b
	buffer_load_dword v109, off, s[0:3], 0 offset:288
	buffer_load_dword v110, off, s[0:3], 0 offset:292
	;; [unrolled: 1-line block ×28, first 2 shown]
	v_mov_b32_e32 v100, 0
	ds_read_b128 v[101:104], v100 offset:688
	ds_read_b128 v[105:108], v100 offset:704
	s_mov_b32 s4, exec_lo
	s_waitcnt vmcnt(26) lgkmcnt(1)
	v_fma_f64 v[101:102], v[109:110], v[101:102], 0
	s_waitcnt vmcnt(24)
	v_fma_f64 v[101:102], v[111:112], v[103:104], v[101:102]
	s_waitcnt vmcnt(22) lgkmcnt(0)
	v_fma_f64 v[101:102], v[113:114], v[105:106], v[101:102]
	s_waitcnt vmcnt(20)
	v_fma_f64 v[109:110], v[115:116], v[107:108], v[101:102]
	ds_read_b128 v[101:104], v100 offset:720
	ds_read_b128 v[105:108], v100 offset:736
	s_waitcnt vmcnt(18) lgkmcnt(1)
	v_fma_f64 v[101:102], v[117:118], v[101:102], v[109:110]
	s_waitcnt vmcnt(16)
	v_fma_f64 v[101:102], v[119:120], v[103:104], v[101:102]
	s_waitcnt vmcnt(14) lgkmcnt(0)
	v_fma_f64 v[101:102], v[121:122], v[105:106], v[101:102]
	s_waitcnt vmcnt(9)
	v_fma_f64 v[109:110], v[123:124], v[107:108], v[101:102]
	ds_read_b128 v[101:104], v100 offset:752
	ds_read_b128 v[105:108], v100 offset:768
	s_waitcnt vmcnt(8) lgkmcnt(1)
	v_fma_f64 v[101:102], v[129:130], v[101:102], v[109:110]
	s_waitcnt vmcnt(7)
	v_fma_f64 v[101:102], v[127:128], v[103:104], v[101:102]
	ds_read_b64 v[103:104], v100 offset:784
	s_waitcnt vmcnt(6) lgkmcnt(1)
	v_fma_f64 v[101:102], v[125:126], v[105:106], v[101:102]
	s_waitcnt vmcnt(3)
	v_fma_f64 v[101:102], v[131:132], v[107:108], v[101:102]
	s_waitcnt vmcnt(2) lgkmcnt(0)
	v_fma_f64 v[101:102], v[133:134], v[103:104], v[101:102]
	s_waitcnt vmcnt(0)
	v_add_f64 v[101:102], v[135:136], -v[101:102]
	buffer_store_dword v102, off, s[0:3], 0 offset:284
	buffer_store_dword v101, off, s[0:3], 0 offset:280
	v_cmpx_lt_u32_e32 34, v0
	s_cbranch_execz .LBB112_235
; %bb.234:
	s_clause 0x1
	buffer_load_dword v101, off, s[0:3], 0 offset:272
	buffer_load_dword v102, off, s[0:3], 0 offset:276
	buffer_store_dword v100, off, s[0:3], 0 offset:272
	buffer_store_dword v100, off, s[0:3], 0 offset:276
	s_waitcnt vmcnt(0)
	ds_write_b64 v99, v[101:102]
.LBB112_235:
	s_or_b32 exec_lo, exec_lo, s4
	s_waitcnt lgkmcnt(0)
	s_waitcnt_vscnt null, 0x0
	s_barrier
	buffer_gl0_inv
	s_clause 0x1b
	buffer_load_dword v109, off, s[0:3], 0 offset:280
	buffer_load_dword v110, off, s[0:3], 0 offset:284
	;; [unrolled: 1-line block ×28, first 2 shown]
	ds_read2_b64 v[101:104], v100 offset0:85 offset1:86
	s_clause 0x1
	buffer_load_dword v137, off, s[0:3], 0 offset:272
	buffer_load_dword v138, off, s[0:3], 0 offset:276
	ds_read2_b64 v[105:108], v100 offset0:87 offset1:88
	s_mov_b32 s4, exec_lo
	s_waitcnt vmcnt(28) lgkmcnt(1)
	v_fma_f64 v[101:102], v[109:110], v[101:102], 0
	s_waitcnt vmcnt(26)
	v_fma_f64 v[101:102], v[111:112], v[103:104], v[101:102]
	s_waitcnt vmcnt(24) lgkmcnt(0)
	v_fma_f64 v[101:102], v[113:114], v[105:106], v[101:102]
	s_waitcnt vmcnt(22)
	v_fma_f64 v[109:110], v[115:116], v[107:108], v[101:102]
	ds_read2_b64 v[101:104], v100 offset0:89 offset1:90
	ds_read2_b64 v[105:108], v100 offset0:91 offset1:92
	s_waitcnt vmcnt(20) lgkmcnt(1)
	v_fma_f64 v[101:102], v[117:118], v[101:102], v[109:110]
	s_waitcnt vmcnt(18)
	v_fma_f64 v[101:102], v[119:120], v[103:104], v[101:102]
	s_waitcnt vmcnt(16) lgkmcnt(0)
	v_fma_f64 v[101:102], v[121:122], v[105:106], v[101:102]
	s_waitcnt vmcnt(11)
	v_fma_f64 v[109:110], v[123:124], v[107:108], v[101:102]
	ds_read2_b64 v[101:104], v100 offset0:93 offset1:94
	ds_read2_b64 v[105:108], v100 offset0:95 offset1:96
	s_waitcnt vmcnt(10) lgkmcnt(1)
	v_fma_f64 v[101:102], v[129:130], v[101:102], v[109:110]
	s_waitcnt vmcnt(9)
	v_fma_f64 v[101:102], v[127:128], v[103:104], v[101:102]
	s_waitcnt vmcnt(8) lgkmcnt(0)
	v_fma_f64 v[101:102], v[125:126], v[105:106], v[101:102]
	s_waitcnt vmcnt(4)
	v_fma_f64 v[104:105], v[131:132], v[107:108], v[101:102]
	ds_read2_b64 v[100:103], v100 offset0:97 offset1:98
	s_waitcnt vmcnt(3) lgkmcnt(0)
	v_fma_f64 v[100:101], v[135:136], v[100:101], v[104:105]
	s_waitcnt vmcnt(2)
	v_fma_f64 v[100:101], v[133:134], v[102:103], v[100:101]
	s_waitcnt vmcnt(0)
	v_add_f64 v[100:101], v[137:138], -v[100:101]
	buffer_store_dword v101, off, s[0:3], 0 offset:276
	buffer_store_dword v100, off, s[0:3], 0 offset:272
	v_cmpx_lt_u32_e32 33, v0
	s_cbranch_execz .LBB112_237
; %bb.236:
	s_clause 0x1
	buffer_load_dword v100, off, s[0:3], 0 offset:264
	buffer_load_dword v101, off, s[0:3], 0 offset:268
	v_mov_b32_e32 v102, 0
	buffer_store_dword v102, off, s[0:3], 0 offset:264
	buffer_store_dword v102, off, s[0:3], 0 offset:268
	s_waitcnt vmcnt(0)
	ds_write_b64 v99, v[100:101]
.LBB112_237:
	s_or_b32 exec_lo, exec_lo, s4
	s_waitcnt lgkmcnt(0)
	s_waitcnt_vscnt null, 0x0
	s_barrier
	buffer_gl0_inv
	s_clause 0x1c
	buffer_load_dword v109, off, s[0:3], 0 offset:272
	buffer_load_dword v110, off, s[0:3], 0 offset:276
	;; [unrolled: 1-line block ×29, first 2 shown]
	v_mov_b32_e32 v100, 0
	buffer_load_dword v134, off, s[0:3], 0 offset:388
	s_mov_b32 s4, exec_lo
	ds_read_b128 v[101:104], v100 offset:672
	ds_read_b128 v[105:108], v100 offset:688
	s_waitcnt vmcnt(28) lgkmcnt(1)
	v_fma_f64 v[101:102], v[109:110], v[101:102], 0
	s_clause 0x1
	buffer_load_dword v109, off, s[0:3], 0 offset:264
	buffer_load_dword v110, off, s[0:3], 0 offset:268
	s_waitcnt vmcnt(28)
	v_fma_f64 v[101:102], v[111:112], v[103:104], v[101:102]
	s_waitcnt vmcnt(26) lgkmcnt(0)
	v_fma_f64 v[101:102], v[113:114], v[105:106], v[101:102]
	s_waitcnt vmcnt(24)
	v_fma_f64 v[111:112], v[115:116], v[107:108], v[101:102]
	ds_read_b128 v[101:104], v100 offset:704
	ds_read_b128 v[105:108], v100 offset:720
	s_waitcnt vmcnt(22) lgkmcnt(1)
	v_fma_f64 v[101:102], v[117:118], v[101:102], v[111:112]
	s_waitcnt vmcnt(20)
	v_fma_f64 v[101:102], v[119:120], v[103:104], v[101:102]
	s_waitcnt vmcnt(18) lgkmcnt(0)
	v_fma_f64 v[101:102], v[121:122], v[105:106], v[101:102]
	s_waitcnt vmcnt(13)
	v_fma_f64 v[111:112], v[123:124], v[107:108], v[101:102]
	ds_read_b128 v[101:104], v100 offset:736
	ds_read_b128 v[105:108], v100 offset:752
	s_waitcnt vmcnt(12) lgkmcnt(1)
	v_fma_f64 v[101:102], v[129:130], v[101:102], v[111:112]
	s_waitcnt vmcnt(11)
	v_fma_f64 v[101:102], v[127:128], v[103:104], v[101:102]
	s_waitcnt vmcnt(10) lgkmcnt(0)
	v_fma_f64 v[101:102], v[125:126], v[105:106], v[101:102]
	s_waitcnt vmcnt(5)
	v_fma_f64 v[105:106], v[131:132], v[107:108], v[101:102]
	ds_read_b128 v[101:104], v100 offset:768
	ds_read_b64 v[107:108], v100 offset:784
	s_waitcnt vmcnt(4) lgkmcnt(1)
	v_fma_f64 v[101:102], v[137:138], v[101:102], v[105:106]
	s_waitcnt vmcnt(3)
	v_fma_f64 v[101:102], v[135:136], v[103:104], v[101:102]
	s_waitcnt vmcnt(2) lgkmcnt(0)
	v_fma_f64 v[101:102], v[133:134], v[107:108], v[101:102]
	s_waitcnt vmcnt(0)
	v_add_f64 v[101:102], v[109:110], -v[101:102]
	buffer_store_dword v102, off, s[0:3], 0 offset:268
	buffer_store_dword v101, off, s[0:3], 0 offset:264
	v_cmpx_lt_u32_e32 32, v0
	s_cbranch_execz .LBB112_239
; %bb.238:
	s_clause 0x1
	buffer_load_dword v101, off, s[0:3], 0 offset:256
	buffer_load_dword v102, off, s[0:3], 0 offset:260
	buffer_store_dword v100, off, s[0:3], 0 offset:256
	buffer_store_dword v100, off, s[0:3], 0 offset:260
	s_waitcnt vmcnt(0)
	ds_write_b64 v99, v[101:102]
.LBB112_239:
	s_or_b32 exec_lo, exec_lo, s4
	s_waitcnt lgkmcnt(0)
	s_waitcnt_vscnt null, 0x0
	s_barrier
	buffer_gl0_inv
	s_clause 0x1c
	buffer_load_dword v109, off, s[0:3], 0 offset:264
	buffer_load_dword v110, off, s[0:3], 0 offset:268
	;; [unrolled: 1-line block ×29, first 2 shown]
	ds_read2_b64 v[101:104], v100 offset0:83 offset1:84
	ds_read2_b64 v[105:108], v100 offset0:85 offset1:86
	buffer_load_dword v134, off, s[0:3], 0 offset:380
	s_mov_b32 s4, exec_lo
	s_waitcnt vmcnt(28) lgkmcnt(1)
	v_fma_f64 v[101:102], v[109:110], v[101:102], 0
	s_clause 0x1
	buffer_load_dword v110, off, s[0:3], 0 offset:388
	buffer_load_dword v109, off, s[0:3], 0 offset:384
	s_waitcnt vmcnt(28)
	v_fma_f64 v[101:102], v[111:112], v[103:104], v[101:102]
	s_clause 0x1
	buffer_load_dword v111, off, s[0:3], 0 offset:256
	buffer_load_dword v112, off, s[0:3], 0 offset:260
	s_waitcnt vmcnt(28) lgkmcnt(0)
	v_fma_f64 v[101:102], v[113:114], v[105:106], v[101:102]
	s_waitcnt vmcnt(26)
	v_fma_f64 v[113:114], v[115:116], v[107:108], v[101:102]
	ds_read2_b64 v[101:104], v100 offset0:87 offset1:88
	ds_read2_b64 v[105:108], v100 offset0:89 offset1:90
	s_waitcnt vmcnt(24) lgkmcnt(1)
	v_fma_f64 v[101:102], v[117:118], v[101:102], v[113:114]
	s_waitcnt vmcnt(22)
	v_fma_f64 v[101:102], v[119:120], v[103:104], v[101:102]
	s_waitcnt vmcnt(20) lgkmcnt(0)
	v_fma_f64 v[101:102], v[121:122], v[105:106], v[101:102]
	s_waitcnt vmcnt(15)
	v_fma_f64 v[113:114], v[123:124], v[107:108], v[101:102]
	ds_read2_b64 v[101:104], v100 offset0:91 offset1:92
	ds_read2_b64 v[105:108], v100 offset0:93 offset1:94
	s_waitcnt vmcnt(14) lgkmcnt(1)
	v_fma_f64 v[101:102], v[129:130], v[101:102], v[113:114]
	s_waitcnt vmcnt(13)
	v_fma_f64 v[101:102], v[127:128], v[103:104], v[101:102]
	;; [unrolled: 10-line block ×3, first 2 shown]
	s_waitcnt vmcnt(4) lgkmcnt(0)
	v_fma_f64 v[100:101], v[133:134], v[105:106], v[100:101]
	s_waitcnt vmcnt(2)
	v_fma_f64 v[100:101], v[109:110], v[107:108], v[100:101]
	s_waitcnt vmcnt(0)
	v_add_f64 v[100:101], v[111:112], -v[100:101]
	buffer_store_dword v101, off, s[0:3], 0 offset:260
	buffer_store_dword v100, off, s[0:3], 0 offset:256
	v_cmpx_lt_u32_e32 31, v0
	s_cbranch_execz .LBB112_241
; %bb.240:
	s_clause 0x1
	buffer_load_dword v100, off, s[0:3], 0 offset:248
	buffer_load_dword v101, off, s[0:3], 0 offset:252
	v_mov_b32_e32 v102, 0
	buffer_store_dword v102, off, s[0:3], 0 offset:248
	buffer_store_dword v102, off, s[0:3], 0 offset:252
	s_waitcnt vmcnt(0)
	ds_write_b64 v99, v[100:101]
.LBB112_241:
	s_or_b32 exec_lo, exec_lo, s4
	s_waitcnt lgkmcnt(0)
	s_waitcnt_vscnt null, 0x0
	s_barrier
	buffer_gl0_inv
	s_clause 0x1c
	buffer_load_dword v109, off, s[0:3], 0 offset:256
	buffer_load_dword v110, off, s[0:3], 0 offset:260
	;; [unrolled: 1-line block ×29, first 2 shown]
	v_mov_b32_e32 v100, 0
	buffer_load_dword v134, off, s[0:3], 0 offset:372
	s_mov_b32 s4, exec_lo
	ds_read_b128 v[101:104], v100 offset:656
	ds_read_b128 v[105:108], v100 offset:672
	s_waitcnt vmcnt(28) lgkmcnt(1)
	v_fma_f64 v[101:102], v[109:110], v[101:102], 0
	s_clause 0x3
	buffer_load_dword v110, off, s[0:3], 0 offset:380
	buffer_load_dword v139, off, s[0:3], 0 offset:384
	;; [unrolled: 1-line block ×4, first 2 shown]
	s_waitcnt vmcnt(30)
	v_fma_f64 v[101:102], v[111:112], v[103:104], v[101:102]
	s_clause 0x1
	buffer_load_dword v111, off, s[0:3], 0 offset:248
	buffer_load_dword v112, off, s[0:3], 0 offset:252
	s_waitcnt vmcnt(30) lgkmcnt(0)
	v_fma_f64 v[101:102], v[113:114], v[105:106], v[101:102]
	s_waitcnt vmcnt(28)
	v_fma_f64 v[113:114], v[115:116], v[107:108], v[101:102]
	ds_read_b128 v[101:104], v100 offset:688
	ds_read_b128 v[105:108], v100 offset:704
	s_waitcnt vmcnt(26) lgkmcnt(1)
	v_fma_f64 v[101:102], v[117:118], v[101:102], v[113:114]
	s_waitcnt vmcnt(24)
	v_fma_f64 v[101:102], v[119:120], v[103:104], v[101:102]
	s_waitcnt vmcnt(22) lgkmcnt(0)
	v_fma_f64 v[101:102], v[121:122], v[105:106], v[101:102]
	s_waitcnt vmcnt(17)
	v_fma_f64 v[113:114], v[123:124], v[107:108], v[101:102]
	ds_read_b128 v[101:104], v100 offset:720
	ds_read_b128 v[105:108], v100 offset:736
	s_waitcnt vmcnt(16) lgkmcnt(1)
	v_fma_f64 v[101:102], v[129:130], v[101:102], v[113:114]
	s_waitcnt vmcnt(15)
	v_fma_f64 v[101:102], v[127:128], v[103:104], v[101:102]
	;; [unrolled: 10-line block ×3, first 2 shown]
	ds_read_b64 v[103:104], v100 offset:784
	s_waitcnt vmcnt(6) lgkmcnt(1)
	v_fma_f64 v[101:102], v[133:134], v[105:106], v[101:102]
	s_waitcnt vmcnt(3)
	v_fma_f64 v[101:102], v[109:110], v[107:108], v[101:102]
	s_waitcnt vmcnt(2) lgkmcnt(0)
	v_fma_f64 v[101:102], v[139:140], v[103:104], v[101:102]
	s_waitcnt vmcnt(0)
	v_add_f64 v[101:102], v[111:112], -v[101:102]
	buffer_store_dword v102, off, s[0:3], 0 offset:252
	buffer_store_dword v101, off, s[0:3], 0 offset:248
	v_cmpx_lt_u32_e32 30, v0
	s_cbranch_execz .LBB112_243
; %bb.242:
	s_clause 0x1
	buffer_load_dword v101, off, s[0:3], 0 offset:240
	buffer_load_dword v102, off, s[0:3], 0 offset:244
	buffer_store_dword v100, off, s[0:3], 0 offset:240
	buffer_store_dword v100, off, s[0:3], 0 offset:244
	s_waitcnt vmcnt(0)
	ds_write_b64 v99, v[101:102]
.LBB112_243:
	s_or_b32 exec_lo, exec_lo, s4
	s_waitcnt lgkmcnt(0)
	s_waitcnt_vscnt null, 0x0
	s_barrier
	buffer_gl0_inv
	s_clause 0x1c
	buffer_load_dword v109, off, s[0:3], 0 offset:248
	buffer_load_dword v110, off, s[0:3], 0 offset:252
	;; [unrolled: 1-line block ×29, first 2 shown]
	ds_read2_b64 v[101:104], v100 offset0:81 offset1:82
	ds_read2_b64 v[105:108], v100 offset0:83 offset1:84
	buffer_load_dword v134, off, s[0:3], 0 offset:364
	s_mov_b32 s4, exec_lo
	s_waitcnt vmcnt(28) lgkmcnt(1)
	v_fma_f64 v[101:102], v[109:110], v[101:102], 0
	s_clause 0x5
	buffer_load_dword v110, off, s[0:3], 0 offset:372
	buffer_load_dword v139, off, s[0:3], 0 offset:384
	;; [unrolled: 1-line block ×6, first 2 shown]
	s_waitcnt vmcnt(32)
	v_fma_f64 v[101:102], v[111:112], v[103:104], v[101:102]
	s_waitcnt vmcnt(30) lgkmcnt(0)
	v_fma_f64 v[101:102], v[113:114], v[105:106], v[101:102]
	s_waitcnt vmcnt(28)
	v_fma_f64 v[111:112], v[115:116], v[107:108], v[101:102]
	ds_read2_b64 v[101:104], v100 offset0:85 offset1:86
	s_clause 0x1
	buffer_load_dword v113, off, s[0:3], 0 offset:240
	buffer_load_dword v114, off, s[0:3], 0 offset:244
	ds_read2_b64 v[105:108], v100 offset0:87 offset1:88
	s_waitcnt vmcnt(28) lgkmcnt(1)
	v_fma_f64 v[101:102], v[117:118], v[101:102], v[111:112]
	s_waitcnt vmcnt(26)
	v_fma_f64 v[101:102], v[119:120], v[103:104], v[101:102]
	s_waitcnt vmcnt(24) lgkmcnt(0)
	v_fma_f64 v[101:102], v[121:122], v[105:106], v[101:102]
	s_waitcnt vmcnt(19)
	v_fma_f64 v[111:112], v[123:124], v[107:108], v[101:102]
	ds_read2_b64 v[101:104], v100 offset0:89 offset1:90
	ds_read2_b64 v[105:108], v100 offset0:91 offset1:92
	s_waitcnt vmcnt(18) lgkmcnt(1)
	v_fma_f64 v[101:102], v[129:130], v[101:102], v[111:112]
	s_waitcnt vmcnt(17)
	v_fma_f64 v[101:102], v[127:128], v[103:104], v[101:102]
	s_waitcnt vmcnt(16) lgkmcnt(0)
	v_fma_f64 v[101:102], v[125:126], v[105:106], v[101:102]
	s_waitcnt vmcnt(11)
	v_fma_f64 v[111:112], v[131:132], v[107:108], v[101:102]
	ds_read2_b64 v[101:104], v100 offset0:93 offset1:94
	;; [unrolled: 10-line block ×3, first 2 shown]
	s_waitcnt vmcnt(3) lgkmcnt(0)
	v_fma_f64 v[100:101], v[141:142], v[100:101], v[104:105]
	s_waitcnt vmcnt(2)
	v_fma_f64 v[100:101], v[139:140], v[102:103], v[100:101]
	s_waitcnt vmcnt(0)
	v_add_f64 v[100:101], v[113:114], -v[100:101]
	buffer_store_dword v101, off, s[0:3], 0 offset:244
	buffer_store_dword v100, off, s[0:3], 0 offset:240
	v_cmpx_lt_u32_e32 29, v0
	s_cbranch_execz .LBB112_245
; %bb.244:
	s_clause 0x1
	buffer_load_dword v100, off, s[0:3], 0 offset:232
	buffer_load_dword v101, off, s[0:3], 0 offset:236
	v_mov_b32_e32 v102, 0
	buffer_store_dword v102, off, s[0:3], 0 offset:232
	buffer_store_dword v102, off, s[0:3], 0 offset:236
	s_waitcnt vmcnt(0)
	ds_write_b64 v99, v[100:101]
.LBB112_245:
	s_or_b32 exec_lo, exec_lo, s4
	s_waitcnt lgkmcnt(0)
	s_waitcnt_vscnt null, 0x0
	s_barrier
	buffer_gl0_inv
	s_clause 0x1c
	buffer_load_dword v109, off, s[0:3], 0 offset:240
	buffer_load_dword v110, off, s[0:3], 0 offset:244
	;; [unrolled: 1-line block ×29, first 2 shown]
	v_mov_b32_e32 v100, 0
	buffer_load_dword v134, off, s[0:3], 0 offset:356
	s_mov_b32 s4, exec_lo
	ds_read_b128 v[101:104], v100 offset:640
	ds_read_b128 v[105:108], v100 offset:656
	s_waitcnt vmcnt(28) lgkmcnt(1)
	v_fma_f64 v[101:102], v[109:110], v[101:102], 0
	s_clause 0x7
	buffer_load_dword v110, off, s[0:3], 0 offset:364
	buffer_load_dword v139, off, s[0:3], 0 offset:384
	;; [unrolled: 1-line block ×8, first 2 shown]
	s_waitcnt vmcnt(34)
	v_fma_f64 v[101:102], v[111:112], v[103:104], v[101:102]
	s_waitcnt vmcnt(32) lgkmcnt(0)
	v_fma_f64 v[101:102], v[113:114], v[105:106], v[101:102]
	s_waitcnt vmcnt(30)
	v_fma_f64 v[111:112], v[115:116], v[107:108], v[101:102]
	ds_read_b128 v[101:104], v100 offset:672
	ds_read_b128 v[105:108], v100 offset:688
	s_waitcnt vmcnt(28) lgkmcnt(1)
	v_fma_f64 v[101:102], v[117:118], v[101:102], v[111:112]
	s_clause 0x1
	buffer_load_dword v111, off, s[0:3], 0 offset:232
	buffer_load_dword v112, off, s[0:3], 0 offset:236
	s_waitcnt vmcnt(28)
	v_fma_f64 v[101:102], v[119:120], v[103:104], v[101:102]
	s_waitcnt vmcnt(26) lgkmcnt(0)
	v_fma_f64 v[101:102], v[121:122], v[105:106], v[101:102]
	s_waitcnt vmcnt(21)
	v_fma_f64 v[113:114], v[123:124], v[107:108], v[101:102]
	ds_read_b128 v[101:104], v100 offset:704
	ds_read_b128 v[105:108], v100 offset:720
	s_waitcnt vmcnt(20) lgkmcnt(1)
	v_fma_f64 v[101:102], v[129:130], v[101:102], v[113:114]
	s_waitcnt vmcnt(19)
	v_fma_f64 v[101:102], v[127:128], v[103:104], v[101:102]
	s_waitcnt vmcnt(18) lgkmcnt(0)
	v_fma_f64 v[101:102], v[125:126], v[105:106], v[101:102]
	s_waitcnt vmcnt(13)
	v_fma_f64 v[113:114], v[131:132], v[107:108], v[101:102]
	ds_read_b128 v[101:104], v100 offset:736
	ds_read_b128 v[105:108], v100 offset:752
	s_waitcnt vmcnt(12) lgkmcnt(1)
	v_fma_f64 v[101:102], v[137:138], v[101:102], v[113:114]
	s_waitcnt vmcnt(11)
	v_fma_f64 v[101:102], v[135:136], v[103:104], v[101:102]
	s_waitcnt vmcnt(10) lgkmcnt(0)
	v_fma_f64 v[101:102], v[133:134], v[105:106], v[101:102]
	s_waitcnt vmcnt(5)
	v_fma_f64 v[105:106], v[109:110], v[107:108], v[101:102]
	ds_read_b128 v[101:104], v100 offset:768
	ds_read_b64 v[107:108], v100 offset:784
	s_waitcnt vmcnt(4) lgkmcnt(1)
	v_fma_f64 v[101:102], v[143:144], v[101:102], v[105:106]
	s_waitcnt vmcnt(3)
	v_fma_f64 v[101:102], v[141:142], v[103:104], v[101:102]
	s_waitcnt vmcnt(2) lgkmcnt(0)
	v_fma_f64 v[101:102], v[139:140], v[107:108], v[101:102]
	s_waitcnt vmcnt(0)
	v_add_f64 v[101:102], v[111:112], -v[101:102]
	buffer_store_dword v102, off, s[0:3], 0 offset:236
	buffer_store_dword v101, off, s[0:3], 0 offset:232
	v_cmpx_lt_u32_e32 28, v0
	s_cbranch_execz .LBB112_247
; %bb.246:
	s_clause 0x1
	buffer_load_dword v101, off, s[0:3], 0 offset:224
	buffer_load_dword v102, off, s[0:3], 0 offset:228
	buffer_store_dword v100, off, s[0:3], 0 offset:224
	buffer_store_dword v100, off, s[0:3], 0 offset:228
	s_waitcnt vmcnt(0)
	ds_write_b64 v99, v[101:102]
.LBB112_247:
	s_or_b32 exec_lo, exec_lo, s4
	s_waitcnt lgkmcnt(0)
	s_waitcnt_vscnt null, 0x0
	s_barrier
	buffer_gl0_inv
	s_clause 0x1c
	buffer_load_dword v109, off, s[0:3], 0 offset:232
	buffer_load_dword v110, off, s[0:3], 0 offset:236
	buffer_load_dword v111, off, s[0:3], 0 offset:240
	buffer_load_dword v112, off, s[0:3], 0 offset:244
	buffer_load_dword v113, off, s[0:3], 0 offset:248
	buffer_load_dword v114, off, s[0:3], 0 offset:252
	buffer_load_dword v115, off, s[0:3], 0 offset:256
	buffer_load_dword v116, off, s[0:3], 0 offset:260
	buffer_load_dword v117, off, s[0:3], 0 offset:264
	buffer_load_dword v118, off, s[0:3], 0 offset:268
	buffer_load_dword v119, off, s[0:3], 0 offset:272
	buffer_load_dword v120, off, s[0:3], 0 offset:276
	buffer_load_dword v121, off, s[0:3], 0 offset:280
	buffer_load_dword v122, off, s[0:3], 0 offset:284
	buffer_load_dword v124, off, s[0:3], 0 offset:292
	buffer_load_dword v125, off, s[0:3], 0 offset:312
	buffer_load_dword v127, off, s[0:3], 0 offset:304
	buffer_load_dword v129, off, s[0:3], 0 offset:296
	buffer_load_dword v123, off, s[0:3], 0 offset:288
	buffer_load_dword v130, off, s[0:3], 0 offset:300
	buffer_load_dword v128, off, s[0:3], 0 offset:308
	buffer_load_dword v126, off, s[0:3], 0 offset:316
	buffer_load_dword v132, off, s[0:3], 0 offset:324
	buffer_load_dword v133, off, s[0:3], 0 offset:344
	buffer_load_dword v135, off, s[0:3], 0 offset:336
	buffer_load_dword v137, off, s[0:3], 0 offset:328
	buffer_load_dword v131, off, s[0:3], 0 offset:320
	buffer_load_dword v138, off, s[0:3], 0 offset:332
	buffer_load_dword v136, off, s[0:3], 0 offset:340
	ds_read2_b64 v[101:104], v100 offset0:79 offset1:80
	ds_read2_b64 v[105:108], v100 offset0:81 offset1:82
	buffer_load_dword v134, off, s[0:3], 0 offset:348
	s_mov_b32 s4, exec_lo
	s_waitcnt vmcnt(28) lgkmcnt(1)
	v_fma_f64 v[101:102], v[109:110], v[101:102], 0
	s_clause 0x7
	buffer_load_dword v110, off, s[0:3], 0 offset:356
	buffer_load_dword v139, off, s[0:3], 0 offset:376
	;; [unrolled: 1-line block ×8, first 2 shown]
	s_waitcnt vmcnt(34)
	v_fma_f64 v[101:102], v[111:112], v[103:104], v[101:102]
	s_waitcnt vmcnt(32) lgkmcnt(0)
	v_fma_f64 v[101:102], v[113:114], v[105:106], v[101:102]
	s_waitcnt vmcnt(30)
	v_fma_f64 v[111:112], v[115:116], v[107:108], v[101:102]
	ds_read2_b64 v[101:104], v100 offset0:83 offset1:84
	ds_read2_b64 v[105:108], v100 offset0:85 offset1:86
	s_waitcnt vmcnt(28) lgkmcnt(1)
	v_fma_f64 v[101:102], v[117:118], v[101:102], v[111:112]
	s_clause 0x3
	buffer_load_dword v112, off, s[0:3], 0 offset:388
	buffer_load_dword v111, off, s[0:3], 0 offset:384
	;; [unrolled: 1-line block ×4, first 2 shown]
	s_waitcnt vmcnt(30)
	v_fma_f64 v[101:102], v[119:120], v[103:104], v[101:102]
	s_waitcnt vmcnt(28) lgkmcnt(0)
	v_fma_f64 v[101:102], v[121:122], v[105:106], v[101:102]
	s_waitcnt vmcnt(23)
	v_fma_f64 v[115:116], v[123:124], v[107:108], v[101:102]
	ds_read2_b64 v[101:104], v100 offset0:87 offset1:88
	ds_read2_b64 v[105:108], v100 offset0:89 offset1:90
	s_waitcnt vmcnt(22) lgkmcnt(1)
	v_fma_f64 v[101:102], v[129:130], v[101:102], v[115:116]
	s_waitcnt vmcnt(21)
	v_fma_f64 v[101:102], v[127:128], v[103:104], v[101:102]
	s_waitcnt vmcnt(20) lgkmcnt(0)
	v_fma_f64 v[101:102], v[125:126], v[105:106], v[101:102]
	s_waitcnt vmcnt(15)
	v_fma_f64 v[115:116], v[131:132], v[107:108], v[101:102]
	ds_read2_b64 v[101:104], v100 offset0:91 offset1:92
	ds_read2_b64 v[105:108], v100 offset0:93 offset1:94
	s_waitcnt vmcnt(14) lgkmcnt(1)
	v_fma_f64 v[101:102], v[137:138], v[101:102], v[115:116]
	;; [unrolled: 10-line block ×3, first 2 shown]
	s_waitcnt vmcnt(5)
	v_fma_f64 v[100:101], v[141:142], v[103:104], v[100:101]
	s_waitcnt vmcnt(4) lgkmcnt(0)
	v_fma_f64 v[100:101], v[139:140], v[105:106], v[100:101]
	s_waitcnt vmcnt(2)
	v_fma_f64 v[100:101], v[111:112], v[107:108], v[100:101]
	s_waitcnt vmcnt(0)
	v_add_f64 v[100:101], v[113:114], -v[100:101]
	buffer_store_dword v101, off, s[0:3], 0 offset:228
	buffer_store_dword v100, off, s[0:3], 0 offset:224
	v_cmpx_lt_u32_e32 27, v0
	s_cbranch_execz .LBB112_249
; %bb.248:
	s_clause 0x1
	buffer_load_dword v100, off, s[0:3], 0 offset:216
	buffer_load_dword v101, off, s[0:3], 0 offset:220
	v_mov_b32_e32 v102, 0
	buffer_store_dword v102, off, s[0:3], 0 offset:216
	buffer_store_dword v102, off, s[0:3], 0 offset:220
	s_waitcnt vmcnt(0)
	ds_write_b64 v99, v[100:101]
.LBB112_249:
	s_or_b32 exec_lo, exec_lo, s4
	s_waitcnt lgkmcnt(0)
	s_waitcnt_vscnt null, 0x0
	s_barrier
	buffer_gl0_inv
	s_clause 0x1c
	buffer_load_dword v109, off, s[0:3], 0 offset:224
	buffer_load_dword v110, off, s[0:3], 0 offset:228
	;; [unrolled: 1-line block ×29, first 2 shown]
	v_mov_b32_e32 v100, 0
	buffer_load_dword v134, off, s[0:3], 0 offset:340
	s_mov_b32 s4, exec_lo
	ds_read_b128 v[101:104], v100 offset:624
	ds_read_b128 v[105:108], v100 offset:640
	s_waitcnt vmcnt(28) lgkmcnt(1)
	v_fma_f64 v[101:102], v[109:110], v[101:102], 0
	s_clause 0x7
	buffer_load_dword v110, off, s[0:3], 0 offset:348
	buffer_load_dword v139, off, s[0:3], 0 offset:368
	;; [unrolled: 1-line block ×8, first 2 shown]
	s_waitcnt vmcnt(34)
	v_fma_f64 v[101:102], v[111:112], v[103:104], v[101:102]
	s_waitcnt vmcnt(32) lgkmcnt(0)
	v_fma_f64 v[101:102], v[113:114], v[105:106], v[101:102]
	s_waitcnt vmcnt(30)
	v_fma_f64 v[111:112], v[115:116], v[107:108], v[101:102]
	ds_read_b128 v[101:104], v100 offset:656
	ds_read_b128 v[105:108], v100 offset:672
	s_waitcnt vmcnt(28) lgkmcnt(1)
	v_fma_f64 v[101:102], v[117:118], v[101:102], v[111:112]
	s_clause 0x5
	buffer_load_dword v112, off, s[0:3], 0 offset:380
	buffer_load_dword v113, off, s[0:3], 0 offset:384
	buffer_load_dword v111, off, s[0:3], 0 offset:376
	buffer_load_dword v114, off, s[0:3], 0 offset:388
	buffer_load_dword v115, off, s[0:3], 0 offset:216
	buffer_load_dword v116, off, s[0:3], 0 offset:220
	s_waitcnt vmcnt(32)
	v_fma_f64 v[101:102], v[119:120], v[103:104], v[101:102]
	s_waitcnt vmcnt(30) lgkmcnt(0)
	v_fma_f64 v[101:102], v[121:122], v[105:106], v[101:102]
	s_waitcnt vmcnt(25)
	v_fma_f64 v[117:118], v[123:124], v[107:108], v[101:102]
	ds_read_b128 v[101:104], v100 offset:688
	ds_read_b128 v[105:108], v100 offset:704
	s_waitcnt vmcnt(24) lgkmcnt(1)
	v_fma_f64 v[101:102], v[129:130], v[101:102], v[117:118]
	s_waitcnt vmcnt(23)
	v_fma_f64 v[101:102], v[127:128], v[103:104], v[101:102]
	s_waitcnt vmcnt(22) lgkmcnt(0)
	v_fma_f64 v[101:102], v[125:126], v[105:106], v[101:102]
	s_waitcnt vmcnt(17)
	v_fma_f64 v[117:118], v[131:132], v[107:108], v[101:102]
	ds_read_b128 v[101:104], v100 offset:720
	ds_read_b128 v[105:108], v100 offset:736
	s_waitcnt vmcnt(16) lgkmcnt(1)
	v_fma_f64 v[101:102], v[137:138], v[101:102], v[117:118]
	s_waitcnt vmcnt(15)
	v_fma_f64 v[101:102], v[135:136], v[103:104], v[101:102]
	s_waitcnt vmcnt(14) lgkmcnt(0)
	v_fma_f64 v[101:102], v[133:134], v[105:106], v[101:102]
	s_waitcnt vmcnt(9)
	v_fma_f64 v[109:110], v[109:110], v[107:108], v[101:102]
	ds_read_b128 v[101:104], v100 offset:752
	ds_read_b128 v[105:108], v100 offset:768
	s_waitcnt vmcnt(8) lgkmcnt(1)
	v_fma_f64 v[101:102], v[143:144], v[101:102], v[109:110]
	s_waitcnt vmcnt(7)
	v_fma_f64 v[101:102], v[141:142], v[103:104], v[101:102]
	ds_read_b64 v[103:104], v100 offset:784
	s_waitcnt vmcnt(6) lgkmcnt(1)
	v_fma_f64 v[101:102], v[139:140], v[105:106], v[101:102]
	s_waitcnt vmcnt(3)
	v_fma_f64 v[101:102], v[111:112], v[107:108], v[101:102]
	s_waitcnt vmcnt(2) lgkmcnt(0)
	v_fma_f64 v[101:102], v[113:114], v[103:104], v[101:102]
	s_waitcnt vmcnt(0)
	v_add_f64 v[101:102], v[115:116], -v[101:102]
	buffer_store_dword v102, off, s[0:3], 0 offset:220
	buffer_store_dword v101, off, s[0:3], 0 offset:216
	v_cmpx_lt_u32_e32 26, v0
	s_cbranch_execz .LBB112_251
; %bb.250:
	s_clause 0x1
	buffer_load_dword v101, off, s[0:3], 0 offset:208
	buffer_load_dword v102, off, s[0:3], 0 offset:212
	buffer_store_dword v100, off, s[0:3], 0 offset:208
	buffer_store_dword v100, off, s[0:3], 0 offset:212
	s_waitcnt vmcnt(0)
	ds_write_b64 v99, v[101:102]
.LBB112_251:
	s_or_b32 exec_lo, exec_lo, s4
	s_waitcnt lgkmcnt(0)
	s_waitcnt_vscnt null, 0x0
	s_barrier
	buffer_gl0_inv
	s_clause 0x1c
	buffer_load_dword v109, off, s[0:3], 0 offset:216
	buffer_load_dword v110, off, s[0:3], 0 offset:220
	;; [unrolled: 1-line block ×29, first 2 shown]
	ds_read2_b64 v[101:104], v100 offset0:77 offset1:78
	ds_read2_b64 v[105:108], v100 offset0:79 offset1:80
	buffer_load_dword v134, off, s[0:3], 0 offset:332
	s_mov_b32 s4, exec_lo
	s_waitcnt vmcnt(28) lgkmcnt(1)
	v_fma_f64 v[101:102], v[109:110], v[101:102], 0
	s_clause 0x7
	buffer_load_dword v110, off, s[0:3], 0 offset:340
	buffer_load_dword v139, off, s[0:3], 0 offset:360
	;; [unrolled: 1-line block ×8, first 2 shown]
	s_waitcnt vmcnt(34)
	v_fma_f64 v[101:102], v[111:112], v[103:104], v[101:102]
	s_waitcnt vmcnt(32) lgkmcnt(0)
	v_fma_f64 v[101:102], v[113:114], v[105:106], v[101:102]
	s_waitcnt vmcnt(30)
	v_fma_f64 v[111:112], v[115:116], v[107:108], v[101:102]
	ds_read2_b64 v[101:104], v100 offset0:81 offset1:82
	ds_read2_b64 v[105:108], v100 offset0:83 offset1:84
	s_waitcnt vmcnt(28) lgkmcnt(1)
	v_fma_f64 v[101:102], v[117:118], v[101:102], v[111:112]
	s_clause 0x5
	buffer_load_dword v112, off, s[0:3], 0 offset:372
	buffer_load_dword v113, off, s[0:3], 0 offset:384
	;; [unrolled: 1-line block ×6, first 2 shown]
	s_waitcnt vmcnt(32)
	v_fma_f64 v[101:102], v[119:120], v[103:104], v[101:102]
	s_waitcnt vmcnt(30) lgkmcnt(0)
	v_fma_f64 v[101:102], v[121:122], v[105:106], v[101:102]
	s_waitcnt vmcnt(25)
	v_fma_f64 v[117:118], v[123:124], v[107:108], v[101:102]
	ds_read2_b64 v[101:104], v100 offset0:85 offset1:86
	s_clause 0x1
	buffer_load_dword v119, off, s[0:3], 0 offset:208
	buffer_load_dword v120, off, s[0:3], 0 offset:212
	ds_read2_b64 v[105:108], v100 offset0:87 offset1:88
	s_waitcnt vmcnt(26) lgkmcnt(1)
	v_fma_f64 v[101:102], v[129:130], v[101:102], v[117:118]
	s_waitcnt vmcnt(25)
	v_fma_f64 v[101:102], v[127:128], v[103:104], v[101:102]
	s_waitcnt vmcnt(24) lgkmcnt(0)
	v_fma_f64 v[101:102], v[125:126], v[105:106], v[101:102]
	s_waitcnt vmcnt(19)
	v_fma_f64 v[117:118], v[131:132], v[107:108], v[101:102]
	ds_read2_b64 v[101:104], v100 offset0:89 offset1:90
	ds_read2_b64 v[105:108], v100 offset0:91 offset1:92
	s_waitcnt vmcnt(18) lgkmcnt(1)
	v_fma_f64 v[101:102], v[137:138], v[101:102], v[117:118]
	s_waitcnt vmcnt(17)
	v_fma_f64 v[101:102], v[135:136], v[103:104], v[101:102]
	s_waitcnt vmcnt(16) lgkmcnt(0)
	v_fma_f64 v[101:102], v[133:134], v[105:106], v[101:102]
	s_waitcnt vmcnt(11)
	v_fma_f64 v[109:110], v[109:110], v[107:108], v[101:102]
	ds_read2_b64 v[101:104], v100 offset0:93 offset1:94
	;; [unrolled: 10-line block ×3, first 2 shown]
	s_waitcnt vmcnt(3) lgkmcnt(0)
	v_fma_f64 v[100:101], v[115:116], v[100:101], v[104:105]
	s_waitcnt vmcnt(2)
	v_fma_f64 v[100:101], v[113:114], v[102:103], v[100:101]
	s_waitcnt vmcnt(0)
	v_add_f64 v[100:101], v[119:120], -v[100:101]
	buffer_store_dword v101, off, s[0:3], 0 offset:212
	buffer_store_dword v100, off, s[0:3], 0 offset:208
	v_cmpx_lt_u32_e32 25, v0
	s_cbranch_execz .LBB112_253
; %bb.252:
	s_clause 0x1
	buffer_load_dword v100, off, s[0:3], 0 offset:200
	buffer_load_dword v101, off, s[0:3], 0 offset:204
	v_mov_b32_e32 v102, 0
	buffer_store_dword v102, off, s[0:3], 0 offset:200
	buffer_store_dword v102, off, s[0:3], 0 offset:204
	s_waitcnt vmcnt(0)
	ds_write_b64 v99, v[100:101]
.LBB112_253:
	s_or_b32 exec_lo, exec_lo, s4
	s_waitcnt lgkmcnt(0)
	s_waitcnt_vscnt null, 0x0
	s_barrier
	buffer_gl0_inv
	s_clause 0x1c
	buffer_load_dword v109, off, s[0:3], 0 offset:208
	buffer_load_dword v110, off, s[0:3], 0 offset:212
	;; [unrolled: 1-line block ×29, first 2 shown]
	v_mov_b32_e32 v100, 0
	buffer_load_dword v134, off, s[0:3], 0 offset:324
	s_mov_b32 s4, exec_lo
	ds_read_b128 v[101:104], v100 offset:608
	ds_read_b128 v[105:108], v100 offset:624
	s_waitcnt vmcnt(28) lgkmcnt(1)
	v_fma_f64 v[101:102], v[109:110], v[101:102], 0
	s_clause 0x7
	buffer_load_dword v110, off, s[0:3], 0 offset:332
	buffer_load_dword v139, off, s[0:3], 0 offset:352
	;; [unrolled: 1-line block ×8, first 2 shown]
	s_waitcnt vmcnt(34)
	v_fma_f64 v[101:102], v[111:112], v[103:104], v[101:102]
	s_waitcnt vmcnt(32) lgkmcnt(0)
	v_fma_f64 v[101:102], v[113:114], v[105:106], v[101:102]
	s_waitcnt vmcnt(30)
	v_fma_f64 v[111:112], v[115:116], v[107:108], v[101:102]
	ds_read_b128 v[101:104], v100 offset:640
	ds_read_b128 v[105:108], v100 offset:656
	s_waitcnt vmcnt(28) lgkmcnt(1)
	v_fma_f64 v[101:102], v[117:118], v[101:102], v[111:112]
	s_clause 0x7
	buffer_load_dword v112, off, s[0:3], 0 offset:364
	buffer_load_dword v113, off, s[0:3], 0 offset:384
	;; [unrolled: 1-line block ×8, first 2 shown]
	s_waitcnt vmcnt(34)
	v_fma_f64 v[101:102], v[119:120], v[103:104], v[101:102]
	s_waitcnt vmcnt(32) lgkmcnt(0)
	v_fma_f64 v[101:102], v[121:122], v[105:106], v[101:102]
	s_waitcnt vmcnt(27)
	v_fma_f64 v[119:120], v[123:124], v[107:108], v[101:102]
	ds_read_b128 v[101:104], v100 offset:672
	ds_read_b128 v[105:108], v100 offset:688
	s_waitcnt vmcnt(26) lgkmcnt(1)
	v_fma_f64 v[101:102], v[129:130], v[101:102], v[119:120]
	s_clause 0x1
	buffer_load_dword v119, off, s[0:3], 0 offset:200
	buffer_load_dword v120, off, s[0:3], 0 offset:204
	s_waitcnt vmcnt(27)
	v_fma_f64 v[101:102], v[127:128], v[103:104], v[101:102]
	s_waitcnt vmcnt(26) lgkmcnt(0)
	v_fma_f64 v[101:102], v[125:126], v[105:106], v[101:102]
	s_waitcnt vmcnt(21)
	v_fma_f64 v[121:122], v[131:132], v[107:108], v[101:102]
	ds_read_b128 v[101:104], v100 offset:704
	ds_read_b128 v[105:108], v100 offset:720
	s_waitcnt vmcnt(20) lgkmcnt(1)
	v_fma_f64 v[101:102], v[137:138], v[101:102], v[121:122]
	s_waitcnt vmcnt(19)
	v_fma_f64 v[101:102], v[135:136], v[103:104], v[101:102]
	s_waitcnt vmcnt(18) lgkmcnt(0)
	v_fma_f64 v[101:102], v[133:134], v[105:106], v[101:102]
	s_waitcnt vmcnt(13)
	v_fma_f64 v[109:110], v[109:110], v[107:108], v[101:102]
	ds_read_b128 v[101:104], v100 offset:736
	ds_read_b128 v[105:108], v100 offset:752
	s_waitcnt vmcnt(12) lgkmcnt(1)
	v_fma_f64 v[101:102], v[143:144], v[101:102], v[109:110]
	s_waitcnt vmcnt(11)
	v_fma_f64 v[101:102], v[141:142], v[103:104], v[101:102]
	s_waitcnt vmcnt(10) lgkmcnt(0)
	v_fma_f64 v[101:102], v[139:140], v[105:106], v[101:102]
	s_waitcnt vmcnt(5)
	v_fma_f64 v[105:106], v[111:112], v[107:108], v[101:102]
	ds_read_b128 v[101:104], v100 offset:768
	ds_read_b64 v[107:108], v100 offset:784
	s_waitcnt vmcnt(4) lgkmcnt(1)
	v_fma_f64 v[101:102], v[117:118], v[101:102], v[105:106]
	s_waitcnt vmcnt(3)
	v_fma_f64 v[101:102], v[115:116], v[103:104], v[101:102]
	s_waitcnt vmcnt(2) lgkmcnt(0)
	v_fma_f64 v[101:102], v[113:114], v[107:108], v[101:102]
	s_waitcnt vmcnt(0)
	v_add_f64 v[101:102], v[119:120], -v[101:102]
	buffer_store_dword v102, off, s[0:3], 0 offset:204
	buffer_store_dword v101, off, s[0:3], 0 offset:200
	v_cmpx_lt_u32_e32 24, v0
	s_cbranch_execz .LBB112_255
; %bb.254:
	s_clause 0x1
	buffer_load_dword v101, off, s[0:3], 0 offset:192
	buffer_load_dword v102, off, s[0:3], 0 offset:196
	buffer_store_dword v100, off, s[0:3], 0 offset:192
	buffer_store_dword v100, off, s[0:3], 0 offset:196
	s_waitcnt vmcnt(0)
	ds_write_b64 v99, v[101:102]
.LBB112_255:
	s_or_b32 exec_lo, exec_lo, s4
	s_waitcnt lgkmcnt(0)
	s_waitcnt_vscnt null, 0x0
	s_barrier
	buffer_gl0_inv
	s_clause 0x1c
	buffer_load_dword v109, off, s[0:3], 0 offset:200
	buffer_load_dword v110, off, s[0:3], 0 offset:204
	buffer_load_dword v111, off, s[0:3], 0 offset:208
	buffer_load_dword v112, off, s[0:3], 0 offset:212
	buffer_load_dword v113, off, s[0:3], 0 offset:216
	buffer_load_dword v114, off, s[0:3], 0 offset:220
	buffer_load_dword v115, off, s[0:3], 0 offset:224
	buffer_load_dword v116, off, s[0:3], 0 offset:228
	buffer_load_dword v117, off, s[0:3], 0 offset:232
	buffer_load_dword v118, off, s[0:3], 0 offset:236
	buffer_load_dword v119, off, s[0:3], 0 offset:240
	buffer_load_dword v120, off, s[0:3], 0 offset:244
	buffer_load_dword v121, off, s[0:3], 0 offset:248
	buffer_load_dword v122, off, s[0:3], 0 offset:252
	buffer_load_dword v124, off, s[0:3], 0 offset:260
	buffer_load_dword v125, off, s[0:3], 0 offset:280
	buffer_load_dword v127, off, s[0:3], 0 offset:272
	buffer_load_dword v129, off, s[0:3], 0 offset:264
	buffer_load_dword v123, off, s[0:3], 0 offset:256
	buffer_load_dword v130, off, s[0:3], 0 offset:268
	buffer_load_dword v128, off, s[0:3], 0 offset:276
	buffer_load_dword v126, off, s[0:3], 0 offset:284
	buffer_load_dword v132, off, s[0:3], 0 offset:292
	buffer_load_dword v133, off, s[0:3], 0 offset:312
	buffer_load_dword v135, off, s[0:3], 0 offset:304
	buffer_load_dword v137, off, s[0:3], 0 offset:296
	buffer_load_dword v131, off, s[0:3], 0 offset:288
	buffer_load_dword v138, off, s[0:3], 0 offset:300
	buffer_load_dword v136, off, s[0:3], 0 offset:308
	ds_read2_b64 v[101:104], v100 offset0:75 offset1:76
	ds_read2_b64 v[105:108], v100 offset0:77 offset1:78
	buffer_load_dword v134, off, s[0:3], 0 offset:316
	s_mov_b32 s4, exec_lo
	s_waitcnt vmcnt(28) lgkmcnt(1)
	v_fma_f64 v[101:102], v[109:110], v[101:102], 0
	s_clause 0x7
	buffer_load_dword v110, off, s[0:3], 0 offset:324
	buffer_load_dword v139, off, s[0:3], 0 offset:344
	;; [unrolled: 1-line block ×8, first 2 shown]
	s_waitcnt vmcnt(34)
	v_fma_f64 v[101:102], v[111:112], v[103:104], v[101:102]
	s_waitcnt vmcnt(32) lgkmcnt(0)
	v_fma_f64 v[101:102], v[113:114], v[105:106], v[101:102]
	s_waitcnt vmcnt(30)
	v_fma_f64 v[111:112], v[115:116], v[107:108], v[101:102]
	ds_read2_b64 v[101:104], v100 offset0:79 offset1:80
	ds_read2_b64 v[105:108], v100 offset0:81 offset1:82
	s_waitcnt vmcnt(28) lgkmcnt(1)
	v_fma_f64 v[101:102], v[117:118], v[101:102], v[111:112]
	s_clause 0x7
	buffer_load_dword v112, off, s[0:3], 0 offset:356
	buffer_load_dword v113, off, s[0:3], 0 offset:376
	;; [unrolled: 1-line block ×8, first 2 shown]
	s_waitcnt vmcnt(34)
	v_fma_f64 v[101:102], v[119:120], v[103:104], v[101:102]
	s_waitcnt vmcnt(32) lgkmcnt(0)
	v_fma_f64 v[101:102], v[121:122], v[105:106], v[101:102]
	s_waitcnt vmcnt(27)
	v_fma_f64 v[119:120], v[123:124], v[107:108], v[101:102]
	ds_read2_b64 v[101:104], v100 offset0:83 offset1:84
	ds_read2_b64 v[105:108], v100 offset0:85 offset1:86
	s_waitcnt vmcnt(26) lgkmcnt(1)
	v_fma_f64 v[101:102], v[129:130], v[101:102], v[119:120]
	s_clause 0x3
	buffer_load_dword v120, off, s[0:3], 0 offset:388
	buffer_load_dword v119, off, s[0:3], 0 offset:384
	;; [unrolled: 1-line block ×4, first 2 shown]
	s_waitcnt vmcnt(29)
	v_fma_f64 v[101:102], v[127:128], v[103:104], v[101:102]
	s_waitcnt vmcnt(28) lgkmcnt(0)
	v_fma_f64 v[101:102], v[125:126], v[105:106], v[101:102]
	s_waitcnt vmcnt(23)
	v_fma_f64 v[123:124], v[131:132], v[107:108], v[101:102]
	ds_read2_b64 v[101:104], v100 offset0:87 offset1:88
	ds_read2_b64 v[105:108], v100 offset0:89 offset1:90
	s_waitcnt vmcnt(22) lgkmcnt(1)
	v_fma_f64 v[101:102], v[137:138], v[101:102], v[123:124]
	s_waitcnt vmcnt(21)
	v_fma_f64 v[101:102], v[135:136], v[103:104], v[101:102]
	s_waitcnt vmcnt(20) lgkmcnt(0)
	v_fma_f64 v[101:102], v[133:134], v[105:106], v[101:102]
	s_waitcnt vmcnt(15)
	v_fma_f64 v[109:110], v[109:110], v[107:108], v[101:102]
	ds_read2_b64 v[101:104], v100 offset0:91 offset1:92
	ds_read2_b64 v[105:108], v100 offset0:93 offset1:94
	s_waitcnt vmcnt(14) lgkmcnt(1)
	v_fma_f64 v[101:102], v[143:144], v[101:102], v[109:110]
	;; [unrolled: 10-line block ×3, first 2 shown]
	s_waitcnt vmcnt(5)
	v_fma_f64 v[100:101], v[115:116], v[103:104], v[100:101]
	s_waitcnt vmcnt(4) lgkmcnt(0)
	v_fma_f64 v[100:101], v[113:114], v[105:106], v[100:101]
	s_waitcnt vmcnt(2)
	v_fma_f64 v[100:101], v[119:120], v[107:108], v[100:101]
	s_waitcnt vmcnt(0)
	v_add_f64 v[100:101], v[121:122], -v[100:101]
	buffer_store_dword v101, off, s[0:3], 0 offset:196
	buffer_store_dword v100, off, s[0:3], 0 offset:192
	v_cmpx_lt_u32_e32 23, v0
	s_cbranch_execz .LBB112_257
; %bb.256:
	s_clause 0x1
	buffer_load_dword v100, off, s[0:3], 0 offset:184
	buffer_load_dword v101, off, s[0:3], 0 offset:188
	v_mov_b32_e32 v102, 0
	buffer_store_dword v102, off, s[0:3], 0 offset:184
	buffer_store_dword v102, off, s[0:3], 0 offset:188
	s_waitcnt vmcnt(0)
	ds_write_b64 v99, v[100:101]
.LBB112_257:
	s_or_b32 exec_lo, exec_lo, s4
	s_waitcnt lgkmcnt(0)
	s_waitcnt_vscnt null, 0x0
	s_barrier
	buffer_gl0_inv
	s_clause 0x1c
	buffer_load_dword v109, off, s[0:3], 0 offset:192
	buffer_load_dword v110, off, s[0:3], 0 offset:196
	;; [unrolled: 1-line block ×29, first 2 shown]
	v_mov_b32_e32 v100, 0
	buffer_load_dword v134, off, s[0:3], 0 offset:308
	s_mov_b32 s4, exec_lo
	ds_read_b128 v[101:104], v100 offset:592
	ds_read_b128 v[105:108], v100 offset:608
	s_waitcnt vmcnt(28) lgkmcnt(1)
	v_fma_f64 v[101:102], v[109:110], v[101:102], 0
	s_clause 0x7
	buffer_load_dword v110, off, s[0:3], 0 offset:316
	buffer_load_dword v139, off, s[0:3], 0 offset:336
	;; [unrolled: 1-line block ×8, first 2 shown]
	s_waitcnt vmcnt(34)
	v_fma_f64 v[101:102], v[111:112], v[103:104], v[101:102]
	s_waitcnt vmcnt(32) lgkmcnt(0)
	v_fma_f64 v[101:102], v[113:114], v[105:106], v[101:102]
	s_waitcnt vmcnt(30)
	v_fma_f64 v[111:112], v[115:116], v[107:108], v[101:102]
	ds_read_b128 v[101:104], v100 offset:624
	ds_read_b128 v[105:108], v100 offset:640
	s_waitcnt vmcnt(28) lgkmcnt(1)
	v_fma_f64 v[101:102], v[117:118], v[101:102], v[111:112]
	s_clause 0x7
	buffer_load_dword v112, off, s[0:3], 0 offset:348
	buffer_load_dword v113, off, s[0:3], 0 offset:368
	;; [unrolled: 1-line block ×8, first 2 shown]
	s_waitcnt vmcnt(34)
	v_fma_f64 v[101:102], v[119:120], v[103:104], v[101:102]
	s_waitcnt vmcnt(32) lgkmcnt(0)
	v_fma_f64 v[101:102], v[121:122], v[105:106], v[101:102]
	s_waitcnt vmcnt(27)
	v_fma_f64 v[119:120], v[123:124], v[107:108], v[101:102]
	ds_read_b128 v[101:104], v100 offset:656
	ds_read_b128 v[105:108], v100 offset:672
	s_waitcnt vmcnt(26) lgkmcnt(1)
	v_fma_f64 v[101:102], v[129:130], v[101:102], v[119:120]
	s_clause 0x5
	buffer_load_dword v120, off, s[0:3], 0 offset:380
	buffer_load_dword v121, off, s[0:3], 0 offset:384
	;; [unrolled: 1-line block ×6, first 2 shown]
	s_waitcnt vmcnt(31)
	v_fma_f64 v[101:102], v[127:128], v[103:104], v[101:102]
	s_waitcnt vmcnt(30) lgkmcnt(0)
	v_fma_f64 v[101:102], v[125:126], v[105:106], v[101:102]
	s_waitcnt vmcnt(25)
	v_fma_f64 v[125:126], v[131:132], v[107:108], v[101:102]
	ds_read_b128 v[101:104], v100 offset:688
	ds_read_b128 v[105:108], v100 offset:704
	s_waitcnt vmcnt(24) lgkmcnt(1)
	v_fma_f64 v[101:102], v[137:138], v[101:102], v[125:126]
	s_waitcnt vmcnt(23)
	v_fma_f64 v[101:102], v[135:136], v[103:104], v[101:102]
	s_waitcnt vmcnt(22) lgkmcnt(0)
	v_fma_f64 v[101:102], v[133:134], v[105:106], v[101:102]
	s_waitcnt vmcnt(17)
	v_fma_f64 v[109:110], v[109:110], v[107:108], v[101:102]
	ds_read_b128 v[101:104], v100 offset:720
	ds_read_b128 v[105:108], v100 offset:736
	s_waitcnt vmcnt(16) lgkmcnt(1)
	v_fma_f64 v[101:102], v[143:144], v[101:102], v[109:110]
	;; [unrolled: 10-line block ×3, first 2 shown]
	s_waitcnt vmcnt(7)
	v_fma_f64 v[101:102], v[115:116], v[103:104], v[101:102]
	ds_read_b64 v[103:104], v100 offset:784
	s_waitcnt vmcnt(6) lgkmcnt(1)
	v_fma_f64 v[101:102], v[113:114], v[105:106], v[101:102]
	s_waitcnt vmcnt(3)
	v_fma_f64 v[101:102], v[119:120], v[107:108], v[101:102]
	s_waitcnt vmcnt(2) lgkmcnt(0)
	v_fma_f64 v[101:102], v[121:122], v[103:104], v[101:102]
	s_waitcnt vmcnt(0)
	v_add_f64 v[101:102], v[123:124], -v[101:102]
	buffer_store_dword v102, off, s[0:3], 0 offset:188
	buffer_store_dword v101, off, s[0:3], 0 offset:184
	v_cmpx_lt_u32_e32 22, v0
	s_cbranch_execz .LBB112_259
; %bb.258:
	s_clause 0x1
	buffer_load_dword v101, off, s[0:3], 0 offset:176
	buffer_load_dword v102, off, s[0:3], 0 offset:180
	buffer_store_dword v100, off, s[0:3], 0 offset:176
	buffer_store_dword v100, off, s[0:3], 0 offset:180
	s_waitcnt vmcnt(0)
	ds_write_b64 v99, v[101:102]
.LBB112_259:
	s_or_b32 exec_lo, exec_lo, s4
	s_waitcnt lgkmcnt(0)
	s_waitcnt_vscnt null, 0x0
	s_barrier
	buffer_gl0_inv
	s_clause 0x1c
	buffer_load_dword v109, off, s[0:3], 0 offset:184
	buffer_load_dword v110, off, s[0:3], 0 offset:188
	;; [unrolled: 1-line block ×29, first 2 shown]
	ds_read2_b64 v[101:104], v100 offset0:73 offset1:74
	ds_read2_b64 v[105:108], v100 offset0:75 offset1:76
	buffer_load_dword v134, off, s[0:3], 0 offset:300
	s_mov_b32 s4, exec_lo
	s_waitcnt vmcnt(28) lgkmcnt(1)
	v_fma_f64 v[101:102], v[109:110], v[101:102], 0
	s_clause 0x7
	buffer_load_dword v110, off, s[0:3], 0 offset:308
	buffer_load_dword v139, off, s[0:3], 0 offset:328
	;; [unrolled: 1-line block ×8, first 2 shown]
	s_waitcnt vmcnt(34)
	v_fma_f64 v[101:102], v[111:112], v[103:104], v[101:102]
	s_waitcnt vmcnt(32) lgkmcnt(0)
	v_fma_f64 v[101:102], v[113:114], v[105:106], v[101:102]
	s_waitcnt vmcnt(30)
	v_fma_f64 v[111:112], v[115:116], v[107:108], v[101:102]
	ds_read2_b64 v[101:104], v100 offset0:77 offset1:78
	ds_read2_b64 v[105:108], v100 offset0:79 offset1:80
	s_waitcnt vmcnt(28) lgkmcnt(1)
	v_fma_f64 v[101:102], v[117:118], v[101:102], v[111:112]
	s_clause 0x7
	buffer_load_dword v112, off, s[0:3], 0 offset:340
	buffer_load_dword v113, off, s[0:3], 0 offset:360
	;; [unrolled: 1-line block ×8, first 2 shown]
	s_waitcnt vmcnt(34)
	v_fma_f64 v[101:102], v[119:120], v[103:104], v[101:102]
	s_waitcnt vmcnt(32) lgkmcnt(0)
	v_fma_f64 v[101:102], v[121:122], v[105:106], v[101:102]
	s_waitcnt vmcnt(27)
	v_fma_f64 v[119:120], v[123:124], v[107:108], v[101:102]
	ds_read2_b64 v[101:104], v100 offset0:81 offset1:82
	ds_read2_b64 v[105:108], v100 offset0:83 offset1:84
	s_waitcnt vmcnt(26) lgkmcnt(1)
	v_fma_f64 v[101:102], v[129:130], v[101:102], v[119:120]
	s_clause 0x5
	buffer_load_dword v120, off, s[0:3], 0 offset:372
	buffer_load_dword v121, off, s[0:3], 0 offset:384
	;; [unrolled: 1-line block ×6, first 2 shown]
	s_waitcnt vmcnt(31)
	v_fma_f64 v[101:102], v[127:128], v[103:104], v[101:102]
	s_waitcnt vmcnt(30) lgkmcnt(0)
	v_fma_f64 v[101:102], v[125:126], v[105:106], v[101:102]
	s_waitcnt vmcnt(25)
	v_fma_f64 v[125:126], v[131:132], v[107:108], v[101:102]
	ds_read2_b64 v[101:104], v100 offset0:85 offset1:86
	s_clause 0x1
	buffer_load_dword v127, off, s[0:3], 0 offset:176
	buffer_load_dword v128, off, s[0:3], 0 offset:180
	ds_read2_b64 v[105:108], v100 offset0:87 offset1:88
	s_waitcnt vmcnt(26) lgkmcnt(1)
	v_fma_f64 v[101:102], v[137:138], v[101:102], v[125:126]
	s_waitcnt vmcnt(25)
	v_fma_f64 v[101:102], v[135:136], v[103:104], v[101:102]
	s_waitcnt vmcnt(24) lgkmcnt(0)
	v_fma_f64 v[101:102], v[133:134], v[105:106], v[101:102]
	s_waitcnt vmcnt(19)
	v_fma_f64 v[109:110], v[109:110], v[107:108], v[101:102]
	ds_read2_b64 v[101:104], v100 offset0:89 offset1:90
	ds_read2_b64 v[105:108], v100 offset0:91 offset1:92
	s_waitcnt vmcnt(18) lgkmcnt(1)
	v_fma_f64 v[101:102], v[143:144], v[101:102], v[109:110]
	s_waitcnt vmcnt(17)
	v_fma_f64 v[101:102], v[141:142], v[103:104], v[101:102]
	s_waitcnt vmcnt(16) lgkmcnt(0)
	v_fma_f64 v[101:102], v[139:140], v[105:106], v[101:102]
	s_waitcnt vmcnt(11)
	v_fma_f64 v[109:110], v[111:112], v[107:108], v[101:102]
	ds_read2_b64 v[101:104], v100 offset0:93 offset1:94
	;; [unrolled: 10-line block ×3, first 2 shown]
	s_waitcnt vmcnt(3) lgkmcnt(0)
	v_fma_f64 v[100:101], v[123:124], v[100:101], v[104:105]
	s_waitcnt vmcnt(2)
	v_fma_f64 v[100:101], v[121:122], v[102:103], v[100:101]
	s_waitcnt vmcnt(0)
	v_add_f64 v[100:101], v[127:128], -v[100:101]
	buffer_store_dword v101, off, s[0:3], 0 offset:180
	buffer_store_dword v100, off, s[0:3], 0 offset:176
	v_cmpx_lt_u32_e32 21, v0
	s_cbranch_execz .LBB112_261
; %bb.260:
	s_clause 0x1
	buffer_load_dword v100, off, s[0:3], 0 offset:168
	buffer_load_dword v101, off, s[0:3], 0 offset:172
	v_mov_b32_e32 v102, 0
	buffer_store_dword v102, off, s[0:3], 0 offset:168
	buffer_store_dword v102, off, s[0:3], 0 offset:172
	s_waitcnt vmcnt(0)
	ds_write_b64 v99, v[100:101]
.LBB112_261:
	s_or_b32 exec_lo, exec_lo, s4
	s_waitcnt lgkmcnt(0)
	s_waitcnt_vscnt null, 0x0
	s_barrier
	buffer_gl0_inv
	s_clause 0x1c
	buffer_load_dword v109, off, s[0:3], 0 offset:176
	buffer_load_dword v110, off, s[0:3], 0 offset:180
	;; [unrolled: 1-line block ×29, first 2 shown]
	v_mov_b32_e32 v100, 0
	buffer_load_dword v134, off, s[0:3], 0 offset:292
	s_mov_b32 s4, exec_lo
	ds_read_b128 v[101:104], v100 offset:576
	ds_read_b128 v[105:108], v100 offset:592
	s_waitcnt vmcnt(28) lgkmcnt(1)
	v_fma_f64 v[101:102], v[109:110], v[101:102], 0
	s_clause 0x7
	buffer_load_dword v110, off, s[0:3], 0 offset:300
	buffer_load_dword v139, off, s[0:3], 0 offset:320
	buffer_load_dword v141, off, s[0:3], 0 offset:312
	buffer_load_dword v143, off, s[0:3], 0 offset:304
	buffer_load_dword v109, off, s[0:3], 0 offset:296
	buffer_load_dword v144, off, s[0:3], 0 offset:308
	buffer_load_dword v142, off, s[0:3], 0 offset:316
	buffer_load_dword v140, off, s[0:3], 0 offset:324
	s_waitcnt vmcnt(34)
	v_fma_f64 v[101:102], v[111:112], v[103:104], v[101:102]
	s_waitcnt vmcnt(32) lgkmcnt(0)
	v_fma_f64 v[101:102], v[113:114], v[105:106], v[101:102]
	s_waitcnt vmcnt(30)
	v_fma_f64 v[111:112], v[115:116], v[107:108], v[101:102]
	ds_read_b128 v[101:104], v100 offset:608
	ds_read_b128 v[105:108], v100 offset:624
	s_waitcnt vmcnt(28) lgkmcnt(1)
	v_fma_f64 v[101:102], v[117:118], v[101:102], v[111:112]
	s_clause 0x7
	buffer_load_dword v112, off, s[0:3], 0 offset:332
	buffer_load_dword v113, off, s[0:3], 0 offset:352
	buffer_load_dword v115, off, s[0:3], 0 offset:344
	buffer_load_dword v117, off, s[0:3], 0 offset:336
	buffer_load_dword v111, off, s[0:3], 0 offset:328
	buffer_load_dword v118, off, s[0:3], 0 offset:340
	buffer_load_dword v116, off, s[0:3], 0 offset:348
	buffer_load_dword v114, off, s[0:3], 0 offset:356
	s_waitcnt vmcnt(34)
	v_fma_f64 v[101:102], v[119:120], v[103:104], v[101:102]
	s_waitcnt vmcnt(32) lgkmcnt(0)
	v_fma_f64 v[101:102], v[121:122], v[105:106], v[101:102]
	s_waitcnt vmcnt(27)
	v_fma_f64 v[119:120], v[123:124], v[107:108], v[101:102]
	;; [unrolled: 19-line block ×3, first 2 shown]
	ds_read_b128 v[101:104], v100 offset:672
	ds_read_b128 v[105:108], v100 offset:688
	s_waitcnt vmcnt(26) lgkmcnt(1)
	v_fma_f64 v[101:102], v[137:138], v[101:102], v[125:126]
	s_clause 0x1
	buffer_load_dword v125, off, s[0:3], 0 offset:168
	buffer_load_dword v126, off, s[0:3], 0 offset:172
	s_waitcnt vmcnt(27)
	v_fma_f64 v[101:102], v[135:136], v[103:104], v[101:102]
	s_waitcnt vmcnt(26) lgkmcnt(0)
	v_fma_f64 v[101:102], v[133:134], v[105:106], v[101:102]
	s_waitcnt vmcnt(21)
	v_fma_f64 v[109:110], v[109:110], v[107:108], v[101:102]
	ds_read_b128 v[101:104], v100 offset:704
	ds_read_b128 v[105:108], v100 offset:720
	s_waitcnt vmcnt(20) lgkmcnt(1)
	v_fma_f64 v[101:102], v[143:144], v[101:102], v[109:110]
	s_waitcnt vmcnt(19)
	v_fma_f64 v[101:102], v[141:142], v[103:104], v[101:102]
	s_waitcnt vmcnt(18) lgkmcnt(0)
	v_fma_f64 v[101:102], v[139:140], v[105:106], v[101:102]
	s_waitcnt vmcnt(13)
	v_fma_f64 v[109:110], v[111:112], v[107:108], v[101:102]
	ds_read_b128 v[101:104], v100 offset:736
	ds_read_b128 v[105:108], v100 offset:752
	s_waitcnt vmcnt(12) lgkmcnt(1)
	v_fma_f64 v[101:102], v[117:118], v[101:102], v[109:110]
	s_waitcnt vmcnt(11)
	v_fma_f64 v[101:102], v[115:116], v[103:104], v[101:102]
	s_waitcnt vmcnt(10) lgkmcnt(0)
	v_fma_f64 v[101:102], v[113:114], v[105:106], v[101:102]
	s_waitcnt vmcnt(5)
	v_fma_f64 v[105:106], v[119:120], v[107:108], v[101:102]
	ds_read_b128 v[101:104], v100 offset:768
	ds_read_b64 v[107:108], v100 offset:784
	s_waitcnt vmcnt(4) lgkmcnt(1)
	v_fma_f64 v[101:102], v[129:130], v[101:102], v[105:106]
	s_waitcnt vmcnt(3)
	v_fma_f64 v[101:102], v[123:124], v[103:104], v[101:102]
	s_waitcnt vmcnt(2) lgkmcnt(0)
	v_fma_f64 v[101:102], v[121:122], v[107:108], v[101:102]
	s_waitcnt vmcnt(0)
	v_add_f64 v[101:102], v[125:126], -v[101:102]
	buffer_store_dword v102, off, s[0:3], 0 offset:172
	buffer_store_dword v101, off, s[0:3], 0 offset:168
	v_cmpx_lt_u32_e32 20, v0
	s_cbranch_execz .LBB112_263
; %bb.262:
	s_clause 0x1
	buffer_load_dword v101, off, s[0:3], 0 offset:160
	buffer_load_dword v102, off, s[0:3], 0 offset:164
	buffer_store_dword v100, off, s[0:3], 0 offset:160
	buffer_store_dword v100, off, s[0:3], 0 offset:164
	s_waitcnt vmcnt(0)
	ds_write_b64 v99, v[101:102]
.LBB112_263:
	s_or_b32 exec_lo, exec_lo, s4
	s_waitcnt lgkmcnt(0)
	s_waitcnt_vscnt null, 0x0
	s_barrier
	buffer_gl0_inv
	s_clause 0x1c
	buffer_load_dword v109, off, s[0:3], 0 offset:168
	buffer_load_dword v110, off, s[0:3], 0 offset:172
	buffer_load_dword v111, off, s[0:3], 0 offset:176
	buffer_load_dword v112, off, s[0:3], 0 offset:180
	buffer_load_dword v113, off, s[0:3], 0 offset:184
	buffer_load_dword v114, off, s[0:3], 0 offset:188
	buffer_load_dword v115, off, s[0:3], 0 offset:192
	buffer_load_dword v116, off, s[0:3], 0 offset:196
	buffer_load_dword v117, off, s[0:3], 0 offset:200
	buffer_load_dword v118, off, s[0:3], 0 offset:204
	buffer_load_dword v119, off, s[0:3], 0 offset:208
	buffer_load_dword v120, off, s[0:3], 0 offset:212
	buffer_load_dword v121, off, s[0:3], 0 offset:216
	buffer_load_dword v122, off, s[0:3], 0 offset:220
	buffer_load_dword v124, off, s[0:3], 0 offset:228
	buffer_load_dword v125, off, s[0:3], 0 offset:248
	buffer_load_dword v127, off, s[0:3], 0 offset:240
	buffer_load_dword v129, off, s[0:3], 0 offset:232
	buffer_load_dword v123, off, s[0:3], 0 offset:224
	buffer_load_dword v130, off, s[0:3], 0 offset:236
	buffer_load_dword v128, off, s[0:3], 0 offset:244
	buffer_load_dword v126, off, s[0:3], 0 offset:252
	buffer_load_dword v132, off, s[0:3], 0 offset:260
	buffer_load_dword v133, off, s[0:3], 0 offset:280
	buffer_load_dword v135, off, s[0:3], 0 offset:272
	buffer_load_dword v137, off, s[0:3], 0 offset:264
	buffer_load_dword v131, off, s[0:3], 0 offset:256
	buffer_load_dword v138, off, s[0:3], 0 offset:268
	buffer_load_dword v136, off, s[0:3], 0 offset:276
	ds_read2_b64 v[101:104], v100 offset0:71 offset1:72
	ds_read2_b64 v[105:108], v100 offset0:73 offset1:74
	buffer_load_dword v134, off, s[0:3], 0 offset:284
	s_mov_b32 s4, exec_lo
	s_waitcnt vmcnt(28) lgkmcnt(1)
	v_fma_f64 v[101:102], v[109:110], v[101:102], 0
	s_clause 0x7
	buffer_load_dword v110, off, s[0:3], 0 offset:292
	buffer_load_dword v139, off, s[0:3], 0 offset:312
	buffer_load_dword v141, off, s[0:3], 0 offset:304
	buffer_load_dword v143, off, s[0:3], 0 offset:296
	buffer_load_dword v109, off, s[0:3], 0 offset:288
	buffer_load_dword v144, off, s[0:3], 0 offset:300
	buffer_load_dword v142, off, s[0:3], 0 offset:308
	buffer_load_dword v140, off, s[0:3], 0 offset:316
	s_waitcnt vmcnt(34)
	v_fma_f64 v[101:102], v[111:112], v[103:104], v[101:102]
	s_waitcnt vmcnt(32) lgkmcnt(0)
	v_fma_f64 v[101:102], v[113:114], v[105:106], v[101:102]
	s_waitcnt vmcnt(30)
	v_fma_f64 v[111:112], v[115:116], v[107:108], v[101:102]
	ds_read2_b64 v[101:104], v100 offset0:75 offset1:76
	ds_read2_b64 v[105:108], v100 offset0:77 offset1:78
	s_waitcnt vmcnt(28) lgkmcnt(1)
	v_fma_f64 v[101:102], v[117:118], v[101:102], v[111:112]
	s_clause 0x7
	buffer_load_dword v112, off, s[0:3], 0 offset:324
	buffer_load_dword v113, off, s[0:3], 0 offset:344
	buffer_load_dword v115, off, s[0:3], 0 offset:336
	buffer_load_dword v117, off, s[0:3], 0 offset:328
	buffer_load_dword v111, off, s[0:3], 0 offset:320
	buffer_load_dword v118, off, s[0:3], 0 offset:332
	buffer_load_dword v116, off, s[0:3], 0 offset:340
	buffer_load_dword v114, off, s[0:3], 0 offset:348
	s_waitcnt vmcnt(34)
	v_fma_f64 v[101:102], v[119:120], v[103:104], v[101:102]
	s_waitcnt vmcnt(32) lgkmcnt(0)
	v_fma_f64 v[101:102], v[121:122], v[105:106], v[101:102]
	s_waitcnt vmcnt(27)
	v_fma_f64 v[119:120], v[123:124], v[107:108], v[101:102]
	ds_read2_b64 v[101:104], v100 offset0:79 offset1:80
	ds_read2_b64 v[105:108], v100 offset0:81 offset1:82
	;; [unrolled: 19-line block ×3, first 2 shown]
	s_waitcnt vmcnt(26) lgkmcnt(1)
	v_fma_f64 v[101:102], v[137:138], v[101:102], v[125:126]
	s_clause 0x3
	buffer_load_dword v126, off, s[0:3], 0 offset:388
	buffer_load_dword v125, off, s[0:3], 0 offset:384
	;; [unrolled: 1-line block ×4, first 2 shown]
	s_waitcnt vmcnt(29)
	v_fma_f64 v[101:102], v[135:136], v[103:104], v[101:102]
	s_waitcnt vmcnt(28) lgkmcnt(0)
	v_fma_f64 v[101:102], v[133:134], v[105:106], v[101:102]
	s_waitcnt vmcnt(23)
	v_fma_f64 v[109:110], v[109:110], v[107:108], v[101:102]
	ds_read2_b64 v[101:104], v100 offset0:87 offset1:88
	ds_read2_b64 v[105:108], v100 offset0:89 offset1:90
	s_waitcnt vmcnt(22) lgkmcnt(1)
	v_fma_f64 v[101:102], v[143:144], v[101:102], v[109:110]
	s_waitcnt vmcnt(21)
	v_fma_f64 v[101:102], v[141:142], v[103:104], v[101:102]
	s_waitcnt vmcnt(20) lgkmcnt(0)
	v_fma_f64 v[101:102], v[139:140], v[105:106], v[101:102]
	s_waitcnt vmcnt(15)
	v_fma_f64 v[109:110], v[111:112], v[107:108], v[101:102]
	ds_read2_b64 v[101:104], v100 offset0:91 offset1:92
	ds_read2_b64 v[105:108], v100 offset0:93 offset1:94
	s_waitcnt vmcnt(14) lgkmcnt(1)
	v_fma_f64 v[101:102], v[117:118], v[101:102], v[109:110]
	;; [unrolled: 10-line block ×3, first 2 shown]
	s_waitcnt vmcnt(5)
	v_fma_f64 v[100:101], v[123:124], v[103:104], v[100:101]
	s_waitcnt vmcnt(4) lgkmcnt(0)
	v_fma_f64 v[100:101], v[121:122], v[105:106], v[100:101]
	s_waitcnt vmcnt(2)
	v_fma_f64 v[100:101], v[125:126], v[107:108], v[100:101]
	s_waitcnt vmcnt(0)
	v_add_f64 v[100:101], v[127:128], -v[100:101]
	buffer_store_dword v101, off, s[0:3], 0 offset:164
	buffer_store_dword v100, off, s[0:3], 0 offset:160
	v_cmpx_lt_u32_e32 19, v0
	s_cbranch_execz .LBB112_265
; %bb.264:
	s_clause 0x1
	buffer_load_dword v100, off, s[0:3], 0 offset:152
	buffer_load_dword v101, off, s[0:3], 0 offset:156
	v_mov_b32_e32 v102, 0
	buffer_store_dword v102, off, s[0:3], 0 offset:152
	buffer_store_dword v102, off, s[0:3], 0 offset:156
	s_waitcnt vmcnt(0)
	ds_write_b64 v99, v[100:101]
.LBB112_265:
	s_or_b32 exec_lo, exec_lo, s4
	s_waitcnt lgkmcnt(0)
	s_waitcnt_vscnt null, 0x0
	s_barrier
	buffer_gl0_inv
	s_clause 0x1c
	buffer_load_dword v109, off, s[0:3], 0 offset:160
	buffer_load_dword v110, off, s[0:3], 0 offset:164
	;; [unrolled: 1-line block ×29, first 2 shown]
	v_mov_b32_e32 v100, 0
	buffer_load_dword v134, off, s[0:3], 0 offset:276
	s_mov_b32 s4, exec_lo
	ds_read_b128 v[101:104], v100 offset:560
	ds_read_b128 v[105:108], v100 offset:576
	s_waitcnt vmcnt(28) lgkmcnt(1)
	v_fma_f64 v[101:102], v[109:110], v[101:102], 0
	s_clause 0x7
	buffer_load_dword v110, off, s[0:3], 0 offset:284
	buffer_load_dword v139, off, s[0:3], 0 offset:304
	buffer_load_dword v141, off, s[0:3], 0 offset:296
	buffer_load_dword v143, off, s[0:3], 0 offset:288
	buffer_load_dword v109, off, s[0:3], 0 offset:280
	buffer_load_dword v144, off, s[0:3], 0 offset:292
	buffer_load_dword v142, off, s[0:3], 0 offset:300
	buffer_load_dword v140, off, s[0:3], 0 offset:308
	s_waitcnt vmcnt(34)
	v_fma_f64 v[101:102], v[111:112], v[103:104], v[101:102]
	s_waitcnt vmcnt(32) lgkmcnt(0)
	v_fma_f64 v[101:102], v[113:114], v[105:106], v[101:102]
	s_waitcnt vmcnt(30)
	v_fma_f64 v[111:112], v[115:116], v[107:108], v[101:102]
	ds_read_b128 v[101:104], v100 offset:592
	ds_read_b128 v[105:108], v100 offset:608
	s_waitcnt vmcnt(28) lgkmcnt(1)
	v_fma_f64 v[101:102], v[117:118], v[101:102], v[111:112]
	s_clause 0x7
	buffer_load_dword v112, off, s[0:3], 0 offset:316
	buffer_load_dword v113, off, s[0:3], 0 offset:336
	buffer_load_dword v115, off, s[0:3], 0 offset:328
	buffer_load_dword v117, off, s[0:3], 0 offset:320
	buffer_load_dword v111, off, s[0:3], 0 offset:312
	buffer_load_dword v118, off, s[0:3], 0 offset:324
	buffer_load_dword v116, off, s[0:3], 0 offset:332
	buffer_load_dword v114, off, s[0:3], 0 offset:340
	s_waitcnt vmcnt(34)
	v_fma_f64 v[101:102], v[119:120], v[103:104], v[101:102]
	s_waitcnt vmcnt(32) lgkmcnt(0)
	v_fma_f64 v[101:102], v[121:122], v[105:106], v[101:102]
	s_waitcnt vmcnt(27)
	v_fma_f64 v[119:120], v[123:124], v[107:108], v[101:102]
	;; [unrolled: 19-line block ×3, first 2 shown]
	ds_read_b128 v[101:104], v100 offset:656
	ds_read_b128 v[105:108], v100 offset:672
	s_waitcnt vmcnt(26) lgkmcnt(1)
	v_fma_f64 v[101:102], v[137:138], v[101:102], v[125:126]
	s_clause 0x5
	buffer_load_dword v126, off, s[0:3], 0 offset:380
	buffer_load_dword v127, off, s[0:3], 0 offset:384
	buffer_load_dword v125, off, s[0:3], 0 offset:376
	buffer_load_dword v128, off, s[0:3], 0 offset:388
	buffer_load_dword v131, off, s[0:3], 0 offset:152
	buffer_load_dword v132, off, s[0:3], 0 offset:156
	s_waitcnt vmcnt(31)
	v_fma_f64 v[101:102], v[135:136], v[103:104], v[101:102]
	s_waitcnt vmcnt(30) lgkmcnt(0)
	v_fma_f64 v[101:102], v[133:134], v[105:106], v[101:102]
	s_waitcnt vmcnt(25)
	v_fma_f64 v[109:110], v[109:110], v[107:108], v[101:102]
	ds_read_b128 v[101:104], v100 offset:688
	ds_read_b128 v[105:108], v100 offset:704
	s_waitcnt vmcnt(24) lgkmcnt(1)
	v_fma_f64 v[101:102], v[143:144], v[101:102], v[109:110]
	s_waitcnt vmcnt(23)
	v_fma_f64 v[101:102], v[141:142], v[103:104], v[101:102]
	s_waitcnt vmcnt(22) lgkmcnt(0)
	v_fma_f64 v[101:102], v[139:140], v[105:106], v[101:102]
	s_waitcnt vmcnt(17)
	v_fma_f64 v[109:110], v[111:112], v[107:108], v[101:102]
	ds_read_b128 v[101:104], v100 offset:720
	ds_read_b128 v[105:108], v100 offset:736
	s_waitcnt vmcnt(16) lgkmcnt(1)
	v_fma_f64 v[101:102], v[117:118], v[101:102], v[109:110]
	;; [unrolled: 10-line block ×3, first 2 shown]
	s_waitcnt vmcnt(7)
	v_fma_f64 v[101:102], v[123:124], v[103:104], v[101:102]
	ds_read_b64 v[103:104], v100 offset:784
	s_waitcnt vmcnt(6) lgkmcnt(1)
	v_fma_f64 v[101:102], v[121:122], v[105:106], v[101:102]
	s_waitcnt vmcnt(3)
	v_fma_f64 v[101:102], v[125:126], v[107:108], v[101:102]
	s_waitcnt vmcnt(2) lgkmcnt(0)
	v_fma_f64 v[101:102], v[127:128], v[103:104], v[101:102]
	s_waitcnt vmcnt(0)
	v_add_f64 v[101:102], v[131:132], -v[101:102]
	buffer_store_dword v102, off, s[0:3], 0 offset:156
	buffer_store_dword v101, off, s[0:3], 0 offset:152
	v_cmpx_lt_u32_e32 18, v0
	s_cbranch_execz .LBB112_267
; %bb.266:
	s_clause 0x1
	buffer_load_dword v101, off, s[0:3], 0 offset:144
	buffer_load_dword v102, off, s[0:3], 0 offset:148
	buffer_store_dword v100, off, s[0:3], 0 offset:144
	buffer_store_dword v100, off, s[0:3], 0 offset:148
	s_waitcnt vmcnt(0)
	ds_write_b64 v99, v[101:102]
.LBB112_267:
	s_or_b32 exec_lo, exec_lo, s4
	s_waitcnt lgkmcnt(0)
	s_waitcnt_vscnt null, 0x0
	s_barrier
	buffer_gl0_inv
	s_clause 0x1c
	buffer_load_dword v109, off, s[0:3], 0 offset:152
	buffer_load_dword v110, off, s[0:3], 0 offset:156
	;; [unrolled: 1-line block ×29, first 2 shown]
	ds_read2_b64 v[101:104], v100 offset0:69 offset1:70
	ds_read2_b64 v[105:108], v100 offset0:71 offset1:72
	buffer_load_dword v134, off, s[0:3], 0 offset:268
	s_mov_b32 s4, exec_lo
	s_waitcnt vmcnt(28) lgkmcnt(1)
	v_fma_f64 v[101:102], v[109:110], v[101:102], 0
	s_clause 0x7
	buffer_load_dword v110, off, s[0:3], 0 offset:276
	buffer_load_dword v139, off, s[0:3], 0 offset:296
	buffer_load_dword v141, off, s[0:3], 0 offset:288
	buffer_load_dword v143, off, s[0:3], 0 offset:280
	buffer_load_dword v109, off, s[0:3], 0 offset:272
	buffer_load_dword v144, off, s[0:3], 0 offset:284
	buffer_load_dword v142, off, s[0:3], 0 offset:292
	buffer_load_dword v140, off, s[0:3], 0 offset:300
	s_waitcnt vmcnt(34)
	v_fma_f64 v[101:102], v[111:112], v[103:104], v[101:102]
	s_waitcnt vmcnt(32) lgkmcnt(0)
	v_fma_f64 v[101:102], v[113:114], v[105:106], v[101:102]
	s_waitcnt vmcnt(30)
	v_fma_f64 v[111:112], v[115:116], v[107:108], v[101:102]
	ds_read2_b64 v[101:104], v100 offset0:73 offset1:74
	ds_read2_b64 v[105:108], v100 offset0:75 offset1:76
	s_waitcnt vmcnt(28) lgkmcnt(1)
	v_fma_f64 v[101:102], v[117:118], v[101:102], v[111:112]
	s_clause 0x7
	buffer_load_dword v112, off, s[0:3], 0 offset:308
	buffer_load_dword v113, off, s[0:3], 0 offset:328
	buffer_load_dword v115, off, s[0:3], 0 offset:320
	buffer_load_dword v117, off, s[0:3], 0 offset:312
	buffer_load_dword v111, off, s[0:3], 0 offset:304
	buffer_load_dword v118, off, s[0:3], 0 offset:316
	buffer_load_dword v116, off, s[0:3], 0 offset:324
	buffer_load_dword v114, off, s[0:3], 0 offset:332
	s_waitcnt vmcnt(34)
	v_fma_f64 v[101:102], v[119:120], v[103:104], v[101:102]
	s_waitcnt vmcnt(32) lgkmcnt(0)
	v_fma_f64 v[101:102], v[121:122], v[105:106], v[101:102]
	s_waitcnt vmcnt(27)
	v_fma_f64 v[119:120], v[123:124], v[107:108], v[101:102]
	ds_read2_b64 v[101:104], v100 offset0:77 offset1:78
	ds_read2_b64 v[105:108], v100 offset0:79 offset1:80
	;; [unrolled: 19-line block ×3, first 2 shown]
	s_waitcnt vmcnt(26) lgkmcnt(1)
	v_fma_f64 v[101:102], v[137:138], v[101:102], v[125:126]
	s_clause 0x5
	buffer_load_dword v126, off, s[0:3], 0 offset:372
	buffer_load_dword v127, off, s[0:3], 0 offset:384
	;; [unrolled: 1-line block ×6, first 2 shown]
	s_waitcnt vmcnt(31)
	v_fma_f64 v[101:102], v[135:136], v[103:104], v[101:102]
	s_waitcnt vmcnt(30) lgkmcnt(0)
	v_fma_f64 v[101:102], v[133:134], v[105:106], v[101:102]
	s_waitcnt vmcnt(25)
	v_fma_f64 v[109:110], v[109:110], v[107:108], v[101:102]
	ds_read2_b64 v[101:104], v100 offset0:85 offset1:86
	s_clause 0x1
	buffer_load_dword v133, off, s[0:3], 0 offset:144
	buffer_load_dword v134, off, s[0:3], 0 offset:148
	ds_read2_b64 v[105:108], v100 offset0:87 offset1:88
	s_waitcnt vmcnt(26) lgkmcnt(1)
	v_fma_f64 v[101:102], v[143:144], v[101:102], v[109:110]
	s_waitcnt vmcnt(25)
	v_fma_f64 v[101:102], v[141:142], v[103:104], v[101:102]
	s_waitcnt vmcnt(24) lgkmcnt(0)
	v_fma_f64 v[101:102], v[139:140], v[105:106], v[101:102]
	s_waitcnt vmcnt(19)
	v_fma_f64 v[109:110], v[111:112], v[107:108], v[101:102]
	ds_read2_b64 v[101:104], v100 offset0:89 offset1:90
	ds_read2_b64 v[105:108], v100 offset0:91 offset1:92
	s_waitcnt vmcnt(18) lgkmcnt(1)
	v_fma_f64 v[101:102], v[117:118], v[101:102], v[109:110]
	s_waitcnt vmcnt(17)
	v_fma_f64 v[101:102], v[115:116], v[103:104], v[101:102]
	s_waitcnt vmcnt(16) lgkmcnt(0)
	v_fma_f64 v[101:102], v[113:114], v[105:106], v[101:102]
	s_waitcnt vmcnt(11)
	v_fma_f64 v[109:110], v[119:120], v[107:108], v[101:102]
	ds_read2_b64 v[101:104], v100 offset0:93 offset1:94
	;; [unrolled: 10-line block ×3, first 2 shown]
	s_waitcnt vmcnt(3) lgkmcnt(0)
	v_fma_f64 v[100:101], v[131:132], v[100:101], v[104:105]
	s_waitcnt vmcnt(2)
	v_fma_f64 v[100:101], v[127:128], v[102:103], v[100:101]
	s_waitcnt vmcnt(0)
	v_add_f64 v[100:101], v[133:134], -v[100:101]
	buffer_store_dword v101, off, s[0:3], 0 offset:148
	buffer_store_dword v100, off, s[0:3], 0 offset:144
	v_cmpx_lt_u32_e32 17, v0
	s_cbranch_execz .LBB112_269
; %bb.268:
	s_clause 0x1
	buffer_load_dword v100, off, s[0:3], 0 offset:136
	buffer_load_dword v101, off, s[0:3], 0 offset:140
	v_mov_b32_e32 v102, 0
	buffer_store_dword v102, off, s[0:3], 0 offset:136
	buffer_store_dword v102, off, s[0:3], 0 offset:140
	s_waitcnt vmcnt(0)
	ds_write_b64 v99, v[100:101]
.LBB112_269:
	s_or_b32 exec_lo, exec_lo, s4
	s_waitcnt lgkmcnt(0)
	s_waitcnt_vscnt null, 0x0
	s_barrier
	buffer_gl0_inv
	s_clause 0x1c
	buffer_load_dword v109, off, s[0:3], 0 offset:144
	buffer_load_dword v110, off, s[0:3], 0 offset:148
	buffer_load_dword v111, off, s[0:3], 0 offset:152
	buffer_load_dword v112, off, s[0:3], 0 offset:156
	buffer_load_dword v113, off, s[0:3], 0 offset:160
	buffer_load_dword v114, off, s[0:3], 0 offset:164
	buffer_load_dword v115, off, s[0:3], 0 offset:168
	buffer_load_dword v116, off, s[0:3], 0 offset:172
	buffer_load_dword v117, off, s[0:3], 0 offset:176
	buffer_load_dword v118, off, s[0:3], 0 offset:180
	buffer_load_dword v119, off, s[0:3], 0 offset:184
	buffer_load_dword v120, off, s[0:3], 0 offset:188
	buffer_load_dword v121, off, s[0:3], 0 offset:192
	buffer_load_dword v122, off, s[0:3], 0 offset:196
	buffer_load_dword v124, off, s[0:3], 0 offset:204
	buffer_load_dword v125, off, s[0:3], 0 offset:224
	buffer_load_dword v127, off, s[0:3], 0 offset:216
	buffer_load_dword v129, off, s[0:3], 0 offset:208
	buffer_load_dword v123, off, s[0:3], 0 offset:200
	buffer_load_dword v130, off, s[0:3], 0 offset:212
	buffer_load_dword v128, off, s[0:3], 0 offset:220
	buffer_load_dword v126, off, s[0:3], 0 offset:228
	buffer_load_dword v132, off, s[0:3], 0 offset:236
	buffer_load_dword v133, off, s[0:3], 0 offset:256
	buffer_load_dword v135, off, s[0:3], 0 offset:248
	buffer_load_dword v137, off, s[0:3], 0 offset:240
	buffer_load_dword v131, off, s[0:3], 0 offset:232
	buffer_load_dword v138, off, s[0:3], 0 offset:244
	buffer_load_dword v136, off, s[0:3], 0 offset:252
	v_mov_b32_e32 v100, 0
	buffer_load_dword v134, off, s[0:3], 0 offset:260
	s_mov_b32 s4, exec_lo
	ds_read_b128 v[101:104], v100 offset:544
	ds_read_b128 v[105:108], v100 offset:560
	s_waitcnt vmcnt(28) lgkmcnt(1)
	v_fma_f64 v[101:102], v[109:110], v[101:102], 0
	s_clause 0x7
	buffer_load_dword v110, off, s[0:3], 0 offset:268
	buffer_load_dword v139, off, s[0:3], 0 offset:288
	buffer_load_dword v141, off, s[0:3], 0 offset:280
	buffer_load_dword v143, off, s[0:3], 0 offset:272
	buffer_load_dword v109, off, s[0:3], 0 offset:264
	buffer_load_dword v144, off, s[0:3], 0 offset:276
	buffer_load_dword v142, off, s[0:3], 0 offset:284
	buffer_load_dword v140, off, s[0:3], 0 offset:292
	s_waitcnt vmcnt(34)
	v_fma_f64 v[101:102], v[111:112], v[103:104], v[101:102]
	s_waitcnt vmcnt(32) lgkmcnt(0)
	v_fma_f64 v[101:102], v[113:114], v[105:106], v[101:102]
	s_waitcnt vmcnt(30)
	v_fma_f64 v[111:112], v[115:116], v[107:108], v[101:102]
	ds_read_b128 v[101:104], v100 offset:576
	ds_read_b128 v[105:108], v100 offset:592
	s_waitcnt vmcnt(28) lgkmcnt(1)
	v_fma_f64 v[101:102], v[117:118], v[101:102], v[111:112]
	s_clause 0x7
	buffer_load_dword v112, off, s[0:3], 0 offset:300
	buffer_load_dword v113, off, s[0:3], 0 offset:320
	buffer_load_dword v115, off, s[0:3], 0 offset:312
	buffer_load_dword v117, off, s[0:3], 0 offset:304
	buffer_load_dword v111, off, s[0:3], 0 offset:296
	buffer_load_dword v118, off, s[0:3], 0 offset:308
	buffer_load_dword v116, off, s[0:3], 0 offset:316
	buffer_load_dword v114, off, s[0:3], 0 offset:324
	s_waitcnt vmcnt(34)
	v_fma_f64 v[101:102], v[119:120], v[103:104], v[101:102]
	s_waitcnt vmcnt(32) lgkmcnt(0)
	v_fma_f64 v[101:102], v[121:122], v[105:106], v[101:102]
	s_waitcnt vmcnt(27)
	v_fma_f64 v[119:120], v[123:124], v[107:108], v[101:102]
	;; [unrolled: 19-line block ×4, first 2 shown]
	ds_read_b128 v[101:104], v100 offset:672
	ds_read_b128 v[105:108], v100 offset:688
	s_waitcnt vmcnt(26) lgkmcnt(1)
	v_fma_f64 v[101:102], v[143:144], v[101:102], v[109:110]
	s_clause 0x1
	buffer_load_dword v109, off, s[0:3], 0 offset:136
	buffer_load_dword v110, off, s[0:3], 0 offset:140
	s_waitcnt vmcnt(27)
	v_fma_f64 v[101:102], v[141:142], v[103:104], v[101:102]
	s_waitcnt vmcnt(26) lgkmcnt(0)
	v_fma_f64 v[101:102], v[139:140], v[105:106], v[101:102]
	s_waitcnt vmcnt(21)
	v_fma_f64 v[111:112], v[111:112], v[107:108], v[101:102]
	ds_read_b128 v[101:104], v100 offset:704
	ds_read_b128 v[105:108], v100 offset:720
	s_waitcnt vmcnt(20) lgkmcnt(1)
	v_fma_f64 v[101:102], v[117:118], v[101:102], v[111:112]
	s_waitcnt vmcnt(19)
	v_fma_f64 v[101:102], v[115:116], v[103:104], v[101:102]
	s_waitcnt vmcnt(18) lgkmcnt(0)
	v_fma_f64 v[101:102], v[113:114], v[105:106], v[101:102]
	s_waitcnt vmcnt(13)
	v_fma_f64 v[111:112], v[119:120], v[107:108], v[101:102]
	ds_read_b128 v[101:104], v100 offset:736
	ds_read_b128 v[105:108], v100 offset:752
	s_waitcnt vmcnt(12) lgkmcnt(1)
	v_fma_f64 v[101:102], v[129:130], v[101:102], v[111:112]
	s_waitcnt vmcnt(11)
	v_fma_f64 v[101:102], v[123:124], v[103:104], v[101:102]
	s_waitcnt vmcnt(10) lgkmcnt(0)
	v_fma_f64 v[101:102], v[121:122], v[105:106], v[101:102]
	s_waitcnt vmcnt(5)
	v_fma_f64 v[105:106], v[125:126], v[107:108], v[101:102]
	ds_read_b128 v[101:104], v100 offset:768
	ds_read_b64 v[107:108], v100 offset:784
	s_waitcnt vmcnt(4) lgkmcnt(1)
	v_fma_f64 v[101:102], v[137:138], v[101:102], v[105:106]
	s_waitcnt vmcnt(3)
	v_fma_f64 v[101:102], v[131:132], v[103:104], v[101:102]
	s_waitcnt vmcnt(2) lgkmcnt(0)
	v_fma_f64 v[101:102], v[127:128], v[107:108], v[101:102]
	s_waitcnt vmcnt(0)
	v_add_f64 v[101:102], v[109:110], -v[101:102]
	buffer_store_dword v102, off, s[0:3], 0 offset:140
	buffer_store_dword v101, off, s[0:3], 0 offset:136
	v_cmpx_lt_u32_e32 16, v0
	s_cbranch_execz .LBB112_271
; %bb.270:
	s_clause 0x1
	buffer_load_dword v101, off, s[0:3], 0 offset:128
	buffer_load_dword v102, off, s[0:3], 0 offset:132
	buffer_store_dword v100, off, s[0:3], 0 offset:128
	buffer_store_dword v100, off, s[0:3], 0 offset:132
	s_waitcnt vmcnt(0)
	ds_write_b64 v99, v[101:102]
.LBB112_271:
	s_or_b32 exec_lo, exec_lo, s4
	s_waitcnt lgkmcnt(0)
	s_waitcnt_vscnt null, 0x0
	s_barrier
	buffer_gl0_inv
	s_clause 0x1c
	buffer_load_dword v109, off, s[0:3], 0 offset:136
	buffer_load_dword v110, off, s[0:3], 0 offset:140
	;; [unrolled: 1-line block ×29, first 2 shown]
	ds_read2_b64 v[101:104], v100 offset0:67 offset1:68
	ds_read2_b64 v[105:108], v100 offset0:69 offset1:70
	buffer_load_dword v134, off, s[0:3], 0 offset:252
	s_mov_b32 s4, exec_lo
	s_waitcnt vmcnt(28) lgkmcnt(1)
	v_fma_f64 v[101:102], v[109:110], v[101:102], 0
	s_clause 0x7
	buffer_load_dword v110, off, s[0:3], 0 offset:260
	buffer_load_dword v139, off, s[0:3], 0 offset:280
	buffer_load_dword v141, off, s[0:3], 0 offset:272
	buffer_load_dword v143, off, s[0:3], 0 offset:264
	buffer_load_dword v109, off, s[0:3], 0 offset:256
	buffer_load_dword v144, off, s[0:3], 0 offset:268
	buffer_load_dword v142, off, s[0:3], 0 offset:276
	buffer_load_dword v140, off, s[0:3], 0 offset:284
	s_waitcnt vmcnt(34)
	v_fma_f64 v[101:102], v[111:112], v[103:104], v[101:102]
	s_waitcnt vmcnt(32) lgkmcnt(0)
	v_fma_f64 v[101:102], v[113:114], v[105:106], v[101:102]
	s_waitcnt vmcnt(30)
	v_fma_f64 v[111:112], v[115:116], v[107:108], v[101:102]
	ds_read2_b64 v[101:104], v100 offset0:71 offset1:72
	ds_read2_b64 v[105:108], v100 offset0:73 offset1:74
	s_waitcnt vmcnt(28) lgkmcnt(1)
	v_fma_f64 v[101:102], v[117:118], v[101:102], v[111:112]
	s_clause 0x7
	buffer_load_dword v112, off, s[0:3], 0 offset:292
	buffer_load_dword v113, off, s[0:3], 0 offset:312
	buffer_load_dword v115, off, s[0:3], 0 offset:304
	buffer_load_dword v117, off, s[0:3], 0 offset:296
	buffer_load_dword v111, off, s[0:3], 0 offset:288
	buffer_load_dword v118, off, s[0:3], 0 offset:300
	buffer_load_dword v116, off, s[0:3], 0 offset:308
	buffer_load_dword v114, off, s[0:3], 0 offset:316
	s_waitcnt vmcnt(34)
	v_fma_f64 v[101:102], v[119:120], v[103:104], v[101:102]
	s_waitcnt vmcnt(32) lgkmcnt(0)
	v_fma_f64 v[101:102], v[121:122], v[105:106], v[101:102]
	s_waitcnt vmcnt(27)
	v_fma_f64 v[119:120], v[123:124], v[107:108], v[101:102]
	ds_read2_b64 v[101:104], v100 offset0:75 offset1:76
	ds_read2_b64 v[105:108], v100 offset0:77 offset1:78
	;; [unrolled: 19-line block ×4, first 2 shown]
	s_waitcnt vmcnt(26) lgkmcnt(1)
	v_fma_f64 v[101:102], v[143:144], v[101:102], v[109:110]
	s_clause 0x3
	buffer_load_dword v110, off, s[0:3], 0 offset:388
	buffer_load_dword v109, off, s[0:3], 0 offset:384
	;; [unrolled: 1-line block ×4, first 2 shown]
	s_waitcnt vmcnt(29)
	v_fma_f64 v[101:102], v[141:142], v[103:104], v[101:102]
	s_waitcnt vmcnt(28) lgkmcnt(0)
	v_fma_f64 v[101:102], v[139:140], v[105:106], v[101:102]
	s_waitcnt vmcnt(23)
	v_fma_f64 v[111:112], v[111:112], v[107:108], v[101:102]
	ds_read2_b64 v[101:104], v100 offset0:87 offset1:88
	ds_read2_b64 v[105:108], v100 offset0:89 offset1:90
	s_waitcnt vmcnt(22) lgkmcnt(1)
	v_fma_f64 v[101:102], v[117:118], v[101:102], v[111:112]
	s_waitcnt vmcnt(21)
	v_fma_f64 v[101:102], v[115:116], v[103:104], v[101:102]
	s_waitcnt vmcnt(20) lgkmcnt(0)
	v_fma_f64 v[101:102], v[113:114], v[105:106], v[101:102]
	s_waitcnt vmcnt(15)
	v_fma_f64 v[111:112], v[119:120], v[107:108], v[101:102]
	ds_read2_b64 v[101:104], v100 offset0:91 offset1:92
	ds_read2_b64 v[105:108], v100 offset0:93 offset1:94
	s_waitcnt vmcnt(14) lgkmcnt(1)
	v_fma_f64 v[101:102], v[129:130], v[101:102], v[111:112]
	;; [unrolled: 10-line block ×3, first 2 shown]
	s_waitcnt vmcnt(5)
	v_fma_f64 v[100:101], v[131:132], v[103:104], v[100:101]
	s_waitcnt vmcnt(4) lgkmcnt(0)
	v_fma_f64 v[100:101], v[127:128], v[105:106], v[100:101]
	s_waitcnt vmcnt(2)
	v_fma_f64 v[100:101], v[109:110], v[107:108], v[100:101]
	s_waitcnt vmcnt(0)
	v_add_f64 v[100:101], v[133:134], -v[100:101]
	buffer_store_dword v101, off, s[0:3], 0 offset:132
	buffer_store_dword v100, off, s[0:3], 0 offset:128
	v_cmpx_lt_u32_e32 15, v0
	s_cbranch_execz .LBB112_273
; %bb.272:
	s_clause 0x1
	buffer_load_dword v100, off, s[0:3], 0 offset:120
	buffer_load_dword v101, off, s[0:3], 0 offset:124
	v_mov_b32_e32 v102, 0
	buffer_store_dword v102, off, s[0:3], 0 offset:120
	buffer_store_dword v102, off, s[0:3], 0 offset:124
	s_waitcnt vmcnt(0)
	ds_write_b64 v99, v[100:101]
.LBB112_273:
	s_or_b32 exec_lo, exec_lo, s4
	s_waitcnt lgkmcnt(0)
	s_waitcnt_vscnt null, 0x0
	s_barrier
	buffer_gl0_inv
	s_clause 0x1c
	buffer_load_dword v109, off, s[0:3], 0 offset:128
	buffer_load_dword v110, off, s[0:3], 0 offset:132
	;; [unrolled: 1-line block ×29, first 2 shown]
	v_mov_b32_e32 v100, 0
	buffer_load_dword v134, off, s[0:3], 0 offset:244
	s_mov_b32 s4, exec_lo
	ds_read_b128 v[101:104], v100 offset:528
	ds_read_b128 v[105:108], v100 offset:544
	s_waitcnt vmcnt(28) lgkmcnt(1)
	v_fma_f64 v[101:102], v[109:110], v[101:102], 0
	s_clause 0x7
	buffer_load_dword v110, off, s[0:3], 0 offset:252
	buffer_load_dword v139, off, s[0:3], 0 offset:272
	buffer_load_dword v141, off, s[0:3], 0 offset:264
	buffer_load_dword v143, off, s[0:3], 0 offset:256
	buffer_load_dword v109, off, s[0:3], 0 offset:248
	buffer_load_dword v144, off, s[0:3], 0 offset:260
	buffer_load_dword v142, off, s[0:3], 0 offset:268
	buffer_load_dword v140, off, s[0:3], 0 offset:276
	s_waitcnt vmcnt(34)
	v_fma_f64 v[101:102], v[111:112], v[103:104], v[101:102]
	s_waitcnt vmcnt(32) lgkmcnt(0)
	v_fma_f64 v[101:102], v[113:114], v[105:106], v[101:102]
	s_waitcnt vmcnt(30)
	v_fma_f64 v[111:112], v[115:116], v[107:108], v[101:102]
	ds_read_b128 v[101:104], v100 offset:560
	ds_read_b128 v[105:108], v100 offset:576
	s_waitcnt vmcnt(28) lgkmcnt(1)
	v_fma_f64 v[101:102], v[117:118], v[101:102], v[111:112]
	s_clause 0x7
	buffer_load_dword v112, off, s[0:3], 0 offset:284
	buffer_load_dword v113, off, s[0:3], 0 offset:304
	buffer_load_dword v115, off, s[0:3], 0 offset:296
	buffer_load_dword v117, off, s[0:3], 0 offset:288
	buffer_load_dword v111, off, s[0:3], 0 offset:280
	buffer_load_dword v118, off, s[0:3], 0 offset:292
	buffer_load_dword v116, off, s[0:3], 0 offset:300
	buffer_load_dword v114, off, s[0:3], 0 offset:308
	s_waitcnt vmcnt(34)
	v_fma_f64 v[101:102], v[119:120], v[103:104], v[101:102]
	s_waitcnt vmcnt(32) lgkmcnt(0)
	v_fma_f64 v[101:102], v[121:122], v[105:106], v[101:102]
	s_waitcnt vmcnt(27)
	v_fma_f64 v[119:120], v[123:124], v[107:108], v[101:102]
	;; [unrolled: 19-line block ×4, first 2 shown]
	ds_read_b128 v[101:104], v100 offset:656
	ds_read_b128 v[105:108], v100 offset:672
	s_waitcnt vmcnt(26) lgkmcnt(1)
	v_fma_f64 v[101:102], v[143:144], v[101:102], v[109:110]
	s_clause 0x5
	buffer_load_dword v110, off, s[0:3], 0 offset:380
	buffer_load_dword v133, off, s[0:3], 0 offset:384
	;; [unrolled: 1-line block ×6, first 2 shown]
	s_waitcnt vmcnt(31)
	v_fma_f64 v[101:102], v[141:142], v[103:104], v[101:102]
	s_waitcnt vmcnt(30) lgkmcnt(0)
	v_fma_f64 v[101:102], v[139:140], v[105:106], v[101:102]
	s_waitcnt vmcnt(25)
	v_fma_f64 v[111:112], v[111:112], v[107:108], v[101:102]
	ds_read_b128 v[101:104], v100 offset:688
	ds_read_b128 v[105:108], v100 offset:704
	s_waitcnt vmcnt(24) lgkmcnt(1)
	v_fma_f64 v[101:102], v[117:118], v[101:102], v[111:112]
	s_waitcnt vmcnt(23)
	v_fma_f64 v[101:102], v[115:116], v[103:104], v[101:102]
	s_waitcnt vmcnt(22) lgkmcnt(0)
	v_fma_f64 v[101:102], v[113:114], v[105:106], v[101:102]
	s_waitcnt vmcnt(17)
	v_fma_f64 v[111:112], v[119:120], v[107:108], v[101:102]
	ds_read_b128 v[101:104], v100 offset:720
	ds_read_b128 v[105:108], v100 offset:736
	s_waitcnt vmcnt(16) lgkmcnt(1)
	v_fma_f64 v[101:102], v[129:130], v[101:102], v[111:112]
	;; [unrolled: 10-line block ×3, first 2 shown]
	s_waitcnt vmcnt(7)
	v_fma_f64 v[101:102], v[131:132], v[103:104], v[101:102]
	ds_read_b64 v[103:104], v100 offset:784
	s_waitcnt vmcnt(6) lgkmcnt(1)
	v_fma_f64 v[101:102], v[127:128], v[105:106], v[101:102]
	s_waitcnt vmcnt(3)
	v_fma_f64 v[101:102], v[109:110], v[107:108], v[101:102]
	s_waitcnt vmcnt(2) lgkmcnt(0)
	v_fma_f64 v[101:102], v[133:134], v[103:104], v[101:102]
	s_waitcnt vmcnt(0)
	v_add_f64 v[101:102], v[135:136], -v[101:102]
	buffer_store_dword v102, off, s[0:3], 0 offset:124
	buffer_store_dword v101, off, s[0:3], 0 offset:120
	v_cmpx_lt_u32_e32 14, v0
	s_cbranch_execz .LBB112_275
; %bb.274:
	s_clause 0x1
	buffer_load_dword v101, off, s[0:3], 0 offset:112
	buffer_load_dword v102, off, s[0:3], 0 offset:116
	buffer_store_dword v100, off, s[0:3], 0 offset:112
	buffer_store_dword v100, off, s[0:3], 0 offset:116
	s_waitcnt vmcnt(0)
	ds_write_b64 v99, v[101:102]
.LBB112_275:
	s_or_b32 exec_lo, exec_lo, s4
	s_waitcnt lgkmcnt(0)
	s_waitcnt_vscnt null, 0x0
	s_barrier
	buffer_gl0_inv
	s_clause 0x1c
	buffer_load_dword v109, off, s[0:3], 0 offset:120
	buffer_load_dword v110, off, s[0:3], 0 offset:124
	;; [unrolled: 1-line block ×29, first 2 shown]
	ds_read2_b64 v[101:104], v100 offset0:65 offset1:66
	ds_read2_b64 v[105:108], v100 offset0:67 offset1:68
	buffer_load_dword v134, off, s[0:3], 0 offset:236
	s_mov_b32 s4, exec_lo
	s_waitcnt vmcnt(28) lgkmcnt(1)
	v_fma_f64 v[101:102], v[109:110], v[101:102], 0
	s_clause 0x7
	buffer_load_dword v110, off, s[0:3], 0 offset:244
	buffer_load_dword v139, off, s[0:3], 0 offset:264
	buffer_load_dword v141, off, s[0:3], 0 offset:256
	buffer_load_dword v143, off, s[0:3], 0 offset:248
	buffer_load_dword v109, off, s[0:3], 0 offset:240
	buffer_load_dword v144, off, s[0:3], 0 offset:252
	buffer_load_dword v142, off, s[0:3], 0 offset:260
	buffer_load_dword v140, off, s[0:3], 0 offset:268
	s_waitcnt vmcnt(34)
	v_fma_f64 v[101:102], v[111:112], v[103:104], v[101:102]
	s_waitcnt vmcnt(32) lgkmcnt(0)
	v_fma_f64 v[101:102], v[113:114], v[105:106], v[101:102]
	s_waitcnt vmcnt(30)
	v_fma_f64 v[111:112], v[115:116], v[107:108], v[101:102]
	ds_read2_b64 v[101:104], v100 offset0:69 offset1:70
	ds_read2_b64 v[105:108], v100 offset0:71 offset1:72
	s_waitcnt vmcnt(28) lgkmcnt(1)
	v_fma_f64 v[101:102], v[117:118], v[101:102], v[111:112]
	s_clause 0x7
	buffer_load_dword v112, off, s[0:3], 0 offset:276
	buffer_load_dword v113, off, s[0:3], 0 offset:296
	buffer_load_dword v115, off, s[0:3], 0 offset:288
	buffer_load_dword v117, off, s[0:3], 0 offset:280
	buffer_load_dword v111, off, s[0:3], 0 offset:272
	buffer_load_dword v118, off, s[0:3], 0 offset:284
	buffer_load_dword v116, off, s[0:3], 0 offset:292
	buffer_load_dword v114, off, s[0:3], 0 offset:300
	s_waitcnt vmcnt(34)
	v_fma_f64 v[101:102], v[119:120], v[103:104], v[101:102]
	s_waitcnt vmcnt(32) lgkmcnt(0)
	v_fma_f64 v[101:102], v[121:122], v[105:106], v[101:102]
	s_waitcnt vmcnt(27)
	v_fma_f64 v[119:120], v[123:124], v[107:108], v[101:102]
	ds_read2_b64 v[101:104], v100 offset0:73 offset1:74
	ds_read2_b64 v[105:108], v100 offset0:75 offset1:76
	;; [unrolled: 19-line block ×4, first 2 shown]
	s_waitcnt vmcnt(26) lgkmcnt(1)
	v_fma_f64 v[101:102], v[143:144], v[101:102], v[109:110]
	s_clause 0x5
	buffer_load_dword v110, off, s[0:3], 0 offset:372
	buffer_load_dword v133, off, s[0:3], 0 offset:384
	;; [unrolled: 1-line block ×6, first 2 shown]
	s_waitcnt vmcnt(31)
	v_fma_f64 v[101:102], v[141:142], v[103:104], v[101:102]
	s_waitcnt vmcnt(30) lgkmcnt(0)
	v_fma_f64 v[101:102], v[139:140], v[105:106], v[101:102]
	s_waitcnt vmcnt(25)
	v_fma_f64 v[111:112], v[111:112], v[107:108], v[101:102]
	ds_read2_b64 v[101:104], v100 offset0:85 offset1:86
	s_clause 0x1
	buffer_load_dword v139, off, s[0:3], 0 offset:112
	buffer_load_dword v140, off, s[0:3], 0 offset:116
	ds_read2_b64 v[105:108], v100 offset0:87 offset1:88
	s_waitcnt vmcnt(26) lgkmcnt(1)
	v_fma_f64 v[101:102], v[117:118], v[101:102], v[111:112]
	s_waitcnt vmcnt(25)
	v_fma_f64 v[101:102], v[115:116], v[103:104], v[101:102]
	s_waitcnt vmcnt(24) lgkmcnt(0)
	v_fma_f64 v[101:102], v[113:114], v[105:106], v[101:102]
	s_waitcnt vmcnt(19)
	v_fma_f64 v[111:112], v[119:120], v[107:108], v[101:102]
	ds_read2_b64 v[101:104], v100 offset0:89 offset1:90
	ds_read2_b64 v[105:108], v100 offset0:91 offset1:92
	s_waitcnt vmcnt(18) lgkmcnt(1)
	v_fma_f64 v[101:102], v[129:130], v[101:102], v[111:112]
	s_waitcnt vmcnt(17)
	v_fma_f64 v[101:102], v[123:124], v[103:104], v[101:102]
	s_waitcnt vmcnt(16) lgkmcnt(0)
	v_fma_f64 v[101:102], v[121:122], v[105:106], v[101:102]
	s_waitcnt vmcnt(11)
	v_fma_f64 v[111:112], v[125:126], v[107:108], v[101:102]
	ds_read2_b64 v[101:104], v100 offset0:93 offset1:94
	;; [unrolled: 10-line block ×3, first 2 shown]
	s_waitcnt vmcnt(3) lgkmcnt(0)
	v_fma_f64 v[100:101], v[135:136], v[100:101], v[104:105]
	s_waitcnt vmcnt(2)
	v_fma_f64 v[100:101], v[133:134], v[102:103], v[100:101]
	s_waitcnt vmcnt(0)
	v_add_f64 v[100:101], v[139:140], -v[100:101]
	buffer_store_dword v101, off, s[0:3], 0 offset:116
	buffer_store_dword v100, off, s[0:3], 0 offset:112
	v_cmpx_lt_u32_e32 13, v0
	s_cbranch_execz .LBB112_277
; %bb.276:
	s_clause 0x1
	buffer_load_dword v100, off, s[0:3], 0 offset:104
	buffer_load_dword v101, off, s[0:3], 0 offset:108
	v_mov_b32_e32 v102, 0
	buffer_store_dword v102, off, s[0:3], 0 offset:104
	buffer_store_dword v102, off, s[0:3], 0 offset:108
	s_waitcnt vmcnt(0)
	ds_write_b64 v99, v[100:101]
.LBB112_277:
	s_or_b32 exec_lo, exec_lo, s4
	s_waitcnt lgkmcnt(0)
	s_waitcnt_vscnt null, 0x0
	s_barrier
	buffer_gl0_inv
	s_clause 0x1c
	buffer_load_dword v109, off, s[0:3], 0 offset:112
	buffer_load_dword v110, off, s[0:3], 0 offset:116
	;; [unrolled: 1-line block ×29, first 2 shown]
	v_mov_b32_e32 v100, 0
	buffer_load_dword v134, off, s[0:3], 0 offset:228
	s_mov_b32 s4, exec_lo
	ds_read_b128 v[101:104], v100 offset:512
	ds_read_b128 v[105:108], v100 offset:528
	s_waitcnt vmcnt(28) lgkmcnt(1)
	v_fma_f64 v[101:102], v[109:110], v[101:102], 0
	s_clause 0x7
	buffer_load_dword v110, off, s[0:3], 0 offset:236
	buffer_load_dword v139, off, s[0:3], 0 offset:256
	buffer_load_dword v141, off, s[0:3], 0 offset:248
	buffer_load_dword v143, off, s[0:3], 0 offset:240
	buffer_load_dword v109, off, s[0:3], 0 offset:232
	buffer_load_dword v144, off, s[0:3], 0 offset:244
	buffer_load_dword v142, off, s[0:3], 0 offset:252
	buffer_load_dword v140, off, s[0:3], 0 offset:260
	s_waitcnt vmcnt(34)
	v_fma_f64 v[101:102], v[111:112], v[103:104], v[101:102]
	s_waitcnt vmcnt(32) lgkmcnt(0)
	v_fma_f64 v[101:102], v[113:114], v[105:106], v[101:102]
	s_waitcnt vmcnt(30)
	v_fma_f64 v[111:112], v[115:116], v[107:108], v[101:102]
	ds_read_b128 v[101:104], v100 offset:544
	ds_read_b128 v[105:108], v100 offset:560
	s_waitcnt vmcnt(28) lgkmcnt(1)
	v_fma_f64 v[101:102], v[117:118], v[101:102], v[111:112]
	s_clause 0x7
	buffer_load_dword v112, off, s[0:3], 0 offset:268
	buffer_load_dword v113, off, s[0:3], 0 offset:288
	buffer_load_dword v115, off, s[0:3], 0 offset:280
	buffer_load_dword v117, off, s[0:3], 0 offset:272
	buffer_load_dword v111, off, s[0:3], 0 offset:264
	buffer_load_dword v118, off, s[0:3], 0 offset:276
	buffer_load_dword v116, off, s[0:3], 0 offset:284
	buffer_load_dword v114, off, s[0:3], 0 offset:292
	s_waitcnt vmcnt(34)
	v_fma_f64 v[101:102], v[119:120], v[103:104], v[101:102]
	s_waitcnt vmcnt(32) lgkmcnt(0)
	v_fma_f64 v[101:102], v[121:122], v[105:106], v[101:102]
	s_waitcnt vmcnt(27)
	v_fma_f64 v[119:120], v[123:124], v[107:108], v[101:102]
	;; [unrolled: 19-line block ×5, first 2 shown]
	ds_read_b128 v[101:104], v100 offset:672
	ds_read_b128 v[105:108], v100 offset:688
	s_waitcnt vmcnt(26) lgkmcnt(1)
	v_fma_f64 v[101:102], v[117:118], v[101:102], v[111:112]
	s_clause 0x1
	buffer_load_dword v111, off, s[0:3], 0 offset:104
	buffer_load_dword v112, off, s[0:3], 0 offset:108
	s_waitcnt vmcnt(27)
	v_fma_f64 v[101:102], v[115:116], v[103:104], v[101:102]
	s_waitcnt vmcnt(26) lgkmcnt(0)
	v_fma_f64 v[101:102], v[113:114], v[105:106], v[101:102]
	s_waitcnt vmcnt(21)
	v_fma_f64 v[113:114], v[119:120], v[107:108], v[101:102]
	ds_read_b128 v[101:104], v100 offset:704
	ds_read_b128 v[105:108], v100 offset:720
	s_waitcnt vmcnt(20) lgkmcnt(1)
	v_fma_f64 v[101:102], v[129:130], v[101:102], v[113:114]
	s_waitcnt vmcnt(19)
	v_fma_f64 v[101:102], v[123:124], v[103:104], v[101:102]
	s_waitcnt vmcnt(18) lgkmcnt(0)
	v_fma_f64 v[101:102], v[121:122], v[105:106], v[101:102]
	s_waitcnt vmcnt(13)
	v_fma_f64 v[113:114], v[125:126], v[107:108], v[101:102]
	ds_read_b128 v[101:104], v100 offset:736
	ds_read_b128 v[105:108], v100 offset:752
	s_waitcnt vmcnt(12) lgkmcnt(1)
	v_fma_f64 v[101:102], v[137:138], v[101:102], v[113:114]
	s_waitcnt vmcnt(11)
	v_fma_f64 v[101:102], v[131:132], v[103:104], v[101:102]
	s_waitcnt vmcnt(10) lgkmcnt(0)
	v_fma_f64 v[101:102], v[127:128], v[105:106], v[101:102]
	s_waitcnt vmcnt(5)
	v_fma_f64 v[105:106], v[109:110], v[107:108], v[101:102]
	ds_read_b128 v[101:104], v100 offset:768
	ds_read_b64 v[107:108], v100 offset:784
	s_waitcnt vmcnt(4) lgkmcnt(1)
	v_fma_f64 v[101:102], v[143:144], v[101:102], v[105:106]
	s_waitcnt vmcnt(3)
	v_fma_f64 v[101:102], v[135:136], v[103:104], v[101:102]
	s_waitcnt vmcnt(2) lgkmcnt(0)
	v_fma_f64 v[101:102], v[133:134], v[107:108], v[101:102]
	s_waitcnt vmcnt(0)
	v_add_f64 v[101:102], v[111:112], -v[101:102]
	buffer_store_dword v102, off, s[0:3], 0 offset:108
	buffer_store_dword v101, off, s[0:3], 0 offset:104
	v_cmpx_lt_u32_e32 12, v0
	s_cbranch_execz .LBB112_279
; %bb.278:
	s_clause 0x1
	buffer_load_dword v101, off, s[0:3], 0 offset:96
	buffer_load_dword v102, off, s[0:3], 0 offset:100
	buffer_store_dword v100, off, s[0:3], 0 offset:96
	buffer_store_dword v100, off, s[0:3], 0 offset:100
	s_waitcnt vmcnt(0)
	ds_write_b64 v99, v[101:102]
.LBB112_279:
	s_or_b32 exec_lo, exec_lo, s4
	s_waitcnt lgkmcnt(0)
	s_waitcnt_vscnt null, 0x0
	s_barrier
	buffer_gl0_inv
	s_clause 0x1c
	buffer_load_dword v109, off, s[0:3], 0 offset:104
	buffer_load_dword v110, off, s[0:3], 0 offset:108
	;; [unrolled: 1-line block ×29, first 2 shown]
	ds_read2_b64 v[101:104], v100 offset0:63 offset1:64
	ds_read2_b64 v[105:108], v100 offset0:65 offset1:66
	buffer_load_dword v134, off, s[0:3], 0 offset:220
	s_mov_b32 s4, exec_lo
	s_waitcnt vmcnt(28) lgkmcnt(1)
	v_fma_f64 v[101:102], v[109:110], v[101:102], 0
	s_clause 0x7
	buffer_load_dword v110, off, s[0:3], 0 offset:228
	buffer_load_dword v139, off, s[0:3], 0 offset:248
	buffer_load_dword v141, off, s[0:3], 0 offset:240
	buffer_load_dword v143, off, s[0:3], 0 offset:232
	buffer_load_dword v109, off, s[0:3], 0 offset:224
	buffer_load_dword v144, off, s[0:3], 0 offset:236
	buffer_load_dword v142, off, s[0:3], 0 offset:244
	buffer_load_dword v140, off, s[0:3], 0 offset:252
	s_waitcnt vmcnt(34)
	v_fma_f64 v[101:102], v[111:112], v[103:104], v[101:102]
	s_waitcnt vmcnt(32) lgkmcnt(0)
	v_fma_f64 v[101:102], v[113:114], v[105:106], v[101:102]
	s_waitcnt vmcnt(30)
	v_fma_f64 v[111:112], v[115:116], v[107:108], v[101:102]
	ds_read2_b64 v[101:104], v100 offset0:67 offset1:68
	ds_read2_b64 v[105:108], v100 offset0:69 offset1:70
	s_waitcnt vmcnt(28) lgkmcnt(1)
	v_fma_f64 v[101:102], v[117:118], v[101:102], v[111:112]
	s_clause 0x7
	buffer_load_dword v112, off, s[0:3], 0 offset:260
	buffer_load_dword v113, off, s[0:3], 0 offset:280
	buffer_load_dword v115, off, s[0:3], 0 offset:272
	buffer_load_dword v117, off, s[0:3], 0 offset:264
	buffer_load_dword v111, off, s[0:3], 0 offset:256
	buffer_load_dword v118, off, s[0:3], 0 offset:268
	buffer_load_dword v116, off, s[0:3], 0 offset:276
	buffer_load_dword v114, off, s[0:3], 0 offset:284
	s_waitcnt vmcnt(34)
	v_fma_f64 v[101:102], v[119:120], v[103:104], v[101:102]
	s_waitcnt vmcnt(32) lgkmcnt(0)
	v_fma_f64 v[101:102], v[121:122], v[105:106], v[101:102]
	s_waitcnt vmcnt(27)
	v_fma_f64 v[119:120], v[123:124], v[107:108], v[101:102]
	ds_read2_b64 v[101:104], v100 offset0:71 offset1:72
	ds_read2_b64 v[105:108], v100 offset0:73 offset1:74
	;; [unrolled: 19-line block ×5, first 2 shown]
	s_waitcnt vmcnt(26) lgkmcnt(1)
	v_fma_f64 v[101:102], v[117:118], v[101:102], v[111:112]
	s_clause 0x1
	buffer_load_dword v112, off, s[0:3], 0 offset:388
	buffer_load_dword v111, off, s[0:3], 0 offset:384
	s_waitcnt vmcnt(27)
	v_fma_f64 v[101:102], v[115:116], v[103:104], v[101:102]
	s_clause 0x1
	buffer_load_dword v115, off, s[0:3], 0 offset:96
	buffer_load_dword v116, off, s[0:3], 0 offset:100
	s_waitcnt vmcnt(28) lgkmcnt(0)
	v_fma_f64 v[101:102], v[113:114], v[105:106], v[101:102]
	s_waitcnt vmcnt(23)
	v_fma_f64 v[113:114], v[119:120], v[107:108], v[101:102]
	ds_read2_b64 v[101:104], v100 offset0:87 offset1:88
	ds_read2_b64 v[105:108], v100 offset0:89 offset1:90
	s_waitcnt vmcnt(22) lgkmcnt(1)
	v_fma_f64 v[101:102], v[129:130], v[101:102], v[113:114]
	s_waitcnt vmcnt(21)
	v_fma_f64 v[101:102], v[123:124], v[103:104], v[101:102]
	s_waitcnt vmcnt(20) lgkmcnt(0)
	v_fma_f64 v[101:102], v[121:122], v[105:106], v[101:102]
	s_waitcnt vmcnt(15)
	v_fma_f64 v[113:114], v[125:126], v[107:108], v[101:102]
	ds_read2_b64 v[101:104], v100 offset0:91 offset1:92
	ds_read2_b64 v[105:108], v100 offset0:93 offset1:94
	s_waitcnt vmcnt(14) lgkmcnt(1)
	v_fma_f64 v[101:102], v[137:138], v[101:102], v[113:114]
	s_waitcnt vmcnt(13)
	v_fma_f64 v[101:102], v[131:132], v[103:104], v[101:102]
	;; [unrolled: 10-line block ×3, first 2 shown]
	s_waitcnt vmcnt(4) lgkmcnt(0)
	v_fma_f64 v[100:101], v[133:134], v[105:106], v[100:101]
	s_waitcnt vmcnt(2)
	v_fma_f64 v[100:101], v[111:112], v[107:108], v[100:101]
	s_waitcnt vmcnt(0)
	v_add_f64 v[100:101], v[115:116], -v[100:101]
	buffer_store_dword v101, off, s[0:3], 0 offset:100
	buffer_store_dword v100, off, s[0:3], 0 offset:96
	v_cmpx_lt_u32_e32 11, v0
	s_cbranch_execz .LBB112_281
; %bb.280:
	s_clause 0x1
	buffer_load_dword v100, off, s[0:3], 0 offset:88
	buffer_load_dword v101, off, s[0:3], 0 offset:92
	v_mov_b32_e32 v102, 0
	buffer_store_dword v102, off, s[0:3], 0 offset:88
	buffer_store_dword v102, off, s[0:3], 0 offset:92
	s_waitcnt vmcnt(0)
	ds_write_b64 v99, v[100:101]
.LBB112_281:
	s_or_b32 exec_lo, exec_lo, s4
	s_waitcnt lgkmcnt(0)
	s_waitcnt_vscnt null, 0x0
	s_barrier
	buffer_gl0_inv
	s_clause 0x1c
	buffer_load_dword v109, off, s[0:3], 0 offset:96
	buffer_load_dword v110, off, s[0:3], 0 offset:100
	;; [unrolled: 1-line block ×29, first 2 shown]
	v_mov_b32_e32 v100, 0
	buffer_load_dword v134, off, s[0:3], 0 offset:212
	s_mov_b32 s4, exec_lo
	ds_read_b128 v[101:104], v100 offset:496
	ds_read_b128 v[105:108], v100 offset:512
	s_waitcnt vmcnt(28) lgkmcnt(1)
	v_fma_f64 v[101:102], v[109:110], v[101:102], 0
	s_clause 0x7
	buffer_load_dword v110, off, s[0:3], 0 offset:220
	buffer_load_dword v139, off, s[0:3], 0 offset:240
	buffer_load_dword v141, off, s[0:3], 0 offset:232
	buffer_load_dword v143, off, s[0:3], 0 offset:224
	buffer_load_dword v109, off, s[0:3], 0 offset:216
	buffer_load_dword v144, off, s[0:3], 0 offset:228
	buffer_load_dword v142, off, s[0:3], 0 offset:236
	buffer_load_dword v140, off, s[0:3], 0 offset:244
	s_waitcnt vmcnt(34)
	v_fma_f64 v[101:102], v[111:112], v[103:104], v[101:102]
	s_waitcnt vmcnt(32) lgkmcnt(0)
	v_fma_f64 v[101:102], v[113:114], v[105:106], v[101:102]
	s_waitcnt vmcnt(30)
	v_fma_f64 v[111:112], v[115:116], v[107:108], v[101:102]
	ds_read_b128 v[101:104], v100 offset:528
	ds_read_b128 v[105:108], v100 offset:544
	s_waitcnt vmcnt(28) lgkmcnt(1)
	v_fma_f64 v[101:102], v[117:118], v[101:102], v[111:112]
	s_clause 0x7
	buffer_load_dword v112, off, s[0:3], 0 offset:252
	buffer_load_dword v113, off, s[0:3], 0 offset:272
	buffer_load_dword v115, off, s[0:3], 0 offset:264
	buffer_load_dword v117, off, s[0:3], 0 offset:256
	buffer_load_dword v111, off, s[0:3], 0 offset:248
	buffer_load_dword v118, off, s[0:3], 0 offset:260
	buffer_load_dword v116, off, s[0:3], 0 offset:268
	buffer_load_dword v114, off, s[0:3], 0 offset:276
	s_waitcnt vmcnt(34)
	v_fma_f64 v[101:102], v[119:120], v[103:104], v[101:102]
	s_waitcnt vmcnt(32) lgkmcnt(0)
	v_fma_f64 v[101:102], v[121:122], v[105:106], v[101:102]
	s_waitcnt vmcnt(27)
	v_fma_f64 v[119:120], v[123:124], v[107:108], v[101:102]
	;; [unrolled: 19-line block ×5, first 2 shown]
	ds_read_b128 v[101:104], v100 offset:656
	ds_read_b128 v[105:108], v100 offset:672
	s_waitcnt vmcnt(26) lgkmcnt(1)
	v_fma_f64 v[101:102], v[117:118], v[101:102], v[111:112]
	s_clause 0x3
	buffer_load_dword v112, off, s[0:3], 0 offset:380
	buffer_load_dword v117, off, s[0:3], 0 offset:384
	buffer_load_dword v111, off, s[0:3], 0 offset:376
	buffer_load_dword v118, off, s[0:3], 0 offset:388
	s_waitcnt vmcnt(29)
	v_fma_f64 v[101:102], v[115:116], v[103:104], v[101:102]
	s_waitcnt vmcnt(28) lgkmcnt(0)
	v_fma_f64 v[101:102], v[113:114], v[105:106], v[101:102]
	s_clause 0x1
	buffer_load_dword v113, off, s[0:3], 0 offset:88
	buffer_load_dword v114, off, s[0:3], 0 offset:92
	s_waitcnt vmcnt(25)
	v_fma_f64 v[115:116], v[119:120], v[107:108], v[101:102]
	ds_read_b128 v[101:104], v100 offset:688
	ds_read_b128 v[105:108], v100 offset:704
	s_waitcnt vmcnt(24) lgkmcnt(1)
	v_fma_f64 v[101:102], v[129:130], v[101:102], v[115:116]
	s_waitcnt vmcnt(23)
	v_fma_f64 v[101:102], v[123:124], v[103:104], v[101:102]
	s_waitcnt vmcnt(22) lgkmcnt(0)
	v_fma_f64 v[101:102], v[121:122], v[105:106], v[101:102]
	s_waitcnt vmcnt(17)
	v_fma_f64 v[115:116], v[125:126], v[107:108], v[101:102]
	ds_read_b128 v[101:104], v100 offset:720
	ds_read_b128 v[105:108], v100 offset:736
	s_waitcnt vmcnt(16) lgkmcnt(1)
	v_fma_f64 v[101:102], v[137:138], v[101:102], v[115:116]
	s_waitcnt vmcnt(15)
	v_fma_f64 v[101:102], v[131:132], v[103:104], v[101:102]
	s_waitcnt vmcnt(14) lgkmcnt(0)
	v_fma_f64 v[101:102], v[127:128], v[105:106], v[101:102]
	s_waitcnt vmcnt(9)
	v_fma_f64 v[109:110], v[109:110], v[107:108], v[101:102]
	ds_read_b128 v[101:104], v100 offset:752
	ds_read_b128 v[105:108], v100 offset:768
	s_waitcnt vmcnt(8) lgkmcnt(1)
	v_fma_f64 v[101:102], v[143:144], v[101:102], v[109:110]
	s_waitcnt vmcnt(7)
	v_fma_f64 v[101:102], v[135:136], v[103:104], v[101:102]
	ds_read_b64 v[103:104], v100 offset:784
	s_waitcnt vmcnt(6) lgkmcnt(1)
	v_fma_f64 v[101:102], v[133:134], v[105:106], v[101:102]
	s_waitcnt vmcnt(3)
	v_fma_f64 v[101:102], v[111:112], v[107:108], v[101:102]
	s_waitcnt vmcnt(2) lgkmcnt(0)
	v_fma_f64 v[101:102], v[117:118], v[103:104], v[101:102]
	s_waitcnt vmcnt(0)
	v_add_f64 v[101:102], v[113:114], -v[101:102]
	buffer_store_dword v102, off, s[0:3], 0 offset:92
	buffer_store_dword v101, off, s[0:3], 0 offset:88
	v_cmpx_lt_u32_e32 10, v0
	s_cbranch_execz .LBB112_283
; %bb.282:
	s_clause 0x1
	buffer_load_dword v101, off, s[0:3], 0 offset:80
	buffer_load_dword v102, off, s[0:3], 0 offset:84
	buffer_store_dword v100, off, s[0:3], 0 offset:80
	buffer_store_dword v100, off, s[0:3], 0 offset:84
	s_waitcnt vmcnt(0)
	ds_write_b64 v99, v[101:102]
.LBB112_283:
	s_or_b32 exec_lo, exec_lo, s4
	s_waitcnt lgkmcnt(0)
	s_waitcnt_vscnt null, 0x0
	s_barrier
	buffer_gl0_inv
	s_clause 0x1c
	buffer_load_dword v109, off, s[0:3], 0 offset:88
	buffer_load_dword v110, off, s[0:3], 0 offset:92
	buffer_load_dword v111, off, s[0:3], 0 offset:96
	buffer_load_dword v112, off, s[0:3], 0 offset:100
	buffer_load_dword v113, off, s[0:3], 0 offset:104
	buffer_load_dword v114, off, s[0:3], 0 offset:108
	buffer_load_dword v115, off, s[0:3], 0 offset:112
	buffer_load_dword v116, off, s[0:3], 0 offset:116
	buffer_load_dword v117, off, s[0:3], 0 offset:120
	buffer_load_dword v118, off, s[0:3], 0 offset:124
	buffer_load_dword v119, off, s[0:3], 0 offset:128
	buffer_load_dword v120, off, s[0:3], 0 offset:132
	buffer_load_dword v121, off, s[0:3], 0 offset:136
	buffer_load_dword v122, off, s[0:3], 0 offset:140
	buffer_load_dword v124, off, s[0:3], 0 offset:148
	buffer_load_dword v125, off, s[0:3], 0 offset:168
	buffer_load_dword v127, off, s[0:3], 0 offset:160
	buffer_load_dword v129, off, s[0:3], 0 offset:152
	buffer_load_dword v123, off, s[0:3], 0 offset:144
	buffer_load_dword v130, off, s[0:3], 0 offset:156
	buffer_load_dword v128, off, s[0:3], 0 offset:164
	buffer_load_dword v126, off, s[0:3], 0 offset:172
	buffer_load_dword v132, off, s[0:3], 0 offset:180
	buffer_load_dword v133, off, s[0:3], 0 offset:200
	buffer_load_dword v135, off, s[0:3], 0 offset:192
	buffer_load_dword v137, off, s[0:3], 0 offset:184
	buffer_load_dword v131, off, s[0:3], 0 offset:176
	buffer_load_dword v138, off, s[0:3], 0 offset:188
	buffer_load_dword v136, off, s[0:3], 0 offset:196
	ds_read2_b64 v[101:104], v100 offset0:61 offset1:62
	ds_read2_b64 v[105:108], v100 offset0:63 offset1:64
	buffer_load_dword v134, off, s[0:3], 0 offset:204
	s_mov_b32 s4, exec_lo
	s_waitcnt vmcnt(28) lgkmcnt(1)
	v_fma_f64 v[101:102], v[109:110], v[101:102], 0
	s_clause 0x7
	buffer_load_dword v110, off, s[0:3], 0 offset:212
	buffer_load_dword v139, off, s[0:3], 0 offset:232
	buffer_load_dword v141, off, s[0:3], 0 offset:224
	buffer_load_dword v143, off, s[0:3], 0 offset:216
	buffer_load_dword v109, off, s[0:3], 0 offset:208
	buffer_load_dword v144, off, s[0:3], 0 offset:220
	buffer_load_dword v142, off, s[0:3], 0 offset:228
	buffer_load_dword v140, off, s[0:3], 0 offset:236
	s_waitcnt vmcnt(34)
	v_fma_f64 v[101:102], v[111:112], v[103:104], v[101:102]
	s_waitcnt vmcnt(32) lgkmcnt(0)
	v_fma_f64 v[101:102], v[113:114], v[105:106], v[101:102]
	s_waitcnt vmcnt(30)
	v_fma_f64 v[111:112], v[115:116], v[107:108], v[101:102]
	ds_read2_b64 v[101:104], v100 offset0:65 offset1:66
	ds_read2_b64 v[105:108], v100 offset0:67 offset1:68
	s_waitcnt vmcnt(28) lgkmcnt(1)
	v_fma_f64 v[101:102], v[117:118], v[101:102], v[111:112]
	s_clause 0x7
	buffer_load_dword v112, off, s[0:3], 0 offset:244
	buffer_load_dword v113, off, s[0:3], 0 offset:264
	buffer_load_dword v115, off, s[0:3], 0 offset:256
	buffer_load_dword v117, off, s[0:3], 0 offset:248
	buffer_load_dword v111, off, s[0:3], 0 offset:240
	buffer_load_dword v118, off, s[0:3], 0 offset:252
	buffer_load_dword v116, off, s[0:3], 0 offset:260
	buffer_load_dword v114, off, s[0:3], 0 offset:268
	s_waitcnt vmcnt(34)
	v_fma_f64 v[101:102], v[119:120], v[103:104], v[101:102]
	s_waitcnt vmcnt(32) lgkmcnt(0)
	v_fma_f64 v[101:102], v[121:122], v[105:106], v[101:102]
	s_waitcnt vmcnt(27)
	v_fma_f64 v[119:120], v[123:124], v[107:108], v[101:102]
	ds_read2_b64 v[101:104], v100 offset0:69 offset1:70
	ds_read2_b64 v[105:108], v100 offset0:71 offset1:72
	;; [unrolled: 19-line block ×5, first 2 shown]
	s_waitcnt vmcnt(26) lgkmcnt(1)
	v_fma_f64 v[101:102], v[117:118], v[101:102], v[111:112]
	s_clause 0x5
	buffer_load_dword v112, off, s[0:3], 0 offset:372
	buffer_load_dword v117, off, s[0:3], 0 offset:384
	;; [unrolled: 1-line block ×6, first 2 shown]
	s_waitcnt vmcnt(31)
	v_fma_f64 v[101:102], v[115:116], v[103:104], v[101:102]
	s_waitcnt vmcnt(30) lgkmcnt(0)
	v_fma_f64 v[101:102], v[113:114], v[105:106], v[101:102]
	s_waitcnt vmcnt(25)
	v_fma_f64 v[113:114], v[119:120], v[107:108], v[101:102]
	ds_read2_b64 v[101:104], v100 offset0:85 offset1:86
	s_clause 0x1
	buffer_load_dword v115, off, s[0:3], 0 offset:80
	buffer_load_dword v116, off, s[0:3], 0 offset:84
	ds_read2_b64 v[105:108], v100 offset0:87 offset1:88
	s_waitcnt vmcnt(26) lgkmcnt(1)
	v_fma_f64 v[101:102], v[129:130], v[101:102], v[113:114]
	s_waitcnt vmcnt(25)
	v_fma_f64 v[101:102], v[123:124], v[103:104], v[101:102]
	s_waitcnt vmcnt(24) lgkmcnt(0)
	v_fma_f64 v[101:102], v[121:122], v[105:106], v[101:102]
	s_waitcnt vmcnt(19)
	v_fma_f64 v[113:114], v[125:126], v[107:108], v[101:102]
	ds_read2_b64 v[101:104], v100 offset0:89 offset1:90
	ds_read2_b64 v[105:108], v100 offset0:91 offset1:92
	s_waitcnt vmcnt(18) lgkmcnt(1)
	v_fma_f64 v[101:102], v[137:138], v[101:102], v[113:114]
	s_waitcnt vmcnt(17)
	v_fma_f64 v[101:102], v[131:132], v[103:104], v[101:102]
	s_waitcnt vmcnt(16) lgkmcnt(0)
	v_fma_f64 v[101:102], v[127:128], v[105:106], v[101:102]
	s_waitcnt vmcnt(11)
	v_fma_f64 v[109:110], v[109:110], v[107:108], v[101:102]
	ds_read2_b64 v[101:104], v100 offset0:93 offset1:94
	;; [unrolled: 10-line block ×3, first 2 shown]
	s_waitcnt vmcnt(3) lgkmcnt(0)
	v_fma_f64 v[100:101], v[139:140], v[100:101], v[104:105]
	s_waitcnt vmcnt(2)
	v_fma_f64 v[100:101], v[117:118], v[102:103], v[100:101]
	s_waitcnt vmcnt(0)
	v_add_f64 v[100:101], v[115:116], -v[100:101]
	buffer_store_dword v101, off, s[0:3], 0 offset:84
	buffer_store_dword v100, off, s[0:3], 0 offset:80
	v_cmpx_lt_u32_e32 9, v0
	s_cbranch_execz .LBB112_285
; %bb.284:
	s_clause 0x1
	buffer_load_dword v100, off, s[0:3], 0 offset:72
	buffer_load_dword v101, off, s[0:3], 0 offset:76
	v_mov_b32_e32 v102, 0
	buffer_store_dword v102, off, s[0:3], 0 offset:72
	buffer_store_dword v102, off, s[0:3], 0 offset:76
	s_waitcnt vmcnt(0)
	ds_write_b64 v99, v[100:101]
.LBB112_285:
	s_or_b32 exec_lo, exec_lo, s4
	s_waitcnt lgkmcnt(0)
	s_waitcnt_vscnt null, 0x0
	s_barrier
	buffer_gl0_inv
	s_clause 0x1c
	buffer_load_dword v109, off, s[0:3], 0 offset:80
	buffer_load_dword v110, off, s[0:3], 0 offset:84
	buffer_load_dword v111, off, s[0:3], 0 offset:88
	buffer_load_dword v112, off, s[0:3], 0 offset:92
	buffer_load_dword v113, off, s[0:3], 0 offset:96
	buffer_load_dword v114, off, s[0:3], 0 offset:100
	buffer_load_dword v115, off, s[0:3], 0 offset:104
	buffer_load_dword v116, off, s[0:3], 0 offset:108
	buffer_load_dword v117, off, s[0:3], 0 offset:112
	buffer_load_dword v118, off, s[0:3], 0 offset:116
	buffer_load_dword v119, off, s[0:3], 0 offset:120
	buffer_load_dword v120, off, s[0:3], 0 offset:124
	buffer_load_dword v121, off, s[0:3], 0 offset:128
	buffer_load_dword v122, off, s[0:3], 0 offset:132
	buffer_load_dword v124, off, s[0:3], 0 offset:140
	buffer_load_dword v125, off, s[0:3], 0 offset:160
	buffer_load_dword v127, off, s[0:3], 0 offset:152
	buffer_load_dword v129, off, s[0:3], 0 offset:144
	buffer_load_dword v123, off, s[0:3], 0 offset:136
	buffer_load_dword v130, off, s[0:3], 0 offset:148
	buffer_load_dword v128, off, s[0:3], 0 offset:156
	buffer_load_dword v126, off, s[0:3], 0 offset:164
	buffer_load_dword v132, off, s[0:3], 0 offset:172
	buffer_load_dword v133, off, s[0:3], 0 offset:192
	buffer_load_dword v135, off, s[0:3], 0 offset:184
	buffer_load_dword v137, off, s[0:3], 0 offset:176
	buffer_load_dword v131, off, s[0:3], 0 offset:168
	buffer_load_dword v138, off, s[0:3], 0 offset:180
	buffer_load_dword v136, off, s[0:3], 0 offset:188
	v_mov_b32_e32 v100, 0
	buffer_load_dword v134, off, s[0:3], 0 offset:196
	s_mov_b32 s4, exec_lo
	ds_read_b128 v[101:104], v100 offset:480
	ds_read_b128 v[105:108], v100 offset:496
	s_waitcnt vmcnt(28) lgkmcnt(1)
	v_fma_f64 v[101:102], v[109:110], v[101:102], 0
	s_clause 0x7
	buffer_load_dword v110, off, s[0:3], 0 offset:204
	buffer_load_dword v139, off, s[0:3], 0 offset:224
	buffer_load_dword v141, off, s[0:3], 0 offset:216
	buffer_load_dword v143, off, s[0:3], 0 offset:208
	buffer_load_dword v109, off, s[0:3], 0 offset:200
	buffer_load_dword v144, off, s[0:3], 0 offset:212
	buffer_load_dword v142, off, s[0:3], 0 offset:220
	buffer_load_dword v140, off, s[0:3], 0 offset:228
	s_waitcnt vmcnt(34)
	v_fma_f64 v[101:102], v[111:112], v[103:104], v[101:102]
	s_waitcnt vmcnt(32) lgkmcnt(0)
	v_fma_f64 v[101:102], v[113:114], v[105:106], v[101:102]
	s_waitcnt vmcnt(30)
	v_fma_f64 v[111:112], v[115:116], v[107:108], v[101:102]
	ds_read_b128 v[101:104], v100 offset:512
	ds_read_b128 v[105:108], v100 offset:528
	s_waitcnt vmcnt(28) lgkmcnt(1)
	v_fma_f64 v[101:102], v[117:118], v[101:102], v[111:112]
	s_clause 0x7
	buffer_load_dword v112, off, s[0:3], 0 offset:236
	buffer_load_dword v113, off, s[0:3], 0 offset:256
	buffer_load_dword v115, off, s[0:3], 0 offset:248
	buffer_load_dword v117, off, s[0:3], 0 offset:240
	buffer_load_dword v111, off, s[0:3], 0 offset:232
	buffer_load_dword v118, off, s[0:3], 0 offset:244
	buffer_load_dword v116, off, s[0:3], 0 offset:252
	buffer_load_dword v114, off, s[0:3], 0 offset:260
	s_waitcnt vmcnt(34)
	v_fma_f64 v[101:102], v[119:120], v[103:104], v[101:102]
	s_waitcnt vmcnt(32) lgkmcnt(0)
	v_fma_f64 v[101:102], v[121:122], v[105:106], v[101:102]
	s_waitcnt vmcnt(27)
	v_fma_f64 v[119:120], v[123:124], v[107:108], v[101:102]
	;; [unrolled: 19-line block ×6, first 2 shown]
	ds_read_b128 v[101:104], v100 offset:672
	ds_read_b128 v[105:108], v100 offset:688
	s_waitcnt vmcnt(26) lgkmcnt(1)
	v_fma_f64 v[101:102], v[129:130], v[101:102], v[113:114]
	s_clause 0x1
	buffer_load_dword v113, off, s[0:3], 0 offset:72
	buffer_load_dword v114, off, s[0:3], 0 offset:76
	s_waitcnt vmcnt(27)
	v_fma_f64 v[101:102], v[123:124], v[103:104], v[101:102]
	s_waitcnt vmcnt(26) lgkmcnt(0)
	v_fma_f64 v[101:102], v[121:122], v[105:106], v[101:102]
	s_waitcnt vmcnt(21)
	v_fma_f64 v[115:116], v[125:126], v[107:108], v[101:102]
	ds_read_b128 v[101:104], v100 offset:704
	ds_read_b128 v[105:108], v100 offset:720
	s_waitcnt vmcnt(20) lgkmcnt(1)
	v_fma_f64 v[101:102], v[137:138], v[101:102], v[115:116]
	s_waitcnt vmcnt(19)
	v_fma_f64 v[101:102], v[131:132], v[103:104], v[101:102]
	s_waitcnt vmcnt(18) lgkmcnt(0)
	v_fma_f64 v[101:102], v[127:128], v[105:106], v[101:102]
	s_waitcnt vmcnt(13)
	v_fma_f64 v[109:110], v[109:110], v[107:108], v[101:102]
	ds_read_b128 v[101:104], v100 offset:736
	ds_read_b128 v[105:108], v100 offset:752
	s_waitcnt vmcnt(12) lgkmcnt(1)
	v_fma_f64 v[101:102], v[143:144], v[101:102], v[109:110]
	s_waitcnt vmcnt(11)
	v_fma_f64 v[101:102], v[135:136], v[103:104], v[101:102]
	s_waitcnt vmcnt(10) lgkmcnt(0)
	v_fma_f64 v[101:102], v[133:134], v[105:106], v[101:102]
	s_waitcnt vmcnt(5)
	v_fma_f64 v[105:106], v[111:112], v[107:108], v[101:102]
	ds_read_b128 v[101:104], v100 offset:768
	ds_read_b64 v[107:108], v100 offset:784
	s_waitcnt vmcnt(4) lgkmcnt(1)
	v_fma_f64 v[101:102], v[141:142], v[101:102], v[105:106]
	s_waitcnt vmcnt(3)
	v_fma_f64 v[101:102], v[139:140], v[103:104], v[101:102]
	s_waitcnt vmcnt(2) lgkmcnt(0)
	v_fma_f64 v[101:102], v[117:118], v[107:108], v[101:102]
	s_waitcnt vmcnt(0)
	v_add_f64 v[101:102], v[113:114], -v[101:102]
	buffer_store_dword v102, off, s[0:3], 0 offset:76
	buffer_store_dword v101, off, s[0:3], 0 offset:72
	v_cmpx_lt_u32_e32 8, v0
	s_cbranch_execz .LBB112_287
; %bb.286:
	s_clause 0x1
	buffer_load_dword v101, off, s[0:3], 0 offset:64
	buffer_load_dword v102, off, s[0:3], 0 offset:68
	buffer_store_dword v100, off, s[0:3], 0 offset:64
	buffer_store_dword v100, off, s[0:3], 0 offset:68
	s_waitcnt vmcnt(0)
	ds_write_b64 v99, v[101:102]
.LBB112_287:
	s_or_b32 exec_lo, exec_lo, s4
	s_waitcnt lgkmcnt(0)
	s_waitcnt_vscnt null, 0x0
	s_barrier
	buffer_gl0_inv
	s_clause 0x1c
	buffer_load_dword v109, off, s[0:3], 0 offset:72
	buffer_load_dword v110, off, s[0:3], 0 offset:76
	;; [unrolled: 1-line block ×29, first 2 shown]
	ds_read2_b64 v[101:104], v100 offset0:59 offset1:60
	ds_read2_b64 v[105:108], v100 offset0:61 offset1:62
	buffer_load_dword v134, off, s[0:3], 0 offset:188
	s_mov_b32 s4, exec_lo
	s_waitcnt vmcnt(28) lgkmcnt(1)
	v_fma_f64 v[101:102], v[109:110], v[101:102], 0
	s_clause 0x7
	buffer_load_dword v110, off, s[0:3], 0 offset:196
	buffer_load_dword v139, off, s[0:3], 0 offset:216
	buffer_load_dword v141, off, s[0:3], 0 offset:208
	buffer_load_dword v143, off, s[0:3], 0 offset:200
	buffer_load_dword v109, off, s[0:3], 0 offset:192
	buffer_load_dword v144, off, s[0:3], 0 offset:204
	buffer_load_dword v142, off, s[0:3], 0 offset:212
	buffer_load_dword v140, off, s[0:3], 0 offset:220
	s_waitcnt vmcnt(34)
	v_fma_f64 v[101:102], v[111:112], v[103:104], v[101:102]
	s_waitcnt vmcnt(32) lgkmcnt(0)
	v_fma_f64 v[101:102], v[113:114], v[105:106], v[101:102]
	s_waitcnt vmcnt(30)
	v_fma_f64 v[111:112], v[115:116], v[107:108], v[101:102]
	ds_read2_b64 v[101:104], v100 offset0:63 offset1:64
	ds_read2_b64 v[105:108], v100 offset0:65 offset1:66
	s_waitcnt vmcnt(28) lgkmcnt(1)
	v_fma_f64 v[101:102], v[117:118], v[101:102], v[111:112]
	s_clause 0x7
	buffer_load_dword v112, off, s[0:3], 0 offset:228
	buffer_load_dword v113, off, s[0:3], 0 offset:248
	buffer_load_dword v115, off, s[0:3], 0 offset:240
	buffer_load_dword v117, off, s[0:3], 0 offset:232
	buffer_load_dword v111, off, s[0:3], 0 offset:224
	buffer_load_dword v118, off, s[0:3], 0 offset:236
	buffer_load_dword v116, off, s[0:3], 0 offset:244
	buffer_load_dword v114, off, s[0:3], 0 offset:252
	s_waitcnt vmcnt(34)
	v_fma_f64 v[101:102], v[119:120], v[103:104], v[101:102]
	s_waitcnt vmcnt(32) lgkmcnt(0)
	v_fma_f64 v[101:102], v[121:122], v[105:106], v[101:102]
	s_waitcnt vmcnt(27)
	v_fma_f64 v[119:120], v[123:124], v[107:108], v[101:102]
	ds_read2_b64 v[101:104], v100 offset0:67 offset1:68
	ds_read2_b64 v[105:108], v100 offset0:69 offset1:70
	;; [unrolled: 19-line block ×6, first 2 shown]
	s_waitcnt vmcnt(26) lgkmcnt(1)
	v_fma_f64 v[101:102], v[129:130], v[101:102], v[113:114]
	s_clause 0x3
	buffer_load_dword v114, off, s[0:3], 0 offset:388
	buffer_load_dword v113, off, s[0:3], 0 offset:384
	;; [unrolled: 1-line block ×4, first 2 shown]
	s_waitcnt vmcnt(29)
	v_fma_f64 v[101:102], v[123:124], v[103:104], v[101:102]
	s_waitcnt vmcnt(28) lgkmcnt(0)
	v_fma_f64 v[101:102], v[121:122], v[105:106], v[101:102]
	s_waitcnt vmcnt(23)
	v_fma_f64 v[119:120], v[125:126], v[107:108], v[101:102]
	ds_read2_b64 v[101:104], v100 offset0:87 offset1:88
	ds_read2_b64 v[105:108], v100 offset0:89 offset1:90
	s_waitcnt vmcnt(22) lgkmcnt(1)
	v_fma_f64 v[101:102], v[137:138], v[101:102], v[119:120]
	s_waitcnt vmcnt(21)
	v_fma_f64 v[101:102], v[131:132], v[103:104], v[101:102]
	s_waitcnt vmcnt(20) lgkmcnt(0)
	v_fma_f64 v[101:102], v[127:128], v[105:106], v[101:102]
	s_waitcnt vmcnt(15)
	v_fma_f64 v[109:110], v[109:110], v[107:108], v[101:102]
	ds_read2_b64 v[101:104], v100 offset0:91 offset1:92
	ds_read2_b64 v[105:108], v100 offset0:93 offset1:94
	s_waitcnt vmcnt(14) lgkmcnt(1)
	v_fma_f64 v[101:102], v[143:144], v[101:102], v[109:110]
	;; [unrolled: 10-line block ×3, first 2 shown]
	s_waitcnt vmcnt(5)
	v_fma_f64 v[100:101], v[139:140], v[103:104], v[100:101]
	s_waitcnt vmcnt(4) lgkmcnt(0)
	v_fma_f64 v[100:101], v[117:118], v[105:106], v[100:101]
	s_waitcnt vmcnt(2)
	v_fma_f64 v[100:101], v[113:114], v[107:108], v[100:101]
	s_waitcnt vmcnt(0)
	v_add_f64 v[100:101], v[115:116], -v[100:101]
	buffer_store_dword v101, off, s[0:3], 0 offset:68
	buffer_store_dword v100, off, s[0:3], 0 offset:64
	v_cmpx_lt_u32_e32 7, v0
	s_cbranch_execz .LBB112_289
; %bb.288:
	s_clause 0x1
	buffer_load_dword v100, off, s[0:3], 0 offset:56
	buffer_load_dword v101, off, s[0:3], 0 offset:60
	v_mov_b32_e32 v102, 0
	buffer_store_dword v102, off, s[0:3], 0 offset:56
	buffer_store_dword v102, off, s[0:3], 0 offset:60
	s_waitcnt vmcnt(0)
	ds_write_b64 v99, v[100:101]
.LBB112_289:
	s_or_b32 exec_lo, exec_lo, s4
	s_waitcnt lgkmcnt(0)
	s_waitcnt_vscnt null, 0x0
	s_barrier
	buffer_gl0_inv
	s_clause 0x1c
	buffer_load_dword v109, off, s[0:3], 0 offset:64
	buffer_load_dword v110, off, s[0:3], 0 offset:68
	;; [unrolled: 1-line block ×29, first 2 shown]
	v_mov_b32_e32 v100, 0
	buffer_load_dword v134, off, s[0:3], 0 offset:180
	s_mov_b32 s4, exec_lo
	ds_read_b128 v[101:104], v100 offset:464
	ds_read_b128 v[105:108], v100 offset:480
	s_waitcnt vmcnt(28) lgkmcnt(1)
	v_fma_f64 v[101:102], v[109:110], v[101:102], 0
	s_clause 0x7
	buffer_load_dword v110, off, s[0:3], 0 offset:188
	buffer_load_dword v139, off, s[0:3], 0 offset:208
	buffer_load_dword v141, off, s[0:3], 0 offset:200
	buffer_load_dword v143, off, s[0:3], 0 offset:192
	buffer_load_dword v109, off, s[0:3], 0 offset:184
	buffer_load_dword v144, off, s[0:3], 0 offset:196
	buffer_load_dword v142, off, s[0:3], 0 offset:204
	buffer_load_dword v140, off, s[0:3], 0 offset:212
	s_waitcnt vmcnt(34)
	v_fma_f64 v[101:102], v[111:112], v[103:104], v[101:102]
	s_waitcnt vmcnt(32) lgkmcnt(0)
	v_fma_f64 v[101:102], v[113:114], v[105:106], v[101:102]
	s_waitcnt vmcnt(30)
	v_fma_f64 v[111:112], v[115:116], v[107:108], v[101:102]
	ds_read_b128 v[101:104], v100 offset:496
	ds_read_b128 v[105:108], v100 offset:512
	s_waitcnt vmcnt(28) lgkmcnt(1)
	v_fma_f64 v[101:102], v[117:118], v[101:102], v[111:112]
	s_clause 0x7
	buffer_load_dword v112, off, s[0:3], 0 offset:220
	buffer_load_dword v113, off, s[0:3], 0 offset:240
	buffer_load_dword v115, off, s[0:3], 0 offset:232
	buffer_load_dword v117, off, s[0:3], 0 offset:224
	buffer_load_dword v111, off, s[0:3], 0 offset:216
	buffer_load_dword v118, off, s[0:3], 0 offset:228
	buffer_load_dword v116, off, s[0:3], 0 offset:236
	buffer_load_dword v114, off, s[0:3], 0 offset:244
	s_waitcnt vmcnt(34)
	v_fma_f64 v[101:102], v[119:120], v[103:104], v[101:102]
	s_waitcnt vmcnt(32) lgkmcnt(0)
	v_fma_f64 v[101:102], v[121:122], v[105:106], v[101:102]
	s_waitcnt vmcnt(27)
	v_fma_f64 v[119:120], v[123:124], v[107:108], v[101:102]
	;; [unrolled: 19-line block ×6, first 2 shown]
	ds_read_b128 v[101:104], v100 offset:656
	ds_read_b128 v[105:108], v100 offset:672
	s_waitcnt vmcnt(26) lgkmcnt(1)
	v_fma_f64 v[101:102], v[129:130], v[101:102], v[113:114]
	s_clause 0x5
	buffer_load_dword v114, off, s[0:3], 0 offset:380
	buffer_load_dword v115, off, s[0:3], 0 offset:384
	;; [unrolled: 1-line block ×6, first 2 shown]
	s_waitcnt vmcnt(31)
	v_fma_f64 v[101:102], v[123:124], v[103:104], v[101:102]
	s_waitcnt vmcnt(30) lgkmcnt(0)
	v_fma_f64 v[101:102], v[121:122], v[105:106], v[101:102]
	s_waitcnt vmcnt(25)
	v_fma_f64 v[121:122], v[125:126], v[107:108], v[101:102]
	ds_read_b128 v[101:104], v100 offset:688
	ds_read_b128 v[105:108], v100 offset:704
	s_waitcnt vmcnt(24) lgkmcnt(1)
	v_fma_f64 v[101:102], v[137:138], v[101:102], v[121:122]
	s_waitcnt vmcnt(23)
	v_fma_f64 v[101:102], v[131:132], v[103:104], v[101:102]
	s_waitcnt vmcnt(22) lgkmcnt(0)
	v_fma_f64 v[101:102], v[127:128], v[105:106], v[101:102]
	s_waitcnt vmcnt(17)
	v_fma_f64 v[109:110], v[109:110], v[107:108], v[101:102]
	ds_read_b128 v[101:104], v100 offset:720
	ds_read_b128 v[105:108], v100 offset:736
	s_waitcnt vmcnt(16) lgkmcnt(1)
	v_fma_f64 v[101:102], v[143:144], v[101:102], v[109:110]
	;; [unrolled: 10-line block ×3, first 2 shown]
	s_waitcnt vmcnt(7)
	v_fma_f64 v[101:102], v[139:140], v[103:104], v[101:102]
	ds_read_b64 v[103:104], v100 offset:784
	s_waitcnt vmcnt(6) lgkmcnt(1)
	v_fma_f64 v[101:102], v[117:118], v[105:106], v[101:102]
	s_waitcnt vmcnt(3)
	v_fma_f64 v[101:102], v[113:114], v[107:108], v[101:102]
	s_waitcnt vmcnt(2) lgkmcnt(0)
	v_fma_f64 v[101:102], v[115:116], v[103:104], v[101:102]
	s_waitcnt vmcnt(0)
	v_add_f64 v[101:102], v[119:120], -v[101:102]
	buffer_store_dword v102, off, s[0:3], 0 offset:60
	buffer_store_dword v101, off, s[0:3], 0 offset:56
	v_cmpx_lt_u32_e32 6, v0
	s_cbranch_execz .LBB112_291
; %bb.290:
	s_clause 0x1
	buffer_load_dword v101, off, s[0:3], 0 offset:48
	buffer_load_dword v102, off, s[0:3], 0 offset:52
	buffer_store_dword v100, off, s[0:3], 0 offset:48
	buffer_store_dword v100, off, s[0:3], 0 offset:52
	s_waitcnt vmcnt(0)
	ds_write_b64 v99, v[101:102]
.LBB112_291:
	s_or_b32 exec_lo, exec_lo, s4
	s_waitcnt lgkmcnt(0)
	s_waitcnt_vscnt null, 0x0
	s_barrier
	buffer_gl0_inv
	s_clause 0x1c
	buffer_load_dword v109, off, s[0:3], 0 offset:56
	buffer_load_dword v110, off, s[0:3], 0 offset:60
	buffer_load_dword v111, off, s[0:3], 0 offset:64
	buffer_load_dword v112, off, s[0:3], 0 offset:68
	buffer_load_dword v113, off, s[0:3], 0 offset:72
	buffer_load_dword v114, off, s[0:3], 0 offset:76
	buffer_load_dword v115, off, s[0:3], 0 offset:80
	buffer_load_dword v116, off, s[0:3], 0 offset:84
	buffer_load_dword v117, off, s[0:3], 0 offset:88
	buffer_load_dword v118, off, s[0:3], 0 offset:92
	buffer_load_dword v119, off, s[0:3], 0 offset:96
	buffer_load_dword v120, off, s[0:3], 0 offset:100
	buffer_load_dword v121, off, s[0:3], 0 offset:104
	buffer_load_dword v122, off, s[0:3], 0 offset:108
	buffer_load_dword v124, off, s[0:3], 0 offset:116
	buffer_load_dword v125, off, s[0:3], 0 offset:136
	buffer_load_dword v127, off, s[0:3], 0 offset:128
	buffer_load_dword v129, off, s[0:3], 0 offset:120
	buffer_load_dword v123, off, s[0:3], 0 offset:112
	buffer_load_dword v130, off, s[0:3], 0 offset:124
	buffer_load_dword v128, off, s[0:3], 0 offset:132
	buffer_load_dword v126, off, s[0:3], 0 offset:140
	buffer_load_dword v132, off, s[0:3], 0 offset:148
	buffer_load_dword v133, off, s[0:3], 0 offset:168
	buffer_load_dword v135, off, s[0:3], 0 offset:160
	buffer_load_dword v137, off, s[0:3], 0 offset:152
	buffer_load_dword v131, off, s[0:3], 0 offset:144
	buffer_load_dword v138, off, s[0:3], 0 offset:156
	buffer_load_dword v136, off, s[0:3], 0 offset:164
	ds_read2_b64 v[101:104], v100 offset0:57 offset1:58
	ds_read2_b64 v[105:108], v100 offset0:59 offset1:60
	buffer_load_dword v134, off, s[0:3], 0 offset:172
	s_mov_b32 s4, exec_lo
	s_waitcnt vmcnt(28) lgkmcnt(1)
	v_fma_f64 v[101:102], v[109:110], v[101:102], 0
	s_clause 0x7
	buffer_load_dword v110, off, s[0:3], 0 offset:180
	buffer_load_dword v139, off, s[0:3], 0 offset:200
	buffer_load_dword v141, off, s[0:3], 0 offset:192
	buffer_load_dword v143, off, s[0:3], 0 offset:184
	buffer_load_dword v109, off, s[0:3], 0 offset:176
	buffer_load_dword v144, off, s[0:3], 0 offset:188
	buffer_load_dword v142, off, s[0:3], 0 offset:196
	buffer_load_dword v140, off, s[0:3], 0 offset:204
	s_waitcnt vmcnt(34)
	v_fma_f64 v[101:102], v[111:112], v[103:104], v[101:102]
	s_waitcnt vmcnt(32) lgkmcnt(0)
	v_fma_f64 v[101:102], v[113:114], v[105:106], v[101:102]
	s_waitcnt vmcnt(30)
	v_fma_f64 v[111:112], v[115:116], v[107:108], v[101:102]
	ds_read2_b64 v[101:104], v100 offset0:61 offset1:62
	ds_read2_b64 v[105:108], v100 offset0:63 offset1:64
	s_waitcnt vmcnt(28) lgkmcnt(1)
	v_fma_f64 v[101:102], v[117:118], v[101:102], v[111:112]
	s_clause 0x7
	buffer_load_dword v112, off, s[0:3], 0 offset:212
	buffer_load_dword v113, off, s[0:3], 0 offset:232
	buffer_load_dword v115, off, s[0:3], 0 offset:224
	buffer_load_dword v117, off, s[0:3], 0 offset:216
	buffer_load_dword v111, off, s[0:3], 0 offset:208
	buffer_load_dword v118, off, s[0:3], 0 offset:220
	buffer_load_dword v116, off, s[0:3], 0 offset:228
	buffer_load_dword v114, off, s[0:3], 0 offset:236
	s_waitcnt vmcnt(34)
	v_fma_f64 v[101:102], v[119:120], v[103:104], v[101:102]
	s_waitcnt vmcnt(32) lgkmcnt(0)
	v_fma_f64 v[101:102], v[121:122], v[105:106], v[101:102]
	s_waitcnt vmcnt(27)
	v_fma_f64 v[119:120], v[123:124], v[107:108], v[101:102]
	ds_read2_b64 v[101:104], v100 offset0:65 offset1:66
	ds_read2_b64 v[105:108], v100 offset0:67 offset1:68
	;; [unrolled: 19-line block ×6, first 2 shown]
	s_waitcnt vmcnt(26) lgkmcnt(1)
	v_fma_f64 v[101:102], v[129:130], v[101:102], v[113:114]
	s_clause 0x5
	buffer_load_dword v114, off, s[0:3], 0 offset:372
	buffer_load_dword v115, off, s[0:3], 0 offset:384
	;; [unrolled: 1-line block ×6, first 2 shown]
	s_waitcnt vmcnt(31)
	v_fma_f64 v[101:102], v[123:124], v[103:104], v[101:102]
	s_waitcnt vmcnt(30) lgkmcnt(0)
	v_fma_f64 v[101:102], v[121:122], v[105:106], v[101:102]
	s_waitcnt vmcnt(25)
	v_fma_f64 v[121:122], v[125:126], v[107:108], v[101:102]
	ds_read2_b64 v[101:104], v100 offset0:85 offset1:86
	s_clause 0x1
	buffer_load_dword v123, off, s[0:3], 0 offset:48
	buffer_load_dword v124, off, s[0:3], 0 offset:52
	ds_read2_b64 v[105:108], v100 offset0:87 offset1:88
	s_waitcnt vmcnt(26) lgkmcnt(1)
	v_fma_f64 v[101:102], v[137:138], v[101:102], v[121:122]
	s_waitcnt vmcnt(25)
	v_fma_f64 v[101:102], v[131:132], v[103:104], v[101:102]
	s_waitcnt vmcnt(24) lgkmcnt(0)
	v_fma_f64 v[101:102], v[127:128], v[105:106], v[101:102]
	s_waitcnt vmcnt(19)
	v_fma_f64 v[109:110], v[109:110], v[107:108], v[101:102]
	ds_read2_b64 v[101:104], v100 offset0:89 offset1:90
	ds_read2_b64 v[105:108], v100 offset0:91 offset1:92
	s_waitcnt vmcnt(18) lgkmcnt(1)
	v_fma_f64 v[101:102], v[143:144], v[101:102], v[109:110]
	s_waitcnt vmcnt(17)
	v_fma_f64 v[101:102], v[135:136], v[103:104], v[101:102]
	s_waitcnt vmcnt(16) lgkmcnt(0)
	v_fma_f64 v[101:102], v[133:134], v[105:106], v[101:102]
	s_waitcnt vmcnt(11)
	v_fma_f64 v[109:110], v[111:112], v[107:108], v[101:102]
	ds_read2_b64 v[101:104], v100 offset0:93 offset1:94
	ds_read2_b64 v[105:108], v100 offset0:95 offset1:96
	s_waitcnt vmcnt(10) lgkmcnt(1)
	v_fma_f64 v[101:102], v[141:142], v[101:102], v[109:110]
	s_waitcnt vmcnt(9)
	v_fma_f64 v[101:102], v[139:140], v[103:104], v[101:102]
	s_waitcnt vmcnt(8) lgkmcnt(0)
	v_fma_f64 v[101:102], v[117:118], v[105:106], v[101:102]
	s_waitcnt vmcnt(4)
	v_fma_f64 v[104:105], v[113:114], v[107:108], v[101:102]
	ds_read2_b64 v[100:103], v100 offset0:97 offset1:98
	s_waitcnt vmcnt(3) lgkmcnt(0)
	v_fma_f64 v[100:101], v[119:120], v[100:101], v[104:105]
	s_waitcnt vmcnt(2)
	v_fma_f64 v[100:101], v[115:116], v[102:103], v[100:101]
	s_waitcnt vmcnt(0)
	v_add_f64 v[100:101], v[123:124], -v[100:101]
	buffer_store_dword v101, off, s[0:3], 0 offset:52
	buffer_store_dword v100, off, s[0:3], 0 offset:48
	v_cmpx_lt_u32_e32 5, v0
	s_cbranch_execz .LBB112_293
; %bb.292:
	s_clause 0x1
	buffer_load_dword v100, off, s[0:3], 0 offset:40
	buffer_load_dword v101, off, s[0:3], 0 offset:44
	v_mov_b32_e32 v102, 0
	buffer_store_dword v102, off, s[0:3], 0 offset:40
	buffer_store_dword v102, off, s[0:3], 0 offset:44
	s_waitcnt vmcnt(0)
	ds_write_b64 v99, v[100:101]
.LBB112_293:
	s_or_b32 exec_lo, exec_lo, s4
	s_waitcnt lgkmcnt(0)
	s_waitcnt_vscnt null, 0x0
	s_barrier
	buffer_gl0_inv
	s_clause 0x1c
	buffer_load_dword v109, off, s[0:3], 0 offset:48
	buffer_load_dword v110, off, s[0:3], 0 offset:52
	;; [unrolled: 1-line block ×29, first 2 shown]
	v_mov_b32_e32 v100, 0
	buffer_load_dword v134, off, s[0:3], 0 offset:164
	s_mov_b32 s4, exec_lo
	ds_read_b128 v[101:104], v100 offset:448
	ds_read_b128 v[105:108], v100 offset:464
	s_waitcnt vmcnt(28) lgkmcnt(1)
	v_fma_f64 v[101:102], v[109:110], v[101:102], 0
	s_clause 0x7
	buffer_load_dword v110, off, s[0:3], 0 offset:172
	buffer_load_dword v139, off, s[0:3], 0 offset:192
	buffer_load_dword v141, off, s[0:3], 0 offset:184
	buffer_load_dword v143, off, s[0:3], 0 offset:176
	buffer_load_dword v109, off, s[0:3], 0 offset:168
	buffer_load_dword v144, off, s[0:3], 0 offset:180
	buffer_load_dword v142, off, s[0:3], 0 offset:188
	buffer_load_dword v140, off, s[0:3], 0 offset:196
	s_waitcnt vmcnt(34)
	v_fma_f64 v[101:102], v[111:112], v[103:104], v[101:102]
	s_waitcnt vmcnt(32) lgkmcnt(0)
	v_fma_f64 v[101:102], v[113:114], v[105:106], v[101:102]
	s_waitcnt vmcnt(30)
	v_fma_f64 v[111:112], v[115:116], v[107:108], v[101:102]
	ds_read_b128 v[101:104], v100 offset:480
	ds_read_b128 v[105:108], v100 offset:496
	s_waitcnt vmcnt(28) lgkmcnt(1)
	v_fma_f64 v[101:102], v[117:118], v[101:102], v[111:112]
	s_clause 0x7
	buffer_load_dword v112, off, s[0:3], 0 offset:204
	buffer_load_dword v113, off, s[0:3], 0 offset:224
	buffer_load_dword v115, off, s[0:3], 0 offset:216
	buffer_load_dword v117, off, s[0:3], 0 offset:208
	buffer_load_dword v111, off, s[0:3], 0 offset:200
	buffer_load_dword v118, off, s[0:3], 0 offset:212
	buffer_load_dword v116, off, s[0:3], 0 offset:220
	buffer_load_dword v114, off, s[0:3], 0 offset:228
	s_waitcnt vmcnt(34)
	v_fma_f64 v[101:102], v[119:120], v[103:104], v[101:102]
	s_waitcnt vmcnt(32) lgkmcnt(0)
	v_fma_f64 v[101:102], v[121:122], v[105:106], v[101:102]
	s_waitcnt vmcnt(27)
	v_fma_f64 v[119:120], v[123:124], v[107:108], v[101:102]
	;; [unrolled: 19-line block ×7, first 2 shown]
	ds_read_b128 v[101:104], v100 offset:672
	ds_read_b128 v[105:108], v100 offset:688
	s_waitcnt vmcnt(26) lgkmcnt(1)
	v_fma_f64 v[101:102], v[137:138], v[101:102], v[121:122]
	s_clause 0x1
	buffer_load_dword v121, off, s[0:3], 0 offset:40
	buffer_load_dword v122, off, s[0:3], 0 offset:44
	s_waitcnt vmcnt(27)
	v_fma_f64 v[101:102], v[131:132], v[103:104], v[101:102]
	s_waitcnt vmcnt(26) lgkmcnt(0)
	v_fma_f64 v[101:102], v[127:128], v[105:106], v[101:102]
	s_waitcnt vmcnt(21)
	v_fma_f64 v[109:110], v[109:110], v[107:108], v[101:102]
	ds_read_b128 v[101:104], v100 offset:704
	ds_read_b128 v[105:108], v100 offset:720
	s_waitcnt vmcnt(20) lgkmcnt(1)
	v_fma_f64 v[101:102], v[143:144], v[101:102], v[109:110]
	s_waitcnt vmcnt(19)
	v_fma_f64 v[101:102], v[135:136], v[103:104], v[101:102]
	s_waitcnt vmcnt(18) lgkmcnt(0)
	v_fma_f64 v[101:102], v[133:134], v[105:106], v[101:102]
	s_waitcnt vmcnt(13)
	v_fma_f64 v[109:110], v[111:112], v[107:108], v[101:102]
	ds_read_b128 v[101:104], v100 offset:736
	ds_read_b128 v[105:108], v100 offset:752
	s_waitcnt vmcnt(12) lgkmcnt(1)
	v_fma_f64 v[101:102], v[141:142], v[101:102], v[109:110]
	s_waitcnt vmcnt(11)
	v_fma_f64 v[101:102], v[139:140], v[103:104], v[101:102]
	s_waitcnt vmcnt(10) lgkmcnt(0)
	v_fma_f64 v[101:102], v[117:118], v[105:106], v[101:102]
	s_waitcnt vmcnt(5)
	v_fma_f64 v[105:106], v[113:114], v[107:108], v[101:102]
	ds_read_b128 v[101:104], v100 offset:768
	ds_read_b64 v[107:108], v100 offset:784
	s_waitcnt vmcnt(4) lgkmcnt(1)
	v_fma_f64 v[101:102], v[129:130], v[101:102], v[105:106]
	s_waitcnt vmcnt(3)
	v_fma_f64 v[101:102], v[119:120], v[103:104], v[101:102]
	s_waitcnt vmcnt(2) lgkmcnt(0)
	v_fma_f64 v[101:102], v[115:116], v[107:108], v[101:102]
	s_waitcnt vmcnt(0)
	v_add_f64 v[101:102], v[121:122], -v[101:102]
	buffer_store_dword v102, off, s[0:3], 0 offset:44
	buffer_store_dword v101, off, s[0:3], 0 offset:40
	v_cmpx_lt_u32_e32 4, v0
	s_cbranch_execz .LBB112_295
; %bb.294:
	s_clause 0x1
	buffer_load_dword v101, off, s[0:3], 0 offset:32
	buffer_load_dword v102, off, s[0:3], 0 offset:36
	buffer_store_dword v100, off, s[0:3], 0 offset:32
	buffer_store_dword v100, off, s[0:3], 0 offset:36
	s_waitcnt vmcnt(0)
	ds_write_b64 v99, v[101:102]
.LBB112_295:
	s_or_b32 exec_lo, exec_lo, s4
	s_waitcnt lgkmcnt(0)
	s_waitcnt_vscnt null, 0x0
	s_barrier
	buffer_gl0_inv
	s_clause 0x1c
	buffer_load_dword v109, off, s[0:3], 0 offset:40
	buffer_load_dword v110, off, s[0:3], 0 offset:44
	;; [unrolled: 1-line block ×29, first 2 shown]
	ds_read2_b64 v[101:104], v100 offset0:55 offset1:56
	ds_read2_b64 v[105:108], v100 offset0:57 offset1:58
	buffer_load_dword v134, off, s[0:3], 0 offset:156
	s_mov_b32 s4, exec_lo
	s_waitcnt vmcnt(28) lgkmcnt(1)
	v_fma_f64 v[101:102], v[109:110], v[101:102], 0
	s_clause 0x7
	buffer_load_dword v110, off, s[0:3], 0 offset:164
	buffer_load_dword v139, off, s[0:3], 0 offset:184
	buffer_load_dword v141, off, s[0:3], 0 offset:176
	buffer_load_dword v143, off, s[0:3], 0 offset:168
	buffer_load_dword v109, off, s[0:3], 0 offset:160
	buffer_load_dword v144, off, s[0:3], 0 offset:172
	buffer_load_dword v142, off, s[0:3], 0 offset:180
	buffer_load_dword v140, off, s[0:3], 0 offset:188
	s_waitcnt vmcnt(34)
	v_fma_f64 v[101:102], v[111:112], v[103:104], v[101:102]
	s_waitcnt vmcnt(32) lgkmcnt(0)
	v_fma_f64 v[101:102], v[113:114], v[105:106], v[101:102]
	s_waitcnt vmcnt(30)
	v_fma_f64 v[111:112], v[115:116], v[107:108], v[101:102]
	ds_read2_b64 v[101:104], v100 offset0:59 offset1:60
	ds_read2_b64 v[105:108], v100 offset0:61 offset1:62
	s_waitcnt vmcnt(28) lgkmcnt(1)
	v_fma_f64 v[101:102], v[117:118], v[101:102], v[111:112]
	s_clause 0x7
	buffer_load_dword v112, off, s[0:3], 0 offset:196
	buffer_load_dword v113, off, s[0:3], 0 offset:216
	buffer_load_dword v115, off, s[0:3], 0 offset:208
	buffer_load_dword v117, off, s[0:3], 0 offset:200
	buffer_load_dword v111, off, s[0:3], 0 offset:192
	buffer_load_dword v118, off, s[0:3], 0 offset:204
	buffer_load_dword v116, off, s[0:3], 0 offset:212
	buffer_load_dword v114, off, s[0:3], 0 offset:220
	s_waitcnt vmcnt(34)
	v_fma_f64 v[101:102], v[119:120], v[103:104], v[101:102]
	s_waitcnt vmcnt(32) lgkmcnt(0)
	v_fma_f64 v[101:102], v[121:122], v[105:106], v[101:102]
	s_waitcnt vmcnt(27)
	v_fma_f64 v[119:120], v[123:124], v[107:108], v[101:102]
	ds_read2_b64 v[101:104], v100 offset0:63 offset1:64
	ds_read2_b64 v[105:108], v100 offset0:65 offset1:66
	;; [unrolled: 19-line block ×7, first 2 shown]
	s_waitcnt vmcnt(26) lgkmcnt(1)
	v_fma_f64 v[101:102], v[137:138], v[101:102], v[121:122]
	s_clause 0x3
	buffer_load_dword v122, off, s[0:3], 0 offset:388
	buffer_load_dword v121, off, s[0:3], 0 offset:384
	;; [unrolled: 1-line block ×4, first 2 shown]
	s_waitcnt vmcnt(29)
	v_fma_f64 v[101:102], v[131:132], v[103:104], v[101:102]
	s_waitcnt vmcnt(28) lgkmcnt(0)
	v_fma_f64 v[101:102], v[127:128], v[105:106], v[101:102]
	s_waitcnt vmcnt(23)
	v_fma_f64 v[109:110], v[109:110], v[107:108], v[101:102]
	ds_read2_b64 v[101:104], v100 offset0:87 offset1:88
	ds_read2_b64 v[105:108], v100 offset0:89 offset1:90
	s_waitcnt vmcnt(22) lgkmcnt(1)
	v_fma_f64 v[101:102], v[143:144], v[101:102], v[109:110]
	s_waitcnt vmcnt(21)
	v_fma_f64 v[101:102], v[135:136], v[103:104], v[101:102]
	s_waitcnt vmcnt(20) lgkmcnt(0)
	v_fma_f64 v[101:102], v[133:134], v[105:106], v[101:102]
	s_waitcnt vmcnt(15)
	v_fma_f64 v[109:110], v[111:112], v[107:108], v[101:102]
	ds_read2_b64 v[101:104], v100 offset0:91 offset1:92
	ds_read2_b64 v[105:108], v100 offset0:93 offset1:94
	s_waitcnt vmcnt(14) lgkmcnt(1)
	v_fma_f64 v[101:102], v[141:142], v[101:102], v[109:110]
	;; [unrolled: 10-line block ×3, first 2 shown]
	s_waitcnt vmcnt(5)
	v_fma_f64 v[100:101], v[119:120], v[103:104], v[100:101]
	s_waitcnt vmcnt(4) lgkmcnt(0)
	v_fma_f64 v[100:101], v[115:116], v[105:106], v[100:101]
	s_waitcnt vmcnt(2)
	v_fma_f64 v[100:101], v[121:122], v[107:108], v[100:101]
	s_waitcnt vmcnt(0)
	v_add_f64 v[100:101], v[123:124], -v[100:101]
	buffer_store_dword v101, off, s[0:3], 0 offset:36
	buffer_store_dword v100, off, s[0:3], 0 offset:32
	v_cmpx_lt_u32_e32 3, v0
	s_cbranch_execz .LBB112_297
; %bb.296:
	s_clause 0x1
	buffer_load_dword v100, off, s[0:3], 0 offset:24
	buffer_load_dword v101, off, s[0:3], 0 offset:28
	v_mov_b32_e32 v102, 0
	buffer_store_dword v102, off, s[0:3], 0 offset:24
	buffer_store_dword v102, off, s[0:3], 0 offset:28
	s_waitcnt vmcnt(0)
	ds_write_b64 v99, v[100:101]
.LBB112_297:
	s_or_b32 exec_lo, exec_lo, s4
	s_waitcnt lgkmcnt(0)
	s_waitcnt_vscnt null, 0x0
	s_barrier
	buffer_gl0_inv
	s_clause 0x1c
	buffer_load_dword v109, off, s[0:3], 0 offset:32
	buffer_load_dword v110, off, s[0:3], 0 offset:36
	;; [unrolled: 1-line block ×29, first 2 shown]
	v_mov_b32_e32 v100, 0
	buffer_load_dword v134, off, s[0:3], 0 offset:148
	s_mov_b32 s4, exec_lo
	ds_read_b128 v[101:104], v100 offset:432
	ds_read_b128 v[105:108], v100 offset:448
	s_waitcnt vmcnt(28) lgkmcnt(1)
	v_fma_f64 v[101:102], v[109:110], v[101:102], 0
	s_clause 0x7
	buffer_load_dword v110, off, s[0:3], 0 offset:156
	buffer_load_dword v139, off, s[0:3], 0 offset:176
	buffer_load_dword v141, off, s[0:3], 0 offset:168
	buffer_load_dword v143, off, s[0:3], 0 offset:160
	buffer_load_dword v109, off, s[0:3], 0 offset:152
	buffer_load_dword v144, off, s[0:3], 0 offset:164
	buffer_load_dword v142, off, s[0:3], 0 offset:172
	buffer_load_dword v140, off, s[0:3], 0 offset:180
	s_waitcnt vmcnt(34)
	v_fma_f64 v[101:102], v[111:112], v[103:104], v[101:102]
	s_waitcnt vmcnt(32) lgkmcnt(0)
	v_fma_f64 v[101:102], v[113:114], v[105:106], v[101:102]
	s_waitcnt vmcnt(30)
	v_fma_f64 v[111:112], v[115:116], v[107:108], v[101:102]
	ds_read_b128 v[101:104], v100 offset:464
	ds_read_b128 v[105:108], v100 offset:480
	s_waitcnt vmcnt(28) lgkmcnt(1)
	v_fma_f64 v[101:102], v[117:118], v[101:102], v[111:112]
	s_clause 0x7
	buffer_load_dword v112, off, s[0:3], 0 offset:188
	buffer_load_dword v113, off, s[0:3], 0 offset:208
	buffer_load_dword v115, off, s[0:3], 0 offset:200
	buffer_load_dword v117, off, s[0:3], 0 offset:192
	buffer_load_dword v111, off, s[0:3], 0 offset:184
	buffer_load_dword v118, off, s[0:3], 0 offset:196
	buffer_load_dword v116, off, s[0:3], 0 offset:204
	buffer_load_dword v114, off, s[0:3], 0 offset:212
	s_waitcnt vmcnt(34)
	v_fma_f64 v[101:102], v[119:120], v[103:104], v[101:102]
	s_waitcnt vmcnt(32) lgkmcnt(0)
	v_fma_f64 v[101:102], v[121:122], v[105:106], v[101:102]
	s_waitcnt vmcnt(27)
	v_fma_f64 v[119:120], v[123:124], v[107:108], v[101:102]
	ds_read_b128 v[101:104], v100 offset:496
	ds_read_b128 v[105:108], v100 offset:512
	s_waitcnt vmcnt(26) lgkmcnt(1)
	v_fma_f64 v[101:102], v[129:130], v[101:102], v[119:120]
	s_clause 0x7
	buffer_load_dword v120, off, s[0:3], 0 offset:220
	buffer_load_dword v121, off, s[0:3], 0 offset:240
	buffer_load_dword v123, off, s[0:3], 0 offset:232
	buffer_load_dword v129, off, s[0:3], 0 offset:224
	buffer_load_dword v119, off, s[0:3], 0 offset:216
	buffer_load_dword v130, off, s[0:3], 0 offset:228
	buffer_load_dword v124, off, s[0:3], 0 offset:236
	buffer_load_dword v122, off, s[0:3], 0 offset:244
	s_waitcnt vmcnt(33)
	v_fma_f64 v[101:102], v[127:128], v[103:104], v[101:102]
	s_waitcnt vmcnt(32) lgkmcnt(0)
	v_fma_f64 v[101:102], v[125:126], v[105:106], v[101:102]
	s_waitcnt vmcnt(27)
	v_fma_f64 v[125:126], v[131:132], v[107:108], v[101:102]
	ds_read_b128 v[101:104], v100 offset:528
	ds_read_b128 v[105:108], v100 offset:544
	s_waitcnt vmcnt(26) lgkmcnt(1)
	v_fma_f64 v[101:102], v[137:138], v[101:102], v[125:126]
	s_clause 0x7
	buffer_load_dword v126, off, s[0:3], 0 offset:252
	buffer_load_dword v127, off, s[0:3], 0 offset:272
	buffer_load_dword v131, off, s[0:3], 0 offset:264
	buffer_load_dword v137, off, s[0:3], 0 offset:256
	buffer_load_dword v125, off, s[0:3], 0 offset:248
	buffer_load_dword v138, off, s[0:3], 0 offset:260
	buffer_load_dword v132, off, s[0:3], 0 offset:268
	buffer_load_dword v128, off, s[0:3], 0 offset:276
	s_waitcnt vmcnt(33)
	v_fma_f64 v[101:102], v[135:136], v[103:104], v[101:102]
	s_waitcnt vmcnt(32) lgkmcnt(0)
	v_fma_f64 v[101:102], v[133:134], v[105:106], v[101:102]
	s_waitcnt vmcnt(27)
	v_fma_f64 v[109:110], v[109:110], v[107:108], v[101:102]
	ds_read_b128 v[101:104], v100 offset:560
	ds_read_b128 v[105:108], v100 offset:576
	s_waitcnt vmcnt(26) lgkmcnt(1)
	v_fma_f64 v[101:102], v[143:144], v[101:102], v[109:110]
	s_clause 0x7
	buffer_load_dword v110, off, s[0:3], 0 offset:284
	buffer_load_dword v133, off, s[0:3], 0 offset:304
	buffer_load_dword v135, off, s[0:3], 0 offset:296
	buffer_load_dword v143, off, s[0:3], 0 offset:288
	buffer_load_dword v109, off, s[0:3], 0 offset:280
	buffer_load_dword v144, off, s[0:3], 0 offset:292
	buffer_load_dword v136, off, s[0:3], 0 offset:300
	buffer_load_dword v134, off, s[0:3], 0 offset:308
	s_waitcnt vmcnt(33)
	v_fma_f64 v[101:102], v[141:142], v[103:104], v[101:102]
	s_waitcnt vmcnt(32) lgkmcnt(0)
	v_fma_f64 v[101:102], v[139:140], v[105:106], v[101:102]
	s_waitcnt vmcnt(27)
	v_fma_f64 v[111:112], v[111:112], v[107:108], v[101:102]
	ds_read_b128 v[101:104], v100 offset:592
	ds_read_b128 v[105:108], v100 offset:608
	s_waitcnt vmcnt(26) lgkmcnt(1)
	v_fma_f64 v[101:102], v[117:118], v[101:102], v[111:112]
	s_clause 0x7
	buffer_load_dword v112, off, s[0:3], 0 offset:316
	buffer_load_dword v117, off, s[0:3], 0 offset:336
	buffer_load_dword v139, off, s[0:3], 0 offset:328
	buffer_load_dword v141, off, s[0:3], 0 offset:320
	buffer_load_dword v111, off, s[0:3], 0 offset:312
	buffer_load_dword v142, off, s[0:3], 0 offset:324
	buffer_load_dword v140, off, s[0:3], 0 offset:332
	buffer_load_dword v118, off, s[0:3], 0 offset:340
	s_waitcnt vmcnt(33)
	v_fma_f64 v[101:102], v[115:116], v[103:104], v[101:102]
	s_waitcnt vmcnt(32) lgkmcnt(0)
	v_fma_f64 v[101:102], v[113:114], v[105:106], v[101:102]
	s_waitcnt vmcnt(27)
	v_fma_f64 v[113:114], v[119:120], v[107:108], v[101:102]
	ds_read_b128 v[101:104], v100 offset:624
	ds_read_b128 v[105:108], v100 offset:640
	s_waitcnt vmcnt(26) lgkmcnt(1)
	v_fma_f64 v[101:102], v[129:130], v[101:102], v[113:114]
	s_clause 0x7
	buffer_load_dword v114, off, s[0:3], 0 offset:348
	buffer_load_dword v115, off, s[0:3], 0 offset:368
	buffer_load_dword v119, off, s[0:3], 0 offset:360
	buffer_load_dword v129, off, s[0:3], 0 offset:352
	buffer_load_dword v113, off, s[0:3], 0 offset:344
	buffer_load_dword v130, off, s[0:3], 0 offset:356
	buffer_load_dword v120, off, s[0:3], 0 offset:364
	buffer_load_dword v116, off, s[0:3], 0 offset:372
	s_waitcnt vmcnt(33)
	v_fma_f64 v[101:102], v[123:124], v[103:104], v[101:102]
	s_waitcnt vmcnt(32) lgkmcnt(0)
	v_fma_f64 v[101:102], v[121:122], v[105:106], v[101:102]
	s_waitcnt vmcnt(27)
	v_fma_f64 v[121:122], v[125:126], v[107:108], v[101:102]
	ds_read_b128 v[101:104], v100 offset:656
	ds_read_b128 v[105:108], v100 offset:672
	s_waitcnt vmcnt(26) lgkmcnt(1)
	v_fma_f64 v[101:102], v[137:138], v[101:102], v[121:122]
	s_clause 0x5
	buffer_load_dword v122, off, s[0:3], 0 offset:380
	buffer_load_dword v123, off, s[0:3], 0 offset:384
	;; [unrolled: 1-line block ×6, first 2 shown]
	s_waitcnt vmcnt(31)
	v_fma_f64 v[101:102], v[131:132], v[103:104], v[101:102]
	s_waitcnt vmcnt(30) lgkmcnt(0)
	v_fma_f64 v[101:102], v[127:128], v[105:106], v[101:102]
	s_waitcnt vmcnt(25)
	v_fma_f64 v[109:110], v[109:110], v[107:108], v[101:102]
	ds_read_b128 v[101:104], v100 offset:688
	ds_read_b128 v[105:108], v100 offset:704
	s_waitcnt vmcnt(24) lgkmcnt(1)
	v_fma_f64 v[101:102], v[143:144], v[101:102], v[109:110]
	s_waitcnt vmcnt(23)
	v_fma_f64 v[101:102], v[135:136], v[103:104], v[101:102]
	s_waitcnt vmcnt(22) lgkmcnt(0)
	v_fma_f64 v[101:102], v[133:134], v[105:106], v[101:102]
	s_waitcnt vmcnt(17)
	v_fma_f64 v[109:110], v[111:112], v[107:108], v[101:102]
	ds_read_b128 v[101:104], v100 offset:720
	ds_read_b128 v[105:108], v100 offset:736
	s_waitcnt vmcnt(16) lgkmcnt(1)
	v_fma_f64 v[101:102], v[141:142], v[101:102], v[109:110]
	;; [unrolled: 10-line block ×3, first 2 shown]
	s_waitcnt vmcnt(7)
	v_fma_f64 v[101:102], v[119:120], v[103:104], v[101:102]
	ds_read_b64 v[103:104], v100 offset:784
	s_waitcnt vmcnt(6) lgkmcnt(1)
	v_fma_f64 v[101:102], v[115:116], v[105:106], v[101:102]
	s_waitcnt vmcnt(3)
	v_fma_f64 v[101:102], v[121:122], v[107:108], v[101:102]
	s_waitcnt vmcnt(2) lgkmcnt(0)
	v_fma_f64 v[101:102], v[123:124], v[103:104], v[101:102]
	s_waitcnt vmcnt(0)
	v_add_f64 v[101:102], v[125:126], -v[101:102]
	buffer_store_dword v102, off, s[0:3], 0 offset:28
	buffer_store_dword v101, off, s[0:3], 0 offset:24
	v_cmpx_lt_u32_e32 2, v0
	s_cbranch_execz .LBB112_299
; %bb.298:
	s_clause 0x1
	buffer_load_dword v101, off, s[0:3], 0 offset:16
	buffer_load_dword v102, off, s[0:3], 0 offset:20
	buffer_store_dword v100, off, s[0:3], 0 offset:16
	buffer_store_dword v100, off, s[0:3], 0 offset:20
	s_waitcnt vmcnt(0)
	ds_write_b64 v99, v[101:102]
.LBB112_299:
	s_or_b32 exec_lo, exec_lo, s4
	s_waitcnt lgkmcnt(0)
	s_waitcnt_vscnt null, 0x0
	s_barrier
	buffer_gl0_inv
	s_clause 0x1c
	buffer_load_dword v109, off, s[0:3], 0 offset:24
	buffer_load_dword v110, off, s[0:3], 0 offset:28
	;; [unrolled: 1-line block ×29, first 2 shown]
	ds_read2_b64 v[101:104], v100 offset0:53 offset1:54
	ds_read2_b64 v[105:108], v100 offset0:55 offset1:56
	buffer_load_dword v134, off, s[0:3], 0 offset:140
	s_mov_b32 s4, exec_lo
	s_waitcnt vmcnt(28) lgkmcnt(1)
	v_fma_f64 v[101:102], v[109:110], v[101:102], 0
	s_clause 0x7
	buffer_load_dword v110, off, s[0:3], 0 offset:148
	buffer_load_dword v139, off, s[0:3], 0 offset:168
	buffer_load_dword v141, off, s[0:3], 0 offset:160
	buffer_load_dword v143, off, s[0:3], 0 offset:152
	buffer_load_dword v109, off, s[0:3], 0 offset:144
	buffer_load_dword v144, off, s[0:3], 0 offset:156
	buffer_load_dword v142, off, s[0:3], 0 offset:164
	buffer_load_dword v140, off, s[0:3], 0 offset:172
	s_waitcnt vmcnt(34)
	v_fma_f64 v[101:102], v[111:112], v[103:104], v[101:102]
	s_waitcnt vmcnt(32) lgkmcnt(0)
	v_fma_f64 v[101:102], v[113:114], v[105:106], v[101:102]
	s_waitcnt vmcnt(30)
	v_fma_f64 v[111:112], v[115:116], v[107:108], v[101:102]
	ds_read2_b64 v[101:104], v100 offset0:57 offset1:58
	ds_read2_b64 v[105:108], v100 offset0:59 offset1:60
	s_waitcnt vmcnt(28) lgkmcnt(1)
	v_fma_f64 v[101:102], v[117:118], v[101:102], v[111:112]
	s_clause 0x7
	buffer_load_dword v112, off, s[0:3], 0 offset:180
	buffer_load_dword v113, off, s[0:3], 0 offset:200
	buffer_load_dword v115, off, s[0:3], 0 offset:192
	buffer_load_dword v117, off, s[0:3], 0 offset:184
	buffer_load_dword v111, off, s[0:3], 0 offset:176
	buffer_load_dword v118, off, s[0:3], 0 offset:188
	buffer_load_dword v116, off, s[0:3], 0 offset:196
	buffer_load_dword v114, off, s[0:3], 0 offset:204
	s_waitcnt vmcnt(34)
	v_fma_f64 v[101:102], v[119:120], v[103:104], v[101:102]
	s_waitcnt vmcnt(32) lgkmcnt(0)
	v_fma_f64 v[101:102], v[121:122], v[105:106], v[101:102]
	s_waitcnt vmcnt(27)
	v_fma_f64 v[119:120], v[123:124], v[107:108], v[101:102]
	ds_read2_b64 v[101:104], v100 offset0:61 offset1:62
	ds_read2_b64 v[105:108], v100 offset0:63 offset1:64
	;; [unrolled: 19-line block ×7, first 2 shown]
	s_waitcnt vmcnt(26) lgkmcnt(1)
	v_fma_f64 v[101:102], v[137:138], v[101:102], v[121:122]
	s_clause 0x5
	buffer_load_dword v122, off, s[0:3], 0 offset:372
	buffer_load_dword v123, off, s[0:3], 0 offset:384
	;; [unrolled: 1-line block ×6, first 2 shown]
	s_waitcnt vmcnt(31)
	v_fma_f64 v[101:102], v[131:132], v[103:104], v[101:102]
	s_waitcnt vmcnt(30) lgkmcnt(0)
	v_fma_f64 v[101:102], v[127:128], v[105:106], v[101:102]
	s_waitcnt vmcnt(25)
	v_fma_f64 v[109:110], v[109:110], v[107:108], v[101:102]
	ds_read2_b64 v[101:104], v100 offset0:85 offset1:86
	s_clause 0x1
	buffer_load_dword v127, off, s[0:3], 0 offset:16
	buffer_load_dword v128, off, s[0:3], 0 offset:20
	ds_read2_b64 v[105:108], v100 offset0:87 offset1:88
	s_waitcnt vmcnt(26) lgkmcnt(1)
	v_fma_f64 v[101:102], v[143:144], v[101:102], v[109:110]
	s_waitcnt vmcnt(25)
	v_fma_f64 v[101:102], v[135:136], v[103:104], v[101:102]
	s_waitcnt vmcnt(24) lgkmcnt(0)
	v_fma_f64 v[101:102], v[133:134], v[105:106], v[101:102]
	s_waitcnt vmcnt(19)
	v_fma_f64 v[109:110], v[111:112], v[107:108], v[101:102]
	ds_read2_b64 v[101:104], v100 offset0:89 offset1:90
	ds_read2_b64 v[105:108], v100 offset0:91 offset1:92
	s_waitcnt vmcnt(18) lgkmcnt(1)
	v_fma_f64 v[101:102], v[141:142], v[101:102], v[109:110]
	s_waitcnt vmcnt(17)
	v_fma_f64 v[101:102], v[139:140], v[103:104], v[101:102]
	s_waitcnt vmcnt(16) lgkmcnt(0)
	v_fma_f64 v[101:102], v[117:118], v[105:106], v[101:102]
	s_waitcnt vmcnt(11)
	v_fma_f64 v[109:110], v[113:114], v[107:108], v[101:102]
	ds_read2_b64 v[101:104], v100 offset0:93 offset1:94
	;; [unrolled: 10-line block ×3, first 2 shown]
	s_waitcnt vmcnt(3) lgkmcnt(0)
	v_fma_f64 v[100:101], v[125:126], v[100:101], v[104:105]
	s_waitcnt vmcnt(2)
	v_fma_f64 v[100:101], v[123:124], v[102:103], v[100:101]
	s_waitcnt vmcnt(0)
	v_add_f64 v[100:101], v[127:128], -v[100:101]
	buffer_store_dword v101, off, s[0:3], 0 offset:20
	buffer_store_dword v100, off, s[0:3], 0 offset:16
	v_cmpx_lt_u32_e32 1, v0
	s_cbranch_execz .LBB112_301
; %bb.300:
	s_clause 0x1
	buffer_load_dword v100, off, s[0:3], 0 offset:8
	buffer_load_dword v101, off, s[0:3], 0 offset:12
	v_mov_b32_e32 v102, 0
	buffer_store_dword v102, off, s[0:3], 0 offset:8
	buffer_store_dword v102, off, s[0:3], 0 offset:12
	s_waitcnt vmcnt(0)
	ds_write_b64 v99, v[100:101]
.LBB112_301:
	s_or_b32 exec_lo, exec_lo, s4
	s_waitcnt lgkmcnt(0)
	s_waitcnt_vscnt null, 0x0
	s_barrier
	buffer_gl0_inv
	s_clause 0x1c
	buffer_load_dword v110, off, s[0:3], 0 offset:16
	buffer_load_dword v111, off, s[0:3], 0 offset:20
	;; [unrolled: 1-line block ×29, first 2 shown]
	v_mov_b32_e32 v101, 0
	buffer_load_dword v135, off, s[0:3], 0 offset:132
	s_mov_b32 s4, exec_lo
	ds_read_b128 v[102:105], v101 offset:416
	ds_read_b128 v[106:109], v101 offset:432
	s_waitcnt vmcnt(28) lgkmcnt(1)
	v_fma_f64 v[102:103], v[110:111], v[102:103], 0
	s_clause 0x7
	buffer_load_dword v111, off, s[0:3], 0 offset:140
	buffer_load_dword v140, off, s[0:3], 0 offset:160
	buffer_load_dword v142, off, s[0:3], 0 offset:152
	buffer_load_dword v144, off, s[0:3], 0 offset:144
	buffer_load_dword v110, off, s[0:3], 0 offset:136
	buffer_load_dword v145, off, s[0:3], 0 offset:148
	buffer_load_dword v143, off, s[0:3], 0 offset:156
	buffer_load_dword v141, off, s[0:3], 0 offset:164
	s_waitcnt vmcnt(34)
	v_fma_f64 v[102:103], v[112:113], v[104:105], v[102:103]
	s_waitcnt vmcnt(32) lgkmcnt(0)
	v_fma_f64 v[102:103], v[114:115], v[106:107], v[102:103]
	s_waitcnt vmcnt(30)
	v_fma_f64 v[112:113], v[116:117], v[108:109], v[102:103]
	ds_read_b128 v[102:105], v101 offset:448
	ds_read_b128 v[106:109], v101 offset:464
	s_waitcnt vmcnt(28) lgkmcnt(1)
	v_fma_f64 v[102:103], v[118:119], v[102:103], v[112:113]
	s_clause 0x7
	buffer_load_dword v113, off, s[0:3], 0 offset:172
	buffer_load_dword v114, off, s[0:3], 0 offset:192
	buffer_load_dword v116, off, s[0:3], 0 offset:184
	buffer_load_dword v118, off, s[0:3], 0 offset:176
	buffer_load_dword v112, off, s[0:3], 0 offset:168
	buffer_load_dword v119, off, s[0:3], 0 offset:180
	buffer_load_dword v117, off, s[0:3], 0 offset:188
	buffer_load_dword v115, off, s[0:3], 0 offset:196
	s_waitcnt vmcnt(34)
	v_fma_f64 v[102:103], v[120:121], v[104:105], v[102:103]
	s_waitcnt vmcnt(32) lgkmcnt(0)
	v_fma_f64 v[102:103], v[122:123], v[106:107], v[102:103]
	s_waitcnt vmcnt(27)
	v_fma_f64 v[120:121], v[124:125], v[108:109], v[102:103]
	;; [unrolled: 19-line block ×8, first 2 shown]
	ds_read_b128 v[102:105], v101 offset:672
	ds_read_b128 v[106:109], v101 offset:688
	s_waitcnt vmcnt(26) lgkmcnt(1)
	v_fma_f64 v[102:103], v[144:145], v[102:103], v[110:111]
	s_clause 0x1
	buffer_load_dword v110, off, s[0:3], 0 offset:8
	buffer_load_dword v111, off, s[0:3], 0 offset:12
	s_waitcnt vmcnt(27)
	v_fma_f64 v[102:103], v[136:137], v[104:105], v[102:103]
	s_waitcnt vmcnt(26) lgkmcnt(0)
	v_fma_f64 v[102:103], v[134:135], v[106:107], v[102:103]
	s_waitcnt vmcnt(21)
	v_fma_f64 v[112:113], v[112:113], v[108:109], v[102:103]
	ds_read_b128 v[102:105], v101 offset:704
	ds_read_b128 v[106:109], v101 offset:720
	s_waitcnt vmcnt(20) lgkmcnt(1)
	v_fma_f64 v[102:103], v[142:143], v[102:103], v[112:113]
	s_waitcnt vmcnt(19)
	v_fma_f64 v[102:103], v[140:141], v[104:105], v[102:103]
	s_waitcnt vmcnt(18) lgkmcnt(0)
	v_fma_f64 v[102:103], v[118:119], v[106:107], v[102:103]
	s_waitcnt vmcnt(13)
	v_fma_f64 v[112:113], v[114:115], v[108:109], v[102:103]
	ds_read_b128 v[102:105], v101 offset:736
	ds_read_b128 v[106:109], v101 offset:752
	s_waitcnt vmcnt(12) lgkmcnt(1)
	v_fma_f64 v[102:103], v[130:131], v[102:103], v[112:113]
	s_waitcnt vmcnt(11)
	v_fma_f64 v[102:103], v[120:121], v[104:105], v[102:103]
	s_waitcnt vmcnt(10) lgkmcnt(0)
	v_fma_f64 v[102:103], v[116:117], v[106:107], v[102:103]
	s_waitcnt vmcnt(5)
	v_fma_f64 v[106:107], v[122:123], v[108:109], v[102:103]
	ds_read_b128 v[102:105], v101 offset:768
	ds_read_b64 v[108:109], v101 offset:784
	s_waitcnt vmcnt(4) lgkmcnt(1)
	v_fma_f64 v[102:103], v[138:139], v[102:103], v[106:107]
	s_waitcnt vmcnt(3)
	v_fma_f64 v[102:103], v[126:127], v[104:105], v[102:103]
	s_waitcnt vmcnt(2) lgkmcnt(0)
	v_fma_f64 v[102:103], v[124:125], v[108:109], v[102:103]
	s_waitcnt vmcnt(0)
	v_add_f64 v[102:103], v[110:111], -v[102:103]
	buffer_store_dword v103, off, s[0:3], 0 offset:12
	buffer_store_dword v102, off, s[0:3], 0 offset:8
	v_cmpx_ne_u32_e32 0, v0
	s_cbranch_execz .LBB112_303
; %bb.302:
	s_clause 0x1
	buffer_load_dword v102, off, s[0:3], 0
	buffer_load_dword v103, off, s[0:3], 0 offset:4
	buffer_store_dword v101, off, s[0:3], 0
	buffer_store_dword v101, off, s[0:3], 0 offset:4
	s_waitcnt vmcnt(0)
	ds_write_b64 v99, v[102:103]
.LBB112_303:
	s_or_b32 exec_lo, exec_lo, s4
	s_waitcnt lgkmcnt(0)
	s_waitcnt_vscnt null, 0x0
	s_barrier
	buffer_gl0_inv
	s_clause 0x1c
	buffer_load_dword v99, off, s[0:3], 0 offset:8
	buffer_load_dword v100, off, s[0:3], 0 offset:12
	;; [unrolled: 1-line block ×29, first 2 shown]
	ds_read2_b64 v[102:105], v101 offset0:51 offset1:52
	ds_read2_b64 v[106:109], v101 offset0:53 offset1:54
	s_clause 0x8
	buffer_load_dword v133, off, s[0:3], 0 offset:124
	buffer_load_dword v139, off, s[0:3], 0 offset:132
	;; [unrolled: 1-line block ×9, first 2 shown]
	s_and_b32 vcc_lo, exec_lo, s16
	s_waitcnt vmcnt(36) lgkmcnt(1)
	v_fma_f64 v[99:100], v[99:100], v[102:103], 0
	s_waitcnt vmcnt(34)
	v_fma_f64 v[99:100], v[110:111], v[104:105], v[99:100]
	ds_read2_b64 v[102:105], v101 offset0:55 offset1:56
	s_waitcnt vmcnt(32) lgkmcnt(1)
	v_fma_f64 v[99:100], v[112:113], v[106:107], v[99:100]
	s_waitcnt vmcnt(30)
	v_fma_f64 v[99:100], v[114:115], v[108:109], v[99:100]
	ds_read2_b64 v[106:109], v101 offset0:57 offset1:58
	s_waitcnt vmcnt(28) lgkmcnt(1)
	v_fma_f64 v[99:100], v[116:117], v[102:103], v[99:100]
	s_clause 0x7
	buffer_load_dword v111, off, s[0:3], 0 offset:164
	buffer_load_dword v112, off, s[0:3], 0 offset:184
	buffer_load_dword v114, off, s[0:3], 0 offset:176
	buffer_load_dword v116, off, s[0:3], 0 offset:168
	buffer_load_dword v110, off, s[0:3], 0 offset:160
	buffer_load_dword v117, off, s[0:3], 0 offset:172
	buffer_load_dword v115, off, s[0:3], 0 offset:180
	buffer_load_dword v113, off, s[0:3], 0 offset:188
	s_waitcnt vmcnt(34)
	v_fma_f64 v[99:100], v[118:119], v[104:105], v[99:100]
	ds_read2_b64 v[102:105], v101 offset0:59 offset1:60
	s_waitcnt vmcnt(32) lgkmcnt(1)
	v_fma_f64 v[99:100], v[120:121], v[106:107], v[99:100]
	s_waitcnt vmcnt(27)
	v_fma_f64 v[99:100], v[122:123], v[108:109], v[99:100]
	ds_read2_b64 v[106:109], v101 offset0:61 offset1:62
	s_waitcnt vmcnt(26) lgkmcnt(1)
	v_fma_f64 v[99:100], v[128:129], v[102:103], v[99:100]
	s_clause 0x7
	buffer_load_dword v119, off, s[0:3], 0 offset:196
	buffer_load_dword v120, off, s[0:3], 0 offset:216
	buffer_load_dword v122, off, s[0:3], 0 offset:208
	buffer_load_dword v128, off, s[0:3], 0 offset:200
	buffer_load_dword v118, off, s[0:3], 0 offset:192
	buffer_load_dword v129, off, s[0:3], 0 offset:204
	buffer_load_dword v123, off, s[0:3], 0 offset:212
	buffer_load_dword v121, off, s[0:3], 0 offset:220
	;; [unrolled: 19-line block ×7, first 2 shown]
	s_waitcnt vmcnt(33)
	v_fma_f64 v[102:103], v[130:131], v[104:105], v[102:103]
	s_waitcnt vmcnt(32) lgkmcnt(0)
	v_fma_f64 v[102:103], v[126:127], v[106:107], v[102:103]
	s_waitcnt vmcnt(27)
	v_fma_f64 v[126:127], v[132:133], v[108:109], v[102:103]
	ds_read2_b64 v[102:105], v101 offset0:83 offset1:84
	ds_read2_b64 v[106:109], v101 offset0:85 offset1:86
	s_waitcnt vmcnt(26) lgkmcnt(1)
	v_fma_f64 v[102:103], v[144:145], v[102:103], v[126:127]
	s_clause 0x3
	buffer_load_dword v127, off, s[0:3], 0 offset:388
	buffer_load_dword v126, off, s[0:3], 0 offset:384
	buffer_load_dword v130, off, s[0:3], 0
	buffer_load_dword v131, off, s[0:3], 0 offset:4
	s_waitcnt vmcnt(29)
	v_fma_f64 v[102:103], v[138:139], v[104:105], v[102:103]
	s_waitcnt vmcnt(28) lgkmcnt(0)
	v_fma_f64 v[102:103], v[134:135], v[106:107], v[102:103]
	s_waitcnt vmcnt(23)
	v_fma_f64 v[110:111], v[110:111], v[108:109], v[102:103]
	ds_read2_b64 v[102:105], v101 offset0:87 offset1:88
	ds_read2_b64 v[106:109], v101 offset0:89 offset1:90
	s_waitcnt vmcnt(22) lgkmcnt(1)
	v_fma_f64 v[102:103], v[142:143], v[102:103], v[110:111]
	s_waitcnt vmcnt(21)
	v_fma_f64 v[102:103], v[140:141], v[104:105], v[102:103]
	s_waitcnt vmcnt(20) lgkmcnt(0)
	v_fma_f64 v[102:103], v[116:117], v[106:107], v[102:103]
	s_waitcnt vmcnt(15)
	v_fma_f64 v[110:111], v[112:113], v[108:109], v[102:103]
	ds_read2_b64 v[102:105], v101 offset0:91 offset1:92
	ds_read2_b64 v[106:109], v101 offset0:93 offset1:94
	s_waitcnt vmcnt(14) lgkmcnt(1)
	v_fma_f64 v[102:103], v[128:129], v[102:103], v[110:111]
	;; [unrolled: 10-line block ×3, first 2 shown]
	s_waitcnt vmcnt(5)
	v_fma_f64 v[101:102], v[122:123], v[104:105], v[101:102]
	s_waitcnt vmcnt(4) lgkmcnt(0)
	v_fma_f64 v[101:102], v[99:100], v[106:107], v[101:102]
	s_waitcnt vmcnt(2)
	v_fma_f64 v[101:102], v[126:127], v[108:109], v[101:102]
	s_waitcnt vmcnt(0)
	v_add_f64 v[101:102], v[130:131], -v[101:102]
	buffer_store_dword v102, off, s[0:3], 0 offset:4
	buffer_store_dword v101, off, s[0:3], 0
	s_cbranch_vccz .LBB112_400
; %bb.304:
	v_mov_b32_e32 v0, 0
	global_load_dword v101, v0, s[12:13] offset:188
	s_waitcnt vmcnt(0)
	v_add_nc_u32_e32 v101, -1, v101
	v_cmp_ne_u32_e32 vcc_lo, 47, v101
	s_cbranch_vccz .LBB112_306
; %bb.305:
	v_lshlrev_b32_e32 v101, 3, v101
	s_clause 0x1
	buffer_load_dword v102, v101, s[0:3], 0 offen
	buffer_load_dword v103, v101, s[0:3], 0 offen offset:4
	s_waitcnt vmcnt(1)
	buffer_store_dword v102, off, s[0:3], 0 offset:376
	s_waitcnt vmcnt(0)
	buffer_store_dword v103, off, s[0:3], 0 offset:380
	buffer_store_dword v99, v101, s[0:3], 0 offen
	buffer_store_dword v100, v101, s[0:3], 0 offen offset:4
.LBB112_306:
	global_load_dword v0, v0, s[12:13] offset:184
	s_waitcnt vmcnt(0)
	v_add_nc_u32_e32 v0, -1, v0
	v_cmp_eq_u32_e32 vcc_lo, 46, v0
	s_cbranch_vccnz .LBB112_308
; %bb.307:
	v_lshlrev_b32_e32 v0, 3, v0
	s_clause 0x3
	buffer_load_dword v99, v0, s[0:3], 0 offen
	buffer_load_dword v100, v0, s[0:3], 0 offen offset:4
	buffer_load_dword v101, off, s[0:3], 0 offset:372
	buffer_load_dword v102, off, s[0:3], 0 offset:368
	s_waitcnt vmcnt(3)
	buffer_store_dword v99, off, s[0:3], 0 offset:368
	s_waitcnt vmcnt(2)
	buffer_store_dword v100, off, s[0:3], 0 offset:372
	s_waitcnt vmcnt(1)
	buffer_store_dword v101, v0, s[0:3], 0 offen offset:4
	s_waitcnt vmcnt(0)
	buffer_store_dword v102, v0, s[0:3], 0 offen
.LBB112_308:
	v_mov_b32_e32 v0, 0
	global_load_dword v99, v0, s[12:13] offset:180
	s_waitcnt vmcnt(0)
	v_add_nc_u32_e32 v99, -1, v99
	v_cmp_eq_u32_e32 vcc_lo, 45, v99
	s_cbranch_vccnz .LBB112_310
; %bb.309:
	v_lshlrev_b32_e32 v99, 3, v99
	s_clause 0x3
	buffer_load_dword v100, v99, s[0:3], 0 offen
	buffer_load_dword v101, v99, s[0:3], 0 offen offset:4
	buffer_load_dword v102, off, s[0:3], 0 offset:360
	buffer_load_dword v103, off, s[0:3], 0 offset:364
	s_waitcnt vmcnt(3)
	buffer_store_dword v100, off, s[0:3], 0 offset:360
	s_waitcnt vmcnt(2)
	buffer_store_dword v101, off, s[0:3], 0 offset:364
	s_waitcnt vmcnt(1)
	buffer_store_dword v102, v99, s[0:3], 0 offen
	s_waitcnt vmcnt(0)
	buffer_store_dword v103, v99, s[0:3], 0 offen offset:4
.LBB112_310:
	global_load_dword v0, v0, s[12:13] offset:176
	s_waitcnt vmcnt(0)
	v_add_nc_u32_e32 v0, -1, v0
	v_cmp_eq_u32_e32 vcc_lo, 44, v0
	s_cbranch_vccnz .LBB112_312
; %bb.311:
	v_lshlrev_b32_e32 v0, 3, v0
	s_clause 0x3
	buffer_load_dword v99, v0, s[0:3], 0 offen
	buffer_load_dword v100, v0, s[0:3], 0 offen offset:4
	buffer_load_dword v101, off, s[0:3], 0 offset:356
	buffer_load_dword v102, off, s[0:3], 0 offset:352
	s_waitcnt vmcnt(3)
	buffer_store_dword v99, off, s[0:3], 0 offset:352
	s_waitcnt vmcnt(2)
	buffer_store_dword v100, off, s[0:3], 0 offset:356
	s_waitcnt vmcnt(1)
	buffer_store_dword v101, v0, s[0:3], 0 offen offset:4
	s_waitcnt vmcnt(0)
	buffer_store_dword v102, v0, s[0:3], 0 offen
.LBB112_312:
	v_mov_b32_e32 v0, 0
	global_load_dword v99, v0, s[12:13] offset:172
	s_waitcnt vmcnt(0)
	v_add_nc_u32_e32 v99, -1, v99
	v_cmp_eq_u32_e32 vcc_lo, 43, v99
	s_cbranch_vccnz .LBB112_314
; %bb.313:
	v_lshlrev_b32_e32 v99, 3, v99
	s_clause 0x3
	buffer_load_dword v100, v99, s[0:3], 0 offen
	buffer_load_dword v101, v99, s[0:3], 0 offen offset:4
	buffer_load_dword v102, off, s[0:3], 0 offset:344
	buffer_load_dword v103, off, s[0:3], 0 offset:348
	s_waitcnt vmcnt(3)
	buffer_store_dword v100, off, s[0:3], 0 offset:344
	s_waitcnt vmcnt(2)
	buffer_store_dword v101, off, s[0:3], 0 offset:348
	s_waitcnt vmcnt(1)
	buffer_store_dword v102, v99, s[0:3], 0 offen
	s_waitcnt vmcnt(0)
	buffer_store_dword v103, v99, s[0:3], 0 offen offset:4
.LBB112_314:
	;; [unrolled: 43-line block ×23, first 2 shown]
	global_load_dword v0, v0, s[12:13]
	s_clause 0x1
	buffer_load_dword v101, off, s[0:3], 0
	buffer_load_dword v102, off, s[0:3], 0 offset:4
	s_waitcnt vmcnt(2)
	v_add_nc_u32_e32 v0, -1, v0
	v_cmp_eq_u32_e32 vcc_lo, 0, v0
	s_cbranch_vccnz .LBB112_400
; %bb.399:
	v_lshlrev_b32_e32 v0, 3, v0
	s_clause 0x1
	buffer_load_dword v99, v0, s[0:3], 0 offen offset:4
	buffer_load_dword v100, v0, s[0:3], 0 offen
	s_waitcnt vmcnt(1)
	buffer_store_dword v99, off, s[0:3], 0 offset:4
	s_waitcnt vmcnt(0)
	buffer_store_dword v100, off, s[0:3], 0
	buffer_store_dword v102, v0, s[0:3], 0 offen offset:4
	buffer_store_dword v101, v0, s[0:3], 0 offen
	s_clause 0x1
	buffer_load_dword v101, off, s[0:3], 0
	buffer_load_dword v102, off, s[0:3], 0 offset:4
.LBB112_400:
	s_waitcnt vmcnt(0)
	flat_store_dwordx2 v[1:2], v[101:102]
	s_clause 0x1
	buffer_load_dword v0, off, s[0:3], 0 offset:8
	buffer_load_dword v1, off, s[0:3], 0 offset:12
	s_waitcnt vmcnt(0)
	flat_store_dwordx2 v[3:4], v[0:1]
	s_clause 0x1
	buffer_load_dword v0, off, s[0:3], 0 offset:16
	buffer_load_dword v1, off, s[0:3], 0 offset:20
	;; [unrolled: 5-line block ×48, first 2 shown]
	s_waitcnt vmcnt(0)
	flat_store_dwordx2 v[97:98], v[0:1]
	s_endpgm
	.section	.rodata,"a",@progbits
	.p2align	6, 0x0
	.amdhsa_kernel _ZN9rocsolver6v33100L18getri_kernel_smallILi49EdPKPdEEvT1_iilPiilS6_bb
		.amdhsa_group_segment_fixed_size 792
		.amdhsa_private_segment_fixed_size 400
		.amdhsa_kernarg_size 60
		.amdhsa_user_sgpr_count 6
		.amdhsa_user_sgpr_private_segment_buffer 1
		.amdhsa_user_sgpr_dispatch_ptr 0
		.amdhsa_user_sgpr_queue_ptr 0
		.amdhsa_user_sgpr_kernarg_segment_ptr 1
		.amdhsa_user_sgpr_dispatch_id 0
		.amdhsa_user_sgpr_flat_scratch_init 0
		.amdhsa_user_sgpr_private_segment_size 0
		.amdhsa_wavefront_size32 1
		.amdhsa_uses_dynamic_stack 0
		.amdhsa_system_sgpr_private_segment_wavefront_offset 1
		.amdhsa_system_sgpr_workgroup_id_x 1
		.amdhsa_system_sgpr_workgroup_id_y 0
		.amdhsa_system_sgpr_workgroup_id_z 0
		.amdhsa_system_sgpr_workgroup_info 0
		.amdhsa_system_vgpr_workitem_id 0
		.amdhsa_next_free_vgpr 146
		.amdhsa_next_free_sgpr 20
		.amdhsa_reserve_vcc 1
		.amdhsa_reserve_flat_scratch 0
		.amdhsa_float_round_mode_32 0
		.amdhsa_float_round_mode_16_64 0
		.amdhsa_float_denorm_mode_32 3
		.amdhsa_float_denorm_mode_16_64 3
		.amdhsa_dx10_clamp 1
		.amdhsa_ieee_mode 1
		.amdhsa_fp16_overflow 0
		.amdhsa_workgroup_processor_mode 1
		.amdhsa_memory_ordered 1
		.amdhsa_forward_progress 1
		.amdhsa_shared_vgpr_count 0
		.amdhsa_exception_fp_ieee_invalid_op 0
		.amdhsa_exception_fp_denorm_src 0
		.amdhsa_exception_fp_ieee_div_zero 0
		.amdhsa_exception_fp_ieee_overflow 0
		.amdhsa_exception_fp_ieee_underflow 0
		.amdhsa_exception_fp_ieee_inexact 0
		.amdhsa_exception_int_div_zero 0
	.end_amdhsa_kernel
	.section	.text._ZN9rocsolver6v33100L18getri_kernel_smallILi49EdPKPdEEvT1_iilPiilS6_bb,"axG",@progbits,_ZN9rocsolver6v33100L18getri_kernel_smallILi49EdPKPdEEvT1_iilPiilS6_bb,comdat
.Lfunc_end112:
	.size	_ZN9rocsolver6v33100L18getri_kernel_smallILi49EdPKPdEEvT1_iilPiilS6_bb, .Lfunc_end112-_ZN9rocsolver6v33100L18getri_kernel_smallILi49EdPKPdEEvT1_iilPiilS6_bb
                                        ; -- End function
	.set _ZN9rocsolver6v33100L18getri_kernel_smallILi49EdPKPdEEvT1_iilPiilS6_bb.num_vgpr, 146
	.set _ZN9rocsolver6v33100L18getri_kernel_smallILi49EdPKPdEEvT1_iilPiilS6_bb.num_agpr, 0
	.set _ZN9rocsolver6v33100L18getri_kernel_smallILi49EdPKPdEEvT1_iilPiilS6_bb.numbered_sgpr, 20
	.set _ZN9rocsolver6v33100L18getri_kernel_smallILi49EdPKPdEEvT1_iilPiilS6_bb.num_named_barrier, 0
	.set _ZN9rocsolver6v33100L18getri_kernel_smallILi49EdPKPdEEvT1_iilPiilS6_bb.private_seg_size, 400
	.set _ZN9rocsolver6v33100L18getri_kernel_smallILi49EdPKPdEEvT1_iilPiilS6_bb.uses_vcc, 1
	.set _ZN9rocsolver6v33100L18getri_kernel_smallILi49EdPKPdEEvT1_iilPiilS6_bb.uses_flat_scratch, 0
	.set _ZN9rocsolver6v33100L18getri_kernel_smallILi49EdPKPdEEvT1_iilPiilS6_bb.has_dyn_sized_stack, 0
	.set _ZN9rocsolver6v33100L18getri_kernel_smallILi49EdPKPdEEvT1_iilPiilS6_bb.has_recursion, 0
	.set _ZN9rocsolver6v33100L18getri_kernel_smallILi49EdPKPdEEvT1_iilPiilS6_bb.has_indirect_call, 0
	.section	.AMDGPU.csdata,"",@progbits
; Kernel info:
; codeLenInByte = 66100
; TotalNumSgprs: 22
; NumVgprs: 146
; ScratchSize: 400
; MemoryBound: 1
; FloatMode: 240
; IeeeMode: 1
; LDSByteSize: 792 bytes/workgroup (compile time only)
; SGPRBlocks: 0
; VGPRBlocks: 18
; NumSGPRsForWavesPerEU: 22
; NumVGPRsForWavesPerEU: 146
; Occupancy: 6
; WaveLimiterHint : 1
; COMPUTE_PGM_RSRC2:SCRATCH_EN: 1
; COMPUTE_PGM_RSRC2:USER_SGPR: 6
; COMPUTE_PGM_RSRC2:TRAP_HANDLER: 0
; COMPUTE_PGM_RSRC2:TGID_X_EN: 1
; COMPUTE_PGM_RSRC2:TGID_Y_EN: 0
; COMPUTE_PGM_RSRC2:TGID_Z_EN: 0
; COMPUTE_PGM_RSRC2:TIDIG_COMP_CNT: 0
	.section	.text._ZN9rocsolver6v33100L18getri_kernel_smallILi50EdPKPdEEvT1_iilPiilS6_bb,"axG",@progbits,_ZN9rocsolver6v33100L18getri_kernel_smallILi50EdPKPdEEvT1_iilPiilS6_bb,comdat
	.globl	_ZN9rocsolver6v33100L18getri_kernel_smallILi50EdPKPdEEvT1_iilPiilS6_bb ; -- Begin function _ZN9rocsolver6v33100L18getri_kernel_smallILi50EdPKPdEEvT1_iilPiilS6_bb
	.p2align	8
	.type	_ZN9rocsolver6v33100L18getri_kernel_smallILi50EdPKPdEEvT1_iilPiilS6_bb,@function
_ZN9rocsolver6v33100L18getri_kernel_smallILi50EdPKPdEEvT1_iilPiilS6_bb: ; @_ZN9rocsolver6v33100L18getri_kernel_smallILi50EdPKPdEEvT1_iilPiilS6_bb
; %bb.0:
	s_add_u32 s0, s0, s7
	s_addc_u32 s1, s1, 0
	s_mov_b32 s7, exec_lo
	v_cmpx_gt_u32_e32 50, v0
	s_cbranch_execz .LBB113_210
; %bb.1:
	s_clause 0x2
	s_load_dword s17, s[4:5], 0x38
	s_load_dwordx2 s[12:13], s[4:5], 0x0
	s_load_dwordx4 s[8:11], s[4:5], 0x28
	s_waitcnt lgkmcnt(0)
	s_bitcmp1_b32 s17, 8
	s_cselect_b32 s16, -1, 0
	s_ashr_i32 s7, s6, 31
	s_lshl_b64 s[14:15], s[6:7], 3
	s_add_u32 s12, s12, s14
	s_addc_u32 s13, s13, s15
	s_load_dwordx2 s[14:15], s[12:13], 0x0
	s_bfe_u32 s12, s17, 0x10008
	s_cmp_eq_u32 s12, 0
                                        ; implicit-def: $sgpr12_sgpr13
	s_cbranch_scc1 .LBB113_3
; %bb.2:
	s_clause 0x1
	s_load_dword s12, s[4:5], 0x20
	s_load_dwordx2 s[18:19], s[4:5], 0x18
	s_mul_i32 s13, s8, s7
	s_mul_hi_u32 s17, s8, s6
	s_mul_i32 s9, s9, s6
	s_add_i32 s13, s17, s13
	s_mul_i32 s8, s8, s6
	s_add_i32 s9, s13, s9
	s_lshl_b64 s[8:9], s[8:9], 2
	s_waitcnt lgkmcnt(0)
	s_ashr_i32 s13, s12, 31
	s_add_u32 s17, s18, s8
	s_addc_u32 s18, s19, s9
	s_lshl_b64 s[8:9], s[12:13], 2
	s_add_u32 s12, s17, s8
	s_addc_u32 s13, s18, s9
.LBB113_3:
	s_clause 0x1
	s_load_dwordx2 s[8:9], s[4:5], 0x8
	s_load_dword s17, s[4:5], 0x38
	v_lshlrev_b32_e32 v103, 3, v0
	s_waitcnt lgkmcnt(0)
	s_ashr_i32 s5, s8, 31
	s_mov_b32 s4, s8
	v_add3_u32 v9, s9, s9, v0
	s_lshl_b64 s[4:5], s[4:5], 3
	s_add_u32 s4, s14, s4
	s_addc_u32 s5, s15, s5
	v_add_co_u32 v1, s8, s4, v103
	v_add_co_ci_u32_e64 v2, null, s5, 0, s8
	s_mov_b32 s14, s9
	s_ashr_i32 s15, s9, 31
	v_ashrrev_i32_e32 v10, 31, v9
	flat_load_dwordx2 v[5:6], v[1:2]
	s_lshl_b64 s[14:15], s[14:15], 3
	v_add_nc_u32_e32 v12, s9, v9
	v_add_co_u32 v3, vcc_lo, v1, s14
	v_add_co_ci_u32_e64 v4, null, s15, v2, vcc_lo
	v_ashrrev_i32_e32 v13, 31, v12
	s_bitcmp0_b32 s17, 0
	s_waitcnt vmcnt(0) lgkmcnt(0)
	buffer_store_dword v6, off, s[0:3], 0 offset:4
	buffer_store_dword v5, off, s[0:3], 0
	flat_load_dwordx2 v[7:8], v[3:4]
	v_lshlrev_b64 v[5:6], 3, v[9:10]
	s_waitcnt vmcnt(0) lgkmcnt(0)
	buffer_store_dword v8, off, s[0:3], 0 offset:12
	buffer_store_dword v7, off, s[0:3], 0 offset:8
	v_add_co_u32 v5, vcc_lo, s4, v5
	v_add_co_ci_u32_e64 v6, null, s5, v6, vcc_lo
	v_lshlrev_b64 v[7:8], 3, v[12:13]
	flat_load_dwordx2 v[10:11], v[5:6]
	s_waitcnt vmcnt(0) lgkmcnt(0)
	buffer_store_dword v11, off, s[0:3], 0 offset:20
	buffer_store_dword v10, off, s[0:3], 0 offset:16
	v_add_co_u32 v7, vcc_lo, s4, v7
	v_add_co_ci_u32_e64 v8, null, s5, v8, vcc_lo
	v_add_nc_u32_e32 v11, s9, v12
	flat_load_dwordx2 v[13:14], v[7:8]
	s_waitcnt vmcnt(0) lgkmcnt(0)
	buffer_store_dword v14, off, s[0:3], 0 offset:28
	buffer_store_dword v13, off, s[0:3], 0 offset:24
	v_ashrrev_i32_e32 v12, 31, v11
	v_add_nc_u32_e32 v15, s9, v11
	v_lshlrev_b64 v[9:10], 3, v[11:12]
	v_ashrrev_i32_e32 v16, 31, v15
	v_add_nc_u32_e32 v18, s9, v15
	v_add_co_u32 v9, vcc_lo, s4, v9
	v_add_co_ci_u32_e64 v10, null, s5, v10, vcc_lo
	v_lshlrev_b64 v[11:12], 3, v[15:16]
	v_ashrrev_i32_e32 v19, 31, v18
	flat_load_dwordx2 v[13:14], v[9:10]
	s_waitcnt vmcnt(0) lgkmcnt(0)
	buffer_store_dword v14, off, s[0:3], 0 offset:36
	buffer_store_dword v13, off, s[0:3], 0 offset:32
	v_add_co_u32 v11, vcc_lo, s4, v11
	v_add_co_ci_u32_e64 v12, null, s5, v12, vcc_lo
	v_lshlrev_b64 v[13:14], 3, v[18:19]
	flat_load_dwordx2 v[16:17], v[11:12]
	s_waitcnt vmcnt(0) lgkmcnt(0)
	buffer_store_dword v17, off, s[0:3], 0 offset:44
	buffer_store_dword v16, off, s[0:3], 0 offset:40
	v_add_co_u32 v13, vcc_lo, s4, v13
	v_add_co_ci_u32_e64 v14, null, s5, v14, vcc_lo
	v_add_nc_u32_e32 v17, s9, v18
	flat_load_dwordx2 v[19:20], v[13:14]
	s_waitcnt vmcnt(0) lgkmcnt(0)
	buffer_store_dword v20, off, s[0:3], 0 offset:52
	buffer_store_dword v19, off, s[0:3], 0 offset:48
	v_ashrrev_i32_e32 v18, 31, v17
	v_add_nc_u32_e32 v21, s9, v17
	v_lshlrev_b64 v[15:16], 3, v[17:18]
	v_ashrrev_i32_e32 v22, 31, v21
	v_add_nc_u32_e32 v24, s9, v21
	v_add_co_u32 v15, vcc_lo, s4, v15
	v_add_co_ci_u32_e64 v16, null, s5, v16, vcc_lo
	v_lshlrev_b64 v[17:18], 3, v[21:22]
	v_ashrrev_i32_e32 v25, 31, v24
	flat_load_dwordx2 v[19:20], v[15:16]
	;; [unrolled: 27-line block ×14, first 2 shown]
	s_waitcnt vmcnt(0) lgkmcnt(0)
	buffer_store_dword v92, off, s[0:3], 0 offset:348
	buffer_store_dword v91, off, s[0:3], 0 offset:344
	v_add_co_u32 v89, vcc_lo, s4, v89
	v_add_co_ci_u32_e64 v90, null, s5, v90, vcc_lo
	v_lshlrev_b64 v[91:92], 3, v[96:97]
	flat_load_dwordx2 v[94:95], v[89:90]
	s_waitcnt vmcnt(0) lgkmcnt(0)
	buffer_store_dword v95, off, s[0:3], 0 offset:356
	buffer_store_dword v94, off, s[0:3], 0 offset:352
	v_add_co_u32 v91, vcc_lo, s4, v91
	v_add_co_ci_u32_e64 v92, null, s5, v92, vcc_lo
	v_add_nc_u32_e32 v95, s9, v96
	flat_load_dwordx2 v[97:98], v[91:92]
	s_waitcnt vmcnt(0) lgkmcnt(0)
	buffer_store_dword v98, off, s[0:3], 0 offset:364
	buffer_store_dword v97, off, s[0:3], 0 offset:360
	v_ashrrev_i32_e32 v96, 31, v95
	v_add_nc_u32_e32 v99, s9, v95
	v_lshlrev_b64 v[93:94], 3, v[95:96]
	v_ashrrev_i32_e32 v100, 31, v99
	v_add_nc_u32_e32 v104, s9, v99
	v_add_co_u32 v93, vcc_lo, s4, v93
	v_add_co_ci_u32_e64 v94, null, s5, v94, vcc_lo
	v_lshlrev_b64 v[95:96], 3, v[99:100]
	v_ashrrev_i32_e32 v105, 31, v104
	v_add_nc_u32_e32 v99, s9, v104
	flat_load_dwordx2 v[97:98], v[93:94]
	s_waitcnt vmcnt(0) lgkmcnt(0)
	buffer_store_dword v98, off, s[0:3], 0 offset:372
	buffer_store_dword v97, off, s[0:3], 0 offset:368
	v_add_co_u32 v95, vcc_lo, s4, v95
	v_add_co_ci_u32_e64 v96, null, s5, v96, vcc_lo
	v_lshlrev_b64 v[97:98], 3, v[104:105]
	flat_load_dwordx2 v[100:101], v[95:96]
	s_waitcnt vmcnt(0) lgkmcnt(0)
	buffer_store_dword v101, off, s[0:3], 0 offset:380
	buffer_store_dword v100, off, s[0:3], 0 offset:376
	v_add_co_u32 v97, vcc_lo, s4, v97
	v_add_co_ci_u32_e64 v98, null, s5, v98, vcc_lo
	v_ashrrev_i32_e32 v100, 31, v99
	flat_load_dwordx2 v[101:102], v[97:98]
	s_waitcnt vmcnt(0) lgkmcnt(0)
	buffer_store_dword v102, off, s[0:3], 0 offset:388
	buffer_store_dword v101, off, s[0:3], 0 offset:384
	v_lshlrev_b64 v[99:100], 3, v[99:100]
	v_add_co_u32 v99, vcc_lo, s4, v99
	v_add_co_ci_u32_e64 v100, null, s5, v100, vcc_lo
	s_mov_b32 s5, -1
	flat_load_dwordx2 v[101:102], v[99:100]
	s_waitcnt vmcnt(0) lgkmcnt(0)
	buffer_store_dword v102, off, s[0:3], 0 offset:396
	buffer_store_dword v101, off, s[0:3], 0 offset:392
	s_cbranch_scc1 .LBB113_208
; %bb.4:
	v_cmp_eq_u32_e64 s4, 0, v0
	s_and_saveexec_b32 s5, s4
; %bb.5:
	v_mov_b32_e32 v101, 0
	ds_write_b32 v101, v101 offset:800
; %bb.6:
	s_or_b32 exec_lo, exec_lo, s5
	v_lshl_add_u32 v101, v0, 3, 0
	s_waitcnt lgkmcnt(0)
	s_waitcnt_vscnt null, 0x0
	s_barrier
	buffer_gl0_inv
	s_mov_b32 s8, exec_lo
	s_clause 0x1
	buffer_load_dword v104, v101, s[0:3], 0 offen
	buffer_load_dword v105, v101, s[0:3], 0 offen offset:4
	s_waitcnt vmcnt(0)
	v_cmpx_eq_f64_e32 0, v[104:105]
	s_cbranch_execz .LBB113_10
; %bb.7:
	v_mov_b32_e32 v102, 0
	s_mov_b32 s9, 0
	ds_read_b32 v104, v102 offset:800
	s_waitcnt lgkmcnt(0)
	v_readfirstlane_b32 s5, v104
	v_add_nc_u32_e32 v104, 1, v0
	s_cmp_eq_u32 s5, 0
	v_cmp_gt_i32_e32 vcc_lo, s5, v104
	s_cselect_b32 s14, -1, 0
	s_or_b32 s14, s14, vcc_lo
	s_and_b32 exec_lo, exec_lo, s14
	s_cbranch_execz .LBB113_10
; %bb.8:
	v_mov_b32_e32 v105, s5
.LBB113_9:                              ; =>This Inner Loop Header: Depth=1
	ds_cmpst_rtn_b32 v105, v102, v105, v104 offset:800
	s_waitcnt lgkmcnt(0)
	v_cmp_ne_u32_e32 vcc_lo, 0, v105
	v_cmp_le_i32_e64 s5, v105, v104
	s_and_b32 s5, vcc_lo, s5
	s_and_b32 s5, exec_lo, s5
	s_or_b32 s9, s5, s9
	s_andn2_b32 exec_lo, exec_lo, s9
	s_cbranch_execnz .LBB113_9
.LBB113_10:
	s_or_b32 exec_lo, exec_lo, s8
	v_mov_b32_e32 v102, 0
	s_barrier
	buffer_gl0_inv
	ds_read_b32 v104, v102 offset:800
	s_and_saveexec_b32 s5, s4
	s_cbranch_execz .LBB113_12
; %bb.11:
	s_lshl_b64 s[8:9], s[6:7], 2
	s_add_u32 s8, s10, s8
	s_addc_u32 s9, s11, s9
	s_waitcnt lgkmcnt(0)
	global_store_dword v102, v104, s[8:9]
.LBB113_12:
	s_or_b32 exec_lo, exec_lo, s5
	s_waitcnt lgkmcnt(0)
	v_cmp_ne_u32_e32 vcc_lo, 0, v104
	s_mov_b32 s5, 0
	s_cbranch_vccnz .LBB113_208
; %bb.13:
	s_clause 0x1
	buffer_load_dword v104, v101, s[0:3], 0 offen
	buffer_load_dword v105, v101, s[0:3], 0 offen offset:4
	s_waitcnt vmcnt(0)
	v_div_scale_f64 v[106:107], null, v[104:105], v[104:105], 1.0
	v_div_scale_f64 v[112:113], vcc_lo, 1.0, v[104:105], 1.0
	v_rcp_f64_e32 v[108:109], v[106:107]
	v_fma_f64 v[110:111], -v[106:107], v[108:109], 1.0
	v_fma_f64 v[108:109], v[108:109], v[110:111], v[108:109]
	v_fma_f64 v[110:111], -v[106:107], v[108:109], 1.0
	v_fma_f64 v[108:109], v[108:109], v[110:111], v[108:109]
	v_mul_f64 v[110:111], v[112:113], v[108:109]
	v_fma_f64 v[106:107], -v[106:107], v[110:111], v[112:113]
	v_div_fmas_f64 v[106:107], v[106:107], v[108:109], v[110:111]
	v_div_fixup_f64 v[105:106], v[106:107], v[104:105], 1.0
	v_add_nc_u32_e32 v104, 0x190, v103
	buffer_store_dword v106, v101, s[0:3], 0 offen offset:4
	buffer_store_dword v105, v101, s[0:3], 0 offen
	s_clause 0x1
	buffer_load_dword v108, off, s[0:3], 0 offset:12
	buffer_load_dword v107, off, s[0:3], 0 offset:8
	v_xor_b32_e32 v106, 0x80000000, v106
	s_waitcnt vmcnt(0)
	ds_write2_b64 v103, v[105:106], v[107:108] offset1:50
	s_waitcnt lgkmcnt(0)
	s_waitcnt_vscnt null, 0x0
	s_barrier
	buffer_gl0_inv
	s_and_saveexec_b32 s5, s4
	s_cbranch_execz .LBB113_15
; %bb.14:
	s_clause 0x1
	buffer_load_dword v105, v101, s[0:3], 0 offen
	buffer_load_dword v106, v101, s[0:3], 0 offen offset:4
	ds_read_b64 v[107:108], v104
	v_mov_b32_e32 v102, 0
	ds_read_b64 v[109:110], v102 offset:8
	s_waitcnt vmcnt(0) lgkmcnt(1)
	v_fma_f64 v[105:106], v[105:106], v[107:108], 0
	s_waitcnt lgkmcnt(0)
	v_mul_f64 v[105:106], v[105:106], v[109:110]
	buffer_store_dword v105, off, s[0:3], 0 offset:8
	buffer_store_dword v106, off, s[0:3], 0 offset:12
.LBB113_15:
	s_or_b32 exec_lo, exec_lo, s5
	s_waitcnt_vscnt null, 0x0
	s_barrier
	buffer_gl0_inv
	s_clause 0x1
	buffer_load_dword v105, off, s[0:3], 0 offset:16
	buffer_load_dword v106, off, s[0:3], 0 offset:20
	s_mov_b32 s5, exec_lo
	s_waitcnt vmcnt(0)
	ds_write_b64 v104, v[105:106]
	s_waitcnt lgkmcnt(0)
	s_barrier
	buffer_gl0_inv
	v_cmpx_gt_u32_e32 2, v0
	s_cbranch_execz .LBB113_19
; %bb.16:
	s_clause 0x1
	buffer_load_dword v105, v101, s[0:3], 0 offen
	buffer_load_dword v106, v101, s[0:3], 0 offen offset:4
	ds_read_b64 v[101:102], v104
	s_waitcnt vmcnt(0) lgkmcnt(0)
	v_fma_f64 v[101:102], v[105:106], v[101:102], 0
	s_and_saveexec_b32 s8, s4
	s_cbranch_execz .LBB113_18
; %bb.17:
	s_clause 0x1
	buffer_load_dword v105, off, s[0:3], 0 offset:8
	buffer_load_dword v106, off, s[0:3], 0 offset:12
	v_mov_b32_e32 v107, 0
	ds_read_b64 v[107:108], v107 offset:408
	s_waitcnt vmcnt(0) lgkmcnt(0)
	v_fma_f64 v[101:102], v[105:106], v[107:108], v[101:102]
.LBB113_18:
	s_or_b32 exec_lo, exec_lo, s8
	v_mov_b32_e32 v105, 0
	ds_read_b64 v[105:106], v105 offset:16
	s_waitcnt lgkmcnt(0)
	v_mul_f64 v[101:102], v[101:102], v[105:106]
	buffer_store_dword v102, off, s[0:3], 0 offset:20
	buffer_store_dword v101, off, s[0:3], 0 offset:16
.LBB113_19:
	s_or_b32 exec_lo, exec_lo, s5
	s_waitcnt_vscnt null, 0x0
	s_barrier
	buffer_gl0_inv
	s_clause 0x1
	buffer_load_dword v101, off, s[0:3], 0 offset:24
	buffer_load_dword v102, off, s[0:3], 0 offset:28
	v_add_nc_u32_e32 v105, -1, v0
	s_mov_b32 s4, exec_lo
	s_waitcnt vmcnt(0)
	ds_write_b64 v104, v[101:102]
	s_waitcnt lgkmcnt(0)
	s_barrier
	buffer_gl0_inv
	v_cmpx_gt_u32_e32 3, v0
	s_cbranch_execz .LBB113_23
; %bb.20:
	v_mov_b32_e32 v101, 0
	v_add_nc_u32_e32 v106, -1, v0
	v_add_nc_u32_e32 v107, 0x190, v103
	v_mov_b32_e32 v102, 0
	v_mov_b32_e32 v108, v103
	s_mov_b32 s5, 0
.LBB113_21:                             ; =>This Inner Loop Header: Depth=1
	s_clause 0x1
	buffer_load_dword v109, v108, s[0:3], 0 offen
	buffer_load_dword v110, v108, s[0:3], 0 offen offset:4
	ds_read_b64 v[111:112], v107
	v_add_nc_u32_e32 v106, 1, v106
	v_add_nc_u32_e32 v107, 8, v107
	v_add_nc_u32_e32 v108, 8, v108
	v_cmp_lt_u32_e32 vcc_lo, 1, v106
	s_or_b32 s5, vcc_lo, s5
	s_waitcnt vmcnt(0) lgkmcnt(0)
	v_fma_f64 v[101:102], v[109:110], v[111:112], v[101:102]
	s_andn2_b32 exec_lo, exec_lo, s5
	s_cbranch_execnz .LBB113_21
; %bb.22:
	s_or_b32 exec_lo, exec_lo, s5
	v_mov_b32_e32 v106, 0
	ds_read_b64 v[106:107], v106 offset:24
	s_waitcnt lgkmcnt(0)
	v_mul_f64 v[101:102], v[101:102], v[106:107]
	buffer_store_dword v102, off, s[0:3], 0 offset:28
	buffer_store_dword v101, off, s[0:3], 0 offset:24
.LBB113_23:
	s_or_b32 exec_lo, exec_lo, s4
	s_waitcnt_vscnt null, 0x0
	s_barrier
	buffer_gl0_inv
	s_clause 0x1
	buffer_load_dword v101, off, s[0:3], 0 offset:32
	buffer_load_dword v102, off, s[0:3], 0 offset:36
	s_mov_b32 s4, exec_lo
	s_waitcnt vmcnt(0)
	ds_write_b64 v104, v[101:102]
	s_waitcnt lgkmcnt(0)
	s_barrier
	buffer_gl0_inv
	v_cmpx_gt_u32_e32 4, v0
	s_cbranch_execz .LBB113_27
; %bb.24:
	v_mov_b32_e32 v101, 0
	v_add_nc_u32_e32 v106, -1, v0
	v_add_nc_u32_e32 v107, 0x190, v103
	v_mov_b32_e32 v102, 0
	v_mov_b32_e32 v108, v103
	s_mov_b32 s5, 0
.LBB113_25:                             ; =>This Inner Loop Header: Depth=1
	s_clause 0x1
	buffer_load_dword v109, v108, s[0:3], 0 offen
	buffer_load_dword v110, v108, s[0:3], 0 offen offset:4
	ds_read_b64 v[111:112], v107
	v_add_nc_u32_e32 v106, 1, v106
	v_add_nc_u32_e32 v107, 8, v107
	v_add_nc_u32_e32 v108, 8, v108
	v_cmp_lt_u32_e32 vcc_lo, 2, v106
	s_or_b32 s5, vcc_lo, s5
	s_waitcnt vmcnt(0) lgkmcnt(0)
	v_fma_f64 v[101:102], v[109:110], v[111:112], v[101:102]
	s_andn2_b32 exec_lo, exec_lo, s5
	s_cbranch_execnz .LBB113_25
; %bb.26:
	s_or_b32 exec_lo, exec_lo, s5
	v_mov_b32_e32 v106, 0
	ds_read_b64 v[106:107], v106 offset:32
	s_waitcnt lgkmcnt(0)
	v_mul_f64 v[101:102], v[101:102], v[106:107]
	buffer_store_dword v102, off, s[0:3], 0 offset:36
	buffer_store_dword v101, off, s[0:3], 0 offset:32
.LBB113_27:
	s_or_b32 exec_lo, exec_lo, s4
	s_waitcnt_vscnt null, 0x0
	s_barrier
	buffer_gl0_inv
	s_clause 0x1
	buffer_load_dword v101, off, s[0:3], 0 offset:40
	buffer_load_dword v102, off, s[0:3], 0 offset:44
	;; [unrolled: 45-line block ×20, first 2 shown]
	s_mov_b32 s4, exec_lo
	s_waitcnt vmcnt(0)
	ds_write_b64 v104, v[101:102]
	s_waitcnt lgkmcnt(0)
	s_barrier
	buffer_gl0_inv
	v_cmpx_gt_u32_e32 23, v0
	s_cbranch_execz .LBB113_103
; %bb.100:
	v_mov_b32_e32 v101, 0
	v_add_nc_u32_e32 v106, -1, v0
	v_add_nc_u32_e32 v107, 0x190, v103
	v_mov_b32_e32 v102, 0
	v_mov_b32_e32 v108, v103
	s_mov_b32 s5, 0
.LBB113_101:                            ; =>This Inner Loop Header: Depth=1
	s_clause 0x1
	buffer_load_dword v109, v108, s[0:3], 0 offen
	buffer_load_dword v110, v108, s[0:3], 0 offen offset:4
	ds_read_b64 v[111:112], v107
	v_add_nc_u32_e32 v106, 1, v106
	v_add_nc_u32_e32 v107, 8, v107
	v_add_nc_u32_e32 v108, 8, v108
	v_cmp_lt_u32_e32 vcc_lo, 21, v106
	s_or_b32 s5, vcc_lo, s5
	s_waitcnt vmcnt(0) lgkmcnt(0)
	v_fma_f64 v[101:102], v[109:110], v[111:112], v[101:102]
	s_andn2_b32 exec_lo, exec_lo, s5
	s_cbranch_execnz .LBB113_101
; %bb.102:
	s_or_b32 exec_lo, exec_lo, s5
	v_mov_b32_e32 v106, 0
	ds_read_b64 v[106:107], v106 offset:184
	s_waitcnt lgkmcnt(0)
	v_mul_f64 v[101:102], v[101:102], v[106:107]
	buffer_store_dword v102, off, s[0:3], 0 offset:188
	buffer_store_dword v101, off, s[0:3], 0 offset:184
.LBB113_103:
	s_or_b32 exec_lo, exec_lo, s4
	s_waitcnt_vscnt null, 0x0
	s_barrier
	buffer_gl0_inv
	s_clause 0x1
	buffer_load_dword v101, off, s[0:3], 0 offset:192
	buffer_load_dword v102, off, s[0:3], 0 offset:196
	s_mov_b32 s4, exec_lo
	s_waitcnt vmcnt(0)
	ds_write_b64 v104, v[101:102]
	s_waitcnt lgkmcnt(0)
	s_barrier
	buffer_gl0_inv
	v_cmpx_gt_u32_e32 24, v0
	s_cbranch_execz .LBB113_107
; %bb.104:
	v_mov_b32_e32 v101, 0
	v_add_nc_u32_e32 v106, -1, v0
	v_add_nc_u32_e32 v107, 0x190, v103
	v_mov_b32_e32 v102, 0
	v_mov_b32_e32 v108, v103
	s_mov_b32 s5, 0
.LBB113_105:                            ; =>This Inner Loop Header: Depth=1
	s_clause 0x1
	buffer_load_dword v109, v108, s[0:3], 0 offen
	buffer_load_dword v110, v108, s[0:3], 0 offen offset:4
	ds_read_b64 v[111:112], v107
	v_add_nc_u32_e32 v106, 1, v106
	v_add_nc_u32_e32 v107, 8, v107
	v_add_nc_u32_e32 v108, 8, v108
	v_cmp_lt_u32_e32 vcc_lo, 22, v106
	s_or_b32 s5, vcc_lo, s5
	s_waitcnt vmcnt(0) lgkmcnt(0)
	v_fma_f64 v[101:102], v[109:110], v[111:112], v[101:102]
	s_andn2_b32 exec_lo, exec_lo, s5
	s_cbranch_execnz .LBB113_105
; %bb.106:
	s_or_b32 exec_lo, exec_lo, s5
	v_mov_b32_e32 v106, 0
	ds_read_b64 v[106:107], v106 offset:192
	s_waitcnt lgkmcnt(0)
	v_mul_f64 v[101:102], v[101:102], v[106:107]
	buffer_store_dword v102, off, s[0:3], 0 offset:196
	buffer_store_dword v101, off, s[0:3], 0 offset:192
.LBB113_107:
	s_or_b32 exec_lo, exec_lo, s4
	s_waitcnt_vscnt null, 0x0
	s_barrier
	buffer_gl0_inv
	s_clause 0x1
	buffer_load_dword v101, off, s[0:3], 0 offset:200
	buffer_load_dword v102, off, s[0:3], 0 offset:204
	;; [unrolled: 45-line block ×26, first 2 shown]
	s_mov_b32 s4, exec_lo
	s_waitcnt vmcnt(0)
	ds_write_b64 v104, v[101:102]
	s_waitcnt lgkmcnt(0)
	s_barrier
	buffer_gl0_inv
	v_cmpx_ne_u32_e32 49, v0
	s_cbranch_execz .LBB113_207
; %bb.204:
	v_mov_b32_e32 v101, 0
	v_mov_b32_e32 v102, 0
	s_mov_b32 s5, 0
.LBB113_205:                            ; =>This Inner Loop Header: Depth=1
	s_clause 0x1
	buffer_load_dword v106, v103, s[0:3], 0 offen
	buffer_load_dword v107, v103, s[0:3], 0 offen offset:4
	ds_read_b64 v[108:109], v104
	v_add_nc_u32_e32 v105, 1, v105
	v_add_nc_u32_e32 v104, 8, v104
	;; [unrolled: 1-line block ×3, first 2 shown]
	v_cmp_lt_u32_e32 vcc_lo, 47, v105
	s_or_b32 s5, vcc_lo, s5
	s_waitcnt vmcnt(0) lgkmcnt(0)
	v_fma_f64 v[101:102], v[106:107], v[108:109], v[101:102]
	s_andn2_b32 exec_lo, exec_lo, s5
	s_cbranch_execnz .LBB113_205
; %bb.206:
	s_or_b32 exec_lo, exec_lo, s5
	v_mov_b32_e32 v103, 0
	ds_read_b64 v[103:104], v103 offset:392
	s_waitcnt lgkmcnt(0)
	v_mul_f64 v[101:102], v[101:102], v[103:104]
	buffer_store_dword v102, off, s[0:3], 0 offset:396
	buffer_store_dword v101, off, s[0:3], 0 offset:392
.LBB113_207:
	s_or_b32 exec_lo, exec_lo, s4
	s_mov_b32 s5, -1
	s_waitcnt_vscnt null, 0x0
	s_barrier
	buffer_gl0_inv
.LBB113_208:
	s_and_b32 vcc_lo, exec_lo, s5
	s_cbranch_vccz .LBB113_210
; %bb.209:
	s_lshl_b64 s[4:5], s[6:7], 2
	v_mov_b32_e32 v101, 0
	s_add_u32 s4, s10, s4
	s_addc_u32 s5, s11, s5
	global_load_dword v101, v101, s[4:5]
	s_waitcnt vmcnt(0)
	v_cmp_ne_u32_e32 vcc_lo, 0, v101
	s_cbranch_vccz .LBB113_211
.LBB113_210:
	s_endpgm
.LBB113_211:
	v_lshl_add_u32 v101, v0, 3, 0x190
	s_mov_b32 s4, exec_lo
	v_cmpx_eq_u32_e32 49, v0
	s_cbranch_execz .LBB113_213
; %bb.212:
	s_clause 0x1
	buffer_load_dword v102, off, s[0:3], 0 offset:384
	buffer_load_dword v103, off, s[0:3], 0 offset:388
	v_mov_b32_e32 v104, 0
	buffer_store_dword v104, off, s[0:3], 0 offset:384
	buffer_store_dword v104, off, s[0:3], 0 offset:388
	s_waitcnt vmcnt(0)
	ds_write_b64 v101, v[102:103]
.LBB113_213:
	s_or_b32 exec_lo, exec_lo, s4
	s_waitcnt lgkmcnt(0)
	s_waitcnt_vscnt null, 0x0
	s_barrier
	buffer_gl0_inv
	s_clause 0x3
	buffer_load_dword v103, off, s[0:3], 0 offset:392
	buffer_load_dword v104, off, s[0:3], 0 offset:396
	;; [unrolled: 1-line block ×4, first 2 shown]
	v_mov_b32_e32 v102, 0
	s_mov_b32 s4, exec_lo
	ds_read_b64 v[107:108], v102 offset:792
	s_waitcnt vmcnt(2) lgkmcnt(0)
	v_fma_f64 v[103:104], v[103:104], v[107:108], 0
	s_waitcnt vmcnt(0)
	v_add_f64 v[103:104], v[105:106], -v[103:104]
	buffer_store_dword v103, off, s[0:3], 0 offset:384
	buffer_store_dword v104, off, s[0:3], 0 offset:388
	v_cmpx_lt_u32_e32 47, v0
	s_cbranch_execz .LBB113_215
; %bb.214:
	s_clause 0x1
	buffer_load_dword v103, off, s[0:3], 0 offset:376
	buffer_load_dword v104, off, s[0:3], 0 offset:380
	buffer_store_dword v102, off, s[0:3], 0 offset:376
	buffer_store_dword v102, off, s[0:3], 0 offset:380
	s_waitcnt vmcnt(0)
	ds_write_b64 v101, v[103:104]
.LBB113_215:
	s_or_b32 exec_lo, exec_lo, s4
	s_waitcnt lgkmcnt(0)
	s_waitcnt_vscnt null, 0x0
	s_barrier
	buffer_gl0_inv
	s_clause 0x5
	buffer_load_dword v106, off, s[0:3], 0 offset:384
	buffer_load_dword v107, off, s[0:3], 0 offset:388
	;; [unrolled: 1-line block ×6, first 2 shown]
	ds_read_b128 v[102:105], v102 offset:784
	s_mov_b32 s4, exec_lo
	s_waitcnt vmcnt(4) lgkmcnt(0)
	v_fma_f64 v[102:103], v[106:107], v[102:103], 0
	s_waitcnt vmcnt(2)
	v_fma_f64 v[102:103], v[108:109], v[104:105], v[102:103]
	s_waitcnt vmcnt(0)
	v_add_f64 v[102:103], v[110:111], -v[102:103]
	buffer_store_dword v102, off, s[0:3], 0 offset:376
	buffer_store_dword v103, off, s[0:3], 0 offset:380
	v_cmpx_lt_u32_e32 46, v0
	s_cbranch_execz .LBB113_217
; %bb.216:
	s_clause 0x1
	buffer_load_dword v102, off, s[0:3], 0 offset:368
	buffer_load_dword v103, off, s[0:3], 0 offset:372
	v_mov_b32_e32 v104, 0
	buffer_store_dword v104, off, s[0:3], 0 offset:368
	buffer_store_dword v104, off, s[0:3], 0 offset:372
	s_waitcnt vmcnt(0)
	ds_write_b64 v101, v[102:103]
.LBB113_217:
	s_or_b32 exec_lo, exec_lo, s4
	s_waitcnt lgkmcnt(0)
	s_waitcnt_vscnt null, 0x0
	s_barrier
	buffer_gl0_inv
	s_clause 0x7
	buffer_load_dword v107, off, s[0:3], 0 offset:376
	buffer_load_dword v108, off, s[0:3], 0 offset:380
	buffer_load_dword v109, off, s[0:3], 0 offset:384
	buffer_load_dword v110, off, s[0:3], 0 offset:388
	buffer_load_dword v111, off, s[0:3], 0 offset:392
	buffer_load_dword v112, off, s[0:3], 0 offset:396
	buffer_load_dword v113, off, s[0:3], 0 offset:368
	buffer_load_dword v114, off, s[0:3], 0 offset:372
	v_mov_b32_e32 v102, 0
	ds_read2_b64 v[103:106], v102 offset0:97 offset1:98
	ds_read_b64 v[115:116], v102 offset:792
	s_mov_b32 s4, exec_lo
	s_waitcnt vmcnt(6) lgkmcnt(1)
	v_fma_f64 v[103:104], v[107:108], v[103:104], 0
	s_waitcnt vmcnt(4)
	v_fma_f64 v[103:104], v[109:110], v[105:106], v[103:104]
	s_waitcnt vmcnt(2) lgkmcnt(0)
	v_fma_f64 v[103:104], v[111:112], v[115:116], v[103:104]
	s_waitcnt vmcnt(0)
	v_add_f64 v[103:104], v[113:114], -v[103:104]
	buffer_store_dword v103, off, s[0:3], 0 offset:368
	buffer_store_dword v104, off, s[0:3], 0 offset:372
	v_cmpx_lt_u32_e32 45, v0
	s_cbranch_execz .LBB113_219
; %bb.218:
	s_clause 0x1
	buffer_load_dword v103, off, s[0:3], 0 offset:360
	buffer_load_dword v104, off, s[0:3], 0 offset:364
	buffer_store_dword v102, off, s[0:3], 0 offset:360
	buffer_store_dword v102, off, s[0:3], 0 offset:364
	s_waitcnt vmcnt(0)
	ds_write_b64 v101, v[103:104]
.LBB113_219:
	s_or_b32 exec_lo, exec_lo, s4
	s_waitcnt lgkmcnt(0)
	s_waitcnt_vscnt null, 0x0
	s_barrier
	buffer_gl0_inv
	s_clause 0x9
	buffer_load_dword v111, off, s[0:3], 0 offset:368
	buffer_load_dword v112, off, s[0:3], 0 offset:372
	;; [unrolled: 1-line block ×10, first 2 shown]
	ds_read_b128 v[103:106], v102 offset:768
	ds_read_b128 v[107:110], v102 offset:784
	s_mov_b32 s4, exec_lo
	s_waitcnt vmcnt(8) lgkmcnt(1)
	v_fma_f64 v[102:103], v[111:112], v[103:104], 0
	s_waitcnt vmcnt(6)
	v_fma_f64 v[102:103], v[113:114], v[105:106], v[102:103]
	s_waitcnt vmcnt(4) lgkmcnt(0)
	v_fma_f64 v[102:103], v[115:116], v[107:108], v[102:103]
	s_waitcnt vmcnt(2)
	v_fma_f64 v[102:103], v[117:118], v[109:110], v[102:103]
	s_waitcnt vmcnt(0)
	v_add_f64 v[102:103], v[119:120], -v[102:103]
	buffer_store_dword v102, off, s[0:3], 0 offset:360
	buffer_store_dword v103, off, s[0:3], 0 offset:364
	v_cmpx_lt_u32_e32 44, v0
	s_cbranch_execz .LBB113_221
; %bb.220:
	s_clause 0x1
	buffer_load_dword v102, off, s[0:3], 0 offset:352
	buffer_load_dword v103, off, s[0:3], 0 offset:356
	v_mov_b32_e32 v104, 0
	buffer_store_dword v104, off, s[0:3], 0 offset:352
	buffer_store_dword v104, off, s[0:3], 0 offset:356
	s_waitcnt vmcnt(0)
	ds_write_b64 v101, v[102:103]
.LBB113_221:
	s_or_b32 exec_lo, exec_lo, s4
	s_waitcnt lgkmcnt(0)
	s_waitcnt_vscnt null, 0x0
	s_barrier
	buffer_gl0_inv
	s_clause 0xb
	buffer_load_dword v111, off, s[0:3], 0 offset:360
	buffer_load_dword v112, off, s[0:3], 0 offset:364
	;; [unrolled: 1-line block ×12, first 2 shown]
	v_mov_b32_e32 v102, 0
	ds_read2_b64 v[103:106], v102 offset0:95 offset1:96
	ds_read2_b64 v[107:110], v102 offset0:97 offset1:98
	s_mov_b32 s4, exec_lo
	s_waitcnt vmcnt(10) lgkmcnt(1)
	v_fma_f64 v[103:104], v[111:112], v[103:104], 0
	s_waitcnt vmcnt(8)
	v_fma_f64 v[103:104], v[113:114], v[105:106], v[103:104]
	ds_read_b64 v[105:106], v102 offset:792
	s_waitcnt vmcnt(6) lgkmcnt(1)
	v_fma_f64 v[103:104], v[115:116], v[107:108], v[103:104]
	s_waitcnt vmcnt(4)
	v_fma_f64 v[103:104], v[117:118], v[109:110], v[103:104]
	s_waitcnt vmcnt(2) lgkmcnt(0)
	v_fma_f64 v[103:104], v[119:120], v[105:106], v[103:104]
	s_waitcnt vmcnt(0)
	v_add_f64 v[103:104], v[121:122], -v[103:104]
	buffer_store_dword v103, off, s[0:3], 0 offset:352
	buffer_store_dword v104, off, s[0:3], 0 offset:356
	v_cmpx_lt_u32_e32 43, v0
	s_cbranch_execz .LBB113_223
; %bb.222:
	s_clause 0x1
	buffer_load_dword v103, off, s[0:3], 0 offset:344
	buffer_load_dword v104, off, s[0:3], 0 offset:348
	buffer_store_dword v102, off, s[0:3], 0 offset:344
	buffer_store_dword v102, off, s[0:3], 0 offset:348
	s_waitcnt vmcnt(0)
	ds_write_b64 v101, v[103:104]
.LBB113_223:
	s_or_b32 exec_lo, exec_lo, s4
	s_waitcnt lgkmcnt(0)
	s_waitcnt_vscnt null, 0x0
	s_barrier
	buffer_gl0_inv
	s_clause 0xd
	buffer_load_dword v111, off, s[0:3], 0 offset:352
	buffer_load_dword v112, off, s[0:3], 0 offset:356
	;; [unrolled: 1-line block ×14, first 2 shown]
	ds_read_b128 v[103:106], v102 offset:752
	ds_read_b128 v[107:110], v102 offset:768
	s_mov_b32 s4, exec_lo
	s_waitcnt vmcnt(12) lgkmcnt(1)
	v_fma_f64 v[103:104], v[111:112], v[103:104], 0
	s_waitcnt vmcnt(10)
	v_fma_f64 v[103:104], v[113:114], v[105:106], v[103:104]
	s_waitcnt vmcnt(8) lgkmcnt(0)
	v_fma_f64 v[103:104], v[115:116], v[107:108], v[103:104]
	s_waitcnt vmcnt(6)
	v_fma_f64 v[106:107], v[117:118], v[109:110], v[103:104]
	ds_read_b128 v[102:105], v102 offset:784
	s_waitcnt vmcnt(4) lgkmcnt(0)
	v_fma_f64 v[102:103], v[119:120], v[102:103], v[106:107]
	s_waitcnt vmcnt(2)
	v_fma_f64 v[102:103], v[121:122], v[104:105], v[102:103]
	s_waitcnt vmcnt(0)
	v_add_f64 v[102:103], v[123:124], -v[102:103]
	buffer_store_dword v102, off, s[0:3], 0 offset:344
	buffer_store_dword v103, off, s[0:3], 0 offset:348
	v_cmpx_lt_u32_e32 42, v0
	s_cbranch_execz .LBB113_225
; %bb.224:
	s_clause 0x1
	buffer_load_dword v102, off, s[0:3], 0 offset:336
	buffer_load_dword v103, off, s[0:3], 0 offset:340
	v_mov_b32_e32 v104, 0
	buffer_store_dword v104, off, s[0:3], 0 offset:336
	buffer_store_dword v104, off, s[0:3], 0 offset:340
	s_waitcnt vmcnt(0)
	ds_write_b64 v101, v[102:103]
.LBB113_225:
	s_or_b32 exec_lo, exec_lo, s4
	s_waitcnt lgkmcnt(0)
	s_waitcnt_vscnt null, 0x0
	s_barrier
	buffer_gl0_inv
	s_clause 0xf
	buffer_load_dword v111, off, s[0:3], 0 offset:344
	buffer_load_dword v112, off, s[0:3], 0 offset:348
	;; [unrolled: 1-line block ×16, first 2 shown]
	v_mov_b32_e32 v102, 0
	ds_read2_b64 v[103:106], v102 offset0:93 offset1:94
	ds_read2_b64 v[107:110], v102 offset0:95 offset1:96
	s_mov_b32 s4, exec_lo
	s_waitcnt vmcnt(14) lgkmcnt(1)
	v_fma_f64 v[103:104], v[111:112], v[103:104], 0
	s_waitcnt vmcnt(12)
	v_fma_f64 v[103:104], v[113:114], v[105:106], v[103:104]
	s_waitcnt vmcnt(10) lgkmcnt(0)
	v_fma_f64 v[103:104], v[115:116], v[107:108], v[103:104]
	s_waitcnt vmcnt(8)
	v_fma_f64 v[107:108], v[117:118], v[109:110], v[103:104]
	ds_read2_b64 v[103:106], v102 offset0:97 offset1:98
	ds_read_b64 v[109:110], v102 offset:792
	s_waitcnt vmcnt(6) lgkmcnt(1)
	v_fma_f64 v[103:104], v[119:120], v[103:104], v[107:108]
	s_waitcnt vmcnt(4)
	v_fma_f64 v[103:104], v[121:122], v[105:106], v[103:104]
	s_waitcnt vmcnt(2) lgkmcnt(0)
	v_fma_f64 v[103:104], v[123:124], v[109:110], v[103:104]
	s_waitcnt vmcnt(0)
	v_add_f64 v[103:104], v[125:126], -v[103:104]
	buffer_store_dword v103, off, s[0:3], 0 offset:336
	buffer_store_dword v104, off, s[0:3], 0 offset:340
	v_cmpx_lt_u32_e32 41, v0
	s_cbranch_execz .LBB113_227
; %bb.226:
	s_clause 0x1
	buffer_load_dword v103, off, s[0:3], 0 offset:328
	buffer_load_dword v104, off, s[0:3], 0 offset:332
	buffer_store_dword v102, off, s[0:3], 0 offset:328
	buffer_store_dword v102, off, s[0:3], 0 offset:332
	s_waitcnt vmcnt(0)
	ds_write_b64 v101, v[103:104]
.LBB113_227:
	s_or_b32 exec_lo, exec_lo, s4
	s_waitcnt lgkmcnt(0)
	s_waitcnt_vscnt null, 0x0
	s_barrier
	buffer_gl0_inv
	s_clause 0x11
	buffer_load_dword v111, off, s[0:3], 0 offset:336
	buffer_load_dword v112, off, s[0:3], 0 offset:340
	;; [unrolled: 1-line block ×18, first 2 shown]
	ds_read_b128 v[103:106], v102 offset:736
	ds_read_b128 v[107:110], v102 offset:752
	s_mov_b32 s4, exec_lo
	s_waitcnt vmcnt(16) lgkmcnt(1)
	v_fma_f64 v[103:104], v[111:112], v[103:104], 0
	s_waitcnt vmcnt(14)
	v_fma_f64 v[103:104], v[113:114], v[105:106], v[103:104]
	s_waitcnt vmcnt(12) lgkmcnt(0)
	v_fma_f64 v[103:104], v[115:116], v[107:108], v[103:104]
	s_waitcnt vmcnt(10)
	v_fma_f64 v[111:112], v[117:118], v[109:110], v[103:104]
	ds_read_b128 v[103:106], v102 offset:768
	ds_read_b128 v[107:110], v102 offset:784
	s_waitcnt vmcnt(8) lgkmcnt(1)
	v_fma_f64 v[102:103], v[119:120], v[103:104], v[111:112]
	s_waitcnt vmcnt(6)
	v_fma_f64 v[102:103], v[121:122], v[105:106], v[102:103]
	s_waitcnt vmcnt(4) lgkmcnt(0)
	v_fma_f64 v[102:103], v[123:124], v[107:108], v[102:103]
	s_waitcnt vmcnt(2)
	v_fma_f64 v[102:103], v[125:126], v[109:110], v[102:103]
	s_waitcnt vmcnt(0)
	v_add_f64 v[102:103], v[127:128], -v[102:103]
	buffer_store_dword v102, off, s[0:3], 0 offset:328
	buffer_store_dword v103, off, s[0:3], 0 offset:332
	v_cmpx_lt_u32_e32 40, v0
	s_cbranch_execz .LBB113_229
; %bb.228:
	s_clause 0x1
	buffer_load_dword v102, off, s[0:3], 0 offset:320
	buffer_load_dword v103, off, s[0:3], 0 offset:324
	v_mov_b32_e32 v104, 0
	buffer_store_dword v104, off, s[0:3], 0 offset:320
	buffer_store_dword v104, off, s[0:3], 0 offset:324
	s_waitcnt vmcnt(0)
	ds_write_b64 v101, v[102:103]
.LBB113_229:
	s_or_b32 exec_lo, exec_lo, s4
	s_waitcnt lgkmcnt(0)
	s_waitcnt_vscnt null, 0x0
	s_barrier
	buffer_gl0_inv
	s_clause 0x13
	buffer_load_dword v111, off, s[0:3], 0 offset:328
	buffer_load_dword v112, off, s[0:3], 0 offset:332
	;; [unrolled: 1-line block ×20, first 2 shown]
	v_mov_b32_e32 v102, 0
	ds_read2_b64 v[103:106], v102 offset0:91 offset1:92
	ds_read2_b64 v[107:110], v102 offset0:93 offset1:94
	s_mov_b32 s4, exec_lo
	s_waitcnt vmcnt(18) lgkmcnt(1)
	v_fma_f64 v[103:104], v[111:112], v[103:104], 0
	s_waitcnt vmcnt(16)
	v_fma_f64 v[103:104], v[113:114], v[105:106], v[103:104]
	s_waitcnt vmcnt(14) lgkmcnt(0)
	v_fma_f64 v[103:104], v[115:116], v[107:108], v[103:104]
	s_waitcnt vmcnt(12)
	v_fma_f64 v[111:112], v[117:118], v[109:110], v[103:104]
	ds_read2_b64 v[103:106], v102 offset0:95 offset1:96
	ds_read2_b64 v[107:110], v102 offset0:97 offset1:98
	s_waitcnt vmcnt(10) lgkmcnt(1)
	v_fma_f64 v[103:104], v[119:120], v[103:104], v[111:112]
	s_waitcnt vmcnt(8)
	v_fma_f64 v[103:104], v[121:122], v[105:106], v[103:104]
	ds_read_b64 v[105:106], v102 offset:792
	s_waitcnt vmcnt(6) lgkmcnt(1)
	v_fma_f64 v[103:104], v[123:124], v[107:108], v[103:104]
	s_waitcnt vmcnt(3)
	v_fma_f64 v[103:104], v[125:126], v[109:110], v[103:104]
	s_waitcnt vmcnt(2) lgkmcnt(0)
	v_fma_f64 v[103:104], v[127:128], v[105:106], v[103:104]
	s_waitcnt vmcnt(0)
	v_add_f64 v[103:104], v[129:130], -v[103:104]
	buffer_store_dword v103, off, s[0:3], 0 offset:320
	buffer_store_dword v104, off, s[0:3], 0 offset:324
	v_cmpx_lt_u32_e32 39, v0
	s_cbranch_execz .LBB113_231
; %bb.230:
	s_clause 0x1
	buffer_load_dword v103, off, s[0:3], 0 offset:312
	buffer_load_dword v104, off, s[0:3], 0 offset:316
	buffer_store_dword v102, off, s[0:3], 0 offset:312
	buffer_store_dword v102, off, s[0:3], 0 offset:316
	s_waitcnt vmcnt(0)
	ds_write_b64 v101, v[103:104]
.LBB113_231:
	s_or_b32 exec_lo, exec_lo, s4
	s_waitcnt lgkmcnt(0)
	s_waitcnt_vscnt null, 0x0
	s_barrier
	buffer_gl0_inv
	s_clause 0x15
	buffer_load_dword v111, off, s[0:3], 0 offset:320
	buffer_load_dword v112, off, s[0:3], 0 offset:324
	;; [unrolled: 1-line block ×22, first 2 shown]
	ds_read_b128 v[103:106], v102 offset:720
	ds_read_b128 v[107:110], v102 offset:736
	s_mov_b32 s4, exec_lo
	s_waitcnt vmcnt(20) lgkmcnt(1)
	v_fma_f64 v[103:104], v[111:112], v[103:104], 0
	s_waitcnt vmcnt(18)
	v_fma_f64 v[103:104], v[113:114], v[105:106], v[103:104]
	s_waitcnt vmcnt(16) lgkmcnt(0)
	v_fma_f64 v[103:104], v[115:116], v[107:108], v[103:104]
	s_waitcnt vmcnt(14)
	v_fma_f64 v[111:112], v[117:118], v[109:110], v[103:104]
	ds_read_b128 v[103:106], v102 offset:752
	ds_read_b128 v[107:110], v102 offset:768
	s_waitcnt vmcnt(12) lgkmcnt(1)
	v_fma_f64 v[103:104], v[119:120], v[103:104], v[111:112]
	s_waitcnt vmcnt(10)
	v_fma_f64 v[103:104], v[121:122], v[105:106], v[103:104]
	s_waitcnt vmcnt(8) lgkmcnt(0)
	v_fma_f64 v[103:104], v[123:124], v[107:108], v[103:104]
	s_waitcnt vmcnt(4)
	v_fma_f64 v[106:107], v[125:126], v[109:110], v[103:104]
	ds_read_b128 v[102:105], v102 offset:784
	s_waitcnt vmcnt(3) lgkmcnt(0)
	v_fma_f64 v[102:103], v[129:130], v[102:103], v[106:107]
	s_waitcnt vmcnt(2)
	v_fma_f64 v[102:103], v[127:128], v[104:105], v[102:103]
	s_waitcnt vmcnt(0)
	v_add_f64 v[102:103], v[131:132], -v[102:103]
	buffer_store_dword v102, off, s[0:3], 0 offset:312
	buffer_store_dword v103, off, s[0:3], 0 offset:316
	v_cmpx_lt_u32_e32 38, v0
	s_cbranch_execz .LBB113_233
; %bb.232:
	s_clause 0x1
	buffer_load_dword v102, off, s[0:3], 0 offset:304
	buffer_load_dword v103, off, s[0:3], 0 offset:308
	v_mov_b32_e32 v104, 0
	buffer_store_dword v104, off, s[0:3], 0 offset:304
	buffer_store_dword v104, off, s[0:3], 0 offset:308
	s_waitcnt vmcnt(0)
	ds_write_b64 v101, v[102:103]
.LBB113_233:
	s_or_b32 exec_lo, exec_lo, s4
	s_waitcnt lgkmcnt(0)
	s_waitcnt_vscnt null, 0x0
	s_barrier
	buffer_gl0_inv
	s_clause 0x17
	buffer_load_dword v111, off, s[0:3], 0 offset:312
	buffer_load_dword v112, off, s[0:3], 0 offset:316
	;; [unrolled: 1-line block ×24, first 2 shown]
	v_mov_b32_e32 v102, 0
	ds_read2_b64 v[103:106], v102 offset0:89 offset1:90
	ds_read2_b64 v[107:110], v102 offset0:91 offset1:92
	s_mov_b32 s4, exec_lo
	s_waitcnt vmcnt(22) lgkmcnt(1)
	v_fma_f64 v[103:104], v[111:112], v[103:104], 0
	s_waitcnt vmcnt(20)
	v_fma_f64 v[103:104], v[113:114], v[105:106], v[103:104]
	s_waitcnt vmcnt(18) lgkmcnt(0)
	v_fma_f64 v[103:104], v[115:116], v[107:108], v[103:104]
	s_waitcnt vmcnt(16)
	v_fma_f64 v[111:112], v[117:118], v[109:110], v[103:104]
	ds_read2_b64 v[103:106], v102 offset0:93 offset1:94
	ds_read2_b64 v[107:110], v102 offset0:95 offset1:96
	s_waitcnt vmcnt(14) lgkmcnt(1)
	v_fma_f64 v[103:104], v[119:120], v[103:104], v[111:112]
	s_waitcnt vmcnt(12)
	v_fma_f64 v[103:104], v[121:122], v[105:106], v[103:104]
	s_waitcnt vmcnt(10) lgkmcnt(0)
	v_fma_f64 v[103:104], v[123:124], v[107:108], v[103:104]
	s_waitcnt vmcnt(5)
	v_fma_f64 v[107:108], v[125:126], v[109:110], v[103:104]
	ds_read2_b64 v[103:106], v102 offset0:97 offset1:98
	ds_read_b64 v[109:110], v102 offset:792
	s_waitcnt vmcnt(4) lgkmcnt(1)
	v_fma_f64 v[103:104], v[131:132], v[103:104], v[107:108]
	s_waitcnt vmcnt(3)
	v_fma_f64 v[103:104], v[129:130], v[105:106], v[103:104]
	s_waitcnt vmcnt(2) lgkmcnt(0)
	v_fma_f64 v[103:104], v[127:128], v[109:110], v[103:104]
	s_waitcnt vmcnt(0)
	v_add_f64 v[103:104], v[133:134], -v[103:104]
	buffer_store_dword v104, off, s[0:3], 0 offset:308
	buffer_store_dword v103, off, s[0:3], 0 offset:304
	v_cmpx_lt_u32_e32 37, v0
	s_cbranch_execz .LBB113_235
; %bb.234:
	s_clause 0x1
	buffer_load_dword v103, off, s[0:3], 0 offset:296
	buffer_load_dword v104, off, s[0:3], 0 offset:300
	buffer_store_dword v102, off, s[0:3], 0 offset:296
	buffer_store_dword v102, off, s[0:3], 0 offset:300
	s_waitcnt vmcnt(0)
	ds_write_b64 v101, v[103:104]
.LBB113_235:
	s_or_b32 exec_lo, exec_lo, s4
	s_waitcnt lgkmcnt(0)
	s_waitcnt_vscnt null, 0x0
	s_barrier
	buffer_gl0_inv
	s_clause 0x19
	buffer_load_dword v111, off, s[0:3], 0 offset:304
	buffer_load_dword v112, off, s[0:3], 0 offset:308
	buffer_load_dword v113, off, s[0:3], 0 offset:312
	buffer_load_dword v114, off, s[0:3], 0 offset:316
	buffer_load_dword v115, off, s[0:3], 0 offset:320
	buffer_load_dword v116, off, s[0:3], 0 offset:324
	buffer_load_dword v117, off, s[0:3], 0 offset:328
	buffer_load_dword v118, off, s[0:3], 0 offset:332
	buffer_load_dword v119, off, s[0:3], 0 offset:336
	buffer_load_dword v120, off, s[0:3], 0 offset:340
	buffer_load_dword v121, off, s[0:3], 0 offset:344
	buffer_load_dword v122, off, s[0:3], 0 offset:348
	buffer_load_dword v123, off, s[0:3], 0 offset:352
	buffer_load_dword v124, off, s[0:3], 0 offset:356
	buffer_load_dword v126, off, s[0:3], 0 offset:364
	buffer_load_dword v127, off, s[0:3], 0 offset:384
	buffer_load_dword v129, off, s[0:3], 0 offset:376
	buffer_load_dword v131, off, s[0:3], 0 offset:368
	buffer_load_dword v125, off, s[0:3], 0 offset:360
	buffer_load_dword v132, off, s[0:3], 0 offset:372
	buffer_load_dword v130, off, s[0:3], 0 offset:380
	buffer_load_dword v128, off, s[0:3], 0 offset:388
	buffer_load_dword v134, off, s[0:3], 0 offset:396
	buffer_load_dword v133, off, s[0:3], 0 offset:392
	buffer_load_dword v135, off, s[0:3], 0 offset:296
	buffer_load_dword v136, off, s[0:3], 0 offset:300
	ds_read_b128 v[103:106], v102 offset:704
	ds_read_b128 v[107:110], v102 offset:720
	s_mov_b32 s4, exec_lo
	s_waitcnt vmcnt(24) lgkmcnt(1)
	v_fma_f64 v[103:104], v[111:112], v[103:104], 0
	s_waitcnt vmcnt(22)
	v_fma_f64 v[103:104], v[113:114], v[105:106], v[103:104]
	s_waitcnt vmcnt(20) lgkmcnt(0)
	v_fma_f64 v[103:104], v[115:116], v[107:108], v[103:104]
	s_waitcnt vmcnt(18)
	v_fma_f64 v[111:112], v[117:118], v[109:110], v[103:104]
	ds_read_b128 v[103:106], v102 offset:736
	ds_read_b128 v[107:110], v102 offset:752
	s_waitcnt vmcnt(16) lgkmcnt(1)
	v_fma_f64 v[103:104], v[119:120], v[103:104], v[111:112]
	s_waitcnt vmcnt(14)
	v_fma_f64 v[103:104], v[121:122], v[105:106], v[103:104]
	s_waitcnt vmcnt(12) lgkmcnt(0)
	v_fma_f64 v[103:104], v[123:124], v[107:108], v[103:104]
	s_waitcnt vmcnt(7)
	v_fma_f64 v[111:112], v[125:126], v[109:110], v[103:104]
	ds_read_b128 v[103:106], v102 offset:768
	ds_read_b128 v[107:110], v102 offset:784
	s_waitcnt vmcnt(6) lgkmcnt(1)
	v_fma_f64 v[102:103], v[131:132], v[103:104], v[111:112]
	s_waitcnt vmcnt(5)
	v_fma_f64 v[102:103], v[129:130], v[105:106], v[102:103]
	s_waitcnt vmcnt(4) lgkmcnt(0)
	v_fma_f64 v[102:103], v[127:128], v[107:108], v[102:103]
	s_waitcnt vmcnt(2)
	v_fma_f64 v[102:103], v[133:134], v[109:110], v[102:103]
	s_waitcnt vmcnt(0)
	v_add_f64 v[102:103], v[135:136], -v[102:103]
	buffer_store_dword v103, off, s[0:3], 0 offset:300
	buffer_store_dword v102, off, s[0:3], 0 offset:296
	v_cmpx_lt_u32_e32 36, v0
	s_cbranch_execz .LBB113_237
; %bb.236:
	s_clause 0x1
	buffer_load_dword v102, off, s[0:3], 0 offset:288
	buffer_load_dword v103, off, s[0:3], 0 offset:292
	v_mov_b32_e32 v104, 0
	buffer_store_dword v104, off, s[0:3], 0 offset:288
	buffer_store_dword v104, off, s[0:3], 0 offset:292
	s_waitcnt vmcnt(0)
	ds_write_b64 v101, v[102:103]
.LBB113_237:
	s_or_b32 exec_lo, exec_lo, s4
	s_waitcnt lgkmcnt(0)
	s_waitcnt_vscnt null, 0x0
	s_barrier
	buffer_gl0_inv
	s_clause 0x1b
	buffer_load_dword v111, off, s[0:3], 0 offset:296
	buffer_load_dword v112, off, s[0:3], 0 offset:300
	;; [unrolled: 1-line block ×28, first 2 shown]
	v_mov_b32_e32 v102, 0
	ds_read2_b64 v[103:106], v102 offset0:87 offset1:88
	ds_read2_b64 v[107:110], v102 offset0:89 offset1:90
	s_mov_b32 s4, exec_lo
	s_waitcnt vmcnt(26) lgkmcnt(1)
	v_fma_f64 v[103:104], v[111:112], v[103:104], 0
	s_waitcnt vmcnt(24)
	v_fma_f64 v[103:104], v[113:114], v[105:106], v[103:104]
	s_waitcnt vmcnt(22) lgkmcnt(0)
	v_fma_f64 v[103:104], v[115:116], v[107:108], v[103:104]
	s_waitcnt vmcnt(20)
	v_fma_f64 v[111:112], v[117:118], v[109:110], v[103:104]
	ds_read2_b64 v[103:106], v102 offset0:91 offset1:92
	ds_read2_b64 v[107:110], v102 offset0:93 offset1:94
	s_waitcnt vmcnt(18) lgkmcnt(1)
	v_fma_f64 v[103:104], v[119:120], v[103:104], v[111:112]
	s_waitcnt vmcnt(16)
	v_fma_f64 v[103:104], v[121:122], v[105:106], v[103:104]
	s_waitcnt vmcnt(14) lgkmcnt(0)
	v_fma_f64 v[103:104], v[123:124], v[107:108], v[103:104]
	s_waitcnt vmcnt(9)
	v_fma_f64 v[111:112], v[125:126], v[109:110], v[103:104]
	ds_read2_b64 v[103:106], v102 offset0:95 offset1:96
	ds_read2_b64 v[107:110], v102 offset0:97 offset1:98
	s_waitcnt vmcnt(8) lgkmcnt(1)
	v_fma_f64 v[103:104], v[131:132], v[103:104], v[111:112]
	s_waitcnt vmcnt(7)
	v_fma_f64 v[103:104], v[129:130], v[105:106], v[103:104]
	ds_read_b64 v[105:106], v102 offset:792
	s_waitcnt vmcnt(6) lgkmcnt(1)
	v_fma_f64 v[103:104], v[127:128], v[107:108], v[103:104]
	s_waitcnt vmcnt(3)
	v_fma_f64 v[103:104], v[133:134], v[109:110], v[103:104]
	s_waitcnt vmcnt(2) lgkmcnt(0)
	v_fma_f64 v[103:104], v[135:136], v[105:106], v[103:104]
	s_waitcnt vmcnt(0)
	v_add_f64 v[103:104], v[137:138], -v[103:104]
	buffer_store_dword v104, off, s[0:3], 0 offset:292
	buffer_store_dword v103, off, s[0:3], 0 offset:288
	v_cmpx_lt_u32_e32 35, v0
	s_cbranch_execz .LBB113_239
; %bb.238:
	s_clause 0x1
	buffer_load_dword v103, off, s[0:3], 0 offset:280
	buffer_load_dword v104, off, s[0:3], 0 offset:284
	buffer_store_dword v102, off, s[0:3], 0 offset:280
	buffer_store_dword v102, off, s[0:3], 0 offset:284
	s_waitcnt vmcnt(0)
	ds_write_b64 v101, v[103:104]
.LBB113_239:
	s_or_b32 exec_lo, exec_lo, s4
	s_waitcnt lgkmcnt(0)
	s_waitcnt_vscnt null, 0x0
	s_barrier
	buffer_gl0_inv
	s_clause 0x1b
	buffer_load_dword v111, off, s[0:3], 0 offset:288
	buffer_load_dword v112, off, s[0:3], 0 offset:292
	;; [unrolled: 1-line block ×28, first 2 shown]
	ds_read_b128 v[103:106], v102 offset:688
	s_clause 0x1
	buffer_load_dword v139, off, s[0:3], 0 offset:280
	buffer_load_dword v140, off, s[0:3], 0 offset:284
	ds_read_b128 v[107:110], v102 offset:704
	s_mov_b32 s4, exec_lo
	s_waitcnt vmcnt(28) lgkmcnt(1)
	v_fma_f64 v[103:104], v[111:112], v[103:104], 0
	s_waitcnt vmcnt(26)
	v_fma_f64 v[103:104], v[113:114], v[105:106], v[103:104]
	s_waitcnt vmcnt(24) lgkmcnt(0)
	v_fma_f64 v[103:104], v[115:116], v[107:108], v[103:104]
	s_waitcnt vmcnt(22)
	v_fma_f64 v[111:112], v[117:118], v[109:110], v[103:104]
	ds_read_b128 v[103:106], v102 offset:720
	ds_read_b128 v[107:110], v102 offset:736
	s_waitcnt vmcnt(20) lgkmcnt(1)
	v_fma_f64 v[103:104], v[119:120], v[103:104], v[111:112]
	s_waitcnt vmcnt(18)
	v_fma_f64 v[103:104], v[121:122], v[105:106], v[103:104]
	s_waitcnt vmcnt(16) lgkmcnt(0)
	v_fma_f64 v[103:104], v[123:124], v[107:108], v[103:104]
	s_waitcnt vmcnt(11)
	v_fma_f64 v[111:112], v[125:126], v[109:110], v[103:104]
	ds_read_b128 v[103:106], v102 offset:752
	ds_read_b128 v[107:110], v102 offset:768
	s_waitcnt vmcnt(10) lgkmcnt(1)
	v_fma_f64 v[103:104], v[131:132], v[103:104], v[111:112]
	s_waitcnt vmcnt(9)
	v_fma_f64 v[103:104], v[129:130], v[105:106], v[103:104]
	s_waitcnt vmcnt(8) lgkmcnt(0)
	v_fma_f64 v[103:104], v[127:128], v[107:108], v[103:104]
	s_waitcnt vmcnt(4)
	v_fma_f64 v[106:107], v[133:134], v[109:110], v[103:104]
	ds_read_b128 v[102:105], v102 offset:784
	s_waitcnt vmcnt(3) lgkmcnt(0)
	v_fma_f64 v[102:103], v[137:138], v[102:103], v[106:107]
	s_waitcnt vmcnt(2)
	v_fma_f64 v[102:103], v[135:136], v[104:105], v[102:103]
	s_waitcnt vmcnt(0)
	v_add_f64 v[102:103], v[139:140], -v[102:103]
	buffer_store_dword v103, off, s[0:3], 0 offset:284
	buffer_store_dword v102, off, s[0:3], 0 offset:280
	v_cmpx_lt_u32_e32 34, v0
	s_cbranch_execz .LBB113_241
; %bb.240:
	s_clause 0x1
	buffer_load_dword v102, off, s[0:3], 0 offset:272
	buffer_load_dword v103, off, s[0:3], 0 offset:276
	v_mov_b32_e32 v104, 0
	buffer_store_dword v104, off, s[0:3], 0 offset:272
	buffer_store_dword v104, off, s[0:3], 0 offset:276
	s_waitcnt vmcnt(0)
	ds_write_b64 v101, v[102:103]
.LBB113_241:
	s_or_b32 exec_lo, exec_lo, s4
	s_waitcnt lgkmcnt(0)
	s_waitcnt_vscnt null, 0x0
	s_barrier
	buffer_gl0_inv
	s_clause 0x1c
	buffer_load_dword v111, off, s[0:3], 0 offset:280
	buffer_load_dword v112, off, s[0:3], 0 offset:284
	;; [unrolled: 1-line block ×29, first 2 shown]
	v_mov_b32_e32 v102, 0
	buffer_load_dword v136, off, s[0:3], 0 offset:396
	s_mov_b32 s4, exec_lo
	ds_read2_b64 v[103:106], v102 offset0:85 offset1:86
	ds_read2_b64 v[107:110], v102 offset0:87 offset1:88
	s_waitcnt vmcnt(28) lgkmcnt(1)
	v_fma_f64 v[103:104], v[111:112], v[103:104], 0
	s_clause 0x1
	buffer_load_dword v111, off, s[0:3], 0 offset:272
	buffer_load_dword v112, off, s[0:3], 0 offset:276
	s_waitcnt vmcnt(28)
	v_fma_f64 v[103:104], v[113:114], v[105:106], v[103:104]
	s_waitcnt vmcnt(26) lgkmcnt(0)
	v_fma_f64 v[103:104], v[115:116], v[107:108], v[103:104]
	s_waitcnt vmcnt(24)
	v_fma_f64 v[113:114], v[117:118], v[109:110], v[103:104]
	ds_read2_b64 v[103:106], v102 offset0:89 offset1:90
	ds_read2_b64 v[107:110], v102 offset0:91 offset1:92
	s_waitcnt vmcnt(22) lgkmcnt(1)
	v_fma_f64 v[103:104], v[119:120], v[103:104], v[113:114]
	s_waitcnt vmcnt(20)
	v_fma_f64 v[103:104], v[121:122], v[105:106], v[103:104]
	s_waitcnt vmcnt(18) lgkmcnt(0)
	v_fma_f64 v[103:104], v[123:124], v[107:108], v[103:104]
	s_waitcnt vmcnt(13)
	v_fma_f64 v[113:114], v[125:126], v[109:110], v[103:104]
	ds_read2_b64 v[103:106], v102 offset0:93 offset1:94
	ds_read2_b64 v[107:110], v102 offset0:95 offset1:96
	s_waitcnt vmcnt(12) lgkmcnt(1)
	v_fma_f64 v[103:104], v[131:132], v[103:104], v[113:114]
	s_waitcnt vmcnt(11)
	v_fma_f64 v[103:104], v[129:130], v[105:106], v[103:104]
	s_waitcnt vmcnt(10) lgkmcnt(0)
	v_fma_f64 v[103:104], v[127:128], v[107:108], v[103:104]
	s_waitcnt vmcnt(5)
	v_fma_f64 v[107:108], v[133:134], v[109:110], v[103:104]
	ds_read2_b64 v[103:106], v102 offset0:97 offset1:98
	ds_read_b64 v[109:110], v102 offset:792
	s_waitcnt vmcnt(4) lgkmcnt(1)
	v_fma_f64 v[103:104], v[139:140], v[103:104], v[107:108]
	s_waitcnt vmcnt(3)
	v_fma_f64 v[103:104], v[137:138], v[105:106], v[103:104]
	s_waitcnt vmcnt(2) lgkmcnt(0)
	v_fma_f64 v[103:104], v[135:136], v[109:110], v[103:104]
	s_waitcnt vmcnt(0)
	v_add_f64 v[103:104], v[111:112], -v[103:104]
	buffer_store_dword v104, off, s[0:3], 0 offset:276
	buffer_store_dword v103, off, s[0:3], 0 offset:272
	v_cmpx_lt_u32_e32 33, v0
	s_cbranch_execz .LBB113_243
; %bb.242:
	s_clause 0x1
	buffer_load_dword v103, off, s[0:3], 0 offset:264
	buffer_load_dword v104, off, s[0:3], 0 offset:268
	buffer_store_dword v102, off, s[0:3], 0 offset:264
	buffer_store_dword v102, off, s[0:3], 0 offset:268
	s_waitcnt vmcnt(0)
	ds_write_b64 v101, v[103:104]
.LBB113_243:
	s_or_b32 exec_lo, exec_lo, s4
	s_waitcnt lgkmcnt(0)
	s_waitcnt_vscnt null, 0x0
	s_barrier
	buffer_gl0_inv
	s_clause 0x1c
	buffer_load_dword v111, off, s[0:3], 0 offset:272
	buffer_load_dword v112, off, s[0:3], 0 offset:276
	buffer_load_dword v113, off, s[0:3], 0 offset:280
	buffer_load_dword v114, off, s[0:3], 0 offset:284
	buffer_load_dword v115, off, s[0:3], 0 offset:288
	buffer_load_dword v116, off, s[0:3], 0 offset:292
	buffer_load_dword v117, off, s[0:3], 0 offset:296
	buffer_load_dword v118, off, s[0:3], 0 offset:300
	buffer_load_dword v119, off, s[0:3], 0 offset:304
	buffer_load_dword v120, off, s[0:3], 0 offset:308
	buffer_load_dword v121, off, s[0:3], 0 offset:312
	buffer_load_dword v122, off, s[0:3], 0 offset:316
	buffer_load_dword v123, off, s[0:3], 0 offset:320
	buffer_load_dword v124, off, s[0:3], 0 offset:324
	buffer_load_dword v126, off, s[0:3], 0 offset:332
	buffer_load_dword v127, off, s[0:3], 0 offset:352
	buffer_load_dword v129, off, s[0:3], 0 offset:344
	buffer_load_dword v131, off, s[0:3], 0 offset:336
	buffer_load_dword v125, off, s[0:3], 0 offset:328
	buffer_load_dword v132, off, s[0:3], 0 offset:340
	buffer_load_dword v130, off, s[0:3], 0 offset:348
	buffer_load_dword v128, off, s[0:3], 0 offset:356
	buffer_load_dword v134, off, s[0:3], 0 offset:364
	buffer_load_dword v135, off, s[0:3], 0 offset:384
	buffer_load_dword v137, off, s[0:3], 0 offset:376
	buffer_load_dword v139, off, s[0:3], 0 offset:368
	buffer_load_dword v133, off, s[0:3], 0 offset:360
	buffer_load_dword v140, off, s[0:3], 0 offset:372
	buffer_load_dword v138, off, s[0:3], 0 offset:380
	ds_read_b128 v[103:106], v102 offset:672
	ds_read_b128 v[107:110], v102 offset:688
	buffer_load_dword v136, off, s[0:3], 0 offset:388
	s_mov_b32 s4, exec_lo
	s_waitcnt vmcnt(28) lgkmcnt(1)
	v_fma_f64 v[103:104], v[111:112], v[103:104], 0
	s_clause 0x1
	buffer_load_dword v112, off, s[0:3], 0 offset:396
	buffer_load_dword v111, off, s[0:3], 0 offset:392
	s_waitcnt vmcnt(28)
	v_fma_f64 v[103:104], v[113:114], v[105:106], v[103:104]
	s_clause 0x1
	buffer_load_dword v113, off, s[0:3], 0 offset:264
	buffer_load_dword v114, off, s[0:3], 0 offset:268
	s_waitcnt vmcnt(28) lgkmcnt(0)
	v_fma_f64 v[103:104], v[115:116], v[107:108], v[103:104]
	s_waitcnt vmcnt(26)
	v_fma_f64 v[115:116], v[117:118], v[109:110], v[103:104]
	ds_read_b128 v[103:106], v102 offset:704
	ds_read_b128 v[107:110], v102 offset:720
	s_waitcnt vmcnt(24) lgkmcnt(1)
	v_fma_f64 v[103:104], v[119:120], v[103:104], v[115:116]
	s_waitcnt vmcnt(22)
	v_fma_f64 v[103:104], v[121:122], v[105:106], v[103:104]
	s_waitcnt vmcnt(20) lgkmcnt(0)
	v_fma_f64 v[103:104], v[123:124], v[107:108], v[103:104]
	s_waitcnt vmcnt(15)
	v_fma_f64 v[115:116], v[125:126], v[109:110], v[103:104]
	ds_read_b128 v[103:106], v102 offset:736
	ds_read_b128 v[107:110], v102 offset:752
	s_waitcnt vmcnt(14) lgkmcnt(1)
	v_fma_f64 v[103:104], v[131:132], v[103:104], v[115:116]
	s_waitcnt vmcnt(13)
	v_fma_f64 v[103:104], v[129:130], v[105:106], v[103:104]
	;; [unrolled: 10-line block ×3, first 2 shown]
	s_waitcnt vmcnt(4) lgkmcnt(0)
	v_fma_f64 v[102:103], v[135:136], v[107:108], v[102:103]
	s_waitcnt vmcnt(2)
	v_fma_f64 v[102:103], v[111:112], v[109:110], v[102:103]
	s_waitcnt vmcnt(0)
	v_add_f64 v[102:103], v[113:114], -v[102:103]
	buffer_store_dword v103, off, s[0:3], 0 offset:268
	buffer_store_dword v102, off, s[0:3], 0 offset:264
	v_cmpx_lt_u32_e32 32, v0
	s_cbranch_execz .LBB113_245
; %bb.244:
	s_clause 0x1
	buffer_load_dword v102, off, s[0:3], 0 offset:256
	buffer_load_dword v103, off, s[0:3], 0 offset:260
	v_mov_b32_e32 v104, 0
	buffer_store_dword v104, off, s[0:3], 0 offset:256
	buffer_store_dword v104, off, s[0:3], 0 offset:260
	s_waitcnt vmcnt(0)
	ds_write_b64 v101, v[102:103]
.LBB113_245:
	s_or_b32 exec_lo, exec_lo, s4
	s_waitcnt lgkmcnt(0)
	s_waitcnt_vscnt null, 0x0
	s_barrier
	buffer_gl0_inv
	s_clause 0x1c
	buffer_load_dword v111, off, s[0:3], 0 offset:264
	buffer_load_dword v112, off, s[0:3], 0 offset:268
	;; [unrolled: 1-line block ×29, first 2 shown]
	v_mov_b32_e32 v102, 0
	buffer_load_dword v136, off, s[0:3], 0 offset:380
	s_mov_b32 s4, exec_lo
	ds_read2_b64 v[103:106], v102 offset0:83 offset1:84
	ds_read2_b64 v[107:110], v102 offset0:85 offset1:86
	s_waitcnt vmcnt(28) lgkmcnt(1)
	v_fma_f64 v[103:104], v[111:112], v[103:104], 0
	s_clause 0x3
	buffer_load_dword v112, off, s[0:3], 0 offset:388
	buffer_load_dword v141, off, s[0:3], 0 offset:392
	;; [unrolled: 1-line block ×4, first 2 shown]
	s_waitcnt vmcnt(30)
	v_fma_f64 v[103:104], v[113:114], v[105:106], v[103:104]
	s_clause 0x1
	buffer_load_dword v113, off, s[0:3], 0 offset:256
	buffer_load_dword v114, off, s[0:3], 0 offset:260
	s_waitcnt vmcnt(30) lgkmcnt(0)
	v_fma_f64 v[103:104], v[115:116], v[107:108], v[103:104]
	s_waitcnt vmcnt(28)
	v_fma_f64 v[115:116], v[117:118], v[109:110], v[103:104]
	ds_read2_b64 v[103:106], v102 offset0:87 offset1:88
	ds_read2_b64 v[107:110], v102 offset0:89 offset1:90
	s_waitcnt vmcnt(26) lgkmcnt(1)
	v_fma_f64 v[103:104], v[119:120], v[103:104], v[115:116]
	s_waitcnt vmcnt(24)
	v_fma_f64 v[103:104], v[121:122], v[105:106], v[103:104]
	s_waitcnt vmcnt(22) lgkmcnt(0)
	v_fma_f64 v[103:104], v[123:124], v[107:108], v[103:104]
	s_waitcnt vmcnt(17)
	v_fma_f64 v[115:116], v[125:126], v[109:110], v[103:104]
	ds_read2_b64 v[103:106], v102 offset0:91 offset1:92
	ds_read2_b64 v[107:110], v102 offset0:93 offset1:94
	s_waitcnt vmcnt(16) lgkmcnt(1)
	v_fma_f64 v[103:104], v[131:132], v[103:104], v[115:116]
	s_waitcnt vmcnt(15)
	v_fma_f64 v[103:104], v[129:130], v[105:106], v[103:104]
	;; [unrolled: 10-line block ×3, first 2 shown]
	ds_read_b64 v[105:106], v102 offset:792
	s_waitcnt vmcnt(6) lgkmcnt(1)
	v_fma_f64 v[103:104], v[135:136], v[107:108], v[103:104]
	s_waitcnt vmcnt(3)
	v_fma_f64 v[103:104], v[111:112], v[109:110], v[103:104]
	s_waitcnt vmcnt(2) lgkmcnt(0)
	v_fma_f64 v[103:104], v[141:142], v[105:106], v[103:104]
	s_waitcnt vmcnt(0)
	v_add_f64 v[103:104], v[113:114], -v[103:104]
	buffer_store_dword v104, off, s[0:3], 0 offset:260
	buffer_store_dword v103, off, s[0:3], 0 offset:256
	v_cmpx_lt_u32_e32 31, v0
	s_cbranch_execz .LBB113_247
; %bb.246:
	s_clause 0x1
	buffer_load_dword v103, off, s[0:3], 0 offset:248
	buffer_load_dword v104, off, s[0:3], 0 offset:252
	buffer_store_dword v102, off, s[0:3], 0 offset:248
	buffer_store_dword v102, off, s[0:3], 0 offset:252
	s_waitcnt vmcnt(0)
	ds_write_b64 v101, v[103:104]
.LBB113_247:
	s_or_b32 exec_lo, exec_lo, s4
	s_waitcnt lgkmcnt(0)
	s_waitcnt_vscnt null, 0x0
	s_barrier
	buffer_gl0_inv
	s_clause 0x1b
	buffer_load_dword v107, off, s[0:3], 0 offset:256
	buffer_load_dword v108, off, s[0:3], 0 offset:260
	;; [unrolled: 1-line block ×28, first 2 shown]
	ds_read_b128 v[103:106], v102 offset:656
	s_clause 0x1
	buffer_load_dword v135, off, s[0:3], 0 offset:368
	buffer_load_dword v136, off, s[0:3], 0 offset:372
	s_mov_b32 s4, exec_lo
	s_waitcnt vmcnt(28) lgkmcnt(0)
	v_fma_f64 v[103:104], v[107:108], v[103:104], 0
	s_clause 0x1
	buffer_load_dword v108, off, s[0:3], 0 offset:380
	buffer_load_dword v107, off, s[0:3], 0 offset:376
	s_waitcnt vmcnt(28)
	v_fma_f64 v[109:110], v[109:110], v[105:106], v[103:104]
	ds_read_b128 v[103:106], v102 offset:672
	s_clause 0x1
	buffer_load_dword v137, off, s[0:3], 0 offset:384
	buffer_load_dword v138, off, s[0:3], 0 offset:388
	s_waitcnt vmcnt(28) lgkmcnt(0)
	v_fma_f64 v[103:104], v[111:112], v[103:104], v[109:110]
	s_clause 0x1
	buffer_load_dword v109, off, s[0:3], 0 offset:392
	buffer_load_dword v110, off, s[0:3], 0 offset:396
	s_waitcnt vmcnt(28)
	v_fma_f64 v[111:112], v[113:114], v[105:106], v[103:104]
	ds_read_b128 v[103:106], v102 offset:688
	s_clause 0x1
	buffer_load_dword v113, off, s[0:3], 0 offset:248
	buffer_load_dword v114, off, s[0:3], 0 offset:252
	s_waitcnt vmcnt(28) lgkmcnt(0)
	v_fma_f64 v[103:104], v[115:116], v[103:104], v[111:112]
	s_waitcnt vmcnt(26)
	v_fma_f64 v[111:112], v[117:118], v[105:106], v[103:104]
	ds_read_b128 v[103:106], v102 offset:704
	s_waitcnt vmcnt(24) lgkmcnt(0)
	v_fma_f64 v[103:104], v[119:120], v[103:104], v[111:112]
	s_waitcnt vmcnt(22)
	v_fma_f64 v[111:112], v[121:122], v[105:106], v[103:104]
	ds_read_b128 v[103:106], v102 offset:720
	;; [unrolled: 5-line block ×6, first 2 shown]
	s_waitcnt vmcnt(4) lgkmcnt(0)
	v_fma_f64 v[102:103], v[137:138], v[102:103], v[106:107]
	s_waitcnt vmcnt(2)
	v_fma_f64 v[102:103], v[109:110], v[104:105], v[102:103]
	s_waitcnt vmcnt(0)
	v_add_f64 v[102:103], v[113:114], -v[102:103]
	buffer_store_dword v103, off, s[0:3], 0 offset:252
	buffer_store_dword v102, off, s[0:3], 0 offset:248
	v_cmpx_lt_u32_e32 30, v0
	s_cbranch_execz .LBB113_249
; %bb.248:
	s_clause 0x1
	buffer_load_dword v102, off, s[0:3], 0 offset:240
	buffer_load_dword v103, off, s[0:3], 0 offset:244
	v_mov_b32_e32 v104, 0
	buffer_store_dword v104, off, s[0:3], 0 offset:240
	buffer_store_dword v104, off, s[0:3], 0 offset:244
	s_waitcnt vmcnt(0)
	ds_write_b64 v101, v[102:103]
.LBB113_249:
	s_or_b32 exec_lo, exec_lo, s4
	s_waitcnt lgkmcnt(0)
	s_waitcnt_vscnt null, 0x0
	s_barrier
	buffer_gl0_inv
	s_clause 0x1b
	buffer_load_dword v107, off, s[0:3], 0 offset:248
	buffer_load_dword v108, off, s[0:3], 0 offset:252
	;; [unrolled: 1-line block ×28, first 2 shown]
	v_mov_b32_e32 v102, 0
	s_mov_b32 s4, exec_lo
	ds_read2_b64 v[103:106], v102 offset0:81 offset1:82
	s_clause 0x1
	buffer_load_dword v135, off, s[0:3], 0 offset:360
	buffer_load_dword v136, off, s[0:3], 0 offset:364
	s_waitcnt vmcnt(28) lgkmcnt(0)
	v_fma_f64 v[103:104], v[107:108], v[103:104], 0
	s_clause 0x1
	buffer_load_dword v108, off, s[0:3], 0 offset:372
	buffer_load_dword v107, off, s[0:3], 0 offset:368
	s_waitcnt vmcnt(28)
	v_fma_f64 v[109:110], v[109:110], v[105:106], v[103:104]
	ds_read2_b64 v[103:106], v102 offset0:83 offset1:84
	s_clause 0x1
	buffer_load_dword v137, off, s[0:3], 0 offset:376
	buffer_load_dword v138, off, s[0:3], 0 offset:380
	s_waitcnt vmcnt(28) lgkmcnt(0)
	v_fma_f64 v[103:104], v[111:112], v[103:104], v[109:110]
	s_clause 0x1
	buffer_load_dword v109, off, s[0:3], 0 offset:384
	buffer_load_dword v110, off, s[0:3], 0 offset:388
	s_waitcnt vmcnt(28)
	v_fma_f64 v[111:112], v[113:114], v[105:106], v[103:104]
	;; [unrolled: 11-line block ×3, first 2 shown]
	ds_read2_b64 v[103:106], v102 offset0:87 offset1:88
	s_waitcnt vmcnt(26) lgkmcnt(0)
	v_fma_f64 v[103:104], v[119:120], v[103:104], v[115:116]
	s_waitcnt vmcnt(24)
	v_fma_f64 v[115:116], v[121:122], v[105:106], v[103:104]
	ds_read2_b64 v[103:106], v102 offset0:89 offset1:90
	s_waitcnt vmcnt(22) lgkmcnt(0)
	v_fma_f64 v[103:104], v[123:124], v[103:104], v[115:116]
	s_waitcnt vmcnt(20)
	v_fma_f64 v[115:116], v[125:126], v[105:106], v[103:104]
	;; [unrolled: 5-line block ×6, first 2 shown]
	ds_read_b64 v[105:106], v102 offset:792
	s_waitcnt vmcnt(2) lgkmcnt(0)
	v_fma_f64 v[103:104], v[113:114], v[105:106], v[103:104]
	s_waitcnt vmcnt(0)
	v_add_f64 v[103:104], v[111:112], -v[103:104]
	buffer_store_dword v104, off, s[0:3], 0 offset:244
	buffer_store_dword v103, off, s[0:3], 0 offset:240
	v_cmpx_lt_u32_e32 29, v0
	s_cbranch_execz .LBB113_251
; %bb.250:
	s_clause 0x1
	buffer_load_dword v103, off, s[0:3], 0 offset:232
	buffer_load_dword v104, off, s[0:3], 0 offset:236
	buffer_store_dword v102, off, s[0:3], 0 offset:232
	buffer_store_dword v102, off, s[0:3], 0 offset:236
	s_waitcnt vmcnt(0)
	ds_write_b64 v101, v[103:104]
.LBB113_251:
	s_or_b32 exec_lo, exec_lo, s4
	s_waitcnt lgkmcnt(0)
	s_waitcnt_vscnt null, 0x0
	s_barrier
	buffer_gl0_inv
	s_clause 0x1b
	buffer_load_dword v107, off, s[0:3], 0 offset:240
	buffer_load_dword v108, off, s[0:3], 0 offset:244
	;; [unrolled: 1-line block ×28, first 2 shown]
	ds_read_b128 v[103:106], v102 offset:640
	s_clause 0x1
	buffer_load_dword v135, off, s[0:3], 0 offset:352
	buffer_load_dword v136, off, s[0:3], 0 offset:356
	s_mov_b32 s4, exec_lo
	s_waitcnt vmcnt(28) lgkmcnt(0)
	v_fma_f64 v[103:104], v[107:108], v[103:104], 0
	s_clause 0x1
	buffer_load_dword v108, off, s[0:3], 0 offset:364
	buffer_load_dword v107, off, s[0:3], 0 offset:360
	s_waitcnt vmcnt(28)
	v_fma_f64 v[109:110], v[109:110], v[105:106], v[103:104]
	ds_read_b128 v[103:106], v102 offset:656
	s_clause 0x1
	buffer_load_dword v137, off, s[0:3], 0 offset:368
	buffer_load_dword v138, off, s[0:3], 0 offset:372
	s_waitcnt vmcnt(28) lgkmcnt(0)
	v_fma_f64 v[103:104], v[111:112], v[103:104], v[109:110]
	s_clause 0x1
	buffer_load_dword v109, off, s[0:3], 0 offset:376
	buffer_load_dword v110, off, s[0:3], 0 offset:380
	s_waitcnt vmcnt(28)
	v_fma_f64 v[111:112], v[113:114], v[105:106], v[103:104]
	ds_read_b128 v[103:106], v102 offset:672
	s_clause 0x1
	buffer_load_dword v113, off, s[0:3], 0 offset:384
	buffer_load_dword v114, off, s[0:3], 0 offset:388
	;; [unrolled: 11-line block ×3, first 2 shown]
	s_waitcnt vmcnt(28) lgkmcnt(0)
	v_fma_f64 v[103:104], v[119:120], v[103:104], v[115:116]
	s_waitcnt vmcnt(26)
	v_fma_f64 v[115:116], v[121:122], v[105:106], v[103:104]
	ds_read_b128 v[103:106], v102 offset:704
	s_waitcnt vmcnt(24) lgkmcnt(0)
	v_fma_f64 v[103:104], v[123:124], v[103:104], v[115:116]
	s_waitcnt vmcnt(22)
	v_fma_f64 v[115:116], v[125:126], v[105:106], v[103:104]
	ds_read_b128 v[103:106], v102 offset:720
	s_waitcnt vmcnt(20) lgkmcnt(0)
	v_fma_f64 v[103:104], v[127:128], v[103:104], v[115:116]
	s_waitcnt vmcnt(18)
	v_fma_f64 v[115:116], v[129:130], v[105:106], v[103:104]
	ds_read_b128 v[103:106], v102 offset:736
	s_waitcnt vmcnt(16) lgkmcnt(0)
	v_fma_f64 v[103:104], v[131:132], v[103:104], v[115:116]
	s_waitcnt vmcnt(14)
	v_fma_f64 v[115:116], v[133:134], v[105:106], v[103:104]
	ds_read_b128 v[103:106], v102 offset:752
	s_waitcnt vmcnt(12) lgkmcnt(0)
	v_fma_f64 v[103:104], v[135:136], v[103:104], v[115:116]
	s_waitcnt vmcnt(10)
	v_fma_f64 v[107:108], v[107:108], v[105:106], v[103:104]
	ds_read_b128 v[103:106], v102 offset:768
	s_waitcnt vmcnt(8) lgkmcnt(0)
	v_fma_f64 v[103:104], v[137:138], v[103:104], v[107:108]
	s_waitcnt vmcnt(6)
	v_fma_f64 v[106:107], v[109:110], v[105:106], v[103:104]
	ds_read_b128 v[102:105], v102 offset:784
	s_waitcnt vmcnt(4) lgkmcnt(0)
	v_fma_f64 v[102:103], v[113:114], v[102:103], v[106:107]
	s_waitcnt vmcnt(2)
	v_fma_f64 v[102:103], v[111:112], v[104:105], v[102:103]
	s_waitcnt vmcnt(0)
	v_add_f64 v[102:103], v[117:118], -v[102:103]
	buffer_store_dword v103, off, s[0:3], 0 offset:236
	buffer_store_dword v102, off, s[0:3], 0 offset:232
	v_cmpx_lt_u32_e32 28, v0
	s_cbranch_execz .LBB113_253
; %bb.252:
	s_clause 0x1
	buffer_load_dword v102, off, s[0:3], 0 offset:224
	buffer_load_dword v103, off, s[0:3], 0 offset:228
	v_mov_b32_e32 v104, 0
	buffer_store_dword v104, off, s[0:3], 0 offset:224
	buffer_store_dword v104, off, s[0:3], 0 offset:228
	s_waitcnt vmcnt(0)
	ds_write_b64 v101, v[102:103]
.LBB113_253:
	s_or_b32 exec_lo, exec_lo, s4
	s_waitcnt lgkmcnt(0)
	s_waitcnt_vscnt null, 0x0
	s_barrier
	buffer_gl0_inv
	s_clause 0x1b
	buffer_load_dword v107, off, s[0:3], 0 offset:232
	buffer_load_dword v108, off, s[0:3], 0 offset:236
	;; [unrolled: 1-line block ×28, first 2 shown]
	v_mov_b32_e32 v102, 0
	s_mov_b32 s4, exec_lo
	ds_read2_b64 v[103:106], v102 offset0:79 offset1:80
	s_clause 0x1
	buffer_load_dword v135, off, s[0:3], 0 offset:344
	buffer_load_dword v136, off, s[0:3], 0 offset:348
	s_waitcnt vmcnt(28) lgkmcnt(0)
	v_fma_f64 v[103:104], v[107:108], v[103:104], 0
	s_clause 0x1
	buffer_load_dword v108, off, s[0:3], 0 offset:356
	buffer_load_dword v107, off, s[0:3], 0 offset:352
	s_waitcnt vmcnt(28)
	v_fma_f64 v[109:110], v[109:110], v[105:106], v[103:104]
	ds_read2_b64 v[103:106], v102 offset0:81 offset1:82
	s_clause 0x1
	buffer_load_dword v137, off, s[0:3], 0 offset:360
	buffer_load_dword v138, off, s[0:3], 0 offset:364
	s_waitcnt vmcnt(28) lgkmcnt(0)
	v_fma_f64 v[103:104], v[111:112], v[103:104], v[109:110]
	s_clause 0x1
	buffer_load_dword v109, off, s[0:3], 0 offset:368
	buffer_load_dword v110, off, s[0:3], 0 offset:372
	s_waitcnt vmcnt(28)
	v_fma_f64 v[111:112], v[113:114], v[105:106], v[103:104]
	;; [unrolled: 11-line block ×4, first 2 shown]
	ds_read2_b64 v[103:106], v102 offset0:87 offset1:88
	s_waitcnt vmcnt(26) lgkmcnt(0)
	v_fma_f64 v[103:104], v[123:124], v[103:104], v[119:120]
	s_waitcnt vmcnt(24)
	v_fma_f64 v[119:120], v[125:126], v[105:106], v[103:104]
	ds_read2_b64 v[103:106], v102 offset0:89 offset1:90
	s_waitcnt vmcnt(22) lgkmcnt(0)
	v_fma_f64 v[103:104], v[127:128], v[103:104], v[119:120]
	s_waitcnt vmcnt(20)
	v_fma_f64 v[119:120], v[129:130], v[105:106], v[103:104]
	;; [unrolled: 5-line block ×6, first 2 shown]
	ds_read_b64 v[105:106], v102 offset:792
	s_waitcnt vmcnt(2) lgkmcnt(0)
	v_fma_f64 v[103:104], v[117:118], v[105:106], v[103:104]
	s_waitcnt vmcnt(0)
	v_add_f64 v[103:104], v[115:116], -v[103:104]
	buffer_store_dword v104, off, s[0:3], 0 offset:228
	buffer_store_dword v103, off, s[0:3], 0 offset:224
	v_cmpx_lt_u32_e32 27, v0
	s_cbranch_execz .LBB113_255
; %bb.254:
	s_clause 0x1
	buffer_load_dword v103, off, s[0:3], 0 offset:216
	buffer_load_dword v104, off, s[0:3], 0 offset:220
	buffer_store_dword v102, off, s[0:3], 0 offset:216
	buffer_store_dword v102, off, s[0:3], 0 offset:220
	s_waitcnt vmcnt(0)
	ds_write_b64 v101, v[103:104]
.LBB113_255:
	s_or_b32 exec_lo, exec_lo, s4
	s_waitcnt lgkmcnt(0)
	s_waitcnt_vscnt null, 0x0
	s_barrier
	buffer_gl0_inv
	s_clause 0x1b
	buffer_load_dword v107, off, s[0:3], 0 offset:224
	buffer_load_dword v108, off, s[0:3], 0 offset:228
	;; [unrolled: 1-line block ×28, first 2 shown]
	ds_read_b128 v[103:106], v102 offset:624
	s_clause 0x1
	buffer_load_dword v135, off, s[0:3], 0 offset:336
	buffer_load_dword v136, off, s[0:3], 0 offset:340
	s_mov_b32 s4, exec_lo
	s_waitcnt vmcnt(28) lgkmcnt(0)
	v_fma_f64 v[103:104], v[107:108], v[103:104], 0
	s_clause 0x1
	buffer_load_dword v108, off, s[0:3], 0 offset:348
	buffer_load_dword v107, off, s[0:3], 0 offset:344
	s_waitcnt vmcnt(28)
	v_fma_f64 v[109:110], v[109:110], v[105:106], v[103:104]
	ds_read_b128 v[103:106], v102 offset:640
	s_clause 0x1
	buffer_load_dword v137, off, s[0:3], 0 offset:352
	buffer_load_dword v138, off, s[0:3], 0 offset:356
	s_waitcnt vmcnt(28) lgkmcnt(0)
	v_fma_f64 v[103:104], v[111:112], v[103:104], v[109:110]
	s_clause 0x1
	buffer_load_dword v109, off, s[0:3], 0 offset:360
	buffer_load_dword v110, off, s[0:3], 0 offset:364
	s_waitcnt vmcnt(28)
	v_fma_f64 v[111:112], v[113:114], v[105:106], v[103:104]
	ds_read_b128 v[103:106], v102 offset:656
	s_clause 0x1
	buffer_load_dword v113, off, s[0:3], 0 offset:368
	buffer_load_dword v114, off, s[0:3], 0 offset:372
	;; [unrolled: 11-line block ×4, first 2 shown]
	s_waitcnt vmcnt(28) lgkmcnt(0)
	v_fma_f64 v[103:104], v[123:124], v[103:104], v[119:120]
	s_waitcnt vmcnt(26)
	v_fma_f64 v[119:120], v[125:126], v[105:106], v[103:104]
	ds_read_b128 v[103:106], v102 offset:704
	s_waitcnt vmcnt(24) lgkmcnt(0)
	v_fma_f64 v[103:104], v[127:128], v[103:104], v[119:120]
	s_waitcnt vmcnt(22)
	v_fma_f64 v[119:120], v[129:130], v[105:106], v[103:104]
	ds_read_b128 v[103:106], v102 offset:720
	s_waitcnt vmcnt(20) lgkmcnt(0)
	v_fma_f64 v[103:104], v[131:132], v[103:104], v[119:120]
	s_waitcnt vmcnt(18)
	v_fma_f64 v[119:120], v[133:134], v[105:106], v[103:104]
	ds_read_b128 v[103:106], v102 offset:736
	s_waitcnt vmcnt(16) lgkmcnt(0)
	v_fma_f64 v[103:104], v[135:136], v[103:104], v[119:120]
	s_waitcnt vmcnt(14)
	v_fma_f64 v[107:108], v[107:108], v[105:106], v[103:104]
	ds_read_b128 v[103:106], v102 offset:752
	s_waitcnt vmcnt(12) lgkmcnt(0)
	v_fma_f64 v[103:104], v[137:138], v[103:104], v[107:108]
	s_waitcnt vmcnt(10)
	v_fma_f64 v[107:108], v[109:110], v[105:106], v[103:104]
	ds_read_b128 v[103:106], v102 offset:768
	s_waitcnt vmcnt(8) lgkmcnt(0)
	v_fma_f64 v[103:104], v[113:114], v[103:104], v[107:108]
	s_waitcnt vmcnt(6)
	v_fma_f64 v[106:107], v[111:112], v[105:106], v[103:104]
	ds_read_b128 v[102:105], v102 offset:784
	s_waitcnt vmcnt(4) lgkmcnt(0)
	v_fma_f64 v[102:103], v[117:118], v[102:103], v[106:107]
	s_waitcnt vmcnt(2)
	v_fma_f64 v[102:103], v[115:116], v[104:105], v[102:103]
	s_waitcnt vmcnt(0)
	v_add_f64 v[102:103], v[121:122], -v[102:103]
	buffer_store_dword v103, off, s[0:3], 0 offset:220
	buffer_store_dword v102, off, s[0:3], 0 offset:216
	v_cmpx_lt_u32_e32 26, v0
	s_cbranch_execz .LBB113_257
; %bb.256:
	s_clause 0x1
	buffer_load_dword v102, off, s[0:3], 0 offset:208
	buffer_load_dword v103, off, s[0:3], 0 offset:212
	v_mov_b32_e32 v104, 0
	buffer_store_dword v104, off, s[0:3], 0 offset:208
	buffer_store_dword v104, off, s[0:3], 0 offset:212
	s_waitcnt vmcnt(0)
	ds_write_b64 v101, v[102:103]
.LBB113_257:
	s_or_b32 exec_lo, exec_lo, s4
	s_waitcnt lgkmcnt(0)
	s_waitcnt_vscnt null, 0x0
	s_barrier
	buffer_gl0_inv
	s_clause 0x1b
	buffer_load_dword v107, off, s[0:3], 0 offset:216
	buffer_load_dword v108, off, s[0:3], 0 offset:220
	;; [unrolled: 1-line block ×28, first 2 shown]
	v_mov_b32_e32 v102, 0
	s_mov_b32 s4, exec_lo
	ds_read2_b64 v[103:106], v102 offset0:77 offset1:78
	s_clause 0x1
	buffer_load_dword v135, off, s[0:3], 0 offset:328
	buffer_load_dword v136, off, s[0:3], 0 offset:332
	s_waitcnt vmcnt(28) lgkmcnt(0)
	v_fma_f64 v[103:104], v[107:108], v[103:104], 0
	s_clause 0x1
	buffer_load_dword v108, off, s[0:3], 0 offset:340
	buffer_load_dword v107, off, s[0:3], 0 offset:336
	s_waitcnt vmcnt(28)
	v_fma_f64 v[109:110], v[109:110], v[105:106], v[103:104]
	ds_read2_b64 v[103:106], v102 offset0:79 offset1:80
	s_clause 0x1
	buffer_load_dword v137, off, s[0:3], 0 offset:344
	buffer_load_dword v138, off, s[0:3], 0 offset:348
	s_waitcnt vmcnt(28) lgkmcnt(0)
	v_fma_f64 v[103:104], v[111:112], v[103:104], v[109:110]
	s_clause 0x1
	buffer_load_dword v109, off, s[0:3], 0 offset:352
	buffer_load_dword v110, off, s[0:3], 0 offset:356
	s_waitcnt vmcnt(28)
	v_fma_f64 v[111:112], v[113:114], v[105:106], v[103:104]
	;; [unrolled: 11-line block ×5, first 2 shown]
	ds_read2_b64 v[103:106], v102 offset0:87 offset1:88
	s_waitcnt vmcnt(26) lgkmcnt(0)
	v_fma_f64 v[103:104], v[127:128], v[103:104], v[123:124]
	s_waitcnt vmcnt(24)
	v_fma_f64 v[123:124], v[129:130], v[105:106], v[103:104]
	ds_read2_b64 v[103:106], v102 offset0:89 offset1:90
	s_waitcnt vmcnt(22) lgkmcnt(0)
	v_fma_f64 v[103:104], v[131:132], v[103:104], v[123:124]
	s_waitcnt vmcnt(20)
	v_fma_f64 v[123:124], v[133:134], v[105:106], v[103:104]
	ds_read2_b64 v[103:106], v102 offset0:91 offset1:92
	s_waitcnt vmcnt(18) lgkmcnt(0)
	v_fma_f64 v[103:104], v[135:136], v[103:104], v[123:124]
	s_waitcnt vmcnt(16)
	v_fma_f64 v[107:108], v[107:108], v[105:106], v[103:104]
	ds_read2_b64 v[103:106], v102 offset0:93 offset1:94
	s_waitcnt vmcnt(14) lgkmcnt(0)
	v_fma_f64 v[103:104], v[137:138], v[103:104], v[107:108]
	s_waitcnt vmcnt(12)
	v_fma_f64 v[107:108], v[109:110], v[105:106], v[103:104]
	ds_read2_b64 v[103:106], v102 offset0:95 offset1:96
	s_waitcnt vmcnt(10) lgkmcnt(0)
	v_fma_f64 v[103:104], v[113:114], v[103:104], v[107:108]
	s_waitcnt vmcnt(8)
	v_fma_f64 v[107:108], v[111:112], v[105:106], v[103:104]
	ds_read2_b64 v[103:106], v102 offset0:97 offset1:98
	s_waitcnt vmcnt(6) lgkmcnt(0)
	v_fma_f64 v[103:104], v[117:118], v[103:104], v[107:108]
	s_waitcnt vmcnt(4)
	v_fma_f64 v[103:104], v[115:116], v[105:106], v[103:104]
	ds_read_b64 v[105:106], v102 offset:792
	s_waitcnt vmcnt(2) lgkmcnt(0)
	v_fma_f64 v[103:104], v[121:122], v[105:106], v[103:104]
	s_waitcnt vmcnt(0)
	v_add_f64 v[103:104], v[119:120], -v[103:104]
	buffer_store_dword v104, off, s[0:3], 0 offset:212
	buffer_store_dword v103, off, s[0:3], 0 offset:208
	v_cmpx_lt_u32_e32 25, v0
	s_cbranch_execz .LBB113_259
; %bb.258:
	s_clause 0x1
	buffer_load_dword v103, off, s[0:3], 0 offset:200
	buffer_load_dword v104, off, s[0:3], 0 offset:204
	buffer_store_dword v102, off, s[0:3], 0 offset:200
	buffer_store_dword v102, off, s[0:3], 0 offset:204
	s_waitcnt vmcnt(0)
	ds_write_b64 v101, v[103:104]
.LBB113_259:
	s_or_b32 exec_lo, exec_lo, s4
	s_waitcnt lgkmcnt(0)
	s_waitcnt_vscnt null, 0x0
	s_barrier
	buffer_gl0_inv
	s_clause 0x1b
	buffer_load_dword v107, off, s[0:3], 0 offset:208
	buffer_load_dword v108, off, s[0:3], 0 offset:212
	;; [unrolled: 1-line block ×28, first 2 shown]
	ds_read_b128 v[103:106], v102 offset:608
	s_clause 0x1
	buffer_load_dword v135, off, s[0:3], 0 offset:320
	buffer_load_dword v136, off, s[0:3], 0 offset:324
	s_mov_b32 s4, exec_lo
	s_waitcnt vmcnt(28) lgkmcnt(0)
	v_fma_f64 v[103:104], v[107:108], v[103:104], 0
	s_clause 0x1
	buffer_load_dword v108, off, s[0:3], 0 offset:332
	buffer_load_dword v107, off, s[0:3], 0 offset:328
	s_waitcnt vmcnt(28)
	v_fma_f64 v[109:110], v[109:110], v[105:106], v[103:104]
	ds_read_b128 v[103:106], v102 offset:624
	s_clause 0x1
	buffer_load_dword v137, off, s[0:3], 0 offset:336
	buffer_load_dword v138, off, s[0:3], 0 offset:340
	s_waitcnt vmcnt(28) lgkmcnt(0)
	v_fma_f64 v[103:104], v[111:112], v[103:104], v[109:110]
	s_clause 0x1
	buffer_load_dword v109, off, s[0:3], 0 offset:344
	buffer_load_dword v110, off, s[0:3], 0 offset:348
	s_waitcnt vmcnt(28)
	v_fma_f64 v[111:112], v[113:114], v[105:106], v[103:104]
	ds_read_b128 v[103:106], v102 offset:640
	s_clause 0x1
	buffer_load_dword v113, off, s[0:3], 0 offset:352
	buffer_load_dword v114, off, s[0:3], 0 offset:356
	;; [unrolled: 11-line block ×5, first 2 shown]
	s_waitcnt vmcnt(28) lgkmcnt(0)
	v_fma_f64 v[103:104], v[127:128], v[103:104], v[123:124]
	s_waitcnt vmcnt(26)
	v_fma_f64 v[123:124], v[129:130], v[105:106], v[103:104]
	ds_read_b128 v[103:106], v102 offset:704
	s_waitcnt vmcnt(24) lgkmcnt(0)
	v_fma_f64 v[103:104], v[131:132], v[103:104], v[123:124]
	s_waitcnt vmcnt(22)
	v_fma_f64 v[123:124], v[133:134], v[105:106], v[103:104]
	ds_read_b128 v[103:106], v102 offset:720
	;; [unrolled: 5-line block ×6, first 2 shown]
	s_waitcnt vmcnt(4) lgkmcnt(0)
	v_fma_f64 v[102:103], v[121:122], v[102:103], v[106:107]
	s_waitcnt vmcnt(2)
	v_fma_f64 v[102:103], v[119:120], v[104:105], v[102:103]
	s_waitcnt vmcnt(0)
	v_add_f64 v[102:103], v[125:126], -v[102:103]
	buffer_store_dword v103, off, s[0:3], 0 offset:204
	buffer_store_dword v102, off, s[0:3], 0 offset:200
	v_cmpx_lt_u32_e32 24, v0
	s_cbranch_execz .LBB113_261
; %bb.260:
	s_clause 0x1
	buffer_load_dword v102, off, s[0:3], 0 offset:192
	buffer_load_dword v103, off, s[0:3], 0 offset:196
	v_mov_b32_e32 v104, 0
	buffer_store_dword v104, off, s[0:3], 0 offset:192
	buffer_store_dword v104, off, s[0:3], 0 offset:196
	s_waitcnt vmcnt(0)
	ds_write_b64 v101, v[102:103]
.LBB113_261:
	s_or_b32 exec_lo, exec_lo, s4
	s_waitcnt lgkmcnt(0)
	s_waitcnt_vscnt null, 0x0
	s_barrier
	buffer_gl0_inv
	s_clause 0x1b
	buffer_load_dword v107, off, s[0:3], 0 offset:200
	buffer_load_dword v108, off, s[0:3], 0 offset:204
	;; [unrolled: 1-line block ×28, first 2 shown]
	v_mov_b32_e32 v102, 0
	s_mov_b32 s4, exec_lo
	ds_read2_b64 v[103:106], v102 offset0:75 offset1:76
	s_clause 0x1
	buffer_load_dword v135, off, s[0:3], 0 offset:312
	buffer_load_dword v136, off, s[0:3], 0 offset:316
	s_waitcnt vmcnt(28) lgkmcnt(0)
	v_fma_f64 v[103:104], v[107:108], v[103:104], 0
	s_clause 0x1
	buffer_load_dword v108, off, s[0:3], 0 offset:324
	buffer_load_dword v107, off, s[0:3], 0 offset:320
	s_waitcnt vmcnt(28)
	v_fma_f64 v[109:110], v[109:110], v[105:106], v[103:104]
	ds_read2_b64 v[103:106], v102 offset0:77 offset1:78
	s_clause 0x1
	buffer_load_dword v137, off, s[0:3], 0 offset:328
	buffer_load_dword v138, off, s[0:3], 0 offset:332
	s_waitcnt vmcnt(28) lgkmcnt(0)
	v_fma_f64 v[103:104], v[111:112], v[103:104], v[109:110]
	s_clause 0x1
	buffer_load_dword v109, off, s[0:3], 0 offset:336
	buffer_load_dword v110, off, s[0:3], 0 offset:340
	s_waitcnt vmcnt(28)
	v_fma_f64 v[111:112], v[113:114], v[105:106], v[103:104]
	ds_read2_b64 v[103:106], v102 offset0:79 offset1:80
	s_clause 0x1
	buffer_load_dword v113, off, s[0:3], 0 offset:344
	buffer_load_dword v114, off, s[0:3], 0 offset:348
	s_waitcnt vmcnt(28) lgkmcnt(0)
	v_fma_f64 v[103:104], v[115:116], v[103:104], v[111:112]
	s_clause 0x1
	buffer_load_dword v112, off, s[0:3], 0 offset:356
	buffer_load_dword v111, off, s[0:3], 0 offset:352
	s_waitcnt vmcnt(28)
	v_fma_f64 v[115:116], v[117:118], v[105:106], v[103:104]
	ds_read2_b64 v[103:106], v102 offset0:81 offset1:82
	s_clause 0x1
	buffer_load_dword v117, off, s[0:3], 0 offset:360
	buffer_load_dword v118, off, s[0:3], 0 offset:364
	s_waitcnt vmcnt(28) lgkmcnt(0)
	v_fma_f64 v[103:104], v[119:120], v[103:104], v[115:116]
	s_clause 0x1
	buffer_load_dword v115, off, s[0:3], 0 offset:368
	buffer_load_dword v116, off, s[0:3], 0 offset:372
	s_waitcnt vmcnt(28)
	v_fma_f64 v[119:120], v[121:122], v[105:106], v[103:104]
	ds_read2_b64 v[103:106], v102 offset0:83 offset1:84
	s_clause 0x1
	buffer_load_dword v121, off, s[0:3], 0 offset:376
	buffer_load_dword v122, off, s[0:3], 0 offset:380
	s_waitcnt vmcnt(28) lgkmcnt(0)
	v_fma_f64 v[103:104], v[123:124], v[103:104], v[119:120]
	s_clause 0x1
	buffer_load_dword v120, off, s[0:3], 0 offset:388
	buffer_load_dword v119, off, s[0:3], 0 offset:384
	s_waitcnt vmcnt(28)
	v_fma_f64 v[123:124], v[125:126], v[105:106], v[103:104]
	ds_read2_b64 v[103:106], v102 offset0:85 offset1:86
	s_clause 0x1
	buffer_load_dword v125, off, s[0:3], 0 offset:392
	buffer_load_dword v126, off, s[0:3], 0 offset:396
	s_waitcnt vmcnt(28) lgkmcnt(0)
	v_fma_f64 v[103:104], v[127:128], v[103:104], v[123:124]
	s_clause 0x1
	buffer_load_dword v123, off, s[0:3], 0 offset:192
	buffer_load_dword v124, off, s[0:3], 0 offset:196
	s_waitcnt vmcnt(28)
	v_fma_f64 v[127:128], v[129:130], v[105:106], v[103:104]
	ds_read2_b64 v[103:106], v102 offset0:87 offset1:88
	s_waitcnt vmcnt(26) lgkmcnt(0)
	v_fma_f64 v[103:104], v[131:132], v[103:104], v[127:128]
	s_waitcnt vmcnt(24)
	v_fma_f64 v[127:128], v[133:134], v[105:106], v[103:104]
	ds_read2_b64 v[103:106], v102 offset0:89 offset1:90
	s_waitcnt vmcnt(22) lgkmcnt(0)
	v_fma_f64 v[103:104], v[135:136], v[103:104], v[127:128]
	s_waitcnt vmcnt(20)
	v_fma_f64 v[107:108], v[107:108], v[105:106], v[103:104]
	;; [unrolled: 5-line block ×6, first 2 shown]
	ds_read_b64 v[105:106], v102 offset:792
	s_waitcnt vmcnt(2) lgkmcnt(0)
	v_fma_f64 v[103:104], v[125:126], v[105:106], v[103:104]
	s_waitcnt vmcnt(0)
	v_add_f64 v[103:104], v[123:124], -v[103:104]
	buffer_store_dword v104, off, s[0:3], 0 offset:196
	buffer_store_dword v103, off, s[0:3], 0 offset:192
	v_cmpx_lt_u32_e32 23, v0
	s_cbranch_execz .LBB113_263
; %bb.262:
	s_clause 0x1
	buffer_load_dword v103, off, s[0:3], 0 offset:184
	buffer_load_dword v104, off, s[0:3], 0 offset:188
	buffer_store_dword v102, off, s[0:3], 0 offset:184
	buffer_store_dword v102, off, s[0:3], 0 offset:188
	s_waitcnt vmcnt(0)
	ds_write_b64 v101, v[103:104]
.LBB113_263:
	s_or_b32 exec_lo, exec_lo, s4
	s_waitcnt lgkmcnt(0)
	s_waitcnt_vscnt null, 0x0
	s_barrier
	buffer_gl0_inv
	s_clause 0x1b
	buffer_load_dword v107, off, s[0:3], 0 offset:192
	buffer_load_dword v108, off, s[0:3], 0 offset:196
	buffer_load_dword v109, off, s[0:3], 0 offset:200
	buffer_load_dword v110, off, s[0:3], 0 offset:204
	buffer_load_dword v111, off, s[0:3], 0 offset:208
	buffer_load_dword v112, off, s[0:3], 0 offset:212
	buffer_load_dword v113, off, s[0:3], 0 offset:216
	buffer_load_dword v114, off, s[0:3], 0 offset:220
	buffer_load_dword v115, off, s[0:3], 0 offset:224
	buffer_load_dword v116, off, s[0:3], 0 offset:228
	buffer_load_dword v117, off, s[0:3], 0 offset:232
	buffer_load_dword v118, off, s[0:3], 0 offset:236
	buffer_load_dword v119, off, s[0:3], 0 offset:240
	buffer_load_dword v120, off, s[0:3], 0 offset:244
	buffer_load_dword v122, off, s[0:3], 0 offset:252
	buffer_load_dword v121, off, s[0:3], 0 offset:248
	buffer_load_dword v123, off, s[0:3], 0 offset:256
	buffer_load_dword v124, off, s[0:3], 0 offset:260
	buffer_load_dword v125, off, s[0:3], 0 offset:264
	buffer_load_dword v126, off, s[0:3], 0 offset:268
	buffer_load_dword v127, off, s[0:3], 0 offset:272
	buffer_load_dword v128, off, s[0:3], 0 offset:276
	buffer_load_dword v130, off, s[0:3], 0 offset:284
	buffer_load_dword v129, off, s[0:3], 0 offset:280
	buffer_load_dword v131, off, s[0:3], 0 offset:288
	buffer_load_dword v132, off, s[0:3], 0 offset:292
	buffer_load_dword v133, off, s[0:3], 0 offset:296
	buffer_load_dword v134, off, s[0:3], 0 offset:300
	ds_read_b128 v[103:106], v102 offset:592
	s_clause 0x1
	buffer_load_dword v135, off, s[0:3], 0 offset:304
	buffer_load_dword v136, off, s[0:3], 0 offset:308
	s_mov_b32 s4, exec_lo
	s_waitcnt vmcnt(28) lgkmcnt(0)
	v_fma_f64 v[103:104], v[107:108], v[103:104], 0
	s_clause 0x1
	buffer_load_dword v108, off, s[0:3], 0 offset:316
	buffer_load_dword v107, off, s[0:3], 0 offset:312
	s_waitcnt vmcnt(28)
	v_fma_f64 v[109:110], v[109:110], v[105:106], v[103:104]
	ds_read_b128 v[103:106], v102 offset:608
	s_clause 0x1
	buffer_load_dword v137, off, s[0:3], 0 offset:320
	buffer_load_dword v138, off, s[0:3], 0 offset:324
	s_waitcnt vmcnt(28) lgkmcnt(0)
	v_fma_f64 v[103:104], v[111:112], v[103:104], v[109:110]
	s_clause 0x1
	buffer_load_dword v109, off, s[0:3], 0 offset:328
	buffer_load_dword v110, off, s[0:3], 0 offset:332
	s_waitcnt vmcnt(28)
	v_fma_f64 v[111:112], v[113:114], v[105:106], v[103:104]
	ds_read_b128 v[103:106], v102 offset:624
	s_clause 0x1
	buffer_load_dword v113, off, s[0:3], 0 offset:336
	buffer_load_dword v114, off, s[0:3], 0 offset:340
	;; [unrolled: 11-line block ×6, first 2 shown]
	s_waitcnt vmcnt(28) lgkmcnt(0)
	v_fma_f64 v[103:104], v[131:132], v[103:104], v[127:128]
	s_waitcnt vmcnt(26)
	v_fma_f64 v[127:128], v[133:134], v[105:106], v[103:104]
	ds_read_b128 v[103:106], v102 offset:704
	s_waitcnt vmcnt(24) lgkmcnt(0)
	v_fma_f64 v[103:104], v[135:136], v[103:104], v[127:128]
	s_waitcnt vmcnt(22)
	v_fma_f64 v[107:108], v[107:108], v[105:106], v[103:104]
	ds_read_b128 v[103:106], v102 offset:720
	;; [unrolled: 5-line block ×6, first 2 shown]
	s_waitcnt vmcnt(4) lgkmcnt(0)
	v_fma_f64 v[102:103], v[125:126], v[102:103], v[106:107]
	s_waitcnt vmcnt(2)
	v_fma_f64 v[102:103], v[123:124], v[104:105], v[102:103]
	s_waitcnt vmcnt(0)
	v_add_f64 v[102:103], v[129:130], -v[102:103]
	buffer_store_dword v103, off, s[0:3], 0 offset:188
	buffer_store_dword v102, off, s[0:3], 0 offset:184
	v_cmpx_lt_u32_e32 22, v0
	s_cbranch_execz .LBB113_265
; %bb.264:
	s_clause 0x1
	buffer_load_dword v102, off, s[0:3], 0 offset:176
	buffer_load_dword v103, off, s[0:3], 0 offset:180
	v_mov_b32_e32 v104, 0
	buffer_store_dword v104, off, s[0:3], 0 offset:176
	buffer_store_dword v104, off, s[0:3], 0 offset:180
	s_waitcnt vmcnt(0)
	ds_write_b64 v101, v[102:103]
.LBB113_265:
	s_or_b32 exec_lo, exec_lo, s4
	s_waitcnt lgkmcnt(0)
	s_waitcnt_vscnt null, 0x0
	s_barrier
	buffer_gl0_inv
	s_clause 0x1b
	buffer_load_dword v107, off, s[0:3], 0 offset:184
	buffer_load_dword v108, off, s[0:3], 0 offset:188
	;; [unrolled: 1-line block ×28, first 2 shown]
	v_mov_b32_e32 v102, 0
	s_mov_b32 s4, exec_lo
	ds_read2_b64 v[103:106], v102 offset0:73 offset1:74
	s_clause 0x1
	buffer_load_dword v135, off, s[0:3], 0 offset:296
	buffer_load_dword v136, off, s[0:3], 0 offset:300
	s_waitcnt vmcnt(28) lgkmcnt(0)
	v_fma_f64 v[103:104], v[107:108], v[103:104], 0
	s_clause 0x1
	buffer_load_dword v108, off, s[0:3], 0 offset:308
	buffer_load_dword v107, off, s[0:3], 0 offset:304
	s_waitcnt vmcnt(28)
	v_fma_f64 v[109:110], v[109:110], v[105:106], v[103:104]
	ds_read2_b64 v[103:106], v102 offset0:75 offset1:76
	s_clause 0x1
	buffer_load_dword v137, off, s[0:3], 0 offset:312
	buffer_load_dword v138, off, s[0:3], 0 offset:316
	s_waitcnt vmcnt(28) lgkmcnt(0)
	v_fma_f64 v[103:104], v[111:112], v[103:104], v[109:110]
	s_clause 0x1
	buffer_load_dword v109, off, s[0:3], 0 offset:320
	buffer_load_dword v110, off, s[0:3], 0 offset:324
	s_waitcnt vmcnt(28)
	v_fma_f64 v[111:112], v[113:114], v[105:106], v[103:104]
	;; [unrolled: 11-line block ×7, first 2 shown]
	ds_read2_b64 v[103:106], v102 offset0:87 offset1:88
	s_waitcnt vmcnt(26) lgkmcnt(0)
	v_fma_f64 v[103:104], v[135:136], v[103:104], v[131:132]
	s_waitcnt vmcnt(24)
	v_fma_f64 v[107:108], v[107:108], v[105:106], v[103:104]
	ds_read2_b64 v[103:106], v102 offset0:89 offset1:90
	s_waitcnt vmcnt(22) lgkmcnt(0)
	v_fma_f64 v[103:104], v[137:138], v[103:104], v[107:108]
	s_waitcnt vmcnt(20)
	v_fma_f64 v[107:108], v[109:110], v[105:106], v[103:104]
	;; [unrolled: 5-line block ×6, first 2 shown]
	ds_read_b64 v[105:106], v102 offset:792
	s_waitcnt vmcnt(2) lgkmcnt(0)
	v_fma_f64 v[103:104], v[129:130], v[105:106], v[103:104]
	s_waitcnt vmcnt(0)
	v_add_f64 v[103:104], v[127:128], -v[103:104]
	buffer_store_dword v104, off, s[0:3], 0 offset:180
	buffer_store_dword v103, off, s[0:3], 0 offset:176
	v_cmpx_lt_u32_e32 21, v0
	s_cbranch_execz .LBB113_267
; %bb.266:
	s_clause 0x1
	buffer_load_dword v103, off, s[0:3], 0 offset:168
	buffer_load_dword v104, off, s[0:3], 0 offset:172
	buffer_store_dword v102, off, s[0:3], 0 offset:168
	buffer_store_dword v102, off, s[0:3], 0 offset:172
	s_waitcnt vmcnt(0)
	ds_write_b64 v101, v[103:104]
.LBB113_267:
	s_or_b32 exec_lo, exec_lo, s4
	s_waitcnt lgkmcnt(0)
	s_waitcnt_vscnt null, 0x0
	s_barrier
	buffer_gl0_inv
	s_clause 0x1b
	buffer_load_dword v107, off, s[0:3], 0 offset:176
	buffer_load_dword v108, off, s[0:3], 0 offset:180
	;; [unrolled: 1-line block ×28, first 2 shown]
	ds_read_b128 v[103:106], v102 offset:576
	s_clause 0x1
	buffer_load_dword v135, off, s[0:3], 0 offset:288
	buffer_load_dword v136, off, s[0:3], 0 offset:292
	s_mov_b32 s4, exec_lo
	s_waitcnt vmcnt(28) lgkmcnt(0)
	v_fma_f64 v[103:104], v[107:108], v[103:104], 0
	s_clause 0x1
	buffer_load_dword v108, off, s[0:3], 0 offset:300
	buffer_load_dword v107, off, s[0:3], 0 offset:296
	s_waitcnt vmcnt(28)
	v_fma_f64 v[109:110], v[109:110], v[105:106], v[103:104]
	ds_read_b128 v[103:106], v102 offset:592
	s_clause 0x1
	buffer_load_dword v137, off, s[0:3], 0 offset:304
	buffer_load_dword v138, off, s[0:3], 0 offset:308
	s_waitcnt vmcnt(28) lgkmcnt(0)
	v_fma_f64 v[103:104], v[111:112], v[103:104], v[109:110]
	s_clause 0x1
	buffer_load_dword v109, off, s[0:3], 0 offset:312
	buffer_load_dword v110, off, s[0:3], 0 offset:316
	s_waitcnt vmcnt(28)
	v_fma_f64 v[111:112], v[113:114], v[105:106], v[103:104]
	ds_read_b128 v[103:106], v102 offset:608
	s_clause 0x1
	buffer_load_dword v113, off, s[0:3], 0 offset:320
	buffer_load_dword v114, off, s[0:3], 0 offset:324
	;; [unrolled: 11-line block ×7, first 2 shown]
	s_waitcnt vmcnt(28) lgkmcnt(0)
	v_fma_f64 v[103:104], v[135:136], v[103:104], v[131:132]
	s_waitcnt vmcnt(26)
	v_fma_f64 v[107:108], v[107:108], v[105:106], v[103:104]
	ds_read_b128 v[103:106], v102 offset:704
	s_waitcnt vmcnt(24) lgkmcnt(0)
	v_fma_f64 v[103:104], v[137:138], v[103:104], v[107:108]
	s_waitcnt vmcnt(22)
	v_fma_f64 v[107:108], v[109:110], v[105:106], v[103:104]
	ds_read_b128 v[103:106], v102 offset:720
	s_waitcnt vmcnt(20) lgkmcnt(0)
	v_fma_f64 v[103:104], v[113:114], v[103:104], v[107:108]
	s_waitcnt vmcnt(18)
	v_fma_f64 v[107:108], v[111:112], v[105:106], v[103:104]
	ds_read_b128 v[103:106], v102 offset:736
	s_waitcnt vmcnt(16) lgkmcnt(0)
	v_fma_f64 v[103:104], v[117:118], v[103:104], v[107:108]
	s_waitcnt vmcnt(14)
	v_fma_f64 v[107:108], v[115:116], v[105:106], v[103:104]
	ds_read_b128 v[103:106], v102 offset:752
	s_waitcnt vmcnt(12) lgkmcnt(0)
	v_fma_f64 v[103:104], v[121:122], v[103:104], v[107:108]
	s_waitcnt vmcnt(10)
	v_fma_f64 v[107:108], v[119:120], v[105:106], v[103:104]
	ds_read_b128 v[103:106], v102 offset:768
	s_waitcnt vmcnt(8) lgkmcnt(0)
	v_fma_f64 v[103:104], v[125:126], v[103:104], v[107:108]
	s_waitcnt vmcnt(6)
	v_fma_f64 v[106:107], v[123:124], v[105:106], v[103:104]
	ds_read_b128 v[102:105], v102 offset:784
	s_waitcnt vmcnt(4) lgkmcnt(0)
	v_fma_f64 v[102:103], v[129:130], v[102:103], v[106:107]
	s_waitcnt vmcnt(2)
	v_fma_f64 v[102:103], v[127:128], v[104:105], v[102:103]
	s_waitcnt vmcnt(0)
	v_add_f64 v[102:103], v[133:134], -v[102:103]
	buffer_store_dword v103, off, s[0:3], 0 offset:172
	buffer_store_dword v102, off, s[0:3], 0 offset:168
	v_cmpx_lt_u32_e32 20, v0
	s_cbranch_execz .LBB113_269
; %bb.268:
	s_clause 0x1
	buffer_load_dword v102, off, s[0:3], 0 offset:160
	buffer_load_dword v103, off, s[0:3], 0 offset:164
	v_mov_b32_e32 v104, 0
	buffer_store_dword v104, off, s[0:3], 0 offset:160
	buffer_store_dword v104, off, s[0:3], 0 offset:164
	s_waitcnt vmcnt(0)
	ds_write_b64 v101, v[102:103]
.LBB113_269:
	s_or_b32 exec_lo, exec_lo, s4
	s_waitcnt lgkmcnt(0)
	s_waitcnt_vscnt null, 0x0
	s_barrier
	buffer_gl0_inv
	s_clause 0x1b
	buffer_load_dword v107, off, s[0:3], 0 offset:168
	buffer_load_dword v108, off, s[0:3], 0 offset:172
	buffer_load_dword v109, off, s[0:3], 0 offset:176
	buffer_load_dword v110, off, s[0:3], 0 offset:180
	buffer_load_dword v111, off, s[0:3], 0 offset:184
	buffer_load_dword v112, off, s[0:3], 0 offset:188
	buffer_load_dword v113, off, s[0:3], 0 offset:192
	buffer_load_dword v114, off, s[0:3], 0 offset:196
	buffer_load_dword v115, off, s[0:3], 0 offset:200
	buffer_load_dword v116, off, s[0:3], 0 offset:204
	buffer_load_dword v117, off, s[0:3], 0 offset:208
	buffer_load_dword v118, off, s[0:3], 0 offset:212
	buffer_load_dword v119, off, s[0:3], 0 offset:216
	buffer_load_dword v120, off, s[0:3], 0 offset:220
	buffer_load_dword v122, off, s[0:3], 0 offset:228
	buffer_load_dword v121, off, s[0:3], 0 offset:224
	buffer_load_dword v123, off, s[0:3], 0 offset:232
	buffer_load_dword v124, off, s[0:3], 0 offset:236
	buffer_load_dword v125, off, s[0:3], 0 offset:240
	buffer_load_dword v126, off, s[0:3], 0 offset:244
	buffer_load_dword v127, off, s[0:3], 0 offset:248
	buffer_load_dword v128, off, s[0:3], 0 offset:252
	buffer_load_dword v130, off, s[0:3], 0 offset:260
	buffer_load_dword v129, off, s[0:3], 0 offset:256
	buffer_load_dword v131, off, s[0:3], 0 offset:264
	buffer_load_dword v132, off, s[0:3], 0 offset:268
	buffer_load_dword v133, off, s[0:3], 0 offset:272
	buffer_load_dword v134, off, s[0:3], 0 offset:276
	v_mov_b32_e32 v102, 0
	s_mov_b32 s4, exec_lo
	ds_read2_b64 v[103:106], v102 offset0:71 offset1:72
	s_clause 0x1
	buffer_load_dword v135, off, s[0:3], 0 offset:280
	buffer_load_dword v136, off, s[0:3], 0 offset:284
	s_waitcnt vmcnt(28) lgkmcnt(0)
	v_fma_f64 v[103:104], v[107:108], v[103:104], 0
	s_clause 0x1
	buffer_load_dword v108, off, s[0:3], 0 offset:292
	buffer_load_dword v107, off, s[0:3], 0 offset:288
	s_waitcnt vmcnt(28)
	v_fma_f64 v[109:110], v[109:110], v[105:106], v[103:104]
	ds_read2_b64 v[103:106], v102 offset0:73 offset1:74
	s_clause 0x1
	buffer_load_dword v137, off, s[0:3], 0 offset:296
	buffer_load_dword v138, off, s[0:3], 0 offset:300
	s_waitcnt vmcnt(28) lgkmcnt(0)
	v_fma_f64 v[103:104], v[111:112], v[103:104], v[109:110]
	s_clause 0x1
	buffer_load_dword v109, off, s[0:3], 0 offset:304
	buffer_load_dword v110, off, s[0:3], 0 offset:308
	s_waitcnt vmcnt(28)
	v_fma_f64 v[111:112], v[113:114], v[105:106], v[103:104]
	;; [unrolled: 11-line block ×8, first 2 shown]
	ds_read2_b64 v[103:106], v102 offset0:87 offset1:88
	s_waitcnt vmcnt(26) lgkmcnt(0)
	v_fma_f64 v[103:104], v[137:138], v[103:104], v[107:108]
	s_waitcnt vmcnt(24)
	v_fma_f64 v[107:108], v[109:110], v[105:106], v[103:104]
	ds_read2_b64 v[103:106], v102 offset0:89 offset1:90
	s_waitcnt vmcnt(22) lgkmcnt(0)
	v_fma_f64 v[103:104], v[113:114], v[103:104], v[107:108]
	s_waitcnt vmcnt(20)
	v_fma_f64 v[107:108], v[111:112], v[105:106], v[103:104]
	;; [unrolled: 5-line block ×6, first 2 shown]
	ds_read_b64 v[105:106], v102 offset:792
	s_waitcnt vmcnt(2) lgkmcnt(0)
	v_fma_f64 v[103:104], v[133:134], v[105:106], v[103:104]
	s_waitcnt vmcnt(0)
	v_add_f64 v[103:104], v[131:132], -v[103:104]
	buffer_store_dword v104, off, s[0:3], 0 offset:164
	buffer_store_dword v103, off, s[0:3], 0 offset:160
	v_cmpx_lt_u32_e32 19, v0
	s_cbranch_execz .LBB113_271
; %bb.270:
	s_clause 0x1
	buffer_load_dword v103, off, s[0:3], 0 offset:152
	buffer_load_dword v104, off, s[0:3], 0 offset:156
	buffer_store_dword v102, off, s[0:3], 0 offset:152
	buffer_store_dword v102, off, s[0:3], 0 offset:156
	s_waitcnt vmcnt(0)
	ds_write_b64 v101, v[103:104]
.LBB113_271:
	s_or_b32 exec_lo, exec_lo, s4
	s_waitcnt lgkmcnt(0)
	s_waitcnt_vscnt null, 0x0
	s_barrier
	buffer_gl0_inv
	s_clause 0x1b
	buffer_load_dword v107, off, s[0:3], 0 offset:160
	buffer_load_dword v108, off, s[0:3], 0 offset:164
	;; [unrolled: 1-line block ×28, first 2 shown]
	ds_read_b128 v[103:106], v102 offset:560
	s_clause 0x1
	buffer_load_dword v135, off, s[0:3], 0 offset:272
	buffer_load_dword v136, off, s[0:3], 0 offset:276
	s_mov_b32 s4, exec_lo
	s_waitcnt vmcnt(28) lgkmcnt(0)
	v_fma_f64 v[103:104], v[107:108], v[103:104], 0
	s_clause 0x1
	buffer_load_dword v108, off, s[0:3], 0 offset:284
	buffer_load_dword v107, off, s[0:3], 0 offset:280
	s_waitcnt vmcnt(28)
	v_fma_f64 v[109:110], v[109:110], v[105:106], v[103:104]
	ds_read_b128 v[103:106], v102 offset:576
	s_clause 0x1
	buffer_load_dword v137, off, s[0:3], 0 offset:288
	buffer_load_dword v138, off, s[0:3], 0 offset:292
	s_waitcnt vmcnt(28) lgkmcnt(0)
	v_fma_f64 v[103:104], v[111:112], v[103:104], v[109:110]
	s_clause 0x1
	buffer_load_dword v109, off, s[0:3], 0 offset:296
	buffer_load_dword v110, off, s[0:3], 0 offset:300
	s_waitcnt vmcnt(28)
	v_fma_f64 v[111:112], v[113:114], v[105:106], v[103:104]
	ds_read_b128 v[103:106], v102 offset:592
	s_clause 0x1
	buffer_load_dword v113, off, s[0:3], 0 offset:304
	buffer_load_dword v114, off, s[0:3], 0 offset:308
	;; [unrolled: 11-line block ×8, first 2 shown]
	s_waitcnt vmcnt(28) lgkmcnt(0)
	v_fma_f64 v[103:104], v[137:138], v[103:104], v[107:108]
	s_waitcnt vmcnt(26)
	v_fma_f64 v[107:108], v[109:110], v[105:106], v[103:104]
	ds_read_b128 v[103:106], v102 offset:704
	s_waitcnt vmcnt(24) lgkmcnt(0)
	v_fma_f64 v[103:104], v[113:114], v[103:104], v[107:108]
	s_waitcnt vmcnt(22)
	v_fma_f64 v[107:108], v[111:112], v[105:106], v[103:104]
	ds_read_b128 v[103:106], v102 offset:720
	;; [unrolled: 5-line block ×6, first 2 shown]
	s_waitcnt vmcnt(4) lgkmcnt(0)
	v_fma_f64 v[102:103], v[133:134], v[102:103], v[106:107]
	s_waitcnt vmcnt(2)
	v_fma_f64 v[102:103], v[131:132], v[104:105], v[102:103]
	s_waitcnt vmcnt(0)
	v_add_f64 v[102:103], v[135:136], -v[102:103]
	buffer_store_dword v103, off, s[0:3], 0 offset:156
	buffer_store_dword v102, off, s[0:3], 0 offset:152
	v_cmpx_lt_u32_e32 18, v0
	s_cbranch_execz .LBB113_273
; %bb.272:
	s_clause 0x1
	buffer_load_dword v102, off, s[0:3], 0 offset:144
	buffer_load_dword v103, off, s[0:3], 0 offset:148
	v_mov_b32_e32 v104, 0
	buffer_store_dword v104, off, s[0:3], 0 offset:144
	buffer_store_dword v104, off, s[0:3], 0 offset:148
	s_waitcnt vmcnt(0)
	ds_write_b64 v101, v[102:103]
.LBB113_273:
	s_or_b32 exec_lo, exec_lo, s4
	s_waitcnt lgkmcnt(0)
	s_waitcnt_vscnt null, 0x0
	s_barrier
	buffer_gl0_inv
	s_clause 0x1b
	buffer_load_dword v107, off, s[0:3], 0 offset:152
	buffer_load_dword v108, off, s[0:3], 0 offset:156
	;; [unrolled: 1-line block ×28, first 2 shown]
	v_mov_b32_e32 v102, 0
	s_mov_b32 s4, exec_lo
	ds_read2_b64 v[103:106], v102 offset0:69 offset1:70
	s_clause 0x1
	buffer_load_dword v135, off, s[0:3], 0 offset:264
	buffer_load_dword v136, off, s[0:3], 0 offset:268
	s_waitcnt vmcnt(28) lgkmcnt(0)
	v_fma_f64 v[103:104], v[107:108], v[103:104], 0
	s_clause 0x1
	buffer_load_dword v108, off, s[0:3], 0 offset:276
	buffer_load_dword v107, off, s[0:3], 0 offset:272
	s_waitcnt vmcnt(28)
	v_fma_f64 v[109:110], v[109:110], v[105:106], v[103:104]
	ds_read2_b64 v[103:106], v102 offset0:71 offset1:72
	s_clause 0x1
	buffer_load_dword v137, off, s[0:3], 0 offset:280
	buffer_load_dword v138, off, s[0:3], 0 offset:284
	s_waitcnt vmcnt(28) lgkmcnt(0)
	v_fma_f64 v[103:104], v[111:112], v[103:104], v[109:110]
	s_clause 0x1
	buffer_load_dword v109, off, s[0:3], 0 offset:288
	buffer_load_dword v110, off, s[0:3], 0 offset:292
	s_waitcnt vmcnt(28)
	v_fma_f64 v[111:112], v[113:114], v[105:106], v[103:104]
	;; [unrolled: 11-line block ×9, first 2 shown]
	ds_read2_b64 v[103:106], v102 offset0:87 offset1:88
	s_waitcnt vmcnt(26) lgkmcnt(0)
	v_fma_f64 v[103:104], v[113:114], v[103:104], v[109:110]
	s_waitcnt vmcnt(24)
	v_fma_f64 v[109:110], v[111:112], v[105:106], v[103:104]
	ds_read2_b64 v[103:106], v102 offset0:89 offset1:90
	s_waitcnt vmcnt(22) lgkmcnt(0)
	v_fma_f64 v[103:104], v[117:118], v[103:104], v[109:110]
	s_waitcnt vmcnt(20)
	v_fma_f64 v[109:110], v[115:116], v[105:106], v[103:104]
	;; [unrolled: 5-line block ×6, first 2 shown]
	ds_read_b64 v[105:106], v102 offset:792
	s_waitcnt vmcnt(2) lgkmcnt(0)
	v_fma_f64 v[103:104], v[135:136], v[105:106], v[103:104]
	s_waitcnt vmcnt(0)
	v_add_f64 v[103:104], v[107:108], -v[103:104]
	buffer_store_dword v104, off, s[0:3], 0 offset:148
	buffer_store_dword v103, off, s[0:3], 0 offset:144
	v_cmpx_lt_u32_e32 17, v0
	s_cbranch_execz .LBB113_275
; %bb.274:
	s_clause 0x1
	buffer_load_dword v103, off, s[0:3], 0 offset:136
	buffer_load_dword v104, off, s[0:3], 0 offset:140
	buffer_store_dword v102, off, s[0:3], 0 offset:136
	buffer_store_dword v102, off, s[0:3], 0 offset:140
	s_waitcnt vmcnt(0)
	ds_write_b64 v101, v[103:104]
.LBB113_275:
	s_or_b32 exec_lo, exec_lo, s4
	s_waitcnt lgkmcnt(0)
	s_waitcnt_vscnt null, 0x0
	s_barrier
	buffer_gl0_inv
	s_clause 0x1b
	buffer_load_dword v107, off, s[0:3], 0 offset:144
	buffer_load_dword v108, off, s[0:3], 0 offset:148
	;; [unrolled: 1-line block ×28, first 2 shown]
	ds_read_b128 v[103:106], v102 offset:544
	s_clause 0x1
	buffer_load_dword v135, off, s[0:3], 0 offset:256
	buffer_load_dword v136, off, s[0:3], 0 offset:260
	s_mov_b32 s4, exec_lo
	s_waitcnt vmcnt(28) lgkmcnt(0)
	v_fma_f64 v[103:104], v[107:108], v[103:104], 0
	s_clause 0x1
	buffer_load_dword v108, off, s[0:3], 0 offset:268
	buffer_load_dword v107, off, s[0:3], 0 offset:264
	s_waitcnt vmcnt(28)
	v_fma_f64 v[109:110], v[109:110], v[105:106], v[103:104]
	ds_read_b128 v[103:106], v102 offset:560
	s_clause 0x1
	buffer_load_dword v137, off, s[0:3], 0 offset:272
	buffer_load_dword v138, off, s[0:3], 0 offset:276
	s_waitcnt vmcnt(28) lgkmcnt(0)
	v_fma_f64 v[103:104], v[111:112], v[103:104], v[109:110]
	s_clause 0x1
	buffer_load_dword v109, off, s[0:3], 0 offset:280
	buffer_load_dword v110, off, s[0:3], 0 offset:284
	s_waitcnt vmcnt(28)
	v_fma_f64 v[111:112], v[113:114], v[105:106], v[103:104]
	ds_read_b128 v[103:106], v102 offset:576
	s_clause 0x1
	buffer_load_dword v113, off, s[0:3], 0 offset:288
	buffer_load_dword v114, off, s[0:3], 0 offset:292
	;; [unrolled: 11-line block ×9, first 2 shown]
	s_waitcnt vmcnt(28) lgkmcnt(0)
	v_fma_f64 v[103:104], v[113:114], v[103:104], v[109:110]
	s_waitcnt vmcnt(26)
	v_fma_f64 v[109:110], v[111:112], v[105:106], v[103:104]
	ds_read_b128 v[103:106], v102 offset:704
	s_waitcnt vmcnt(24) lgkmcnt(0)
	v_fma_f64 v[103:104], v[117:118], v[103:104], v[109:110]
	s_waitcnt vmcnt(22)
	v_fma_f64 v[109:110], v[115:116], v[105:106], v[103:104]
	ds_read_b128 v[103:106], v102 offset:720
	;; [unrolled: 5-line block ×6, first 2 shown]
	s_waitcnt vmcnt(4) lgkmcnt(0)
	v_fma_f64 v[102:103], v[135:136], v[102:103], v[109:110]
	s_waitcnt vmcnt(2)
	v_fma_f64 v[102:103], v[107:108], v[104:105], v[102:103]
	s_waitcnt vmcnt(0)
	v_add_f64 v[102:103], v[137:138], -v[102:103]
	buffer_store_dword v103, off, s[0:3], 0 offset:140
	buffer_store_dword v102, off, s[0:3], 0 offset:136
	v_cmpx_lt_u32_e32 16, v0
	s_cbranch_execz .LBB113_277
; %bb.276:
	s_clause 0x1
	buffer_load_dword v102, off, s[0:3], 0 offset:128
	buffer_load_dword v103, off, s[0:3], 0 offset:132
	v_mov_b32_e32 v104, 0
	buffer_store_dword v104, off, s[0:3], 0 offset:128
	buffer_store_dword v104, off, s[0:3], 0 offset:132
	s_waitcnt vmcnt(0)
	ds_write_b64 v101, v[102:103]
.LBB113_277:
	s_or_b32 exec_lo, exec_lo, s4
	s_waitcnt lgkmcnt(0)
	s_waitcnt_vscnt null, 0x0
	s_barrier
	buffer_gl0_inv
	s_clause 0x1b
	buffer_load_dword v107, off, s[0:3], 0 offset:136
	buffer_load_dword v108, off, s[0:3], 0 offset:140
	;; [unrolled: 1-line block ×28, first 2 shown]
	v_mov_b32_e32 v102, 0
	s_mov_b32 s4, exec_lo
	ds_read2_b64 v[103:106], v102 offset0:67 offset1:68
	s_clause 0x1
	buffer_load_dword v135, off, s[0:3], 0 offset:248
	buffer_load_dword v136, off, s[0:3], 0 offset:252
	s_waitcnt vmcnt(28) lgkmcnt(0)
	v_fma_f64 v[103:104], v[107:108], v[103:104], 0
	s_clause 0x1
	buffer_load_dword v108, off, s[0:3], 0 offset:260
	buffer_load_dword v107, off, s[0:3], 0 offset:256
	s_waitcnt vmcnt(28)
	v_fma_f64 v[109:110], v[109:110], v[105:106], v[103:104]
	ds_read2_b64 v[103:106], v102 offset0:69 offset1:70
	s_clause 0x1
	buffer_load_dword v137, off, s[0:3], 0 offset:264
	buffer_load_dword v138, off, s[0:3], 0 offset:268
	s_waitcnt vmcnt(28) lgkmcnt(0)
	v_fma_f64 v[103:104], v[111:112], v[103:104], v[109:110]
	s_clause 0x1
	buffer_load_dword v109, off, s[0:3], 0 offset:272
	buffer_load_dword v110, off, s[0:3], 0 offset:276
	s_waitcnt vmcnt(28)
	v_fma_f64 v[111:112], v[113:114], v[105:106], v[103:104]
	;; [unrolled: 11-line block ×10, first 2 shown]
	ds_read2_b64 v[103:106], v102 offset0:87 offset1:88
	s_waitcnt vmcnt(26) lgkmcnt(0)
	v_fma_f64 v[103:104], v[117:118], v[103:104], v[111:112]
	s_waitcnt vmcnt(24)
	v_fma_f64 v[111:112], v[115:116], v[105:106], v[103:104]
	ds_read2_b64 v[103:106], v102 offset0:89 offset1:90
	s_waitcnt vmcnt(22) lgkmcnt(0)
	v_fma_f64 v[103:104], v[121:122], v[103:104], v[111:112]
	s_waitcnt vmcnt(20)
	v_fma_f64 v[111:112], v[119:120], v[105:106], v[103:104]
	ds_read2_b64 v[103:106], v102 offset0:91 offset1:92
	s_waitcnt vmcnt(18) lgkmcnt(0)
	v_fma_f64 v[103:104], v[125:126], v[103:104], v[111:112]
	s_waitcnt vmcnt(16)
	v_fma_f64 v[111:112], v[123:124], v[105:106], v[103:104]
	ds_read2_b64 v[103:106], v102 offset0:93 offset1:94
	s_waitcnt vmcnt(14) lgkmcnt(0)
	v_fma_f64 v[103:104], v[129:130], v[103:104], v[111:112]
	s_waitcnt vmcnt(12)
	v_fma_f64 v[111:112], v[127:128], v[105:106], v[103:104]
	ds_read2_b64 v[103:106], v102 offset0:95 offset1:96
	s_waitcnt vmcnt(10) lgkmcnt(0)
	v_fma_f64 v[103:104], v[133:134], v[103:104], v[111:112]
	s_waitcnt vmcnt(8)
	v_fma_f64 v[111:112], v[131:132], v[105:106], v[103:104]
	ds_read2_b64 v[103:106], v102 offset0:97 offset1:98
	s_waitcnt vmcnt(6) lgkmcnt(0)
	v_fma_f64 v[103:104], v[135:136], v[103:104], v[111:112]
	s_waitcnt vmcnt(4)
	v_fma_f64 v[103:104], v[107:108], v[105:106], v[103:104]
	ds_read_b64 v[105:106], v102 offset:792
	s_waitcnt vmcnt(2) lgkmcnt(0)
	v_fma_f64 v[103:104], v[137:138], v[105:106], v[103:104]
	s_waitcnt vmcnt(0)
	v_add_f64 v[103:104], v[109:110], -v[103:104]
	buffer_store_dword v104, off, s[0:3], 0 offset:132
	buffer_store_dword v103, off, s[0:3], 0 offset:128
	v_cmpx_lt_u32_e32 15, v0
	s_cbranch_execz .LBB113_279
; %bb.278:
	s_clause 0x1
	buffer_load_dword v103, off, s[0:3], 0 offset:120
	buffer_load_dword v104, off, s[0:3], 0 offset:124
	buffer_store_dword v102, off, s[0:3], 0 offset:120
	buffer_store_dword v102, off, s[0:3], 0 offset:124
	s_waitcnt vmcnt(0)
	ds_write_b64 v101, v[103:104]
.LBB113_279:
	s_or_b32 exec_lo, exec_lo, s4
	s_waitcnt lgkmcnt(0)
	s_waitcnt_vscnt null, 0x0
	s_barrier
	buffer_gl0_inv
	s_clause 0x1b
	buffer_load_dword v107, off, s[0:3], 0 offset:128
	buffer_load_dword v108, off, s[0:3], 0 offset:132
	;; [unrolled: 1-line block ×28, first 2 shown]
	ds_read_b128 v[103:106], v102 offset:528
	s_clause 0x1
	buffer_load_dword v135, off, s[0:3], 0 offset:240
	buffer_load_dword v136, off, s[0:3], 0 offset:244
	s_mov_b32 s4, exec_lo
	s_waitcnt vmcnt(28) lgkmcnt(0)
	v_fma_f64 v[103:104], v[107:108], v[103:104], 0
	s_clause 0x1
	buffer_load_dword v108, off, s[0:3], 0 offset:252
	buffer_load_dword v107, off, s[0:3], 0 offset:248
	s_waitcnt vmcnt(28)
	v_fma_f64 v[109:110], v[109:110], v[105:106], v[103:104]
	ds_read_b128 v[103:106], v102 offset:544
	s_clause 0x1
	buffer_load_dword v137, off, s[0:3], 0 offset:256
	buffer_load_dword v138, off, s[0:3], 0 offset:260
	s_waitcnt vmcnt(28) lgkmcnt(0)
	v_fma_f64 v[103:104], v[111:112], v[103:104], v[109:110]
	s_clause 0x1
	buffer_load_dword v109, off, s[0:3], 0 offset:264
	buffer_load_dword v110, off, s[0:3], 0 offset:268
	s_waitcnt vmcnt(28)
	v_fma_f64 v[111:112], v[113:114], v[105:106], v[103:104]
	ds_read_b128 v[103:106], v102 offset:560
	s_clause 0x1
	buffer_load_dword v113, off, s[0:3], 0 offset:272
	buffer_load_dword v114, off, s[0:3], 0 offset:276
	;; [unrolled: 11-line block ×10, first 2 shown]
	s_waitcnt vmcnt(28) lgkmcnt(0)
	v_fma_f64 v[103:104], v[117:118], v[103:104], v[111:112]
	s_waitcnt vmcnt(26)
	v_fma_f64 v[111:112], v[115:116], v[105:106], v[103:104]
	ds_read_b128 v[103:106], v102 offset:704
	s_waitcnt vmcnt(24) lgkmcnt(0)
	v_fma_f64 v[103:104], v[121:122], v[103:104], v[111:112]
	s_waitcnt vmcnt(22)
	v_fma_f64 v[111:112], v[119:120], v[105:106], v[103:104]
	ds_read_b128 v[103:106], v102 offset:720
	;; [unrolled: 5-line block ×6, first 2 shown]
	s_waitcnt vmcnt(4) lgkmcnt(0)
	v_fma_f64 v[102:103], v[137:138], v[102:103], v[106:107]
	s_waitcnt vmcnt(2)
	v_fma_f64 v[102:103], v[109:110], v[104:105], v[102:103]
	s_waitcnt vmcnt(0)
	v_add_f64 v[102:103], v[113:114], -v[102:103]
	buffer_store_dword v103, off, s[0:3], 0 offset:124
	buffer_store_dword v102, off, s[0:3], 0 offset:120
	v_cmpx_lt_u32_e32 14, v0
	s_cbranch_execz .LBB113_281
; %bb.280:
	s_clause 0x1
	buffer_load_dword v102, off, s[0:3], 0 offset:112
	buffer_load_dword v103, off, s[0:3], 0 offset:116
	v_mov_b32_e32 v104, 0
	buffer_store_dword v104, off, s[0:3], 0 offset:112
	buffer_store_dword v104, off, s[0:3], 0 offset:116
	s_waitcnt vmcnt(0)
	ds_write_b64 v101, v[102:103]
.LBB113_281:
	s_or_b32 exec_lo, exec_lo, s4
	s_waitcnt lgkmcnt(0)
	s_waitcnt_vscnt null, 0x0
	s_barrier
	buffer_gl0_inv
	s_clause 0x1b
	buffer_load_dword v107, off, s[0:3], 0 offset:120
	buffer_load_dword v108, off, s[0:3], 0 offset:124
	;; [unrolled: 1-line block ×28, first 2 shown]
	v_mov_b32_e32 v102, 0
	s_mov_b32 s4, exec_lo
	ds_read2_b64 v[103:106], v102 offset0:65 offset1:66
	s_clause 0x1
	buffer_load_dword v135, off, s[0:3], 0 offset:232
	buffer_load_dword v136, off, s[0:3], 0 offset:236
	s_waitcnt vmcnt(28) lgkmcnt(0)
	v_fma_f64 v[103:104], v[107:108], v[103:104], 0
	s_clause 0x1
	buffer_load_dword v108, off, s[0:3], 0 offset:244
	buffer_load_dword v107, off, s[0:3], 0 offset:240
	s_waitcnt vmcnt(28)
	v_fma_f64 v[109:110], v[109:110], v[105:106], v[103:104]
	ds_read2_b64 v[103:106], v102 offset0:67 offset1:68
	s_clause 0x1
	buffer_load_dword v137, off, s[0:3], 0 offset:248
	buffer_load_dword v138, off, s[0:3], 0 offset:252
	s_waitcnt vmcnt(28) lgkmcnt(0)
	v_fma_f64 v[103:104], v[111:112], v[103:104], v[109:110]
	s_clause 0x1
	buffer_load_dword v109, off, s[0:3], 0 offset:256
	buffer_load_dword v110, off, s[0:3], 0 offset:260
	s_waitcnt vmcnt(28)
	v_fma_f64 v[111:112], v[113:114], v[105:106], v[103:104]
	;; [unrolled: 11-line block ×11, first 2 shown]
	ds_read2_b64 v[103:106], v102 offset0:87 offset1:88
	s_waitcnt vmcnt(26) lgkmcnt(0)
	v_fma_f64 v[103:104], v[121:122], v[103:104], v[115:116]
	s_waitcnt vmcnt(24)
	v_fma_f64 v[115:116], v[119:120], v[105:106], v[103:104]
	ds_read2_b64 v[103:106], v102 offset0:89 offset1:90
	s_waitcnt vmcnt(22) lgkmcnt(0)
	v_fma_f64 v[103:104], v[125:126], v[103:104], v[115:116]
	s_waitcnt vmcnt(20)
	v_fma_f64 v[115:116], v[123:124], v[105:106], v[103:104]
	;; [unrolled: 5-line block ×6, first 2 shown]
	ds_read_b64 v[105:106], v102 offset:792
	s_waitcnt vmcnt(2) lgkmcnt(0)
	v_fma_f64 v[103:104], v[113:114], v[105:106], v[103:104]
	s_waitcnt vmcnt(0)
	v_add_f64 v[103:104], v[111:112], -v[103:104]
	buffer_store_dword v104, off, s[0:3], 0 offset:116
	buffer_store_dword v103, off, s[0:3], 0 offset:112
	v_cmpx_lt_u32_e32 13, v0
	s_cbranch_execz .LBB113_283
; %bb.282:
	s_clause 0x1
	buffer_load_dword v103, off, s[0:3], 0 offset:104
	buffer_load_dword v104, off, s[0:3], 0 offset:108
	buffer_store_dword v102, off, s[0:3], 0 offset:104
	buffer_store_dword v102, off, s[0:3], 0 offset:108
	s_waitcnt vmcnt(0)
	ds_write_b64 v101, v[103:104]
.LBB113_283:
	s_or_b32 exec_lo, exec_lo, s4
	s_waitcnt lgkmcnt(0)
	s_waitcnt_vscnt null, 0x0
	s_barrier
	buffer_gl0_inv
	s_clause 0x1b
	buffer_load_dword v107, off, s[0:3], 0 offset:112
	buffer_load_dword v108, off, s[0:3], 0 offset:116
	;; [unrolled: 1-line block ×28, first 2 shown]
	ds_read_b128 v[103:106], v102 offset:512
	s_clause 0x1
	buffer_load_dword v135, off, s[0:3], 0 offset:224
	buffer_load_dword v136, off, s[0:3], 0 offset:228
	s_mov_b32 s4, exec_lo
	s_waitcnt vmcnt(28) lgkmcnt(0)
	v_fma_f64 v[103:104], v[107:108], v[103:104], 0
	s_clause 0x1
	buffer_load_dword v108, off, s[0:3], 0 offset:236
	buffer_load_dword v107, off, s[0:3], 0 offset:232
	s_waitcnt vmcnt(28)
	v_fma_f64 v[109:110], v[109:110], v[105:106], v[103:104]
	ds_read_b128 v[103:106], v102 offset:528
	s_clause 0x1
	buffer_load_dword v137, off, s[0:3], 0 offset:240
	buffer_load_dword v138, off, s[0:3], 0 offset:244
	s_waitcnt vmcnt(28) lgkmcnt(0)
	v_fma_f64 v[103:104], v[111:112], v[103:104], v[109:110]
	s_clause 0x1
	buffer_load_dword v109, off, s[0:3], 0 offset:248
	buffer_load_dword v110, off, s[0:3], 0 offset:252
	s_waitcnt vmcnt(28)
	v_fma_f64 v[111:112], v[113:114], v[105:106], v[103:104]
	ds_read_b128 v[103:106], v102 offset:544
	s_clause 0x1
	buffer_load_dword v113, off, s[0:3], 0 offset:256
	buffer_load_dword v114, off, s[0:3], 0 offset:260
	;; [unrolled: 11-line block ×11, first 2 shown]
	s_waitcnt vmcnt(28) lgkmcnt(0)
	v_fma_f64 v[103:104], v[121:122], v[103:104], v[115:116]
	s_waitcnt vmcnt(26)
	v_fma_f64 v[115:116], v[119:120], v[105:106], v[103:104]
	ds_read_b128 v[103:106], v102 offset:704
	s_waitcnt vmcnt(24) lgkmcnt(0)
	v_fma_f64 v[103:104], v[125:126], v[103:104], v[115:116]
	s_waitcnt vmcnt(22)
	v_fma_f64 v[115:116], v[123:124], v[105:106], v[103:104]
	ds_read_b128 v[103:106], v102 offset:720
	s_waitcnt vmcnt(20) lgkmcnt(0)
	v_fma_f64 v[103:104], v[129:130], v[103:104], v[115:116]
	s_waitcnt vmcnt(18)
	v_fma_f64 v[115:116], v[127:128], v[105:106], v[103:104]
	ds_read_b128 v[103:106], v102 offset:736
	s_waitcnt vmcnt(16) lgkmcnt(0)
	v_fma_f64 v[103:104], v[133:134], v[103:104], v[115:116]
	s_waitcnt vmcnt(14)
	v_fma_f64 v[115:116], v[131:132], v[105:106], v[103:104]
	ds_read_b128 v[103:106], v102 offset:752
	s_waitcnt vmcnt(12) lgkmcnt(0)
	v_fma_f64 v[103:104], v[135:136], v[103:104], v[115:116]
	s_waitcnt vmcnt(10)
	v_fma_f64 v[107:108], v[107:108], v[105:106], v[103:104]
	ds_read_b128 v[103:106], v102 offset:768
	s_waitcnt vmcnt(8) lgkmcnt(0)
	v_fma_f64 v[103:104], v[137:138], v[103:104], v[107:108]
	s_waitcnt vmcnt(6)
	v_fma_f64 v[106:107], v[109:110], v[105:106], v[103:104]
	ds_read_b128 v[102:105], v102 offset:784
	s_waitcnt vmcnt(4) lgkmcnt(0)
	v_fma_f64 v[102:103], v[113:114], v[102:103], v[106:107]
	s_waitcnt vmcnt(2)
	v_fma_f64 v[102:103], v[111:112], v[104:105], v[102:103]
	s_waitcnt vmcnt(0)
	v_add_f64 v[102:103], v[117:118], -v[102:103]
	buffer_store_dword v103, off, s[0:3], 0 offset:108
	buffer_store_dword v102, off, s[0:3], 0 offset:104
	v_cmpx_lt_u32_e32 12, v0
	s_cbranch_execz .LBB113_285
; %bb.284:
	s_clause 0x1
	buffer_load_dword v102, off, s[0:3], 0 offset:96
	buffer_load_dword v103, off, s[0:3], 0 offset:100
	v_mov_b32_e32 v104, 0
	buffer_store_dword v104, off, s[0:3], 0 offset:96
	buffer_store_dword v104, off, s[0:3], 0 offset:100
	s_waitcnt vmcnt(0)
	ds_write_b64 v101, v[102:103]
.LBB113_285:
	s_or_b32 exec_lo, exec_lo, s4
	s_waitcnt lgkmcnt(0)
	s_waitcnt_vscnt null, 0x0
	s_barrier
	buffer_gl0_inv
	s_clause 0x1b
	buffer_load_dword v107, off, s[0:3], 0 offset:104
	buffer_load_dword v108, off, s[0:3], 0 offset:108
	;; [unrolled: 1-line block ×28, first 2 shown]
	v_mov_b32_e32 v102, 0
	s_mov_b32 s4, exec_lo
	ds_read2_b64 v[103:106], v102 offset0:63 offset1:64
	s_clause 0x1
	buffer_load_dword v135, off, s[0:3], 0 offset:216
	buffer_load_dword v136, off, s[0:3], 0 offset:220
	s_waitcnt vmcnt(28) lgkmcnt(0)
	v_fma_f64 v[103:104], v[107:108], v[103:104], 0
	s_clause 0x1
	buffer_load_dword v108, off, s[0:3], 0 offset:228
	buffer_load_dword v107, off, s[0:3], 0 offset:224
	s_waitcnt vmcnt(28)
	v_fma_f64 v[109:110], v[109:110], v[105:106], v[103:104]
	ds_read2_b64 v[103:106], v102 offset0:65 offset1:66
	s_clause 0x1
	buffer_load_dword v137, off, s[0:3], 0 offset:232
	buffer_load_dword v138, off, s[0:3], 0 offset:236
	s_waitcnt vmcnt(28) lgkmcnt(0)
	v_fma_f64 v[103:104], v[111:112], v[103:104], v[109:110]
	s_clause 0x1
	buffer_load_dword v109, off, s[0:3], 0 offset:240
	buffer_load_dword v110, off, s[0:3], 0 offset:244
	s_waitcnt vmcnt(28)
	v_fma_f64 v[111:112], v[113:114], v[105:106], v[103:104]
	;; [unrolled: 11-line block ×12, first 2 shown]
	ds_read2_b64 v[103:106], v102 offset0:87 offset1:88
	s_waitcnt vmcnt(26) lgkmcnt(0)
	v_fma_f64 v[103:104], v[125:126], v[103:104], v[119:120]
	s_waitcnt vmcnt(24)
	v_fma_f64 v[119:120], v[123:124], v[105:106], v[103:104]
	ds_read2_b64 v[103:106], v102 offset0:89 offset1:90
	s_waitcnt vmcnt(22) lgkmcnt(0)
	v_fma_f64 v[103:104], v[129:130], v[103:104], v[119:120]
	s_waitcnt vmcnt(20)
	v_fma_f64 v[119:120], v[127:128], v[105:106], v[103:104]
	ds_read2_b64 v[103:106], v102 offset0:91 offset1:92
	s_waitcnt vmcnt(18) lgkmcnt(0)
	v_fma_f64 v[103:104], v[133:134], v[103:104], v[119:120]
	s_waitcnt vmcnt(16)
	v_fma_f64 v[119:120], v[131:132], v[105:106], v[103:104]
	ds_read2_b64 v[103:106], v102 offset0:93 offset1:94
	s_waitcnt vmcnt(14) lgkmcnt(0)
	v_fma_f64 v[103:104], v[135:136], v[103:104], v[119:120]
	s_waitcnt vmcnt(12)
	v_fma_f64 v[107:108], v[107:108], v[105:106], v[103:104]
	ds_read2_b64 v[103:106], v102 offset0:95 offset1:96
	s_waitcnt vmcnt(10) lgkmcnt(0)
	v_fma_f64 v[103:104], v[137:138], v[103:104], v[107:108]
	s_waitcnt vmcnt(8)
	v_fma_f64 v[107:108], v[109:110], v[105:106], v[103:104]
	ds_read2_b64 v[103:106], v102 offset0:97 offset1:98
	s_waitcnt vmcnt(6) lgkmcnt(0)
	v_fma_f64 v[103:104], v[113:114], v[103:104], v[107:108]
	s_waitcnt vmcnt(4)
	v_fma_f64 v[103:104], v[111:112], v[105:106], v[103:104]
	ds_read_b64 v[105:106], v102 offset:792
	s_waitcnt vmcnt(2) lgkmcnt(0)
	v_fma_f64 v[103:104], v[117:118], v[105:106], v[103:104]
	s_waitcnt vmcnt(0)
	v_add_f64 v[103:104], v[115:116], -v[103:104]
	buffer_store_dword v104, off, s[0:3], 0 offset:100
	buffer_store_dword v103, off, s[0:3], 0 offset:96
	v_cmpx_lt_u32_e32 11, v0
	s_cbranch_execz .LBB113_287
; %bb.286:
	s_clause 0x1
	buffer_load_dword v103, off, s[0:3], 0 offset:88
	buffer_load_dword v104, off, s[0:3], 0 offset:92
	buffer_store_dword v102, off, s[0:3], 0 offset:88
	buffer_store_dword v102, off, s[0:3], 0 offset:92
	s_waitcnt vmcnt(0)
	ds_write_b64 v101, v[103:104]
.LBB113_287:
	s_or_b32 exec_lo, exec_lo, s4
	s_waitcnt lgkmcnt(0)
	s_waitcnt_vscnt null, 0x0
	s_barrier
	buffer_gl0_inv
	s_clause 0x1b
	buffer_load_dword v107, off, s[0:3], 0 offset:96
	buffer_load_dword v108, off, s[0:3], 0 offset:100
	;; [unrolled: 1-line block ×28, first 2 shown]
	ds_read_b128 v[103:106], v102 offset:496
	s_clause 0x1
	buffer_load_dword v135, off, s[0:3], 0 offset:208
	buffer_load_dword v136, off, s[0:3], 0 offset:212
	s_mov_b32 s4, exec_lo
	s_waitcnt vmcnt(28) lgkmcnt(0)
	v_fma_f64 v[103:104], v[107:108], v[103:104], 0
	s_clause 0x1
	buffer_load_dword v108, off, s[0:3], 0 offset:220
	buffer_load_dword v107, off, s[0:3], 0 offset:216
	s_waitcnt vmcnt(28)
	v_fma_f64 v[109:110], v[109:110], v[105:106], v[103:104]
	ds_read_b128 v[103:106], v102 offset:512
	s_clause 0x1
	buffer_load_dword v137, off, s[0:3], 0 offset:224
	buffer_load_dword v138, off, s[0:3], 0 offset:228
	s_waitcnt vmcnt(28) lgkmcnt(0)
	v_fma_f64 v[103:104], v[111:112], v[103:104], v[109:110]
	s_clause 0x1
	buffer_load_dword v109, off, s[0:3], 0 offset:232
	buffer_load_dword v110, off, s[0:3], 0 offset:236
	s_waitcnt vmcnt(28)
	v_fma_f64 v[111:112], v[113:114], v[105:106], v[103:104]
	ds_read_b128 v[103:106], v102 offset:528
	s_clause 0x1
	buffer_load_dword v113, off, s[0:3], 0 offset:240
	buffer_load_dword v114, off, s[0:3], 0 offset:244
	;; [unrolled: 11-line block ×12, first 2 shown]
	s_waitcnt vmcnt(28) lgkmcnt(0)
	v_fma_f64 v[103:104], v[125:126], v[103:104], v[119:120]
	s_waitcnt vmcnt(26)
	v_fma_f64 v[119:120], v[123:124], v[105:106], v[103:104]
	ds_read_b128 v[103:106], v102 offset:704
	s_waitcnt vmcnt(24) lgkmcnt(0)
	v_fma_f64 v[103:104], v[129:130], v[103:104], v[119:120]
	s_waitcnt vmcnt(22)
	v_fma_f64 v[119:120], v[127:128], v[105:106], v[103:104]
	ds_read_b128 v[103:106], v102 offset:720
	;; [unrolled: 5-line block ×6, first 2 shown]
	s_waitcnt vmcnt(4) lgkmcnt(0)
	v_fma_f64 v[102:103], v[117:118], v[102:103], v[106:107]
	s_waitcnt vmcnt(2)
	v_fma_f64 v[102:103], v[115:116], v[104:105], v[102:103]
	s_waitcnt vmcnt(0)
	v_add_f64 v[102:103], v[121:122], -v[102:103]
	buffer_store_dword v103, off, s[0:3], 0 offset:92
	buffer_store_dword v102, off, s[0:3], 0 offset:88
	v_cmpx_lt_u32_e32 10, v0
	s_cbranch_execz .LBB113_289
; %bb.288:
	s_clause 0x1
	buffer_load_dword v102, off, s[0:3], 0 offset:80
	buffer_load_dword v103, off, s[0:3], 0 offset:84
	v_mov_b32_e32 v104, 0
	buffer_store_dword v104, off, s[0:3], 0 offset:80
	buffer_store_dword v104, off, s[0:3], 0 offset:84
	s_waitcnt vmcnt(0)
	ds_write_b64 v101, v[102:103]
.LBB113_289:
	s_or_b32 exec_lo, exec_lo, s4
	s_waitcnt lgkmcnt(0)
	s_waitcnt_vscnt null, 0x0
	s_barrier
	buffer_gl0_inv
	s_clause 0x1b
	buffer_load_dword v107, off, s[0:3], 0 offset:88
	buffer_load_dword v108, off, s[0:3], 0 offset:92
	;; [unrolled: 1-line block ×28, first 2 shown]
	v_mov_b32_e32 v102, 0
	s_mov_b32 s4, exec_lo
	ds_read2_b64 v[103:106], v102 offset0:61 offset1:62
	s_clause 0x1
	buffer_load_dword v135, off, s[0:3], 0 offset:200
	buffer_load_dword v136, off, s[0:3], 0 offset:204
	s_waitcnt vmcnt(28) lgkmcnt(0)
	v_fma_f64 v[103:104], v[107:108], v[103:104], 0
	s_clause 0x1
	buffer_load_dword v108, off, s[0:3], 0 offset:212
	buffer_load_dword v107, off, s[0:3], 0 offset:208
	s_waitcnt vmcnt(28)
	v_fma_f64 v[109:110], v[109:110], v[105:106], v[103:104]
	ds_read2_b64 v[103:106], v102 offset0:63 offset1:64
	s_clause 0x1
	buffer_load_dword v137, off, s[0:3], 0 offset:216
	buffer_load_dword v138, off, s[0:3], 0 offset:220
	s_waitcnt vmcnt(28) lgkmcnt(0)
	v_fma_f64 v[103:104], v[111:112], v[103:104], v[109:110]
	s_clause 0x1
	buffer_load_dword v109, off, s[0:3], 0 offset:224
	buffer_load_dword v110, off, s[0:3], 0 offset:228
	s_waitcnt vmcnt(28)
	v_fma_f64 v[111:112], v[113:114], v[105:106], v[103:104]
	;; [unrolled: 11-line block ×13, first 2 shown]
	ds_read2_b64 v[103:106], v102 offset0:87 offset1:88
	s_waitcnt vmcnt(26) lgkmcnt(0)
	v_fma_f64 v[103:104], v[129:130], v[103:104], v[123:124]
	s_waitcnt vmcnt(24)
	v_fma_f64 v[123:124], v[127:128], v[105:106], v[103:104]
	ds_read2_b64 v[103:106], v102 offset0:89 offset1:90
	s_waitcnt vmcnt(22) lgkmcnt(0)
	v_fma_f64 v[103:104], v[133:134], v[103:104], v[123:124]
	s_waitcnt vmcnt(20)
	v_fma_f64 v[123:124], v[131:132], v[105:106], v[103:104]
	;; [unrolled: 5-line block ×6, first 2 shown]
	ds_read_b64 v[105:106], v102 offset:792
	s_waitcnt vmcnt(2) lgkmcnt(0)
	v_fma_f64 v[103:104], v[121:122], v[105:106], v[103:104]
	s_waitcnt vmcnt(0)
	v_add_f64 v[103:104], v[119:120], -v[103:104]
	buffer_store_dword v104, off, s[0:3], 0 offset:84
	buffer_store_dword v103, off, s[0:3], 0 offset:80
	v_cmpx_lt_u32_e32 9, v0
	s_cbranch_execz .LBB113_291
; %bb.290:
	s_clause 0x1
	buffer_load_dword v103, off, s[0:3], 0 offset:72
	buffer_load_dword v104, off, s[0:3], 0 offset:76
	buffer_store_dword v102, off, s[0:3], 0 offset:72
	buffer_store_dword v102, off, s[0:3], 0 offset:76
	s_waitcnt vmcnt(0)
	ds_write_b64 v101, v[103:104]
.LBB113_291:
	s_or_b32 exec_lo, exec_lo, s4
	s_waitcnt lgkmcnt(0)
	s_waitcnt_vscnt null, 0x0
	s_barrier
	buffer_gl0_inv
	s_clause 0x1b
	buffer_load_dword v107, off, s[0:3], 0 offset:80
	buffer_load_dword v108, off, s[0:3], 0 offset:84
	;; [unrolled: 1-line block ×28, first 2 shown]
	ds_read_b128 v[103:106], v102 offset:480
	s_clause 0x1
	buffer_load_dword v135, off, s[0:3], 0 offset:192
	buffer_load_dword v136, off, s[0:3], 0 offset:196
	s_mov_b32 s4, exec_lo
	s_waitcnt vmcnt(28) lgkmcnt(0)
	v_fma_f64 v[103:104], v[107:108], v[103:104], 0
	s_clause 0x1
	buffer_load_dword v108, off, s[0:3], 0 offset:204
	buffer_load_dword v107, off, s[0:3], 0 offset:200
	s_waitcnt vmcnt(28)
	v_fma_f64 v[109:110], v[109:110], v[105:106], v[103:104]
	ds_read_b128 v[103:106], v102 offset:496
	s_clause 0x1
	buffer_load_dword v137, off, s[0:3], 0 offset:208
	buffer_load_dword v138, off, s[0:3], 0 offset:212
	s_waitcnt vmcnt(28) lgkmcnt(0)
	v_fma_f64 v[103:104], v[111:112], v[103:104], v[109:110]
	s_clause 0x1
	buffer_load_dword v109, off, s[0:3], 0 offset:216
	buffer_load_dword v110, off, s[0:3], 0 offset:220
	s_waitcnt vmcnt(28)
	v_fma_f64 v[111:112], v[113:114], v[105:106], v[103:104]
	ds_read_b128 v[103:106], v102 offset:512
	s_clause 0x1
	buffer_load_dword v113, off, s[0:3], 0 offset:224
	buffer_load_dword v114, off, s[0:3], 0 offset:228
	;; [unrolled: 11-line block ×13, first 2 shown]
	s_waitcnt vmcnt(28) lgkmcnt(0)
	v_fma_f64 v[103:104], v[129:130], v[103:104], v[123:124]
	s_waitcnt vmcnt(26)
	v_fma_f64 v[123:124], v[127:128], v[105:106], v[103:104]
	ds_read_b128 v[103:106], v102 offset:704
	s_waitcnt vmcnt(24) lgkmcnt(0)
	v_fma_f64 v[103:104], v[133:134], v[103:104], v[123:124]
	s_waitcnt vmcnt(22)
	v_fma_f64 v[123:124], v[131:132], v[105:106], v[103:104]
	ds_read_b128 v[103:106], v102 offset:720
	s_waitcnt vmcnt(20) lgkmcnt(0)
	v_fma_f64 v[103:104], v[135:136], v[103:104], v[123:124]
	s_waitcnt vmcnt(18)
	v_fma_f64 v[107:108], v[107:108], v[105:106], v[103:104]
	ds_read_b128 v[103:106], v102 offset:736
	s_waitcnt vmcnt(16) lgkmcnt(0)
	v_fma_f64 v[103:104], v[137:138], v[103:104], v[107:108]
	s_waitcnt vmcnt(14)
	v_fma_f64 v[107:108], v[109:110], v[105:106], v[103:104]
	ds_read_b128 v[103:106], v102 offset:752
	s_waitcnt vmcnt(12) lgkmcnt(0)
	v_fma_f64 v[103:104], v[113:114], v[103:104], v[107:108]
	s_waitcnt vmcnt(10)
	v_fma_f64 v[107:108], v[111:112], v[105:106], v[103:104]
	ds_read_b128 v[103:106], v102 offset:768
	s_waitcnt vmcnt(8) lgkmcnt(0)
	v_fma_f64 v[103:104], v[117:118], v[103:104], v[107:108]
	s_waitcnt vmcnt(6)
	v_fma_f64 v[106:107], v[115:116], v[105:106], v[103:104]
	ds_read_b128 v[102:105], v102 offset:784
	s_waitcnt vmcnt(4) lgkmcnt(0)
	v_fma_f64 v[102:103], v[121:122], v[102:103], v[106:107]
	s_waitcnt vmcnt(2)
	v_fma_f64 v[102:103], v[119:120], v[104:105], v[102:103]
	s_waitcnt vmcnt(0)
	v_add_f64 v[102:103], v[125:126], -v[102:103]
	buffer_store_dword v103, off, s[0:3], 0 offset:76
	buffer_store_dword v102, off, s[0:3], 0 offset:72
	v_cmpx_lt_u32_e32 8, v0
	s_cbranch_execz .LBB113_293
; %bb.292:
	s_clause 0x1
	buffer_load_dword v102, off, s[0:3], 0 offset:64
	buffer_load_dword v103, off, s[0:3], 0 offset:68
	v_mov_b32_e32 v104, 0
	buffer_store_dword v104, off, s[0:3], 0 offset:64
	buffer_store_dword v104, off, s[0:3], 0 offset:68
	s_waitcnt vmcnt(0)
	ds_write_b64 v101, v[102:103]
.LBB113_293:
	s_or_b32 exec_lo, exec_lo, s4
	s_waitcnt lgkmcnt(0)
	s_waitcnt_vscnt null, 0x0
	s_barrier
	buffer_gl0_inv
	s_clause 0x1b
	buffer_load_dword v107, off, s[0:3], 0 offset:72
	buffer_load_dword v108, off, s[0:3], 0 offset:76
	;; [unrolled: 1-line block ×28, first 2 shown]
	v_mov_b32_e32 v102, 0
	s_mov_b32 s4, exec_lo
	ds_read2_b64 v[103:106], v102 offset0:59 offset1:60
	s_clause 0x1
	buffer_load_dword v135, off, s[0:3], 0 offset:184
	buffer_load_dword v136, off, s[0:3], 0 offset:188
	s_waitcnt vmcnt(28) lgkmcnt(0)
	v_fma_f64 v[103:104], v[107:108], v[103:104], 0
	s_clause 0x1
	buffer_load_dword v108, off, s[0:3], 0 offset:196
	buffer_load_dword v107, off, s[0:3], 0 offset:192
	s_waitcnt vmcnt(28)
	v_fma_f64 v[109:110], v[109:110], v[105:106], v[103:104]
	ds_read2_b64 v[103:106], v102 offset0:61 offset1:62
	s_clause 0x1
	buffer_load_dword v137, off, s[0:3], 0 offset:200
	buffer_load_dword v138, off, s[0:3], 0 offset:204
	s_waitcnt vmcnt(28) lgkmcnt(0)
	v_fma_f64 v[103:104], v[111:112], v[103:104], v[109:110]
	s_clause 0x1
	buffer_load_dword v109, off, s[0:3], 0 offset:208
	buffer_load_dword v110, off, s[0:3], 0 offset:212
	s_waitcnt vmcnt(28)
	v_fma_f64 v[111:112], v[113:114], v[105:106], v[103:104]
	;; [unrolled: 11-line block ×14, first 2 shown]
	ds_read2_b64 v[103:106], v102 offset0:87 offset1:88
	s_waitcnt vmcnt(26) lgkmcnt(0)
	v_fma_f64 v[103:104], v[133:134], v[103:104], v[127:128]
	s_waitcnt vmcnt(24)
	v_fma_f64 v[127:128], v[131:132], v[105:106], v[103:104]
	ds_read2_b64 v[103:106], v102 offset0:89 offset1:90
	s_waitcnt vmcnt(22) lgkmcnt(0)
	v_fma_f64 v[103:104], v[135:136], v[103:104], v[127:128]
	s_waitcnt vmcnt(20)
	v_fma_f64 v[107:108], v[107:108], v[105:106], v[103:104]
	;; [unrolled: 5-line block ×6, first 2 shown]
	ds_read_b64 v[105:106], v102 offset:792
	s_waitcnt vmcnt(2) lgkmcnt(0)
	v_fma_f64 v[103:104], v[125:126], v[105:106], v[103:104]
	s_waitcnt vmcnt(0)
	v_add_f64 v[103:104], v[123:124], -v[103:104]
	buffer_store_dword v104, off, s[0:3], 0 offset:68
	buffer_store_dword v103, off, s[0:3], 0 offset:64
	v_cmpx_lt_u32_e32 7, v0
	s_cbranch_execz .LBB113_295
; %bb.294:
	s_clause 0x1
	buffer_load_dword v103, off, s[0:3], 0 offset:56
	buffer_load_dword v104, off, s[0:3], 0 offset:60
	buffer_store_dword v102, off, s[0:3], 0 offset:56
	buffer_store_dword v102, off, s[0:3], 0 offset:60
	s_waitcnt vmcnt(0)
	ds_write_b64 v101, v[103:104]
.LBB113_295:
	s_or_b32 exec_lo, exec_lo, s4
	s_waitcnt lgkmcnt(0)
	s_waitcnt_vscnt null, 0x0
	s_barrier
	buffer_gl0_inv
	s_clause 0x1b
	buffer_load_dword v107, off, s[0:3], 0 offset:64
	buffer_load_dword v108, off, s[0:3], 0 offset:68
	;; [unrolled: 1-line block ×28, first 2 shown]
	ds_read_b128 v[103:106], v102 offset:464
	s_clause 0x1
	buffer_load_dword v135, off, s[0:3], 0 offset:176
	buffer_load_dword v136, off, s[0:3], 0 offset:180
	s_mov_b32 s4, exec_lo
	s_waitcnt vmcnt(28) lgkmcnt(0)
	v_fma_f64 v[103:104], v[107:108], v[103:104], 0
	s_clause 0x1
	buffer_load_dword v108, off, s[0:3], 0 offset:188
	buffer_load_dword v107, off, s[0:3], 0 offset:184
	s_waitcnt vmcnt(28)
	v_fma_f64 v[109:110], v[109:110], v[105:106], v[103:104]
	ds_read_b128 v[103:106], v102 offset:480
	s_clause 0x1
	buffer_load_dword v137, off, s[0:3], 0 offset:192
	buffer_load_dword v138, off, s[0:3], 0 offset:196
	s_waitcnt vmcnt(28) lgkmcnt(0)
	v_fma_f64 v[103:104], v[111:112], v[103:104], v[109:110]
	s_clause 0x1
	buffer_load_dword v109, off, s[0:3], 0 offset:200
	buffer_load_dword v110, off, s[0:3], 0 offset:204
	s_waitcnt vmcnt(28)
	v_fma_f64 v[111:112], v[113:114], v[105:106], v[103:104]
	ds_read_b128 v[103:106], v102 offset:496
	s_clause 0x1
	buffer_load_dword v113, off, s[0:3], 0 offset:208
	buffer_load_dword v114, off, s[0:3], 0 offset:212
	;; [unrolled: 11-line block ×14, first 2 shown]
	s_waitcnt vmcnt(28) lgkmcnt(0)
	v_fma_f64 v[103:104], v[133:134], v[103:104], v[127:128]
	s_waitcnt vmcnt(26)
	v_fma_f64 v[127:128], v[131:132], v[105:106], v[103:104]
	ds_read_b128 v[103:106], v102 offset:704
	s_waitcnt vmcnt(24) lgkmcnt(0)
	v_fma_f64 v[103:104], v[135:136], v[103:104], v[127:128]
	s_waitcnt vmcnt(22)
	v_fma_f64 v[107:108], v[107:108], v[105:106], v[103:104]
	ds_read_b128 v[103:106], v102 offset:720
	;; [unrolled: 5-line block ×6, first 2 shown]
	s_waitcnt vmcnt(4) lgkmcnt(0)
	v_fma_f64 v[102:103], v[125:126], v[102:103], v[106:107]
	s_waitcnt vmcnt(2)
	v_fma_f64 v[102:103], v[123:124], v[104:105], v[102:103]
	s_waitcnt vmcnt(0)
	v_add_f64 v[102:103], v[129:130], -v[102:103]
	buffer_store_dword v103, off, s[0:3], 0 offset:60
	buffer_store_dword v102, off, s[0:3], 0 offset:56
	v_cmpx_lt_u32_e32 6, v0
	s_cbranch_execz .LBB113_297
; %bb.296:
	s_clause 0x1
	buffer_load_dword v102, off, s[0:3], 0 offset:48
	buffer_load_dword v103, off, s[0:3], 0 offset:52
	v_mov_b32_e32 v104, 0
	buffer_store_dword v104, off, s[0:3], 0 offset:48
	buffer_store_dword v104, off, s[0:3], 0 offset:52
	s_waitcnt vmcnt(0)
	ds_write_b64 v101, v[102:103]
.LBB113_297:
	s_or_b32 exec_lo, exec_lo, s4
	s_waitcnt lgkmcnt(0)
	s_waitcnt_vscnt null, 0x0
	s_barrier
	buffer_gl0_inv
	s_clause 0x1b
	buffer_load_dword v107, off, s[0:3], 0 offset:56
	buffer_load_dword v108, off, s[0:3], 0 offset:60
	;; [unrolled: 1-line block ×28, first 2 shown]
	v_mov_b32_e32 v102, 0
	s_mov_b32 s4, exec_lo
	ds_read2_b64 v[103:106], v102 offset0:57 offset1:58
	s_clause 0x1
	buffer_load_dword v135, off, s[0:3], 0 offset:168
	buffer_load_dword v136, off, s[0:3], 0 offset:172
	s_waitcnt vmcnt(28) lgkmcnt(0)
	v_fma_f64 v[103:104], v[107:108], v[103:104], 0
	s_clause 0x1
	buffer_load_dword v108, off, s[0:3], 0 offset:180
	buffer_load_dword v107, off, s[0:3], 0 offset:176
	s_waitcnt vmcnt(28)
	v_fma_f64 v[109:110], v[109:110], v[105:106], v[103:104]
	ds_read2_b64 v[103:106], v102 offset0:59 offset1:60
	s_clause 0x1
	buffer_load_dword v137, off, s[0:3], 0 offset:184
	buffer_load_dword v138, off, s[0:3], 0 offset:188
	s_waitcnt vmcnt(28) lgkmcnt(0)
	v_fma_f64 v[103:104], v[111:112], v[103:104], v[109:110]
	s_clause 0x1
	buffer_load_dword v109, off, s[0:3], 0 offset:192
	buffer_load_dword v110, off, s[0:3], 0 offset:196
	s_waitcnt vmcnt(28)
	v_fma_f64 v[111:112], v[113:114], v[105:106], v[103:104]
	;; [unrolled: 11-line block ×15, first 2 shown]
	ds_read2_b64 v[103:106], v102 offset0:87 offset1:88
	s_waitcnt vmcnt(26) lgkmcnt(0)
	v_fma_f64 v[103:104], v[135:136], v[103:104], v[131:132]
	s_waitcnt vmcnt(24)
	v_fma_f64 v[107:108], v[107:108], v[105:106], v[103:104]
	ds_read2_b64 v[103:106], v102 offset0:89 offset1:90
	s_waitcnt vmcnt(22) lgkmcnt(0)
	v_fma_f64 v[103:104], v[137:138], v[103:104], v[107:108]
	s_waitcnt vmcnt(20)
	v_fma_f64 v[107:108], v[109:110], v[105:106], v[103:104]
	;; [unrolled: 5-line block ×6, first 2 shown]
	ds_read_b64 v[105:106], v102 offset:792
	s_waitcnt vmcnt(2) lgkmcnt(0)
	v_fma_f64 v[103:104], v[129:130], v[105:106], v[103:104]
	s_waitcnt vmcnt(0)
	v_add_f64 v[103:104], v[127:128], -v[103:104]
	buffer_store_dword v104, off, s[0:3], 0 offset:52
	buffer_store_dword v103, off, s[0:3], 0 offset:48
	v_cmpx_lt_u32_e32 5, v0
	s_cbranch_execz .LBB113_299
; %bb.298:
	s_clause 0x1
	buffer_load_dword v103, off, s[0:3], 0 offset:40
	buffer_load_dword v104, off, s[0:3], 0 offset:44
	buffer_store_dword v102, off, s[0:3], 0 offset:40
	buffer_store_dword v102, off, s[0:3], 0 offset:44
	s_waitcnt vmcnt(0)
	ds_write_b64 v101, v[103:104]
.LBB113_299:
	s_or_b32 exec_lo, exec_lo, s4
	s_waitcnt lgkmcnt(0)
	s_waitcnt_vscnt null, 0x0
	s_barrier
	buffer_gl0_inv
	s_clause 0x1b
	buffer_load_dword v107, off, s[0:3], 0 offset:48
	buffer_load_dword v108, off, s[0:3], 0 offset:52
	;; [unrolled: 1-line block ×28, first 2 shown]
	ds_read_b128 v[103:106], v102 offset:448
	s_clause 0x1
	buffer_load_dword v135, off, s[0:3], 0 offset:160
	buffer_load_dword v136, off, s[0:3], 0 offset:164
	s_mov_b32 s4, exec_lo
	s_waitcnt vmcnt(28) lgkmcnt(0)
	v_fma_f64 v[103:104], v[107:108], v[103:104], 0
	s_clause 0x1
	buffer_load_dword v108, off, s[0:3], 0 offset:172
	buffer_load_dword v107, off, s[0:3], 0 offset:168
	s_waitcnt vmcnt(28)
	v_fma_f64 v[109:110], v[109:110], v[105:106], v[103:104]
	ds_read_b128 v[103:106], v102 offset:464
	s_clause 0x1
	buffer_load_dword v137, off, s[0:3], 0 offset:176
	buffer_load_dword v138, off, s[0:3], 0 offset:180
	s_waitcnt vmcnt(28) lgkmcnt(0)
	v_fma_f64 v[103:104], v[111:112], v[103:104], v[109:110]
	s_clause 0x1
	buffer_load_dword v109, off, s[0:3], 0 offset:184
	buffer_load_dword v110, off, s[0:3], 0 offset:188
	s_waitcnt vmcnt(28)
	v_fma_f64 v[111:112], v[113:114], v[105:106], v[103:104]
	ds_read_b128 v[103:106], v102 offset:480
	s_clause 0x1
	buffer_load_dword v113, off, s[0:3], 0 offset:192
	buffer_load_dword v114, off, s[0:3], 0 offset:196
	;; [unrolled: 11-line block ×15, first 2 shown]
	s_waitcnt vmcnt(28) lgkmcnt(0)
	v_fma_f64 v[103:104], v[135:136], v[103:104], v[131:132]
	s_waitcnt vmcnt(26)
	v_fma_f64 v[107:108], v[107:108], v[105:106], v[103:104]
	ds_read_b128 v[103:106], v102 offset:704
	s_waitcnt vmcnt(24) lgkmcnt(0)
	v_fma_f64 v[103:104], v[137:138], v[103:104], v[107:108]
	s_waitcnt vmcnt(22)
	v_fma_f64 v[107:108], v[109:110], v[105:106], v[103:104]
	ds_read_b128 v[103:106], v102 offset:720
	;; [unrolled: 5-line block ×6, first 2 shown]
	s_waitcnt vmcnt(4) lgkmcnt(0)
	v_fma_f64 v[102:103], v[129:130], v[102:103], v[106:107]
	s_waitcnt vmcnt(2)
	v_fma_f64 v[102:103], v[127:128], v[104:105], v[102:103]
	s_waitcnt vmcnt(0)
	v_add_f64 v[102:103], v[133:134], -v[102:103]
	buffer_store_dword v103, off, s[0:3], 0 offset:44
	buffer_store_dword v102, off, s[0:3], 0 offset:40
	v_cmpx_lt_u32_e32 4, v0
	s_cbranch_execz .LBB113_301
; %bb.300:
	s_clause 0x1
	buffer_load_dword v102, off, s[0:3], 0 offset:32
	buffer_load_dword v103, off, s[0:3], 0 offset:36
	v_mov_b32_e32 v104, 0
	buffer_store_dword v104, off, s[0:3], 0 offset:32
	buffer_store_dword v104, off, s[0:3], 0 offset:36
	s_waitcnt vmcnt(0)
	ds_write_b64 v101, v[102:103]
.LBB113_301:
	s_or_b32 exec_lo, exec_lo, s4
	s_waitcnt lgkmcnt(0)
	s_waitcnt_vscnt null, 0x0
	s_barrier
	buffer_gl0_inv
	s_clause 0x1b
	buffer_load_dword v107, off, s[0:3], 0 offset:40
	buffer_load_dword v108, off, s[0:3], 0 offset:44
	;; [unrolled: 1-line block ×28, first 2 shown]
	v_mov_b32_e32 v102, 0
	s_mov_b32 s4, exec_lo
	ds_read2_b64 v[103:106], v102 offset0:55 offset1:56
	s_clause 0x1
	buffer_load_dword v135, off, s[0:3], 0 offset:152
	buffer_load_dword v136, off, s[0:3], 0 offset:156
	s_waitcnt vmcnt(28) lgkmcnt(0)
	v_fma_f64 v[103:104], v[107:108], v[103:104], 0
	s_clause 0x1
	buffer_load_dword v108, off, s[0:3], 0 offset:164
	buffer_load_dword v107, off, s[0:3], 0 offset:160
	s_waitcnt vmcnt(28)
	v_fma_f64 v[109:110], v[109:110], v[105:106], v[103:104]
	ds_read2_b64 v[103:106], v102 offset0:57 offset1:58
	s_clause 0x1
	buffer_load_dword v137, off, s[0:3], 0 offset:168
	buffer_load_dword v138, off, s[0:3], 0 offset:172
	s_waitcnt vmcnt(28) lgkmcnt(0)
	v_fma_f64 v[103:104], v[111:112], v[103:104], v[109:110]
	s_clause 0x1
	buffer_load_dword v109, off, s[0:3], 0 offset:176
	buffer_load_dword v110, off, s[0:3], 0 offset:180
	s_waitcnt vmcnt(28)
	v_fma_f64 v[111:112], v[113:114], v[105:106], v[103:104]
	;; [unrolled: 11-line block ×16, first 2 shown]
	ds_read2_b64 v[103:106], v102 offset0:87 offset1:88
	s_waitcnt vmcnt(26) lgkmcnt(0)
	v_fma_f64 v[103:104], v[137:138], v[103:104], v[107:108]
	s_waitcnt vmcnt(24)
	v_fma_f64 v[107:108], v[109:110], v[105:106], v[103:104]
	ds_read2_b64 v[103:106], v102 offset0:89 offset1:90
	s_waitcnt vmcnt(22) lgkmcnt(0)
	v_fma_f64 v[103:104], v[113:114], v[103:104], v[107:108]
	s_waitcnt vmcnt(20)
	v_fma_f64 v[107:108], v[111:112], v[105:106], v[103:104]
	;; [unrolled: 5-line block ×6, first 2 shown]
	ds_read_b64 v[105:106], v102 offset:792
	s_waitcnt vmcnt(2) lgkmcnt(0)
	v_fma_f64 v[103:104], v[133:134], v[105:106], v[103:104]
	s_waitcnt vmcnt(0)
	v_add_f64 v[103:104], v[131:132], -v[103:104]
	buffer_store_dword v104, off, s[0:3], 0 offset:36
	buffer_store_dword v103, off, s[0:3], 0 offset:32
	v_cmpx_lt_u32_e32 3, v0
	s_cbranch_execz .LBB113_303
; %bb.302:
	s_clause 0x1
	buffer_load_dword v103, off, s[0:3], 0 offset:24
	buffer_load_dword v104, off, s[0:3], 0 offset:28
	buffer_store_dword v102, off, s[0:3], 0 offset:24
	buffer_store_dword v102, off, s[0:3], 0 offset:28
	s_waitcnt vmcnt(0)
	ds_write_b64 v101, v[103:104]
.LBB113_303:
	s_or_b32 exec_lo, exec_lo, s4
	s_waitcnt lgkmcnt(0)
	s_waitcnt_vscnt null, 0x0
	s_barrier
	buffer_gl0_inv
	s_clause 0x1b
	buffer_load_dword v107, off, s[0:3], 0 offset:32
	buffer_load_dword v108, off, s[0:3], 0 offset:36
	;; [unrolled: 1-line block ×28, first 2 shown]
	ds_read_b128 v[103:106], v102 offset:432
	s_clause 0x1
	buffer_load_dword v135, off, s[0:3], 0 offset:144
	buffer_load_dword v136, off, s[0:3], 0 offset:148
	s_mov_b32 s4, exec_lo
	s_waitcnt vmcnt(28) lgkmcnt(0)
	v_fma_f64 v[103:104], v[107:108], v[103:104], 0
	s_clause 0x1
	buffer_load_dword v108, off, s[0:3], 0 offset:156
	buffer_load_dword v107, off, s[0:3], 0 offset:152
	s_waitcnt vmcnt(28)
	v_fma_f64 v[109:110], v[109:110], v[105:106], v[103:104]
	ds_read_b128 v[103:106], v102 offset:448
	s_clause 0x1
	buffer_load_dword v137, off, s[0:3], 0 offset:160
	buffer_load_dword v138, off, s[0:3], 0 offset:164
	s_waitcnt vmcnt(28) lgkmcnt(0)
	v_fma_f64 v[103:104], v[111:112], v[103:104], v[109:110]
	s_clause 0x1
	buffer_load_dword v109, off, s[0:3], 0 offset:168
	buffer_load_dword v110, off, s[0:3], 0 offset:172
	s_waitcnt vmcnt(28)
	v_fma_f64 v[111:112], v[113:114], v[105:106], v[103:104]
	ds_read_b128 v[103:106], v102 offset:464
	s_clause 0x1
	buffer_load_dword v113, off, s[0:3], 0 offset:176
	buffer_load_dword v114, off, s[0:3], 0 offset:180
	s_waitcnt vmcnt(28) lgkmcnt(0)
	v_fma_f64 v[103:104], v[115:116], v[103:104], v[111:112]
	s_clause 0x1
	buffer_load_dword v112, off, s[0:3], 0 offset:188
	buffer_load_dword v111, off, s[0:3], 0 offset:184
	s_waitcnt vmcnt(28)
	v_fma_f64 v[115:116], v[117:118], v[105:106], v[103:104]
	ds_read_b128 v[103:106], v102 offset:480
	s_clause 0x1
	buffer_load_dword v117, off, s[0:3], 0 offset:192
	buffer_load_dword v118, off, s[0:3], 0 offset:196
	s_waitcnt vmcnt(28) lgkmcnt(0)
	v_fma_f64 v[103:104], v[119:120], v[103:104], v[115:116]
	s_clause 0x1
	buffer_load_dword v115, off, s[0:3], 0 offset:200
	buffer_load_dword v116, off, s[0:3], 0 offset:204
	s_waitcnt vmcnt(28)
	v_fma_f64 v[119:120], v[121:122], v[105:106], v[103:104]
	ds_read_b128 v[103:106], v102 offset:496
	s_clause 0x1
	buffer_load_dword v121, off, s[0:3], 0 offset:208
	buffer_load_dword v122, off, s[0:3], 0 offset:212
	s_waitcnt vmcnt(28) lgkmcnt(0)
	v_fma_f64 v[103:104], v[123:124], v[103:104], v[119:120]
	s_clause 0x1
	buffer_load_dword v120, off, s[0:3], 0 offset:220
	buffer_load_dword v119, off, s[0:3], 0 offset:216
	s_waitcnt vmcnt(28)
	v_fma_f64 v[123:124], v[125:126], v[105:106], v[103:104]
	ds_read_b128 v[103:106], v102 offset:512
	s_clause 0x1
	buffer_load_dword v125, off, s[0:3], 0 offset:224
	buffer_load_dword v126, off, s[0:3], 0 offset:228
	s_waitcnt vmcnt(28) lgkmcnt(0)
	v_fma_f64 v[103:104], v[127:128], v[103:104], v[123:124]
	s_clause 0x1
	buffer_load_dword v123, off, s[0:3], 0 offset:232
	buffer_load_dword v124, off, s[0:3], 0 offset:236
	s_waitcnt vmcnt(28)
	v_fma_f64 v[127:128], v[129:130], v[105:106], v[103:104]
	ds_read_b128 v[103:106], v102 offset:528
	s_clause 0x1
	buffer_load_dword v129, off, s[0:3], 0 offset:240
	buffer_load_dword v130, off, s[0:3], 0 offset:244
	s_waitcnt vmcnt(28) lgkmcnt(0)
	v_fma_f64 v[103:104], v[131:132], v[103:104], v[127:128]
	s_clause 0x1
	buffer_load_dword v128, off, s[0:3], 0 offset:252
	buffer_load_dword v127, off, s[0:3], 0 offset:248
	s_waitcnt vmcnt(28)
	v_fma_f64 v[131:132], v[133:134], v[105:106], v[103:104]
	ds_read_b128 v[103:106], v102 offset:544
	s_clause 0x1
	buffer_load_dword v133, off, s[0:3], 0 offset:256
	buffer_load_dword v134, off, s[0:3], 0 offset:260
	s_waitcnt vmcnt(28) lgkmcnt(0)
	v_fma_f64 v[103:104], v[135:136], v[103:104], v[131:132]
	s_clause 0x1
	buffer_load_dword v131, off, s[0:3], 0 offset:264
	buffer_load_dword v132, off, s[0:3], 0 offset:268
	s_waitcnt vmcnt(28)
	v_fma_f64 v[107:108], v[107:108], v[105:106], v[103:104]
	ds_read_b128 v[103:106], v102 offset:560
	s_clause 0x1
	buffer_load_dword v135, off, s[0:3], 0 offset:272
	buffer_load_dword v136, off, s[0:3], 0 offset:276
	s_waitcnt vmcnt(28) lgkmcnt(0)
	v_fma_f64 v[103:104], v[137:138], v[103:104], v[107:108]
	s_clause 0x1
	buffer_load_dword v108, off, s[0:3], 0 offset:284
	buffer_load_dword v107, off, s[0:3], 0 offset:280
	s_waitcnt vmcnt(28)
	v_fma_f64 v[109:110], v[109:110], v[105:106], v[103:104]
	ds_read_b128 v[103:106], v102 offset:576
	s_clause 0x1
	buffer_load_dword v137, off, s[0:3], 0 offset:288
	buffer_load_dword v138, off, s[0:3], 0 offset:292
	s_waitcnt vmcnt(28) lgkmcnt(0)
	v_fma_f64 v[103:104], v[113:114], v[103:104], v[109:110]
	s_clause 0x1
	buffer_load_dword v109, off, s[0:3], 0 offset:296
	buffer_load_dword v110, off, s[0:3], 0 offset:300
	s_waitcnt vmcnt(28)
	v_fma_f64 v[111:112], v[111:112], v[105:106], v[103:104]
	ds_read_b128 v[103:106], v102 offset:592
	s_clause 0x1
	buffer_load_dword v113, off, s[0:3], 0 offset:304
	buffer_load_dword v114, off, s[0:3], 0 offset:308
	s_waitcnt vmcnt(28) lgkmcnt(0)
	v_fma_f64 v[103:104], v[117:118], v[103:104], v[111:112]
	s_clause 0x1
	buffer_load_dword v112, off, s[0:3], 0 offset:316
	buffer_load_dword v111, off, s[0:3], 0 offset:312
	s_waitcnt vmcnt(28)
	v_fma_f64 v[115:116], v[115:116], v[105:106], v[103:104]
	ds_read_b128 v[103:106], v102 offset:608
	s_clause 0x1
	buffer_load_dword v117, off, s[0:3], 0 offset:320
	buffer_load_dword v118, off, s[0:3], 0 offset:324
	s_waitcnt vmcnt(28) lgkmcnt(0)
	v_fma_f64 v[103:104], v[121:122], v[103:104], v[115:116]
	s_clause 0x1
	buffer_load_dword v115, off, s[0:3], 0 offset:328
	buffer_load_dword v116, off, s[0:3], 0 offset:332
	s_waitcnt vmcnt(28)
	v_fma_f64 v[119:120], v[119:120], v[105:106], v[103:104]
	ds_read_b128 v[103:106], v102 offset:624
	s_clause 0x1
	buffer_load_dword v121, off, s[0:3], 0 offset:336
	buffer_load_dword v122, off, s[0:3], 0 offset:340
	s_waitcnt vmcnt(28) lgkmcnt(0)
	v_fma_f64 v[103:104], v[125:126], v[103:104], v[119:120]
	s_clause 0x1
	buffer_load_dword v120, off, s[0:3], 0 offset:348
	buffer_load_dword v119, off, s[0:3], 0 offset:344
	s_waitcnt vmcnt(28)
	v_fma_f64 v[123:124], v[123:124], v[105:106], v[103:104]
	ds_read_b128 v[103:106], v102 offset:640
	s_clause 0x1
	buffer_load_dword v125, off, s[0:3], 0 offset:352
	buffer_load_dword v126, off, s[0:3], 0 offset:356
	s_waitcnt vmcnt(28) lgkmcnt(0)
	v_fma_f64 v[103:104], v[129:130], v[103:104], v[123:124]
	s_clause 0x1
	buffer_load_dword v123, off, s[0:3], 0 offset:360
	buffer_load_dword v124, off, s[0:3], 0 offset:364
	s_waitcnt vmcnt(28)
	v_fma_f64 v[127:128], v[127:128], v[105:106], v[103:104]
	ds_read_b128 v[103:106], v102 offset:656
	s_clause 0x1
	buffer_load_dword v129, off, s[0:3], 0 offset:368
	buffer_load_dword v130, off, s[0:3], 0 offset:372
	s_waitcnt vmcnt(28) lgkmcnt(0)
	v_fma_f64 v[103:104], v[133:134], v[103:104], v[127:128]
	s_clause 0x1
	buffer_load_dword v128, off, s[0:3], 0 offset:380
	buffer_load_dword v127, off, s[0:3], 0 offset:376
	s_waitcnt vmcnt(28)
	v_fma_f64 v[131:132], v[131:132], v[105:106], v[103:104]
	ds_read_b128 v[103:106], v102 offset:672
	s_clause 0x1
	buffer_load_dword v133, off, s[0:3], 0 offset:384
	buffer_load_dword v134, off, s[0:3], 0 offset:388
	s_waitcnt vmcnt(28) lgkmcnt(0)
	v_fma_f64 v[103:104], v[135:136], v[103:104], v[131:132]
	s_clause 0x1
	buffer_load_dword v131, off, s[0:3], 0 offset:392
	buffer_load_dword v132, off, s[0:3], 0 offset:396
	s_waitcnt vmcnt(28)
	v_fma_f64 v[107:108], v[107:108], v[105:106], v[103:104]
	ds_read_b128 v[103:106], v102 offset:688
	s_clause 0x1
	buffer_load_dword v135, off, s[0:3], 0 offset:24
	buffer_load_dword v136, off, s[0:3], 0 offset:28
	s_waitcnt vmcnt(28) lgkmcnt(0)
	v_fma_f64 v[103:104], v[137:138], v[103:104], v[107:108]
	s_waitcnt vmcnt(26)
	v_fma_f64 v[107:108], v[109:110], v[105:106], v[103:104]
	ds_read_b128 v[103:106], v102 offset:704
	s_waitcnt vmcnt(24) lgkmcnt(0)
	v_fma_f64 v[103:104], v[113:114], v[103:104], v[107:108]
	s_waitcnt vmcnt(22)
	v_fma_f64 v[107:108], v[111:112], v[105:106], v[103:104]
	ds_read_b128 v[103:106], v102 offset:720
	;; [unrolled: 5-line block ×6, first 2 shown]
	s_waitcnt vmcnt(4) lgkmcnt(0)
	v_fma_f64 v[102:103], v[133:134], v[102:103], v[106:107]
	s_waitcnt vmcnt(2)
	v_fma_f64 v[102:103], v[131:132], v[104:105], v[102:103]
	s_waitcnt vmcnt(0)
	v_add_f64 v[102:103], v[135:136], -v[102:103]
	buffer_store_dword v103, off, s[0:3], 0 offset:28
	buffer_store_dword v102, off, s[0:3], 0 offset:24
	v_cmpx_lt_u32_e32 2, v0
	s_cbranch_execz .LBB113_305
; %bb.304:
	s_clause 0x1
	buffer_load_dword v102, off, s[0:3], 0 offset:16
	buffer_load_dword v103, off, s[0:3], 0 offset:20
	v_mov_b32_e32 v104, 0
	buffer_store_dword v104, off, s[0:3], 0 offset:16
	buffer_store_dword v104, off, s[0:3], 0 offset:20
	s_waitcnt vmcnt(0)
	ds_write_b64 v101, v[102:103]
.LBB113_305:
	s_or_b32 exec_lo, exec_lo, s4
	s_waitcnt lgkmcnt(0)
	s_waitcnt_vscnt null, 0x0
	s_barrier
	buffer_gl0_inv
	s_clause 0x1b
	buffer_load_dword v107, off, s[0:3], 0 offset:24
	buffer_load_dword v108, off, s[0:3], 0 offset:28
	;; [unrolled: 1-line block ×28, first 2 shown]
	v_mov_b32_e32 v102, 0
	s_mov_b32 s4, exec_lo
	ds_read2_b64 v[103:106], v102 offset0:53 offset1:54
	s_clause 0x1
	buffer_load_dword v135, off, s[0:3], 0 offset:136
	buffer_load_dword v136, off, s[0:3], 0 offset:140
	s_waitcnt vmcnt(28) lgkmcnt(0)
	v_fma_f64 v[103:104], v[107:108], v[103:104], 0
	s_clause 0x1
	buffer_load_dword v108, off, s[0:3], 0 offset:148
	buffer_load_dword v107, off, s[0:3], 0 offset:144
	s_waitcnt vmcnt(28)
	v_fma_f64 v[109:110], v[109:110], v[105:106], v[103:104]
	ds_read2_b64 v[103:106], v102 offset0:55 offset1:56
	s_clause 0x1
	buffer_load_dword v137, off, s[0:3], 0 offset:152
	buffer_load_dword v138, off, s[0:3], 0 offset:156
	s_waitcnt vmcnt(28) lgkmcnt(0)
	v_fma_f64 v[103:104], v[111:112], v[103:104], v[109:110]
	s_clause 0x1
	buffer_load_dword v109, off, s[0:3], 0 offset:160
	buffer_load_dword v110, off, s[0:3], 0 offset:164
	s_waitcnt vmcnt(28)
	v_fma_f64 v[111:112], v[113:114], v[105:106], v[103:104]
	;; [unrolled: 11-line block ×17, first 2 shown]
	ds_read2_b64 v[103:106], v102 offset0:87 offset1:88
	s_waitcnt vmcnt(26) lgkmcnt(0)
	v_fma_f64 v[103:104], v[113:114], v[103:104], v[109:110]
	s_waitcnt vmcnt(24)
	v_fma_f64 v[109:110], v[111:112], v[105:106], v[103:104]
	ds_read2_b64 v[103:106], v102 offset0:89 offset1:90
	s_waitcnt vmcnt(22) lgkmcnt(0)
	v_fma_f64 v[103:104], v[117:118], v[103:104], v[109:110]
	s_waitcnt vmcnt(20)
	v_fma_f64 v[109:110], v[115:116], v[105:106], v[103:104]
	;; [unrolled: 5-line block ×6, first 2 shown]
	ds_read_b64 v[105:106], v102 offset:792
	s_waitcnt vmcnt(2) lgkmcnt(0)
	v_fma_f64 v[103:104], v[135:136], v[105:106], v[103:104]
	s_waitcnt vmcnt(0)
	v_add_f64 v[103:104], v[107:108], -v[103:104]
	buffer_store_dword v104, off, s[0:3], 0 offset:20
	buffer_store_dword v103, off, s[0:3], 0 offset:16
	v_cmpx_lt_u32_e32 1, v0
	s_cbranch_execz .LBB113_307
; %bb.306:
	s_clause 0x1
	buffer_load_dword v103, off, s[0:3], 0 offset:8
	buffer_load_dword v104, off, s[0:3], 0 offset:12
	buffer_store_dword v102, off, s[0:3], 0 offset:8
	buffer_store_dword v102, off, s[0:3], 0 offset:12
	s_waitcnt vmcnt(0)
	ds_write_b64 v101, v[103:104]
.LBB113_307:
	s_or_b32 exec_lo, exec_lo, s4
	s_waitcnt lgkmcnt(0)
	s_waitcnt_vscnt null, 0x0
	s_barrier
	buffer_gl0_inv
	s_clause 0x1b
	buffer_load_dword v107, off, s[0:3], 0 offset:16
	buffer_load_dword v108, off, s[0:3], 0 offset:20
	;; [unrolled: 1-line block ×28, first 2 shown]
	ds_read_b128 v[103:106], v102 offset:416
	s_clause 0x1
	buffer_load_dword v135, off, s[0:3], 0 offset:128
	buffer_load_dword v136, off, s[0:3], 0 offset:132
	s_mov_b32 s4, exec_lo
	s_waitcnt vmcnt(28) lgkmcnt(0)
	v_fma_f64 v[103:104], v[107:108], v[103:104], 0
	s_clause 0x1
	buffer_load_dword v108, off, s[0:3], 0 offset:140
	buffer_load_dword v107, off, s[0:3], 0 offset:136
	s_waitcnt vmcnt(28)
	v_fma_f64 v[109:110], v[109:110], v[105:106], v[103:104]
	ds_read_b128 v[103:106], v102 offset:432
	s_clause 0x1
	buffer_load_dword v137, off, s[0:3], 0 offset:144
	buffer_load_dword v138, off, s[0:3], 0 offset:148
	s_waitcnt vmcnt(28) lgkmcnt(0)
	v_fma_f64 v[103:104], v[111:112], v[103:104], v[109:110]
	s_clause 0x1
	buffer_load_dword v109, off, s[0:3], 0 offset:152
	buffer_load_dword v110, off, s[0:3], 0 offset:156
	s_waitcnt vmcnt(28)
	v_fma_f64 v[111:112], v[113:114], v[105:106], v[103:104]
	ds_read_b128 v[103:106], v102 offset:448
	s_clause 0x1
	buffer_load_dword v113, off, s[0:3], 0 offset:160
	buffer_load_dword v114, off, s[0:3], 0 offset:164
	;; [unrolled: 11-line block ×17, first 2 shown]
	s_waitcnt vmcnt(28) lgkmcnt(0)
	v_fma_f64 v[103:104], v[113:114], v[103:104], v[109:110]
	s_waitcnt vmcnt(26)
	v_fma_f64 v[109:110], v[111:112], v[105:106], v[103:104]
	ds_read_b128 v[103:106], v102 offset:704
	s_waitcnt vmcnt(24) lgkmcnt(0)
	v_fma_f64 v[103:104], v[117:118], v[103:104], v[109:110]
	s_waitcnt vmcnt(22)
	v_fma_f64 v[109:110], v[115:116], v[105:106], v[103:104]
	ds_read_b128 v[103:106], v102 offset:720
	;; [unrolled: 5-line block ×6, first 2 shown]
	s_waitcnt vmcnt(4) lgkmcnt(0)
	v_fma_f64 v[102:103], v[135:136], v[102:103], v[109:110]
	s_waitcnt vmcnt(2)
	v_fma_f64 v[102:103], v[107:108], v[104:105], v[102:103]
	s_waitcnt vmcnt(0)
	v_add_f64 v[102:103], v[137:138], -v[102:103]
	buffer_store_dword v103, off, s[0:3], 0 offset:12
	buffer_store_dword v102, off, s[0:3], 0 offset:8
	v_cmpx_ne_u32_e32 0, v0
	s_cbranch_execz .LBB113_309
; %bb.308:
	s_clause 0x1
	buffer_load_dword v102, off, s[0:3], 0
	buffer_load_dword v103, off, s[0:3], 0 offset:4
	v_mov_b32_e32 v0, 0
	buffer_store_dword v0, off, s[0:3], 0
	buffer_store_dword v0, off, s[0:3], 0 offset:4
	s_waitcnt vmcnt(0)
	ds_write_b64 v101, v[102:103]
.LBB113_309:
	s_or_b32 exec_lo, exec_lo, s4
	s_waitcnt lgkmcnt(0)
	s_waitcnt_vscnt null, 0x0
	s_barrier
	buffer_gl0_inv
	s_clause 0x1c
	buffer_load_dword v109, off, s[0:3], 0 offset:8
	buffer_load_dword v110, off, s[0:3], 0 offset:12
	;; [unrolled: 1-line block ×29, first 2 shown]
	v_mov_b32_e32 v0, 0
	buffer_load_dword v134, off, s[0:3], 0 offset:124
	s_and_b32 vcc_lo, exec_lo, s16
	ds_read2_b64 v[101:104], v0 offset0:51 offset1:52
	ds_read2_b64 v[105:108], v0 offset0:53 offset1:54
	s_waitcnt vmcnt(28) lgkmcnt(1)
	v_fma_f64 v[101:102], v[109:110], v[101:102], 0
	s_clause 0x7
	buffer_load_dword v110, off, s[0:3], 0 offset:132
	buffer_load_dword v139, off, s[0:3], 0 offset:152
	buffer_load_dword v141, off, s[0:3], 0 offset:144
	buffer_load_dword v143, off, s[0:3], 0 offset:136
	buffer_load_dword v109, off, s[0:3], 0 offset:128
	buffer_load_dword v144, off, s[0:3], 0 offset:140
	buffer_load_dword v142, off, s[0:3], 0 offset:148
	buffer_load_dword v140, off, s[0:3], 0 offset:156
	s_waitcnt vmcnt(34)
	v_fma_f64 v[101:102], v[111:112], v[103:104], v[101:102]
	s_waitcnt vmcnt(32) lgkmcnt(0)
	v_fma_f64 v[101:102], v[113:114], v[105:106], v[101:102]
	s_waitcnt vmcnt(30)
	v_fma_f64 v[111:112], v[115:116], v[107:108], v[101:102]
	ds_read2_b64 v[101:104], v0 offset0:55 offset1:56
	ds_read2_b64 v[105:108], v0 offset0:57 offset1:58
	s_waitcnt vmcnt(28) lgkmcnt(1)
	v_fma_f64 v[101:102], v[117:118], v[101:102], v[111:112]
	s_clause 0x7
	buffer_load_dword v112, off, s[0:3], 0 offset:164
	buffer_load_dword v113, off, s[0:3], 0 offset:184
	buffer_load_dword v115, off, s[0:3], 0 offset:176
	buffer_load_dword v117, off, s[0:3], 0 offset:168
	buffer_load_dword v111, off, s[0:3], 0 offset:160
	buffer_load_dword v118, off, s[0:3], 0 offset:172
	buffer_load_dword v116, off, s[0:3], 0 offset:180
	buffer_load_dword v114, off, s[0:3], 0 offset:188
	s_waitcnt vmcnt(34)
	v_fma_f64 v[101:102], v[119:120], v[103:104], v[101:102]
	s_waitcnt vmcnt(32) lgkmcnt(0)
	v_fma_f64 v[101:102], v[121:122], v[105:106], v[101:102]
	s_waitcnt vmcnt(27)
	v_fma_f64 v[119:120], v[123:124], v[107:108], v[101:102]
	;; [unrolled: 19-line block ×8, first 2 shown]
	ds_read2_b64 v[101:104], v0 offset0:83 offset1:84
	ds_read2_b64 v[105:108], v0 offset0:85 offset1:86
	s_waitcnt vmcnt(26) lgkmcnt(1)
	v_fma_f64 v[109:110], v[143:144], v[101:102], v[109:110]
	s_clause 0x5
	buffer_load_dword v102, off, s[0:3], 0 offset:388
	buffer_load_dword v127, off, s[0:3], 0 offset:392
	;; [unrolled: 1-line block ×4, first 2 shown]
	buffer_load_dword v131, off, s[0:3], 0
	buffer_load_dword v132, off, s[0:3], 0 offset:4
	s_waitcnt vmcnt(31)
	v_fma_f64 v[103:104], v[135:136], v[103:104], v[109:110]
	s_waitcnt vmcnt(30) lgkmcnt(0)
	v_fma_f64 v[103:104], v[133:134], v[105:106], v[103:104]
	s_waitcnt vmcnt(25)
	v_fma_f64 v[111:112], v[111:112], v[107:108], v[103:104]
	ds_read2_b64 v[103:106], v0 offset0:87 offset1:88
	ds_read2_b64 v[107:110], v0 offset0:89 offset1:90
	s_waitcnt vmcnt(24) lgkmcnt(1)
	v_fma_f64 v[103:104], v[141:142], v[103:104], v[111:112]
	s_waitcnt vmcnt(23)
	v_fma_f64 v[103:104], v[139:140], v[105:106], v[103:104]
	s_waitcnt vmcnt(22) lgkmcnt(0)
	v_fma_f64 v[103:104], v[117:118], v[107:108], v[103:104]
	s_waitcnt vmcnt(17)
	v_fma_f64 v[111:112], v[113:114], v[109:110], v[103:104]
	ds_read2_b64 v[103:106], v0 offset0:91 offset1:92
	ds_read2_b64 v[107:110], v0 offset0:93 offset1:94
	s_waitcnt vmcnt(16) lgkmcnt(1)
	v_fma_f64 v[103:104], v[129:130], v[103:104], v[111:112]
	;; [unrolled: 10-line block ×3, first 2 shown]
	s_waitcnt vmcnt(7)
	v_fma_f64 v[103:104], v[125:126], v[105:106], v[103:104]
	ds_read_b64 v[105:106], v0 offset:792
	s_waitcnt vmcnt(6) lgkmcnt(1)
	v_fma_f64 v[103:104], v[123:124], v[107:108], v[103:104]
	s_waitcnt vmcnt(3)
	v_fma_f64 v[103:104], v[101:102], v[109:110], v[103:104]
	s_waitcnt vmcnt(2) lgkmcnt(0)
	v_fma_f64 v[103:104], v[127:128], v[105:106], v[103:104]
	s_waitcnt vmcnt(0)
	v_add_f64 v[103:104], v[131:132], -v[103:104]
	buffer_store_dword v104, off, s[0:3], 0 offset:4
	buffer_store_dword v103, off, s[0:3], 0
	s_cbranch_vccz .LBB113_408
; %bb.310:
	global_load_dword v0, v0, s[12:13] offset:192
	s_waitcnt vmcnt(0)
	v_add_nc_u32_e32 v0, -1, v0
	v_cmp_ne_u32_e32 vcc_lo, 48, v0
	s_cbranch_vccz .LBB113_312
; %bb.311:
	v_lshlrev_b32_e32 v0, 3, v0
	s_clause 0x1
	buffer_load_dword v103, v0, s[0:3], 0 offen offset:4
	buffer_load_dword v104, v0, s[0:3], 0 offen
	s_waitcnt vmcnt(1)
	buffer_store_dword v103, off, s[0:3], 0 offset:388
	s_waitcnt vmcnt(0)
	buffer_store_dword v104, off, s[0:3], 0 offset:384
	buffer_store_dword v102, v0, s[0:3], 0 offen offset:4
	buffer_store_dword v101, v0, s[0:3], 0 offen
.LBB113_312:
	v_mov_b32_e32 v0, 0
	global_load_dword v101, v0, s[12:13] offset:188
	s_waitcnt vmcnt(0)
	v_add_nc_u32_e32 v101, -1, v101
	v_cmp_eq_u32_e32 vcc_lo, 47, v101
	s_cbranch_vccnz .LBB113_314
; %bb.313:
	v_lshlrev_b32_e32 v101, 3, v101
	s_clause 0x3
	buffer_load_dword v102, v101, s[0:3], 0 offen
	buffer_load_dword v103, v101, s[0:3], 0 offen offset:4
	buffer_load_dword v104, off, s[0:3], 0 offset:376
	buffer_load_dword v105, off, s[0:3], 0 offset:380
	s_waitcnt vmcnt(3)
	buffer_store_dword v102, off, s[0:3], 0 offset:376
	s_waitcnt vmcnt(2)
	buffer_store_dword v103, off, s[0:3], 0 offset:380
	s_waitcnt vmcnt(1)
	buffer_store_dword v104, v101, s[0:3], 0 offen
	s_waitcnt vmcnt(0)
	buffer_store_dword v105, v101, s[0:3], 0 offen offset:4
.LBB113_314:
	global_load_dword v0, v0, s[12:13] offset:184
	s_waitcnt vmcnt(0)
	v_add_nc_u32_e32 v0, -1, v0
	v_cmp_eq_u32_e32 vcc_lo, 46, v0
	s_cbranch_vccnz .LBB113_316
; %bb.315:
	v_lshlrev_b32_e32 v0, 3, v0
	s_clause 0x3
	buffer_load_dword v101, v0, s[0:3], 0 offen
	buffer_load_dword v102, v0, s[0:3], 0 offen offset:4
	buffer_load_dword v103, off, s[0:3], 0 offset:372
	buffer_load_dword v104, off, s[0:3], 0 offset:368
	s_waitcnt vmcnt(3)
	buffer_store_dword v101, off, s[0:3], 0 offset:368
	s_waitcnt vmcnt(2)
	buffer_store_dword v102, off, s[0:3], 0 offset:372
	s_waitcnt vmcnt(1)
	buffer_store_dword v103, v0, s[0:3], 0 offen offset:4
	s_waitcnt vmcnt(0)
	buffer_store_dword v104, v0, s[0:3], 0 offen
.LBB113_316:
	v_mov_b32_e32 v0, 0
	global_load_dword v101, v0, s[12:13] offset:180
	s_waitcnt vmcnt(0)
	v_add_nc_u32_e32 v101, -1, v101
	v_cmp_eq_u32_e32 vcc_lo, 45, v101
	s_cbranch_vccnz .LBB113_318
; %bb.317:
	v_lshlrev_b32_e32 v101, 3, v101
	s_clause 0x3
	buffer_load_dword v102, v101, s[0:3], 0 offen
	buffer_load_dword v103, v101, s[0:3], 0 offen offset:4
	buffer_load_dword v104, off, s[0:3], 0 offset:360
	buffer_load_dword v105, off, s[0:3], 0 offset:364
	s_waitcnt vmcnt(3)
	buffer_store_dword v102, off, s[0:3], 0 offset:360
	s_waitcnt vmcnt(2)
	buffer_store_dword v103, off, s[0:3], 0 offset:364
	s_waitcnt vmcnt(1)
	buffer_store_dword v104, v101, s[0:3], 0 offen
	s_waitcnt vmcnt(0)
	buffer_store_dword v105, v101, s[0:3], 0 offen offset:4
.LBB113_318:
	global_load_dword v0, v0, s[12:13] offset:176
	s_waitcnt vmcnt(0)
	v_add_nc_u32_e32 v0, -1, v0
	v_cmp_eq_u32_e32 vcc_lo, 44, v0
	s_cbranch_vccnz .LBB113_320
; %bb.319:
	v_lshlrev_b32_e32 v0, 3, v0
	s_clause 0x3
	buffer_load_dword v101, v0, s[0:3], 0 offen
	buffer_load_dword v102, v0, s[0:3], 0 offen offset:4
	buffer_load_dword v103, off, s[0:3], 0 offset:356
	buffer_load_dword v104, off, s[0:3], 0 offset:352
	s_waitcnt vmcnt(3)
	buffer_store_dword v101, off, s[0:3], 0 offset:352
	s_waitcnt vmcnt(2)
	buffer_store_dword v102, off, s[0:3], 0 offset:356
	s_waitcnt vmcnt(1)
	buffer_store_dword v103, v0, s[0:3], 0 offen offset:4
	s_waitcnt vmcnt(0)
	buffer_store_dword v104, v0, s[0:3], 0 offen
.LBB113_320:
	;; [unrolled: 43-line block ×23, first 2 shown]
	v_mov_b32_e32 v0, 0
	global_load_dword v101, v0, s[12:13] offset:4
	s_waitcnt vmcnt(0)
	v_add_nc_u32_e32 v101, -1, v101
	v_cmp_eq_u32_e32 vcc_lo, 1, v101
	s_cbranch_vccnz .LBB113_406
; %bb.405:
	v_lshlrev_b32_e32 v101, 3, v101
	s_clause 0x3
	buffer_load_dword v102, v101, s[0:3], 0 offen
	buffer_load_dword v103, v101, s[0:3], 0 offen offset:4
	buffer_load_dword v104, off, s[0:3], 0 offset:8
	buffer_load_dword v105, off, s[0:3], 0 offset:12
	s_waitcnt vmcnt(3)
	buffer_store_dword v102, off, s[0:3], 0 offset:8
	s_waitcnt vmcnt(2)
	buffer_store_dword v103, off, s[0:3], 0 offset:12
	s_waitcnt vmcnt(1)
	buffer_store_dword v104, v101, s[0:3], 0 offen
	s_waitcnt vmcnt(0)
	buffer_store_dword v105, v101, s[0:3], 0 offen offset:4
.LBB113_406:
	global_load_dword v0, v0, s[12:13]
	s_clause 0x1
	buffer_load_dword v103, off, s[0:3], 0
	buffer_load_dword v104, off, s[0:3], 0 offset:4
	s_waitcnt vmcnt(2)
	v_add_nc_u32_e32 v0, -1, v0
	v_cmp_eq_u32_e32 vcc_lo, 0, v0
	s_cbranch_vccnz .LBB113_408
; %bb.407:
	v_lshlrev_b32_e32 v0, 3, v0
	s_clause 0x1
	buffer_load_dword v101, v0, s[0:3], 0 offen offset:4
	buffer_load_dword v102, v0, s[0:3], 0 offen
	s_waitcnt vmcnt(1)
	buffer_store_dword v101, off, s[0:3], 0 offset:4
	s_waitcnt vmcnt(0)
	buffer_store_dword v102, off, s[0:3], 0
	buffer_store_dword v104, v0, s[0:3], 0 offen offset:4
	buffer_store_dword v103, v0, s[0:3], 0 offen
	s_clause 0x1
	buffer_load_dword v103, off, s[0:3], 0
	buffer_load_dword v104, off, s[0:3], 0 offset:4
.LBB113_408:
	s_waitcnt vmcnt(0)
	flat_store_dwordx2 v[1:2], v[103:104]
	s_clause 0x1
	buffer_load_dword v0, off, s[0:3], 0 offset:8
	buffer_load_dword v1, off, s[0:3], 0 offset:12
	s_waitcnt vmcnt(0)
	flat_store_dwordx2 v[3:4], v[0:1]
	s_clause 0x1
	buffer_load_dword v0, off, s[0:3], 0 offset:16
	buffer_load_dword v1, off, s[0:3], 0 offset:20
	;; [unrolled: 5-line block ×49, first 2 shown]
	s_waitcnt vmcnt(0)
	flat_store_dwordx2 v[99:100], v[0:1]
	s_endpgm
	.section	.rodata,"a",@progbits
	.p2align	6, 0x0
	.amdhsa_kernel _ZN9rocsolver6v33100L18getri_kernel_smallILi50EdPKPdEEvT1_iilPiilS6_bb
		.amdhsa_group_segment_fixed_size 808
		.amdhsa_private_segment_fixed_size 416
		.amdhsa_kernarg_size 60
		.amdhsa_user_sgpr_count 6
		.amdhsa_user_sgpr_private_segment_buffer 1
		.amdhsa_user_sgpr_dispatch_ptr 0
		.amdhsa_user_sgpr_queue_ptr 0
		.amdhsa_user_sgpr_kernarg_segment_ptr 1
		.amdhsa_user_sgpr_dispatch_id 0
		.amdhsa_user_sgpr_flat_scratch_init 0
		.amdhsa_user_sgpr_private_segment_size 0
		.amdhsa_wavefront_size32 1
		.amdhsa_uses_dynamic_stack 0
		.amdhsa_system_sgpr_private_segment_wavefront_offset 1
		.amdhsa_system_sgpr_workgroup_id_x 1
		.amdhsa_system_sgpr_workgroup_id_y 0
		.amdhsa_system_sgpr_workgroup_id_z 0
		.amdhsa_system_sgpr_workgroup_info 0
		.amdhsa_system_vgpr_workitem_id 0
		.amdhsa_next_free_vgpr 145
		.amdhsa_next_free_sgpr 20
		.amdhsa_reserve_vcc 1
		.amdhsa_reserve_flat_scratch 0
		.amdhsa_float_round_mode_32 0
		.amdhsa_float_round_mode_16_64 0
		.amdhsa_float_denorm_mode_32 3
		.amdhsa_float_denorm_mode_16_64 3
		.amdhsa_dx10_clamp 1
		.amdhsa_ieee_mode 1
		.amdhsa_fp16_overflow 0
		.amdhsa_workgroup_processor_mode 1
		.amdhsa_memory_ordered 1
		.amdhsa_forward_progress 1
		.amdhsa_shared_vgpr_count 0
		.amdhsa_exception_fp_ieee_invalid_op 0
		.amdhsa_exception_fp_denorm_src 0
		.amdhsa_exception_fp_ieee_div_zero 0
		.amdhsa_exception_fp_ieee_overflow 0
		.amdhsa_exception_fp_ieee_underflow 0
		.amdhsa_exception_fp_ieee_inexact 0
		.amdhsa_exception_int_div_zero 0
	.end_amdhsa_kernel
	.section	.text._ZN9rocsolver6v33100L18getri_kernel_smallILi50EdPKPdEEvT1_iilPiilS6_bb,"axG",@progbits,_ZN9rocsolver6v33100L18getri_kernel_smallILi50EdPKPdEEvT1_iilPiilS6_bb,comdat
.Lfunc_end113:
	.size	_ZN9rocsolver6v33100L18getri_kernel_smallILi50EdPKPdEEvT1_iilPiilS6_bb, .Lfunc_end113-_ZN9rocsolver6v33100L18getri_kernel_smallILi50EdPKPdEEvT1_iilPiilS6_bb
                                        ; -- End function
	.set _ZN9rocsolver6v33100L18getri_kernel_smallILi50EdPKPdEEvT1_iilPiilS6_bb.num_vgpr, 145
	.set _ZN9rocsolver6v33100L18getri_kernel_smallILi50EdPKPdEEvT1_iilPiilS6_bb.num_agpr, 0
	.set _ZN9rocsolver6v33100L18getri_kernel_smallILi50EdPKPdEEvT1_iilPiilS6_bb.numbered_sgpr, 20
	.set _ZN9rocsolver6v33100L18getri_kernel_smallILi50EdPKPdEEvT1_iilPiilS6_bb.num_named_barrier, 0
	.set _ZN9rocsolver6v33100L18getri_kernel_smallILi50EdPKPdEEvT1_iilPiilS6_bb.private_seg_size, 416
	.set _ZN9rocsolver6v33100L18getri_kernel_smallILi50EdPKPdEEvT1_iilPiilS6_bb.uses_vcc, 1
	.set _ZN9rocsolver6v33100L18getri_kernel_smallILi50EdPKPdEEvT1_iilPiilS6_bb.uses_flat_scratch, 0
	.set _ZN9rocsolver6v33100L18getri_kernel_smallILi50EdPKPdEEvT1_iilPiilS6_bb.has_dyn_sized_stack, 0
	.set _ZN9rocsolver6v33100L18getri_kernel_smallILi50EdPKPdEEvT1_iilPiilS6_bb.has_recursion, 0
	.set _ZN9rocsolver6v33100L18getri_kernel_smallILi50EdPKPdEEvT1_iilPiilS6_bb.has_indirect_call, 0
	.section	.AMDGPU.csdata,"",@progbits
; Kernel info:
; codeLenInByte = 70076
; TotalNumSgprs: 22
; NumVgprs: 145
; ScratchSize: 416
; MemoryBound: 1
; FloatMode: 240
; IeeeMode: 1
; LDSByteSize: 808 bytes/workgroup (compile time only)
; SGPRBlocks: 0
; VGPRBlocks: 18
; NumSGPRsForWavesPerEU: 22
; NumVGPRsForWavesPerEU: 145
; Occupancy: 6
; WaveLimiterHint : 1
; COMPUTE_PGM_RSRC2:SCRATCH_EN: 1
; COMPUTE_PGM_RSRC2:USER_SGPR: 6
; COMPUTE_PGM_RSRC2:TRAP_HANDLER: 0
; COMPUTE_PGM_RSRC2:TGID_X_EN: 1
; COMPUTE_PGM_RSRC2:TGID_Y_EN: 0
; COMPUTE_PGM_RSRC2:TGID_Z_EN: 0
; COMPUTE_PGM_RSRC2:TIDIG_COMP_CNT: 0
	.section	.text._ZN9rocsolver6v33100L18getri_kernel_smallILi51EdPKPdEEvT1_iilPiilS6_bb,"axG",@progbits,_ZN9rocsolver6v33100L18getri_kernel_smallILi51EdPKPdEEvT1_iilPiilS6_bb,comdat
	.globl	_ZN9rocsolver6v33100L18getri_kernel_smallILi51EdPKPdEEvT1_iilPiilS6_bb ; -- Begin function _ZN9rocsolver6v33100L18getri_kernel_smallILi51EdPKPdEEvT1_iilPiilS6_bb
	.p2align	8
	.type	_ZN9rocsolver6v33100L18getri_kernel_smallILi51EdPKPdEEvT1_iilPiilS6_bb,@function
_ZN9rocsolver6v33100L18getri_kernel_smallILi51EdPKPdEEvT1_iilPiilS6_bb: ; @_ZN9rocsolver6v33100L18getri_kernel_smallILi51EdPKPdEEvT1_iilPiilS6_bb
; %bb.0:
	s_add_u32 s0, s0, s7
	s_addc_u32 s1, s1, 0
	s_mov_b32 s7, exec_lo
	v_cmpx_gt_u32_e32 51, v0
	s_cbranch_execz .LBB114_214
; %bb.1:
	s_clause 0x2
	s_load_dword s17, s[4:5], 0x38
	s_load_dwordx2 s[12:13], s[4:5], 0x0
	s_load_dwordx4 s[8:11], s[4:5], 0x28
	s_waitcnt lgkmcnt(0)
	s_bitcmp1_b32 s17, 8
	s_cselect_b32 s16, -1, 0
	s_ashr_i32 s7, s6, 31
	s_lshl_b64 s[14:15], s[6:7], 3
	s_add_u32 s12, s12, s14
	s_addc_u32 s13, s13, s15
	s_load_dwordx2 s[14:15], s[12:13], 0x0
	s_bfe_u32 s12, s17, 0x10008
	s_cmp_eq_u32 s12, 0
                                        ; implicit-def: $sgpr12_sgpr13
	s_cbranch_scc1 .LBB114_3
; %bb.2:
	s_clause 0x1
	s_load_dword s12, s[4:5], 0x20
	s_load_dwordx2 s[18:19], s[4:5], 0x18
	s_mul_i32 s13, s8, s7
	s_mul_hi_u32 s17, s8, s6
	s_mul_i32 s9, s9, s6
	s_add_i32 s13, s17, s13
	s_mul_i32 s8, s8, s6
	s_add_i32 s9, s13, s9
	s_lshl_b64 s[8:9], s[8:9], 2
	s_waitcnt lgkmcnt(0)
	s_ashr_i32 s13, s12, 31
	s_add_u32 s17, s18, s8
	s_addc_u32 s18, s19, s9
	s_lshl_b64 s[8:9], s[12:13], 2
	s_add_u32 s12, s17, s8
	s_addc_u32 s13, s18, s9
.LBB114_3:
	s_clause 0x1
	s_load_dwordx2 s[8:9], s[4:5], 0x8
	s_load_dword s17, s[4:5], 0x38
	v_lshlrev_b32_e32 v105, 3, v0
	s_waitcnt lgkmcnt(0)
	s_ashr_i32 s5, s8, 31
	s_mov_b32 s4, s8
	v_add3_u32 v9, s9, s9, v0
	s_lshl_b64 s[4:5], s[4:5], 3
	s_add_u32 s4, s14, s4
	s_addc_u32 s5, s15, s5
	v_add_co_u32 v1, s8, s4, v105
	v_add_co_ci_u32_e64 v2, null, s5, 0, s8
	s_mov_b32 s14, s9
	s_ashr_i32 s15, s9, 31
	v_ashrrev_i32_e32 v10, 31, v9
	flat_load_dwordx2 v[5:6], v[1:2]
	s_lshl_b64 s[14:15], s[14:15], 3
	v_add_nc_u32_e32 v12, s9, v9
	v_add_co_u32 v3, vcc_lo, v1, s14
	v_add_co_ci_u32_e64 v4, null, s15, v2, vcc_lo
	v_ashrrev_i32_e32 v13, 31, v12
	s_bitcmp0_b32 s17, 0
	s_waitcnt vmcnt(0) lgkmcnt(0)
	buffer_store_dword v6, off, s[0:3], 0 offset:4
	buffer_store_dword v5, off, s[0:3], 0
	flat_load_dwordx2 v[7:8], v[3:4]
	v_lshlrev_b64 v[5:6], 3, v[9:10]
	s_waitcnt vmcnt(0) lgkmcnt(0)
	buffer_store_dword v8, off, s[0:3], 0 offset:12
	buffer_store_dword v7, off, s[0:3], 0 offset:8
	v_add_co_u32 v5, vcc_lo, s4, v5
	v_add_co_ci_u32_e64 v6, null, s5, v6, vcc_lo
	v_lshlrev_b64 v[7:8], 3, v[12:13]
	flat_load_dwordx2 v[10:11], v[5:6]
	s_waitcnt vmcnt(0) lgkmcnt(0)
	buffer_store_dword v11, off, s[0:3], 0 offset:20
	buffer_store_dword v10, off, s[0:3], 0 offset:16
	v_add_co_u32 v7, vcc_lo, s4, v7
	v_add_co_ci_u32_e64 v8, null, s5, v8, vcc_lo
	v_add_nc_u32_e32 v11, s9, v12
	flat_load_dwordx2 v[13:14], v[7:8]
	s_waitcnt vmcnt(0) lgkmcnt(0)
	buffer_store_dword v14, off, s[0:3], 0 offset:28
	buffer_store_dword v13, off, s[0:3], 0 offset:24
	v_ashrrev_i32_e32 v12, 31, v11
	v_add_nc_u32_e32 v15, s9, v11
	v_lshlrev_b64 v[9:10], 3, v[11:12]
	v_ashrrev_i32_e32 v16, 31, v15
	v_add_nc_u32_e32 v18, s9, v15
	v_add_co_u32 v9, vcc_lo, s4, v9
	v_add_co_ci_u32_e64 v10, null, s5, v10, vcc_lo
	v_lshlrev_b64 v[11:12], 3, v[15:16]
	v_ashrrev_i32_e32 v19, 31, v18
	flat_load_dwordx2 v[13:14], v[9:10]
	s_waitcnt vmcnt(0) lgkmcnt(0)
	buffer_store_dword v14, off, s[0:3], 0 offset:36
	buffer_store_dword v13, off, s[0:3], 0 offset:32
	v_add_co_u32 v11, vcc_lo, s4, v11
	v_add_co_ci_u32_e64 v12, null, s5, v12, vcc_lo
	v_lshlrev_b64 v[13:14], 3, v[18:19]
	flat_load_dwordx2 v[16:17], v[11:12]
	s_waitcnt vmcnt(0) lgkmcnt(0)
	buffer_store_dword v17, off, s[0:3], 0 offset:44
	buffer_store_dword v16, off, s[0:3], 0 offset:40
	v_add_co_u32 v13, vcc_lo, s4, v13
	v_add_co_ci_u32_e64 v14, null, s5, v14, vcc_lo
	v_add_nc_u32_e32 v17, s9, v18
	flat_load_dwordx2 v[19:20], v[13:14]
	s_waitcnt vmcnt(0) lgkmcnt(0)
	buffer_store_dword v20, off, s[0:3], 0 offset:52
	buffer_store_dword v19, off, s[0:3], 0 offset:48
	v_ashrrev_i32_e32 v18, 31, v17
	v_add_nc_u32_e32 v21, s9, v17
	v_lshlrev_b64 v[15:16], 3, v[17:18]
	v_ashrrev_i32_e32 v22, 31, v21
	v_add_nc_u32_e32 v24, s9, v21
	v_add_co_u32 v15, vcc_lo, s4, v15
	v_add_co_ci_u32_e64 v16, null, s5, v16, vcc_lo
	v_lshlrev_b64 v[17:18], 3, v[21:22]
	v_ashrrev_i32_e32 v25, 31, v24
	flat_load_dwordx2 v[19:20], v[15:16]
	;; [unrolled: 27-line block ×15, first 2 shown]
	s_waitcnt vmcnt(0) lgkmcnt(0)
	buffer_store_dword v98, off, s[0:3], 0 offset:372
	buffer_store_dword v97, off, s[0:3], 0 offset:368
	v_add_co_u32 v95, vcc_lo, s4, v95
	v_add_co_ci_u32_e64 v96, null, s5, v96, vcc_lo
	v_lshlrev_b64 v[97:98], 3, v[102:103]
	flat_load_dwordx2 v[100:101], v[95:96]
	s_waitcnt vmcnt(0) lgkmcnt(0)
	buffer_store_dword v101, off, s[0:3], 0 offset:380
	buffer_store_dword v100, off, s[0:3], 0 offset:376
	v_add_co_u32 v97, vcc_lo, s4, v97
	v_add_co_ci_u32_e64 v98, null, s5, v98, vcc_lo
	v_add_nc_u32_e32 v101, s9, v102
	flat_load_dwordx2 v[103:104], v[97:98]
	s_waitcnt vmcnt(0) lgkmcnt(0)
	buffer_store_dword v104, off, s[0:3], 0 offset:388
	buffer_store_dword v103, off, s[0:3], 0 offset:384
	v_ashrrev_i32_e32 v102, 31, v101
	v_lshlrev_b64 v[99:100], 3, v[101:102]
	v_add_nc_u32_e32 v101, s9, v101
	v_add_co_u32 v99, vcc_lo, s4, v99
	v_add_co_ci_u32_e64 v100, null, s5, v100, vcc_lo
	v_ashrrev_i32_e32 v102, 31, v101
	flat_load_dwordx2 v[103:104], v[99:100]
	s_waitcnt vmcnt(0) lgkmcnt(0)
	buffer_store_dword v104, off, s[0:3], 0 offset:396
	buffer_store_dword v103, off, s[0:3], 0 offset:392
	v_lshlrev_b64 v[101:102], 3, v[101:102]
	v_add_co_u32 v101, vcc_lo, s4, v101
	v_add_co_ci_u32_e64 v102, null, s5, v102, vcc_lo
	s_mov_b32 s5, -1
	flat_load_dwordx2 v[103:104], v[101:102]
	s_waitcnt vmcnt(0) lgkmcnt(0)
	buffer_store_dword v104, off, s[0:3], 0 offset:404
	buffer_store_dword v103, off, s[0:3], 0 offset:400
	s_cbranch_scc1 .LBB114_212
; %bb.4:
	v_cmp_eq_u32_e64 s4, 0, v0
	s_and_saveexec_b32 s5, s4
; %bb.5:
	v_mov_b32_e32 v103, 0
	ds_write_b32 v103, v103 offset:408
; %bb.6:
	s_or_b32 exec_lo, exec_lo, s5
	v_lshl_add_u32 v103, v0, 3, 0
	s_waitcnt lgkmcnt(0)
	s_waitcnt_vscnt null, 0x0
	s_barrier
	buffer_gl0_inv
	s_mov_b32 s8, exec_lo
	s_clause 0x1
	buffer_load_dword v106, v103, s[0:3], 0 offen
	buffer_load_dword v107, v103, s[0:3], 0 offen offset:4
	s_waitcnt vmcnt(0)
	v_cmpx_eq_f64_e32 0, v[106:107]
	s_cbranch_execz .LBB114_10
; %bb.7:
	v_mov_b32_e32 v104, 0
	s_mov_b32 s9, 0
	ds_read_b32 v106, v104 offset:408
	s_waitcnt lgkmcnt(0)
	v_readfirstlane_b32 s5, v106
	v_add_nc_u32_e32 v106, 1, v0
	s_cmp_eq_u32 s5, 0
	v_cmp_gt_i32_e32 vcc_lo, s5, v106
	s_cselect_b32 s14, -1, 0
	s_or_b32 s14, s14, vcc_lo
	s_and_b32 exec_lo, exec_lo, s14
	s_cbranch_execz .LBB114_10
; %bb.8:
	v_mov_b32_e32 v107, s5
.LBB114_9:                              ; =>This Inner Loop Header: Depth=1
	ds_cmpst_rtn_b32 v107, v104, v107, v106 offset:408
	s_waitcnt lgkmcnt(0)
	v_cmp_ne_u32_e32 vcc_lo, 0, v107
	v_cmp_le_i32_e64 s5, v107, v106
	s_and_b32 s5, vcc_lo, s5
	s_and_b32 s5, exec_lo, s5
	s_or_b32 s9, s5, s9
	s_andn2_b32 exec_lo, exec_lo, s9
	s_cbranch_execnz .LBB114_9
.LBB114_10:
	s_or_b32 exec_lo, exec_lo, s8
	v_mov_b32_e32 v104, 0
	s_barrier
	buffer_gl0_inv
	ds_read_b32 v106, v104 offset:408
	s_and_saveexec_b32 s5, s4
	s_cbranch_execz .LBB114_12
; %bb.11:
	s_lshl_b64 s[8:9], s[6:7], 2
	s_add_u32 s8, s10, s8
	s_addc_u32 s9, s11, s9
	s_waitcnt lgkmcnt(0)
	global_store_dword v104, v106, s[8:9]
.LBB114_12:
	s_or_b32 exec_lo, exec_lo, s5
	s_waitcnt lgkmcnt(0)
	v_cmp_ne_u32_e32 vcc_lo, 0, v106
	s_mov_b32 s5, 0
	s_cbranch_vccnz .LBB114_212
; %bb.13:
	s_clause 0x1
	buffer_load_dword v106, v103, s[0:3], 0 offen
	buffer_load_dword v107, v103, s[0:3], 0 offen offset:4
	s_waitcnt vmcnt(0)
	v_div_scale_f64 v[108:109], null, v[106:107], v[106:107], 1.0
	v_div_scale_f64 v[114:115], vcc_lo, 1.0, v[106:107], 1.0
	v_rcp_f64_e32 v[110:111], v[108:109]
	v_fma_f64 v[112:113], -v[108:109], v[110:111], 1.0
	v_fma_f64 v[110:111], v[110:111], v[112:113], v[110:111]
	v_fma_f64 v[112:113], -v[108:109], v[110:111], 1.0
	v_fma_f64 v[110:111], v[110:111], v[112:113], v[110:111]
	v_mul_f64 v[112:113], v[114:115], v[110:111]
	v_fma_f64 v[108:109], -v[108:109], v[112:113], v[114:115]
	v_div_fmas_f64 v[108:109], v[108:109], v[110:111], v[112:113]
	v_div_fixup_f64 v[107:108], v[108:109], v[106:107], 1.0
	v_add_nc_u32_e32 v106, 0x1a0, v105
	buffer_store_dword v108, v103, s[0:3], 0 offen offset:4
	buffer_store_dword v107, v103, s[0:3], 0 offen
	s_clause 0x1
	buffer_load_dword v110, off, s[0:3], 0 offset:12
	buffer_load_dword v109, off, s[0:3], 0 offset:8
	v_xor_b32_e32 v108, 0x80000000, v108
	s_waitcnt vmcnt(0)
	ds_write2_b64 v105, v[107:108], v[109:110] offset1:52
	s_waitcnt lgkmcnt(0)
	s_waitcnt_vscnt null, 0x0
	s_barrier
	buffer_gl0_inv
	s_and_saveexec_b32 s5, s4
	s_cbranch_execz .LBB114_15
; %bb.14:
	s_clause 0x1
	buffer_load_dword v107, v103, s[0:3], 0 offen
	buffer_load_dword v108, v103, s[0:3], 0 offen offset:4
	ds_read_b64 v[109:110], v106
	v_mov_b32_e32 v104, 0
	ds_read_b64 v[111:112], v104 offset:8
	s_waitcnt vmcnt(0) lgkmcnt(1)
	v_fma_f64 v[107:108], v[107:108], v[109:110], 0
	s_waitcnt lgkmcnt(0)
	v_mul_f64 v[107:108], v[107:108], v[111:112]
	buffer_store_dword v107, off, s[0:3], 0 offset:8
	buffer_store_dword v108, off, s[0:3], 0 offset:12
.LBB114_15:
	s_or_b32 exec_lo, exec_lo, s5
	s_waitcnt_vscnt null, 0x0
	s_barrier
	buffer_gl0_inv
	s_clause 0x1
	buffer_load_dword v107, off, s[0:3], 0 offset:16
	buffer_load_dword v108, off, s[0:3], 0 offset:20
	s_mov_b32 s5, exec_lo
	s_waitcnt vmcnt(0)
	ds_write_b64 v106, v[107:108]
	s_waitcnt lgkmcnt(0)
	s_barrier
	buffer_gl0_inv
	v_cmpx_gt_u32_e32 2, v0
	s_cbranch_execz .LBB114_19
; %bb.16:
	s_clause 0x1
	buffer_load_dword v107, v103, s[0:3], 0 offen
	buffer_load_dword v108, v103, s[0:3], 0 offen offset:4
	ds_read_b64 v[103:104], v106
	s_waitcnt vmcnt(0) lgkmcnt(0)
	v_fma_f64 v[103:104], v[107:108], v[103:104], 0
	s_and_saveexec_b32 s8, s4
	s_cbranch_execz .LBB114_18
; %bb.17:
	s_clause 0x1
	buffer_load_dword v107, off, s[0:3], 0 offset:8
	buffer_load_dword v108, off, s[0:3], 0 offset:12
	v_mov_b32_e32 v109, 0
	ds_read_b64 v[109:110], v109 offset:424
	s_waitcnt vmcnt(0) lgkmcnt(0)
	v_fma_f64 v[103:104], v[107:108], v[109:110], v[103:104]
.LBB114_18:
	s_or_b32 exec_lo, exec_lo, s8
	v_mov_b32_e32 v107, 0
	ds_read_b64 v[107:108], v107 offset:16
	s_waitcnt lgkmcnt(0)
	v_mul_f64 v[103:104], v[103:104], v[107:108]
	buffer_store_dword v104, off, s[0:3], 0 offset:20
	buffer_store_dword v103, off, s[0:3], 0 offset:16
.LBB114_19:
	s_or_b32 exec_lo, exec_lo, s5
	s_waitcnt_vscnt null, 0x0
	s_barrier
	buffer_gl0_inv
	s_clause 0x1
	buffer_load_dword v103, off, s[0:3], 0 offset:24
	buffer_load_dword v104, off, s[0:3], 0 offset:28
	v_add_nc_u32_e32 v107, -1, v0
	s_mov_b32 s4, exec_lo
	s_waitcnt vmcnt(0)
	ds_write_b64 v106, v[103:104]
	s_waitcnt lgkmcnt(0)
	s_barrier
	buffer_gl0_inv
	v_cmpx_gt_u32_e32 3, v0
	s_cbranch_execz .LBB114_23
; %bb.20:
	v_mov_b32_e32 v103, 0
	v_add_nc_u32_e32 v108, -1, v0
	v_add_nc_u32_e32 v109, 0x1a0, v105
	v_mov_b32_e32 v104, 0
	v_mov_b32_e32 v110, v105
	s_mov_b32 s5, 0
.LBB114_21:                             ; =>This Inner Loop Header: Depth=1
	s_clause 0x1
	buffer_load_dword v111, v110, s[0:3], 0 offen
	buffer_load_dword v112, v110, s[0:3], 0 offen offset:4
	ds_read_b64 v[113:114], v109
	v_add_nc_u32_e32 v108, 1, v108
	v_add_nc_u32_e32 v109, 8, v109
	v_add_nc_u32_e32 v110, 8, v110
	v_cmp_lt_u32_e32 vcc_lo, 1, v108
	s_or_b32 s5, vcc_lo, s5
	s_waitcnt vmcnt(0) lgkmcnt(0)
	v_fma_f64 v[103:104], v[111:112], v[113:114], v[103:104]
	s_andn2_b32 exec_lo, exec_lo, s5
	s_cbranch_execnz .LBB114_21
; %bb.22:
	s_or_b32 exec_lo, exec_lo, s5
	v_mov_b32_e32 v108, 0
	ds_read_b64 v[108:109], v108 offset:24
	s_waitcnt lgkmcnt(0)
	v_mul_f64 v[103:104], v[103:104], v[108:109]
	buffer_store_dword v104, off, s[0:3], 0 offset:28
	buffer_store_dword v103, off, s[0:3], 0 offset:24
.LBB114_23:
	s_or_b32 exec_lo, exec_lo, s4
	s_waitcnt_vscnt null, 0x0
	s_barrier
	buffer_gl0_inv
	s_clause 0x1
	buffer_load_dword v103, off, s[0:3], 0 offset:32
	buffer_load_dword v104, off, s[0:3], 0 offset:36
	s_mov_b32 s4, exec_lo
	s_waitcnt vmcnt(0)
	ds_write_b64 v106, v[103:104]
	s_waitcnt lgkmcnt(0)
	s_barrier
	buffer_gl0_inv
	v_cmpx_gt_u32_e32 4, v0
	s_cbranch_execz .LBB114_27
; %bb.24:
	v_mov_b32_e32 v103, 0
	v_add_nc_u32_e32 v108, -1, v0
	v_add_nc_u32_e32 v109, 0x1a0, v105
	v_mov_b32_e32 v104, 0
	v_mov_b32_e32 v110, v105
	s_mov_b32 s5, 0
.LBB114_25:                             ; =>This Inner Loop Header: Depth=1
	s_clause 0x1
	buffer_load_dword v111, v110, s[0:3], 0 offen
	buffer_load_dword v112, v110, s[0:3], 0 offen offset:4
	ds_read_b64 v[113:114], v109
	v_add_nc_u32_e32 v108, 1, v108
	v_add_nc_u32_e32 v109, 8, v109
	v_add_nc_u32_e32 v110, 8, v110
	v_cmp_lt_u32_e32 vcc_lo, 2, v108
	s_or_b32 s5, vcc_lo, s5
	s_waitcnt vmcnt(0) lgkmcnt(0)
	v_fma_f64 v[103:104], v[111:112], v[113:114], v[103:104]
	s_andn2_b32 exec_lo, exec_lo, s5
	s_cbranch_execnz .LBB114_25
; %bb.26:
	s_or_b32 exec_lo, exec_lo, s5
	v_mov_b32_e32 v108, 0
	ds_read_b64 v[108:109], v108 offset:32
	s_waitcnt lgkmcnt(0)
	v_mul_f64 v[103:104], v[103:104], v[108:109]
	buffer_store_dword v104, off, s[0:3], 0 offset:36
	buffer_store_dword v103, off, s[0:3], 0 offset:32
.LBB114_27:
	s_or_b32 exec_lo, exec_lo, s4
	s_waitcnt_vscnt null, 0x0
	s_barrier
	buffer_gl0_inv
	s_clause 0x1
	buffer_load_dword v103, off, s[0:3], 0 offset:40
	buffer_load_dword v104, off, s[0:3], 0 offset:44
	;; [unrolled: 45-line block ×20, first 2 shown]
	s_mov_b32 s4, exec_lo
	s_waitcnt vmcnt(0)
	ds_write_b64 v106, v[103:104]
	s_waitcnt lgkmcnt(0)
	s_barrier
	buffer_gl0_inv
	v_cmpx_gt_u32_e32 23, v0
	s_cbranch_execz .LBB114_103
; %bb.100:
	v_mov_b32_e32 v103, 0
	v_add_nc_u32_e32 v108, -1, v0
	v_add_nc_u32_e32 v109, 0x1a0, v105
	v_mov_b32_e32 v104, 0
	v_mov_b32_e32 v110, v105
	s_mov_b32 s5, 0
.LBB114_101:                            ; =>This Inner Loop Header: Depth=1
	s_clause 0x1
	buffer_load_dword v111, v110, s[0:3], 0 offen
	buffer_load_dword v112, v110, s[0:3], 0 offen offset:4
	ds_read_b64 v[113:114], v109
	v_add_nc_u32_e32 v108, 1, v108
	v_add_nc_u32_e32 v109, 8, v109
	v_add_nc_u32_e32 v110, 8, v110
	v_cmp_lt_u32_e32 vcc_lo, 21, v108
	s_or_b32 s5, vcc_lo, s5
	s_waitcnt vmcnt(0) lgkmcnt(0)
	v_fma_f64 v[103:104], v[111:112], v[113:114], v[103:104]
	s_andn2_b32 exec_lo, exec_lo, s5
	s_cbranch_execnz .LBB114_101
; %bb.102:
	s_or_b32 exec_lo, exec_lo, s5
	v_mov_b32_e32 v108, 0
	ds_read_b64 v[108:109], v108 offset:184
	s_waitcnt lgkmcnt(0)
	v_mul_f64 v[103:104], v[103:104], v[108:109]
	buffer_store_dword v104, off, s[0:3], 0 offset:188
	buffer_store_dword v103, off, s[0:3], 0 offset:184
.LBB114_103:
	s_or_b32 exec_lo, exec_lo, s4
	s_waitcnt_vscnt null, 0x0
	s_barrier
	buffer_gl0_inv
	s_clause 0x1
	buffer_load_dword v103, off, s[0:3], 0 offset:192
	buffer_load_dword v104, off, s[0:3], 0 offset:196
	s_mov_b32 s4, exec_lo
	s_waitcnt vmcnt(0)
	ds_write_b64 v106, v[103:104]
	s_waitcnt lgkmcnt(0)
	s_barrier
	buffer_gl0_inv
	v_cmpx_gt_u32_e32 24, v0
	s_cbranch_execz .LBB114_107
; %bb.104:
	v_mov_b32_e32 v103, 0
	v_add_nc_u32_e32 v108, -1, v0
	v_add_nc_u32_e32 v109, 0x1a0, v105
	v_mov_b32_e32 v104, 0
	v_mov_b32_e32 v110, v105
	s_mov_b32 s5, 0
.LBB114_105:                            ; =>This Inner Loop Header: Depth=1
	s_clause 0x1
	buffer_load_dword v111, v110, s[0:3], 0 offen
	buffer_load_dword v112, v110, s[0:3], 0 offen offset:4
	ds_read_b64 v[113:114], v109
	v_add_nc_u32_e32 v108, 1, v108
	v_add_nc_u32_e32 v109, 8, v109
	v_add_nc_u32_e32 v110, 8, v110
	v_cmp_lt_u32_e32 vcc_lo, 22, v108
	s_or_b32 s5, vcc_lo, s5
	s_waitcnt vmcnt(0) lgkmcnt(0)
	v_fma_f64 v[103:104], v[111:112], v[113:114], v[103:104]
	s_andn2_b32 exec_lo, exec_lo, s5
	s_cbranch_execnz .LBB114_105
; %bb.106:
	s_or_b32 exec_lo, exec_lo, s5
	v_mov_b32_e32 v108, 0
	ds_read_b64 v[108:109], v108 offset:192
	s_waitcnt lgkmcnt(0)
	v_mul_f64 v[103:104], v[103:104], v[108:109]
	buffer_store_dword v104, off, s[0:3], 0 offset:196
	buffer_store_dword v103, off, s[0:3], 0 offset:192
.LBB114_107:
	s_or_b32 exec_lo, exec_lo, s4
	s_waitcnt_vscnt null, 0x0
	s_barrier
	buffer_gl0_inv
	s_clause 0x1
	buffer_load_dword v103, off, s[0:3], 0 offset:200
	buffer_load_dword v104, off, s[0:3], 0 offset:204
	s_mov_b32 s4, exec_lo
	s_waitcnt vmcnt(0)
	ds_write_b64 v106, v[103:104]
	s_waitcnt lgkmcnt(0)
	s_barrier
	buffer_gl0_inv
	v_cmpx_gt_u32_e32 25, v0
	s_cbranch_execz .LBB114_111
; %bb.108:
	v_mov_b32_e32 v103, 0
	v_add_nc_u32_e32 v108, -1, v0
	v_add_nc_u32_e32 v109, 0x1a0, v105
	v_mov_b32_e32 v104, 0
	v_mov_b32_e32 v110, v105
	s_mov_b32 s5, 0
.LBB114_109:                            ; =>This Inner Loop Header: Depth=1
	s_clause 0x1
	buffer_load_dword v111, v110, s[0:3], 0 offen
	buffer_load_dword v112, v110, s[0:3], 0 offen offset:4
	ds_read_b64 v[113:114], v109
	v_add_nc_u32_e32 v108, 1, v108
	v_add_nc_u32_e32 v109, 8, v109
	v_add_nc_u32_e32 v110, 8, v110
	v_cmp_lt_u32_e32 vcc_lo, 23, v108
	s_or_b32 s5, vcc_lo, s5
	s_waitcnt vmcnt(0) lgkmcnt(0)
	v_fma_f64 v[103:104], v[111:112], v[113:114], v[103:104]
	s_andn2_b32 exec_lo, exec_lo, s5
	s_cbranch_execnz .LBB114_109
; %bb.110:
	s_or_b32 exec_lo, exec_lo, s5
	v_mov_b32_e32 v108, 0
	ds_read_b64 v[108:109], v108 offset:200
	s_waitcnt lgkmcnt(0)
	v_mul_f64 v[103:104], v[103:104], v[108:109]
	buffer_store_dword v104, off, s[0:3], 0 offset:204
	buffer_store_dword v103, off, s[0:3], 0 offset:200
.LBB114_111:
	s_or_b32 exec_lo, exec_lo, s4
	s_waitcnt_vscnt null, 0x0
	s_barrier
	buffer_gl0_inv
	s_clause 0x1
	buffer_load_dword v103, off, s[0:3], 0 offset:208
	buffer_load_dword v104, off, s[0:3], 0 offset:212
	s_mov_b32 s4, exec_lo
	s_waitcnt vmcnt(0)
	ds_write_b64 v106, v[103:104]
	s_waitcnt lgkmcnt(0)
	s_barrier
	buffer_gl0_inv
	v_cmpx_gt_u32_e32 26, v0
	s_cbranch_execz .LBB114_115
; %bb.112:
	v_mov_b32_e32 v103, 0
	v_add_nc_u32_e32 v108, -1, v0
	v_add_nc_u32_e32 v109, 0x1a0, v105
	v_mov_b32_e32 v104, 0
	v_mov_b32_e32 v110, v105
	s_mov_b32 s5, 0
.LBB114_113:                            ; =>This Inner Loop Header: Depth=1
	s_clause 0x1
	buffer_load_dword v111, v110, s[0:3], 0 offen
	buffer_load_dword v112, v110, s[0:3], 0 offen offset:4
	ds_read_b64 v[113:114], v109
	v_add_nc_u32_e32 v108, 1, v108
	v_add_nc_u32_e32 v109, 8, v109
	v_add_nc_u32_e32 v110, 8, v110
	v_cmp_lt_u32_e32 vcc_lo, 24, v108
	s_or_b32 s5, vcc_lo, s5
	s_waitcnt vmcnt(0) lgkmcnt(0)
	v_fma_f64 v[103:104], v[111:112], v[113:114], v[103:104]
	s_andn2_b32 exec_lo, exec_lo, s5
	s_cbranch_execnz .LBB114_113
; %bb.114:
	s_or_b32 exec_lo, exec_lo, s5
	v_mov_b32_e32 v108, 0
	ds_read_b64 v[108:109], v108 offset:208
	s_waitcnt lgkmcnt(0)
	v_mul_f64 v[103:104], v[103:104], v[108:109]
	buffer_store_dword v104, off, s[0:3], 0 offset:212
	buffer_store_dword v103, off, s[0:3], 0 offset:208
.LBB114_115:
	s_or_b32 exec_lo, exec_lo, s4
	s_waitcnt_vscnt null, 0x0
	s_barrier
	buffer_gl0_inv
	s_clause 0x1
	buffer_load_dword v103, off, s[0:3], 0 offset:216
	buffer_load_dword v104, off, s[0:3], 0 offset:220
	s_mov_b32 s4, exec_lo
	s_waitcnt vmcnt(0)
	ds_write_b64 v106, v[103:104]
	s_waitcnt lgkmcnt(0)
	s_barrier
	buffer_gl0_inv
	v_cmpx_gt_u32_e32 27, v0
	s_cbranch_execz .LBB114_119
; %bb.116:
	v_mov_b32_e32 v103, 0
	v_add_nc_u32_e32 v108, -1, v0
	v_add_nc_u32_e32 v109, 0x1a0, v105
	v_mov_b32_e32 v104, 0
	v_mov_b32_e32 v110, v105
	s_mov_b32 s5, 0
.LBB114_117:                            ; =>This Inner Loop Header: Depth=1
	s_clause 0x1
	buffer_load_dword v111, v110, s[0:3], 0 offen
	buffer_load_dword v112, v110, s[0:3], 0 offen offset:4
	ds_read_b64 v[113:114], v109
	v_add_nc_u32_e32 v108, 1, v108
	v_add_nc_u32_e32 v109, 8, v109
	v_add_nc_u32_e32 v110, 8, v110
	v_cmp_lt_u32_e32 vcc_lo, 25, v108
	s_or_b32 s5, vcc_lo, s5
	s_waitcnt vmcnt(0) lgkmcnt(0)
	v_fma_f64 v[103:104], v[111:112], v[113:114], v[103:104]
	s_andn2_b32 exec_lo, exec_lo, s5
	s_cbranch_execnz .LBB114_117
; %bb.118:
	s_or_b32 exec_lo, exec_lo, s5
	v_mov_b32_e32 v108, 0
	ds_read_b64 v[108:109], v108 offset:216
	s_waitcnt lgkmcnt(0)
	v_mul_f64 v[103:104], v[103:104], v[108:109]
	buffer_store_dword v104, off, s[0:3], 0 offset:220
	buffer_store_dword v103, off, s[0:3], 0 offset:216
.LBB114_119:
	s_or_b32 exec_lo, exec_lo, s4
	s_waitcnt_vscnt null, 0x0
	s_barrier
	buffer_gl0_inv
	s_clause 0x1
	buffer_load_dword v103, off, s[0:3], 0 offset:224
	buffer_load_dword v104, off, s[0:3], 0 offset:228
	s_mov_b32 s4, exec_lo
	s_waitcnt vmcnt(0)
	ds_write_b64 v106, v[103:104]
	s_waitcnt lgkmcnt(0)
	s_barrier
	buffer_gl0_inv
	v_cmpx_gt_u32_e32 28, v0
	s_cbranch_execz .LBB114_123
; %bb.120:
	v_mov_b32_e32 v103, 0
	v_add_nc_u32_e32 v108, -1, v0
	v_add_nc_u32_e32 v109, 0x1a0, v105
	v_mov_b32_e32 v104, 0
	v_mov_b32_e32 v110, v105
	s_mov_b32 s5, 0
.LBB114_121:                            ; =>This Inner Loop Header: Depth=1
	s_clause 0x1
	buffer_load_dword v111, v110, s[0:3], 0 offen
	buffer_load_dword v112, v110, s[0:3], 0 offen offset:4
	ds_read_b64 v[113:114], v109
	v_add_nc_u32_e32 v108, 1, v108
	v_add_nc_u32_e32 v109, 8, v109
	v_add_nc_u32_e32 v110, 8, v110
	v_cmp_lt_u32_e32 vcc_lo, 26, v108
	s_or_b32 s5, vcc_lo, s5
	s_waitcnt vmcnt(0) lgkmcnt(0)
	v_fma_f64 v[103:104], v[111:112], v[113:114], v[103:104]
	s_andn2_b32 exec_lo, exec_lo, s5
	s_cbranch_execnz .LBB114_121
; %bb.122:
	s_or_b32 exec_lo, exec_lo, s5
	v_mov_b32_e32 v108, 0
	ds_read_b64 v[108:109], v108 offset:224
	s_waitcnt lgkmcnt(0)
	v_mul_f64 v[103:104], v[103:104], v[108:109]
	buffer_store_dword v104, off, s[0:3], 0 offset:228
	buffer_store_dword v103, off, s[0:3], 0 offset:224
.LBB114_123:
	s_or_b32 exec_lo, exec_lo, s4
	s_waitcnt_vscnt null, 0x0
	s_barrier
	buffer_gl0_inv
	s_clause 0x1
	buffer_load_dword v103, off, s[0:3], 0 offset:232
	buffer_load_dword v104, off, s[0:3], 0 offset:236
	s_mov_b32 s4, exec_lo
	s_waitcnt vmcnt(0)
	ds_write_b64 v106, v[103:104]
	s_waitcnt lgkmcnt(0)
	s_barrier
	buffer_gl0_inv
	v_cmpx_gt_u32_e32 29, v0
	s_cbranch_execz .LBB114_127
; %bb.124:
	v_mov_b32_e32 v103, 0
	v_add_nc_u32_e32 v108, -1, v0
	v_add_nc_u32_e32 v109, 0x1a0, v105
	v_mov_b32_e32 v104, 0
	v_mov_b32_e32 v110, v105
	s_mov_b32 s5, 0
.LBB114_125:                            ; =>This Inner Loop Header: Depth=1
	s_clause 0x1
	buffer_load_dword v111, v110, s[0:3], 0 offen
	buffer_load_dword v112, v110, s[0:3], 0 offen offset:4
	ds_read_b64 v[113:114], v109
	v_add_nc_u32_e32 v108, 1, v108
	v_add_nc_u32_e32 v109, 8, v109
	v_add_nc_u32_e32 v110, 8, v110
	v_cmp_lt_u32_e32 vcc_lo, 27, v108
	s_or_b32 s5, vcc_lo, s5
	s_waitcnt vmcnt(0) lgkmcnt(0)
	v_fma_f64 v[103:104], v[111:112], v[113:114], v[103:104]
	s_andn2_b32 exec_lo, exec_lo, s5
	s_cbranch_execnz .LBB114_125
; %bb.126:
	s_or_b32 exec_lo, exec_lo, s5
	v_mov_b32_e32 v108, 0
	ds_read_b64 v[108:109], v108 offset:232
	s_waitcnt lgkmcnt(0)
	v_mul_f64 v[103:104], v[103:104], v[108:109]
	buffer_store_dword v104, off, s[0:3], 0 offset:236
	buffer_store_dword v103, off, s[0:3], 0 offset:232
.LBB114_127:
	s_or_b32 exec_lo, exec_lo, s4
	s_waitcnt_vscnt null, 0x0
	s_barrier
	buffer_gl0_inv
	s_clause 0x1
	buffer_load_dword v103, off, s[0:3], 0 offset:240
	buffer_load_dword v104, off, s[0:3], 0 offset:244
	s_mov_b32 s4, exec_lo
	s_waitcnt vmcnt(0)
	ds_write_b64 v106, v[103:104]
	s_waitcnt lgkmcnt(0)
	s_barrier
	buffer_gl0_inv
	v_cmpx_gt_u32_e32 30, v0
	s_cbranch_execz .LBB114_131
; %bb.128:
	v_mov_b32_e32 v103, 0
	v_add_nc_u32_e32 v108, -1, v0
	v_add_nc_u32_e32 v109, 0x1a0, v105
	v_mov_b32_e32 v104, 0
	v_mov_b32_e32 v110, v105
	s_mov_b32 s5, 0
.LBB114_129:                            ; =>This Inner Loop Header: Depth=1
	s_clause 0x1
	buffer_load_dword v111, v110, s[0:3], 0 offen
	buffer_load_dword v112, v110, s[0:3], 0 offen offset:4
	ds_read_b64 v[113:114], v109
	v_add_nc_u32_e32 v108, 1, v108
	v_add_nc_u32_e32 v109, 8, v109
	v_add_nc_u32_e32 v110, 8, v110
	v_cmp_lt_u32_e32 vcc_lo, 28, v108
	s_or_b32 s5, vcc_lo, s5
	s_waitcnt vmcnt(0) lgkmcnt(0)
	v_fma_f64 v[103:104], v[111:112], v[113:114], v[103:104]
	s_andn2_b32 exec_lo, exec_lo, s5
	s_cbranch_execnz .LBB114_129
; %bb.130:
	s_or_b32 exec_lo, exec_lo, s5
	v_mov_b32_e32 v108, 0
	ds_read_b64 v[108:109], v108 offset:240
	s_waitcnt lgkmcnt(0)
	v_mul_f64 v[103:104], v[103:104], v[108:109]
	buffer_store_dword v104, off, s[0:3], 0 offset:244
	buffer_store_dword v103, off, s[0:3], 0 offset:240
.LBB114_131:
	s_or_b32 exec_lo, exec_lo, s4
	s_waitcnt_vscnt null, 0x0
	s_barrier
	buffer_gl0_inv
	s_clause 0x1
	buffer_load_dword v103, off, s[0:3], 0 offset:248
	buffer_load_dword v104, off, s[0:3], 0 offset:252
	s_mov_b32 s4, exec_lo
	s_waitcnt vmcnt(0)
	ds_write_b64 v106, v[103:104]
	s_waitcnt lgkmcnt(0)
	s_barrier
	buffer_gl0_inv
	v_cmpx_gt_u32_e32 31, v0
	s_cbranch_execz .LBB114_135
; %bb.132:
	v_mov_b32_e32 v103, 0
	v_add_nc_u32_e32 v108, -1, v0
	v_add_nc_u32_e32 v109, 0x1a0, v105
	v_mov_b32_e32 v104, 0
	v_mov_b32_e32 v110, v105
	s_mov_b32 s5, 0
.LBB114_133:                            ; =>This Inner Loop Header: Depth=1
	s_clause 0x1
	buffer_load_dword v111, v110, s[0:3], 0 offen
	buffer_load_dword v112, v110, s[0:3], 0 offen offset:4
	ds_read_b64 v[113:114], v109
	v_add_nc_u32_e32 v108, 1, v108
	v_add_nc_u32_e32 v109, 8, v109
	v_add_nc_u32_e32 v110, 8, v110
	v_cmp_lt_u32_e32 vcc_lo, 29, v108
	s_or_b32 s5, vcc_lo, s5
	s_waitcnt vmcnt(0) lgkmcnt(0)
	v_fma_f64 v[103:104], v[111:112], v[113:114], v[103:104]
	s_andn2_b32 exec_lo, exec_lo, s5
	s_cbranch_execnz .LBB114_133
; %bb.134:
	s_or_b32 exec_lo, exec_lo, s5
	v_mov_b32_e32 v108, 0
	ds_read_b64 v[108:109], v108 offset:248
	s_waitcnt lgkmcnt(0)
	v_mul_f64 v[103:104], v[103:104], v[108:109]
	buffer_store_dword v104, off, s[0:3], 0 offset:252
	buffer_store_dword v103, off, s[0:3], 0 offset:248
.LBB114_135:
	s_or_b32 exec_lo, exec_lo, s4
	s_waitcnt_vscnt null, 0x0
	s_barrier
	buffer_gl0_inv
	s_clause 0x1
	buffer_load_dword v103, off, s[0:3], 0 offset:256
	buffer_load_dword v104, off, s[0:3], 0 offset:260
	s_mov_b32 s4, exec_lo
	s_waitcnt vmcnt(0)
	ds_write_b64 v106, v[103:104]
	s_waitcnt lgkmcnt(0)
	s_barrier
	buffer_gl0_inv
	v_cmpx_gt_u32_e32 32, v0
	s_cbranch_execz .LBB114_139
; %bb.136:
	v_mov_b32_e32 v103, 0
	v_add_nc_u32_e32 v108, -1, v0
	v_add_nc_u32_e32 v109, 0x1a0, v105
	v_mov_b32_e32 v104, 0
	v_mov_b32_e32 v110, v105
	s_mov_b32 s5, 0
.LBB114_137:                            ; =>This Inner Loop Header: Depth=1
	s_clause 0x1
	buffer_load_dword v111, v110, s[0:3], 0 offen
	buffer_load_dword v112, v110, s[0:3], 0 offen offset:4
	ds_read_b64 v[113:114], v109
	v_add_nc_u32_e32 v108, 1, v108
	v_add_nc_u32_e32 v109, 8, v109
	v_add_nc_u32_e32 v110, 8, v110
	v_cmp_lt_u32_e32 vcc_lo, 30, v108
	s_or_b32 s5, vcc_lo, s5
	s_waitcnt vmcnt(0) lgkmcnt(0)
	v_fma_f64 v[103:104], v[111:112], v[113:114], v[103:104]
	s_andn2_b32 exec_lo, exec_lo, s5
	s_cbranch_execnz .LBB114_137
; %bb.138:
	s_or_b32 exec_lo, exec_lo, s5
	v_mov_b32_e32 v108, 0
	ds_read_b64 v[108:109], v108 offset:256
	s_waitcnt lgkmcnt(0)
	v_mul_f64 v[103:104], v[103:104], v[108:109]
	buffer_store_dword v104, off, s[0:3], 0 offset:260
	buffer_store_dword v103, off, s[0:3], 0 offset:256
.LBB114_139:
	s_or_b32 exec_lo, exec_lo, s4
	s_waitcnt_vscnt null, 0x0
	s_barrier
	buffer_gl0_inv
	s_clause 0x1
	buffer_load_dword v103, off, s[0:3], 0 offset:264
	buffer_load_dword v104, off, s[0:3], 0 offset:268
	s_mov_b32 s4, exec_lo
	s_waitcnt vmcnt(0)
	ds_write_b64 v106, v[103:104]
	s_waitcnt lgkmcnt(0)
	s_barrier
	buffer_gl0_inv
	v_cmpx_gt_u32_e32 33, v0
	s_cbranch_execz .LBB114_143
; %bb.140:
	v_mov_b32_e32 v103, 0
	v_add_nc_u32_e32 v108, -1, v0
	v_add_nc_u32_e32 v109, 0x1a0, v105
	v_mov_b32_e32 v104, 0
	v_mov_b32_e32 v110, v105
	s_mov_b32 s5, 0
.LBB114_141:                            ; =>This Inner Loop Header: Depth=1
	s_clause 0x1
	buffer_load_dword v111, v110, s[0:3], 0 offen
	buffer_load_dword v112, v110, s[0:3], 0 offen offset:4
	ds_read_b64 v[113:114], v109
	v_add_nc_u32_e32 v108, 1, v108
	v_add_nc_u32_e32 v109, 8, v109
	v_add_nc_u32_e32 v110, 8, v110
	v_cmp_lt_u32_e32 vcc_lo, 31, v108
	s_or_b32 s5, vcc_lo, s5
	s_waitcnt vmcnt(0) lgkmcnt(0)
	v_fma_f64 v[103:104], v[111:112], v[113:114], v[103:104]
	s_andn2_b32 exec_lo, exec_lo, s5
	s_cbranch_execnz .LBB114_141
; %bb.142:
	s_or_b32 exec_lo, exec_lo, s5
	v_mov_b32_e32 v108, 0
	ds_read_b64 v[108:109], v108 offset:264
	s_waitcnt lgkmcnt(0)
	v_mul_f64 v[103:104], v[103:104], v[108:109]
	buffer_store_dword v104, off, s[0:3], 0 offset:268
	buffer_store_dword v103, off, s[0:3], 0 offset:264
.LBB114_143:
	s_or_b32 exec_lo, exec_lo, s4
	s_waitcnt_vscnt null, 0x0
	s_barrier
	buffer_gl0_inv
	s_clause 0x1
	buffer_load_dword v103, off, s[0:3], 0 offset:272
	buffer_load_dword v104, off, s[0:3], 0 offset:276
	s_mov_b32 s4, exec_lo
	s_waitcnt vmcnt(0)
	ds_write_b64 v106, v[103:104]
	s_waitcnt lgkmcnt(0)
	s_barrier
	buffer_gl0_inv
	v_cmpx_gt_u32_e32 34, v0
	s_cbranch_execz .LBB114_147
; %bb.144:
	v_mov_b32_e32 v103, 0
	v_add_nc_u32_e32 v108, -1, v0
	v_add_nc_u32_e32 v109, 0x1a0, v105
	v_mov_b32_e32 v104, 0
	v_mov_b32_e32 v110, v105
	s_mov_b32 s5, 0
.LBB114_145:                            ; =>This Inner Loop Header: Depth=1
	s_clause 0x1
	buffer_load_dword v111, v110, s[0:3], 0 offen
	buffer_load_dword v112, v110, s[0:3], 0 offen offset:4
	ds_read_b64 v[113:114], v109
	v_add_nc_u32_e32 v108, 1, v108
	v_add_nc_u32_e32 v109, 8, v109
	v_add_nc_u32_e32 v110, 8, v110
	v_cmp_lt_u32_e32 vcc_lo, 32, v108
	s_or_b32 s5, vcc_lo, s5
	s_waitcnt vmcnt(0) lgkmcnt(0)
	v_fma_f64 v[103:104], v[111:112], v[113:114], v[103:104]
	s_andn2_b32 exec_lo, exec_lo, s5
	s_cbranch_execnz .LBB114_145
; %bb.146:
	s_or_b32 exec_lo, exec_lo, s5
	v_mov_b32_e32 v108, 0
	ds_read_b64 v[108:109], v108 offset:272
	s_waitcnt lgkmcnt(0)
	v_mul_f64 v[103:104], v[103:104], v[108:109]
	buffer_store_dword v104, off, s[0:3], 0 offset:276
	buffer_store_dword v103, off, s[0:3], 0 offset:272
.LBB114_147:
	s_or_b32 exec_lo, exec_lo, s4
	s_waitcnt_vscnt null, 0x0
	s_barrier
	buffer_gl0_inv
	s_clause 0x1
	buffer_load_dword v103, off, s[0:3], 0 offset:280
	buffer_load_dword v104, off, s[0:3], 0 offset:284
	s_mov_b32 s4, exec_lo
	s_waitcnt vmcnt(0)
	ds_write_b64 v106, v[103:104]
	s_waitcnt lgkmcnt(0)
	s_barrier
	buffer_gl0_inv
	v_cmpx_gt_u32_e32 35, v0
	s_cbranch_execz .LBB114_151
; %bb.148:
	v_mov_b32_e32 v103, 0
	v_add_nc_u32_e32 v108, -1, v0
	v_add_nc_u32_e32 v109, 0x1a0, v105
	v_mov_b32_e32 v104, 0
	v_mov_b32_e32 v110, v105
	s_mov_b32 s5, 0
.LBB114_149:                            ; =>This Inner Loop Header: Depth=1
	s_clause 0x1
	buffer_load_dword v111, v110, s[0:3], 0 offen
	buffer_load_dword v112, v110, s[0:3], 0 offen offset:4
	ds_read_b64 v[113:114], v109
	v_add_nc_u32_e32 v108, 1, v108
	v_add_nc_u32_e32 v109, 8, v109
	v_add_nc_u32_e32 v110, 8, v110
	v_cmp_lt_u32_e32 vcc_lo, 33, v108
	s_or_b32 s5, vcc_lo, s5
	s_waitcnt vmcnt(0) lgkmcnt(0)
	v_fma_f64 v[103:104], v[111:112], v[113:114], v[103:104]
	s_andn2_b32 exec_lo, exec_lo, s5
	s_cbranch_execnz .LBB114_149
; %bb.150:
	s_or_b32 exec_lo, exec_lo, s5
	v_mov_b32_e32 v108, 0
	ds_read_b64 v[108:109], v108 offset:280
	s_waitcnt lgkmcnt(0)
	v_mul_f64 v[103:104], v[103:104], v[108:109]
	buffer_store_dword v104, off, s[0:3], 0 offset:284
	buffer_store_dword v103, off, s[0:3], 0 offset:280
.LBB114_151:
	s_or_b32 exec_lo, exec_lo, s4
	s_waitcnt_vscnt null, 0x0
	s_barrier
	buffer_gl0_inv
	s_clause 0x1
	buffer_load_dword v103, off, s[0:3], 0 offset:288
	buffer_load_dword v104, off, s[0:3], 0 offset:292
	s_mov_b32 s4, exec_lo
	s_waitcnt vmcnt(0)
	ds_write_b64 v106, v[103:104]
	s_waitcnt lgkmcnt(0)
	s_barrier
	buffer_gl0_inv
	v_cmpx_gt_u32_e32 36, v0
	s_cbranch_execz .LBB114_155
; %bb.152:
	v_mov_b32_e32 v103, 0
	v_add_nc_u32_e32 v108, -1, v0
	v_add_nc_u32_e32 v109, 0x1a0, v105
	v_mov_b32_e32 v104, 0
	v_mov_b32_e32 v110, v105
	s_mov_b32 s5, 0
.LBB114_153:                            ; =>This Inner Loop Header: Depth=1
	s_clause 0x1
	buffer_load_dword v111, v110, s[0:3], 0 offen
	buffer_load_dword v112, v110, s[0:3], 0 offen offset:4
	ds_read_b64 v[113:114], v109
	v_add_nc_u32_e32 v108, 1, v108
	v_add_nc_u32_e32 v109, 8, v109
	v_add_nc_u32_e32 v110, 8, v110
	v_cmp_lt_u32_e32 vcc_lo, 34, v108
	s_or_b32 s5, vcc_lo, s5
	s_waitcnt vmcnt(0) lgkmcnt(0)
	v_fma_f64 v[103:104], v[111:112], v[113:114], v[103:104]
	s_andn2_b32 exec_lo, exec_lo, s5
	s_cbranch_execnz .LBB114_153
; %bb.154:
	s_or_b32 exec_lo, exec_lo, s5
	v_mov_b32_e32 v108, 0
	ds_read_b64 v[108:109], v108 offset:288
	s_waitcnt lgkmcnt(0)
	v_mul_f64 v[103:104], v[103:104], v[108:109]
	buffer_store_dword v104, off, s[0:3], 0 offset:292
	buffer_store_dword v103, off, s[0:3], 0 offset:288
.LBB114_155:
	s_or_b32 exec_lo, exec_lo, s4
	s_waitcnt_vscnt null, 0x0
	s_barrier
	buffer_gl0_inv
	s_clause 0x1
	buffer_load_dword v103, off, s[0:3], 0 offset:296
	buffer_load_dword v104, off, s[0:3], 0 offset:300
	s_mov_b32 s4, exec_lo
	s_waitcnt vmcnt(0)
	ds_write_b64 v106, v[103:104]
	s_waitcnt lgkmcnt(0)
	s_barrier
	buffer_gl0_inv
	v_cmpx_gt_u32_e32 37, v0
	s_cbranch_execz .LBB114_159
; %bb.156:
	v_mov_b32_e32 v103, 0
	v_add_nc_u32_e32 v108, -1, v0
	v_add_nc_u32_e32 v109, 0x1a0, v105
	v_mov_b32_e32 v104, 0
	v_mov_b32_e32 v110, v105
	s_mov_b32 s5, 0
.LBB114_157:                            ; =>This Inner Loop Header: Depth=1
	s_clause 0x1
	buffer_load_dword v111, v110, s[0:3], 0 offen
	buffer_load_dword v112, v110, s[0:3], 0 offen offset:4
	ds_read_b64 v[113:114], v109
	v_add_nc_u32_e32 v108, 1, v108
	v_add_nc_u32_e32 v109, 8, v109
	v_add_nc_u32_e32 v110, 8, v110
	v_cmp_lt_u32_e32 vcc_lo, 35, v108
	s_or_b32 s5, vcc_lo, s5
	s_waitcnt vmcnt(0) lgkmcnt(0)
	v_fma_f64 v[103:104], v[111:112], v[113:114], v[103:104]
	s_andn2_b32 exec_lo, exec_lo, s5
	s_cbranch_execnz .LBB114_157
; %bb.158:
	s_or_b32 exec_lo, exec_lo, s5
	v_mov_b32_e32 v108, 0
	ds_read_b64 v[108:109], v108 offset:296
	s_waitcnt lgkmcnt(0)
	v_mul_f64 v[103:104], v[103:104], v[108:109]
	buffer_store_dword v104, off, s[0:3], 0 offset:300
	buffer_store_dword v103, off, s[0:3], 0 offset:296
.LBB114_159:
	s_or_b32 exec_lo, exec_lo, s4
	s_waitcnt_vscnt null, 0x0
	s_barrier
	buffer_gl0_inv
	s_clause 0x1
	buffer_load_dword v103, off, s[0:3], 0 offset:304
	buffer_load_dword v104, off, s[0:3], 0 offset:308
	s_mov_b32 s4, exec_lo
	s_waitcnt vmcnt(0)
	ds_write_b64 v106, v[103:104]
	s_waitcnt lgkmcnt(0)
	s_barrier
	buffer_gl0_inv
	v_cmpx_gt_u32_e32 38, v0
	s_cbranch_execz .LBB114_163
; %bb.160:
	v_mov_b32_e32 v103, 0
	v_add_nc_u32_e32 v108, -1, v0
	v_add_nc_u32_e32 v109, 0x1a0, v105
	v_mov_b32_e32 v104, 0
	v_mov_b32_e32 v110, v105
	s_mov_b32 s5, 0
.LBB114_161:                            ; =>This Inner Loop Header: Depth=1
	s_clause 0x1
	buffer_load_dword v111, v110, s[0:3], 0 offen
	buffer_load_dword v112, v110, s[0:3], 0 offen offset:4
	ds_read_b64 v[113:114], v109
	v_add_nc_u32_e32 v108, 1, v108
	v_add_nc_u32_e32 v109, 8, v109
	v_add_nc_u32_e32 v110, 8, v110
	v_cmp_lt_u32_e32 vcc_lo, 36, v108
	s_or_b32 s5, vcc_lo, s5
	s_waitcnt vmcnt(0) lgkmcnt(0)
	v_fma_f64 v[103:104], v[111:112], v[113:114], v[103:104]
	s_andn2_b32 exec_lo, exec_lo, s5
	s_cbranch_execnz .LBB114_161
; %bb.162:
	s_or_b32 exec_lo, exec_lo, s5
	v_mov_b32_e32 v108, 0
	ds_read_b64 v[108:109], v108 offset:304
	s_waitcnt lgkmcnt(0)
	v_mul_f64 v[103:104], v[103:104], v[108:109]
	buffer_store_dword v104, off, s[0:3], 0 offset:308
	buffer_store_dword v103, off, s[0:3], 0 offset:304
.LBB114_163:
	s_or_b32 exec_lo, exec_lo, s4
	s_waitcnt_vscnt null, 0x0
	s_barrier
	buffer_gl0_inv
	s_clause 0x1
	buffer_load_dword v103, off, s[0:3], 0 offset:312
	buffer_load_dword v104, off, s[0:3], 0 offset:316
	s_mov_b32 s4, exec_lo
	s_waitcnt vmcnt(0)
	ds_write_b64 v106, v[103:104]
	s_waitcnt lgkmcnt(0)
	s_barrier
	buffer_gl0_inv
	v_cmpx_gt_u32_e32 39, v0
	s_cbranch_execz .LBB114_167
; %bb.164:
	v_mov_b32_e32 v103, 0
	v_add_nc_u32_e32 v108, -1, v0
	v_add_nc_u32_e32 v109, 0x1a0, v105
	v_mov_b32_e32 v104, 0
	v_mov_b32_e32 v110, v105
	s_mov_b32 s5, 0
.LBB114_165:                            ; =>This Inner Loop Header: Depth=1
	s_clause 0x1
	buffer_load_dword v111, v110, s[0:3], 0 offen
	buffer_load_dword v112, v110, s[0:3], 0 offen offset:4
	ds_read_b64 v[113:114], v109
	v_add_nc_u32_e32 v108, 1, v108
	v_add_nc_u32_e32 v109, 8, v109
	v_add_nc_u32_e32 v110, 8, v110
	v_cmp_lt_u32_e32 vcc_lo, 37, v108
	s_or_b32 s5, vcc_lo, s5
	s_waitcnt vmcnt(0) lgkmcnt(0)
	v_fma_f64 v[103:104], v[111:112], v[113:114], v[103:104]
	s_andn2_b32 exec_lo, exec_lo, s5
	s_cbranch_execnz .LBB114_165
; %bb.166:
	s_or_b32 exec_lo, exec_lo, s5
	v_mov_b32_e32 v108, 0
	ds_read_b64 v[108:109], v108 offset:312
	s_waitcnt lgkmcnt(0)
	v_mul_f64 v[103:104], v[103:104], v[108:109]
	buffer_store_dword v104, off, s[0:3], 0 offset:316
	buffer_store_dword v103, off, s[0:3], 0 offset:312
.LBB114_167:
	s_or_b32 exec_lo, exec_lo, s4
	s_waitcnt_vscnt null, 0x0
	s_barrier
	buffer_gl0_inv
	s_clause 0x1
	buffer_load_dword v103, off, s[0:3], 0 offset:320
	buffer_load_dword v104, off, s[0:3], 0 offset:324
	s_mov_b32 s4, exec_lo
	s_waitcnt vmcnt(0)
	ds_write_b64 v106, v[103:104]
	s_waitcnt lgkmcnt(0)
	s_barrier
	buffer_gl0_inv
	v_cmpx_gt_u32_e32 40, v0
	s_cbranch_execz .LBB114_171
; %bb.168:
	v_mov_b32_e32 v103, 0
	v_add_nc_u32_e32 v108, -1, v0
	v_add_nc_u32_e32 v109, 0x1a0, v105
	v_mov_b32_e32 v104, 0
	v_mov_b32_e32 v110, v105
	s_mov_b32 s5, 0
.LBB114_169:                            ; =>This Inner Loop Header: Depth=1
	s_clause 0x1
	buffer_load_dword v111, v110, s[0:3], 0 offen
	buffer_load_dword v112, v110, s[0:3], 0 offen offset:4
	ds_read_b64 v[113:114], v109
	v_add_nc_u32_e32 v108, 1, v108
	v_add_nc_u32_e32 v109, 8, v109
	v_add_nc_u32_e32 v110, 8, v110
	v_cmp_lt_u32_e32 vcc_lo, 38, v108
	s_or_b32 s5, vcc_lo, s5
	s_waitcnt vmcnt(0) lgkmcnt(0)
	v_fma_f64 v[103:104], v[111:112], v[113:114], v[103:104]
	s_andn2_b32 exec_lo, exec_lo, s5
	s_cbranch_execnz .LBB114_169
; %bb.170:
	s_or_b32 exec_lo, exec_lo, s5
	v_mov_b32_e32 v108, 0
	ds_read_b64 v[108:109], v108 offset:320
	s_waitcnt lgkmcnt(0)
	v_mul_f64 v[103:104], v[103:104], v[108:109]
	buffer_store_dword v104, off, s[0:3], 0 offset:324
	buffer_store_dword v103, off, s[0:3], 0 offset:320
.LBB114_171:
	s_or_b32 exec_lo, exec_lo, s4
	s_waitcnt_vscnt null, 0x0
	s_barrier
	buffer_gl0_inv
	s_clause 0x1
	buffer_load_dword v103, off, s[0:3], 0 offset:328
	buffer_load_dword v104, off, s[0:3], 0 offset:332
	s_mov_b32 s4, exec_lo
	s_waitcnt vmcnt(0)
	ds_write_b64 v106, v[103:104]
	s_waitcnt lgkmcnt(0)
	s_barrier
	buffer_gl0_inv
	v_cmpx_gt_u32_e32 41, v0
	s_cbranch_execz .LBB114_175
; %bb.172:
	v_mov_b32_e32 v103, 0
	v_add_nc_u32_e32 v108, -1, v0
	v_add_nc_u32_e32 v109, 0x1a0, v105
	v_mov_b32_e32 v104, 0
	v_mov_b32_e32 v110, v105
	s_mov_b32 s5, 0
.LBB114_173:                            ; =>This Inner Loop Header: Depth=1
	s_clause 0x1
	buffer_load_dword v111, v110, s[0:3], 0 offen
	buffer_load_dword v112, v110, s[0:3], 0 offen offset:4
	ds_read_b64 v[113:114], v109
	v_add_nc_u32_e32 v108, 1, v108
	v_add_nc_u32_e32 v109, 8, v109
	v_add_nc_u32_e32 v110, 8, v110
	v_cmp_lt_u32_e32 vcc_lo, 39, v108
	s_or_b32 s5, vcc_lo, s5
	s_waitcnt vmcnt(0) lgkmcnt(0)
	v_fma_f64 v[103:104], v[111:112], v[113:114], v[103:104]
	s_andn2_b32 exec_lo, exec_lo, s5
	s_cbranch_execnz .LBB114_173
; %bb.174:
	s_or_b32 exec_lo, exec_lo, s5
	v_mov_b32_e32 v108, 0
	ds_read_b64 v[108:109], v108 offset:328
	s_waitcnt lgkmcnt(0)
	v_mul_f64 v[103:104], v[103:104], v[108:109]
	buffer_store_dword v104, off, s[0:3], 0 offset:332
	buffer_store_dword v103, off, s[0:3], 0 offset:328
.LBB114_175:
	s_or_b32 exec_lo, exec_lo, s4
	s_waitcnt_vscnt null, 0x0
	s_barrier
	buffer_gl0_inv
	s_clause 0x1
	buffer_load_dword v103, off, s[0:3], 0 offset:336
	buffer_load_dword v104, off, s[0:3], 0 offset:340
	s_mov_b32 s4, exec_lo
	s_waitcnt vmcnt(0)
	ds_write_b64 v106, v[103:104]
	s_waitcnt lgkmcnt(0)
	s_barrier
	buffer_gl0_inv
	v_cmpx_gt_u32_e32 42, v0
	s_cbranch_execz .LBB114_179
; %bb.176:
	v_mov_b32_e32 v103, 0
	v_add_nc_u32_e32 v108, -1, v0
	v_add_nc_u32_e32 v109, 0x1a0, v105
	v_mov_b32_e32 v104, 0
	v_mov_b32_e32 v110, v105
	s_mov_b32 s5, 0
.LBB114_177:                            ; =>This Inner Loop Header: Depth=1
	s_clause 0x1
	buffer_load_dword v111, v110, s[0:3], 0 offen
	buffer_load_dword v112, v110, s[0:3], 0 offen offset:4
	ds_read_b64 v[113:114], v109
	v_add_nc_u32_e32 v108, 1, v108
	v_add_nc_u32_e32 v109, 8, v109
	v_add_nc_u32_e32 v110, 8, v110
	v_cmp_lt_u32_e32 vcc_lo, 40, v108
	s_or_b32 s5, vcc_lo, s5
	s_waitcnt vmcnt(0) lgkmcnt(0)
	v_fma_f64 v[103:104], v[111:112], v[113:114], v[103:104]
	s_andn2_b32 exec_lo, exec_lo, s5
	s_cbranch_execnz .LBB114_177
; %bb.178:
	s_or_b32 exec_lo, exec_lo, s5
	v_mov_b32_e32 v108, 0
	ds_read_b64 v[108:109], v108 offset:336
	s_waitcnt lgkmcnt(0)
	v_mul_f64 v[103:104], v[103:104], v[108:109]
	buffer_store_dword v104, off, s[0:3], 0 offset:340
	buffer_store_dword v103, off, s[0:3], 0 offset:336
.LBB114_179:
	s_or_b32 exec_lo, exec_lo, s4
	s_waitcnt_vscnt null, 0x0
	s_barrier
	buffer_gl0_inv
	s_clause 0x1
	buffer_load_dword v103, off, s[0:3], 0 offset:344
	buffer_load_dword v104, off, s[0:3], 0 offset:348
	s_mov_b32 s4, exec_lo
	s_waitcnt vmcnt(0)
	ds_write_b64 v106, v[103:104]
	s_waitcnt lgkmcnt(0)
	s_barrier
	buffer_gl0_inv
	v_cmpx_gt_u32_e32 43, v0
	s_cbranch_execz .LBB114_183
; %bb.180:
	v_mov_b32_e32 v103, 0
	v_add_nc_u32_e32 v108, -1, v0
	v_add_nc_u32_e32 v109, 0x1a0, v105
	v_mov_b32_e32 v104, 0
	v_mov_b32_e32 v110, v105
	s_mov_b32 s5, 0
.LBB114_181:                            ; =>This Inner Loop Header: Depth=1
	s_clause 0x1
	buffer_load_dword v111, v110, s[0:3], 0 offen
	buffer_load_dword v112, v110, s[0:3], 0 offen offset:4
	ds_read_b64 v[113:114], v109
	v_add_nc_u32_e32 v108, 1, v108
	v_add_nc_u32_e32 v109, 8, v109
	v_add_nc_u32_e32 v110, 8, v110
	v_cmp_lt_u32_e32 vcc_lo, 41, v108
	s_or_b32 s5, vcc_lo, s5
	s_waitcnt vmcnt(0) lgkmcnt(0)
	v_fma_f64 v[103:104], v[111:112], v[113:114], v[103:104]
	s_andn2_b32 exec_lo, exec_lo, s5
	s_cbranch_execnz .LBB114_181
; %bb.182:
	s_or_b32 exec_lo, exec_lo, s5
	v_mov_b32_e32 v108, 0
	ds_read_b64 v[108:109], v108 offset:344
	s_waitcnt lgkmcnt(0)
	v_mul_f64 v[103:104], v[103:104], v[108:109]
	buffer_store_dword v104, off, s[0:3], 0 offset:348
	buffer_store_dword v103, off, s[0:3], 0 offset:344
.LBB114_183:
	s_or_b32 exec_lo, exec_lo, s4
	s_waitcnt_vscnt null, 0x0
	s_barrier
	buffer_gl0_inv
	s_clause 0x1
	buffer_load_dword v103, off, s[0:3], 0 offset:352
	buffer_load_dword v104, off, s[0:3], 0 offset:356
	s_mov_b32 s4, exec_lo
	s_waitcnt vmcnt(0)
	ds_write_b64 v106, v[103:104]
	s_waitcnt lgkmcnt(0)
	s_barrier
	buffer_gl0_inv
	v_cmpx_gt_u32_e32 44, v0
	s_cbranch_execz .LBB114_187
; %bb.184:
	v_mov_b32_e32 v103, 0
	v_add_nc_u32_e32 v108, -1, v0
	v_add_nc_u32_e32 v109, 0x1a0, v105
	v_mov_b32_e32 v104, 0
	v_mov_b32_e32 v110, v105
	s_mov_b32 s5, 0
.LBB114_185:                            ; =>This Inner Loop Header: Depth=1
	s_clause 0x1
	buffer_load_dword v111, v110, s[0:3], 0 offen
	buffer_load_dword v112, v110, s[0:3], 0 offen offset:4
	ds_read_b64 v[113:114], v109
	v_add_nc_u32_e32 v108, 1, v108
	v_add_nc_u32_e32 v109, 8, v109
	v_add_nc_u32_e32 v110, 8, v110
	v_cmp_lt_u32_e32 vcc_lo, 42, v108
	s_or_b32 s5, vcc_lo, s5
	s_waitcnt vmcnt(0) lgkmcnt(0)
	v_fma_f64 v[103:104], v[111:112], v[113:114], v[103:104]
	s_andn2_b32 exec_lo, exec_lo, s5
	s_cbranch_execnz .LBB114_185
; %bb.186:
	s_or_b32 exec_lo, exec_lo, s5
	v_mov_b32_e32 v108, 0
	ds_read_b64 v[108:109], v108 offset:352
	s_waitcnt lgkmcnt(0)
	v_mul_f64 v[103:104], v[103:104], v[108:109]
	buffer_store_dword v104, off, s[0:3], 0 offset:356
	buffer_store_dword v103, off, s[0:3], 0 offset:352
.LBB114_187:
	s_or_b32 exec_lo, exec_lo, s4
	s_waitcnt_vscnt null, 0x0
	s_barrier
	buffer_gl0_inv
	s_clause 0x1
	buffer_load_dword v103, off, s[0:3], 0 offset:360
	buffer_load_dword v104, off, s[0:3], 0 offset:364
	s_mov_b32 s4, exec_lo
	s_waitcnt vmcnt(0)
	ds_write_b64 v106, v[103:104]
	s_waitcnt lgkmcnt(0)
	s_barrier
	buffer_gl0_inv
	v_cmpx_gt_u32_e32 45, v0
	s_cbranch_execz .LBB114_191
; %bb.188:
	v_mov_b32_e32 v103, 0
	v_add_nc_u32_e32 v108, -1, v0
	v_add_nc_u32_e32 v109, 0x1a0, v105
	v_mov_b32_e32 v104, 0
	v_mov_b32_e32 v110, v105
	s_mov_b32 s5, 0
.LBB114_189:                            ; =>This Inner Loop Header: Depth=1
	s_clause 0x1
	buffer_load_dword v111, v110, s[0:3], 0 offen
	buffer_load_dword v112, v110, s[0:3], 0 offen offset:4
	ds_read_b64 v[113:114], v109
	v_add_nc_u32_e32 v108, 1, v108
	v_add_nc_u32_e32 v109, 8, v109
	v_add_nc_u32_e32 v110, 8, v110
	v_cmp_lt_u32_e32 vcc_lo, 43, v108
	s_or_b32 s5, vcc_lo, s5
	s_waitcnt vmcnt(0) lgkmcnt(0)
	v_fma_f64 v[103:104], v[111:112], v[113:114], v[103:104]
	s_andn2_b32 exec_lo, exec_lo, s5
	s_cbranch_execnz .LBB114_189
; %bb.190:
	s_or_b32 exec_lo, exec_lo, s5
	v_mov_b32_e32 v108, 0
	ds_read_b64 v[108:109], v108 offset:360
	s_waitcnt lgkmcnt(0)
	v_mul_f64 v[103:104], v[103:104], v[108:109]
	buffer_store_dword v104, off, s[0:3], 0 offset:364
	buffer_store_dword v103, off, s[0:3], 0 offset:360
.LBB114_191:
	s_or_b32 exec_lo, exec_lo, s4
	s_waitcnt_vscnt null, 0x0
	s_barrier
	buffer_gl0_inv
	s_clause 0x1
	buffer_load_dword v103, off, s[0:3], 0 offset:368
	buffer_load_dword v104, off, s[0:3], 0 offset:372
	s_mov_b32 s4, exec_lo
	s_waitcnt vmcnt(0)
	ds_write_b64 v106, v[103:104]
	s_waitcnt lgkmcnt(0)
	s_barrier
	buffer_gl0_inv
	v_cmpx_gt_u32_e32 46, v0
	s_cbranch_execz .LBB114_195
; %bb.192:
	v_mov_b32_e32 v103, 0
	v_add_nc_u32_e32 v108, -1, v0
	v_add_nc_u32_e32 v109, 0x1a0, v105
	v_mov_b32_e32 v104, 0
	v_mov_b32_e32 v110, v105
	s_mov_b32 s5, 0
.LBB114_193:                            ; =>This Inner Loop Header: Depth=1
	s_clause 0x1
	buffer_load_dword v111, v110, s[0:3], 0 offen
	buffer_load_dword v112, v110, s[0:3], 0 offen offset:4
	ds_read_b64 v[113:114], v109
	v_add_nc_u32_e32 v108, 1, v108
	v_add_nc_u32_e32 v109, 8, v109
	v_add_nc_u32_e32 v110, 8, v110
	v_cmp_lt_u32_e32 vcc_lo, 44, v108
	s_or_b32 s5, vcc_lo, s5
	s_waitcnt vmcnt(0) lgkmcnt(0)
	v_fma_f64 v[103:104], v[111:112], v[113:114], v[103:104]
	s_andn2_b32 exec_lo, exec_lo, s5
	s_cbranch_execnz .LBB114_193
; %bb.194:
	s_or_b32 exec_lo, exec_lo, s5
	v_mov_b32_e32 v108, 0
	ds_read_b64 v[108:109], v108 offset:368
	s_waitcnt lgkmcnt(0)
	v_mul_f64 v[103:104], v[103:104], v[108:109]
	buffer_store_dword v104, off, s[0:3], 0 offset:372
	buffer_store_dword v103, off, s[0:3], 0 offset:368
.LBB114_195:
	s_or_b32 exec_lo, exec_lo, s4
	s_waitcnt_vscnt null, 0x0
	s_barrier
	buffer_gl0_inv
	s_clause 0x1
	buffer_load_dword v103, off, s[0:3], 0 offset:376
	buffer_load_dword v104, off, s[0:3], 0 offset:380
	s_mov_b32 s4, exec_lo
	s_waitcnt vmcnt(0)
	ds_write_b64 v106, v[103:104]
	s_waitcnt lgkmcnt(0)
	s_barrier
	buffer_gl0_inv
	v_cmpx_gt_u32_e32 47, v0
	s_cbranch_execz .LBB114_199
; %bb.196:
	v_mov_b32_e32 v103, 0
	v_add_nc_u32_e32 v108, -1, v0
	v_add_nc_u32_e32 v109, 0x1a0, v105
	v_mov_b32_e32 v104, 0
	v_mov_b32_e32 v110, v105
	s_mov_b32 s5, 0
.LBB114_197:                            ; =>This Inner Loop Header: Depth=1
	s_clause 0x1
	buffer_load_dword v111, v110, s[0:3], 0 offen
	buffer_load_dword v112, v110, s[0:3], 0 offen offset:4
	ds_read_b64 v[113:114], v109
	v_add_nc_u32_e32 v108, 1, v108
	v_add_nc_u32_e32 v109, 8, v109
	v_add_nc_u32_e32 v110, 8, v110
	v_cmp_lt_u32_e32 vcc_lo, 45, v108
	s_or_b32 s5, vcc_lo, s5
	s_waitcnt vmcnt(0) lgkmcnt(0)
	v_fma_f64 v[103:104], v[111:112], v[113:114], v[103:104]
	s_andn2_b32 exec_lo, exec_lo, s5
	s_cbranch_execnz .LBB114_197
; %bb.198:
	s_or_b32 exec_lo, exec_lo, s5
	v_mov_b32_e32 v108, 0
	ds_read_b64 v[108:109], v108 offset:376
	s_waitcnt lgkmcnt(0)
	v_mul_f64 v[103:104], v[103:104], v[108:109]
	buffer_store_dword v104, off, s[0:3], 0 offset:380
	buffer_store_dword v103, off, s[0:3], 0 offset:376
.LBB114_199:
	s_or_b32 exec_lo, exec_lo, s4
	s_waitcnt_vscnt null, 0x0
	s_barrier
	buffer_gl0_inv
	s_clause 0x1
	buffer_load_dword v103, off, s[0:3], 0 offset:384
	buffer_load_dword v104, off, s[0:3], 0 offset:388
	s_mov_b32 s4, exec_lo
	s_waitcnt vmcnt(0)
	ds_write_b64 v106, v[103:104]
	s_waitcnt lgkmcnt(0)
	s_barrier
	buffer_gl0_inv
	v_cmpx_gt_u32_e32 48, v0
	s_cbranch_execz .LBB114_203
; %bb.200:
	v_mov_b32_e32 v103, 0
	v_add_nc_u32_e32 v108, -1, v0
	v_add_nc_u32_e32 v109, 0x1a0, v105
	v_mov_b32_e32 v104, 0
	v_mov_b32_e32 v110, v105
	s_mov_b32 s5, 0
.LBB114_201:                            ; =>This Inner Loop Header: Depth=1
	s_clause 0x1
	buffer_load_dword v111, v110, s[0:3], 0 offen
	buffer_load_dword v112, v110, s[0:3], 0 offen offset:4
	ds_read_b64 v[113:114], v109
	v_add_nc_u32_e32 v108, 1, v108
	v_add_nc_u32_e32 v109, 8, v109
	v_add_nc_u32_e32 v110, 8, v110
	v_cmp_lt_u32_e32 vcc_lo, 46, v108
	s_or_b32 s5, vcc_lo, s5
	s_waitcnt vmcnt(0) lgkmcnt(0)
	v_fma_f64 v[103:104], v[111:112], v[113:114], v[103:104]
	s_andn2_b32 exec_lo, exec_lo, s5
	s_cbranch_execnz .LBB114_201
; %bb.202:
	s_or_b32 exec_lo, exec_lo, s5
	v_mov_b32_e32 v108, 0
	ds_read_b64 v[108:109], v108 offset:384
	s_waitcnt lgkmcnt(0)
	v_mul_f64 v[103:104], v[103:104], v[108:109]
	buffer_store_dword v104, off, s[0:3], 0 offset:388
	buffer_store_dword v103, off, s[0:3], 0 offset:384
.LBB114_203:
	s_or_b32 exec_lo, exec_lo, s4
	s_waitcnt_vscnt null, 0x0
	s_barrier
	buffer_gl0_inv
	s_clause 0x1
	buffer_load_dword v103, off, s[0:3], 0 offset:392
	buffer_load_dword v104, off, s[0:3], 0 offset:396
	s_mov_b32 s4, exec_lo
	s_waitcnt vmcnt(0)
	ds_write_b64 v106, v[103:104]
	s_waitcnt lgkmcnt(0)
	s_barrier
	buffer_gl0_inv
	v_cmpx_gt_u32_e32 49, v0
	s_cbranch_execz .LBB114_207
; %bb.204:
	v_mov_b32_e32 v103, 0
	v_add_nc_u32_e32 v108, -1, v0
	v_add_nc_u32_e32 v109, 0x1a0, v105
	v_mov_b32_e32 v104, 0
	v_mov_b32_e32 v110, v105
	s_mov_b32 s5, 0
.LBB114_205:                            ; =>This Inner Loop Header: Depth=1
	s_clause 0x1
	buffer_load_dword v111, v110, s[0:3], 0 offen
	buffer_load_dword v112, v110, s[0:3], 0 offen offset:4
	ds_read_b64 v[113:114], v109
	v_add_nc_u32_e32 v108, 1, v108
	v_add_nc_u32_e32 v109, 8, v109
	v_add_nc_u32_e32 v110, 8, v110
	v_cmp_lt_u32_e32 vcc_lo, 47, v108
	s_or_b32 s5, vcc_lo, s5
	s_waitcnt vmcnt(0) lgkmcnt(0)
	v_fma_f64 v[103:104], v[111:112], v[113:114], v[103:104]
	s_andn2_b32 exec_lo, exec_lo, s5
	s_cbranch_execnz .LBB114_205
; %bb.206:
	s_or_b32 exec_lo, exec_lo, s5
	v_mov_b32_e32 v108, 0
	ds_read_b64 v[108:109], v108 offset:392
	s_waitcnt lgkmcnt(0)
	v_mul_f64 v[103:104], v[103:104], v[108:109]
	buffer_store_dword v104, off, s[0:3], 0 offset:396
	buffer_store_dword v103, off, s[0:3], 0 offset:392
.LBB114_207:
	s_or_b32 exec_lo, exec_lo, s4
	s_waitcnt_vscnt null, 0x0
	s_barrier
	buffer_gl0_inv
	s_clause 0x1
	buffer_load_dword v103, off, s[0:3], 0 offset:400
	buffer_load_dword v104, off, s[0:3], 0 offset:404
	s_mov_b32 s4, exec_lo
	s_waitcnt vmcnt(0)
	ds_write_b64 v106, v[103:104]
	s_waitcnt lgkmcnt(0)
	s_barrier
	buffer_gl0_inv
	v_cmpx_ne_u32_e32 50, v0
	s_cbranch_execz .LBB114_211
; %bb.208:
	v_mov_b32_e32 v103, 0
	v_mov_b32_e32 v104, 0
	s_mov_b32 s5, 0
.LBB114_209:                            ; =>This Inner Loop Header: Depth=1
	s_clause 0x1
	buffer_load_dword v108, v105, s[0:3], 0 offen
	buffer_load_dword v109, v105, s[0:3], 0 offen offset:4
	ds_read_b64 v[110:111], v106
	v_add_nc_u32_e32 v107, 1, v107
	v_add_nc_u32_e32 v106, 8, v106
	;; [unrolled: 1-line block ×3, first 2 shown]
	v_cmp_lt_u32_e32 vcc_lo, 48, v107
	s_or_b32 s5, vcc_lo, s5
	s_waitcnt vmcnt(0) lgkmcnt(0)
	v_fma_f64 v[103:104], v[108:109], v[110:111], v[103:104]
	s_andn2_b32 exec_lo, exec_lo, s5
	s_cbranch_execnz .LBB114_209
; %bb.210:
	s_or_b32 exec_lo, exec_lo, s5
	v_mov_b32_e32 v105, 0
	ds_read_b64 v[105:106], v105 offset:400
	s_waitcnt lgkmcnt(0)
	v_mul_f64 v[103:104], v[103:104], v[105:106]
	buffer_store_dword v104, off, s[0:3], 0 offset:404
	buffer_store_dword v103, off, s[0:3], 0 offset:400
.LBB114_211:
	s_or_b32 exec_lo, exec_lo, s4
	s_mov_b32 s5, -1
	s_waitcnt_vscnt null, 0x0
	s_barrier
	buffer_gl0_inv
.LBB114_212:
	s_and_b32 vcc_lo, exec_lo, s5
	s_cbranch_vccz .LBB114_214
; %bb.213:
	s_lshl_b64 s[4:5], s[6:7], 2
	v_mov_b32_e32 v103, 0
	s_add_u32 s4, s10, s4
	s_addc_u32 s5, s11, s5
	global_load_dword v103, v103, s[4:5]
	s_waitcnt vmcnt(0)
	v_cmp_ne_u32_e32 vcc_lo, 0, v103
	s_cbranch_vccz .LBB114_215
.LBB114_214:
	s_endpgm
.LBB114_215:
	v_lshl_add_u32 v103, v0, 3, 0x1a0
	s_mov_b32 s4, exec_lo
	v_cmpx_eq_u32_e32 50, v0
	s_cbranch_execz .LBB114_217
; %bb.216:
	s_clause 0x1
	buffer_load_dword v104, off, s[0:3], 0 offset:392
	buffer_load_dword v105, off, s[0:3], 0 offset:396
	v_mov_b32_e32 v106, 0
	buffer_store_dword v106, off, s[0:3], 0 offset:392
	buffer_store_dword v106, off, s[0:3], 0 offset:396
	s_waitcnt vmcnt(0)
	ds_write_b64 v103, v[104:105]
.LBB114_217:
	s_or_b32 exec_lo, exec_lo, s4
	s_waitcnt lgkmcnt(0)
	s_waitcnt_vscnt null, 0x0
	s_barrier
	buffer_gl0_inv
	s_clause 0x3
	buffer_load_dword v105, off, s[0:3], 0 offset:400
	buffer_load_dword v106, off, s[0:3], 0 offset:404
	;; [unrolled: 1-line block ×4, first 2 shown]
	v_mov_b32_e32 v104, 0
	s_mov_b32 s4, exec_lo
	ds_read_b64 v[109:110], v104 offset:816
	s_waitcnt vmcnt(2) lgkmcnt(0)
	v_fma_f64 v[105:106], v[105:106], v[109:110], 0
	s_waitcnt vmcnt(0)
	v_add_f64 v[105:106], v[107:108], -v[105:106]
	buffer_store_dword v105, off, s[0:3], 0 offset:392
	buffer_store_dword v106, off, s[0:3], 0 offset:396
	v_cmpx_lt_u32_e32 48, v0
	s_cbranch_execz .LBB114_219
; %bb.218:
	s_clause 0x1
	buffer_load_dword v105, off, s[0:3], 0 offset:384
	buffer_load_dword v106, off, s[0:3], 0 offset:388
	buffer_store_dword v104, off, s[0:3], 0 offset:384
	buffer_store_dword v104, off, s[0:3], 0 offset:388
	s_waitcnt vmcnt(0)
	ds_write_b64 v103, v[105:106]
.LBB114_219:
	s_or_b32 exec_lo, exec_lo, s4
	s_waitcnt lgkmcnt(0)
	s_waitcnt_vscnt null, 0x0
	s_barrier
	buffer_gl0_inv
	s_clause 0x5
	buffer_load_dword v108, off, s[0:3], 0 offset:392
	buffer_load_dword v109, off, s[0:3], 0 offset:396
	;; [unrolled: 1-line block ×6, first 2 shown]
	ds_read2_b64 v[104:107], v104 offset0:101 offset1:102
	s_mov_b32 s4, exec_lo
	s_waitcnt vmcnt(4) lgkmcnt(0)
	v_fma_f64 v[104:105], v[108:109], v[104:105], 0
	s_waitcnt vmcnt(2)
	v_fma_f64 v[104:105], v[110:111], v[106:107], v[104:105]
	s_waitcnt vmcnt(0)
	v_add_f64 v[104:105], v[112:113], -v[104:105]
	buffer_store_dword v104, off, s[0:3], 0 offset:384
	buffer_store_dword v105, off, s[0:3], 0 offset:388
	v_cmpx_lt_u32_e32 47, v0
	s_cbranch_execz .LBB114_221
; %bb.220:
	s_clause 0x1
	buffer_load_dword v104, off, s[0:3], 0 offset:376
	buffer_load_dword v105, off, s[0:3], 0 offset:380
	v_mov_b32_e32 v106, 0
	buffer_store_dword v106, off, s[0:3], 0 offset:376
	buffer_store_dword v106, off, s[0:3], 0 offset:380
	s_waitcnt vmcnt(0)
	ds_write_b64 v103, v[104:105]
.LBB114_221:
	s_or_b32 exec_lo, exec_lo, s4
	s_waitcnt lgkmcnt(0)
	s_waitcnt_vscnt null, 0x0
	s_barrier
	buffer_gl0_inv
	s_clause 0x7
	buffer_load_dword v109, off, s[0:3], 0 offset:384
	buffer_load_dword v110, off, s[0:3], 0 offset:388
	buffer_load_dword v111, off, s[0:3], 0 offset:392
	buffer_load_dword v112, off, s[0:3], 0 offset:396
	buffer_load_dword v113, off, s[0:3], 0 offset:400
	buffer_load_dword v114, off, s[0:3], 0 offset:404
	buffer_load_dword v115, off, s[0:3], 0 offset:376
	buffer_load_dword v116, off, s[0:3], 0 offset:380
	v_mov_b32_e32 v104, 0
	ds_read_b128 v[105:108], v104 offset:800
	ds_read_b64 v[117:118], v104 offset:816
	s_mov_b32 s4, exec_lo
	s_waitcnt vmcnt(6) lgkmcnt(1)
	v_fma_f64 v[105:106], v[109:110], v[105:106], 0
	s_waitcnt vmcnt(4)
	v_fma_f64 v[105:106], v[111:112], v[107:108], v[105:106]
	s_waitcnt vmcnt(2) lgkmcnt(0)
	v_fma_f64 v[105:106], v[113:114], v[117:118], v[105:106]
	s_waitcnt vmcnt(0)
	v_add_f64 v[105:106], v[115:116], -v[105:106]
	buffer_store_dword v105, off, s[0:3], 0 offset:376
	buffer_store_dword v106, off, s[0:3], 0 offset:380
	v_cmpx_lt_u32_e32 46, v0
	s_cbranch_execz .LBB114_223
; %bb.222:
	s_clause 0x1
	buffer_load_dword v105, off, s[0:3], 0 offset:368
	buffer_load_dword v106, off, s[0:3], 0 offset:372
	buffer_store_dword v104, off, s[0:3], 0 offset:368
	buffer_store_dword v104, off, s[0:3], 0 offset:372
	s_waitcnt vmcnt(0)
	ds_write_b64 v103, v[105:106]
.LBB114_223:
	s_or_b32 exec_lo, exec_lo, s4
	s_waitcnt lgkmcnt(0)
	s_waitcnt_vscnt null, 0x0
	s_barrier
	buffer_gl0_inv
	s_clause 0x9
	buffer_load_dword v113, off, s[0:3], 0 offset:376
	buffer_load_dword v114, off, s[0:3], 0 offset:380
	;; [unrolled: 1-line block ×10, first 2 shown]
	ds_read2_b64 v[105:108], v104 offset0:99 offset1:100
	ds_read2_b64 v[109:112], v104 offset0:101 offset1:102
	s_mov_b32 s4, exec_lo
	s_waitcnt vmcnt(8) lgkmcnt(1)
	v_fma_f64 v[104:105], v[113:114], v[105:106], 0
	s_waitcnt vmcnt(6)
	v_fma_f64 v[104:105], v[115:116], v[107:108], v[104:105]
	s_waitcnt vmcnt(4) lgkmcnt(0)
	v_fma_f64 v[104:105], v[117:118], v[109:110], v[104:105]
	s_waitcnt vmcnt(2)
	v_fma_f64 v[104:105], v[119:120], v[111:112], v[104:105]
	s_waitcnt vmcnt(0)
	v_add_f64 v[104:105], v[121:122], -v[104:105]
	buffer_store_dword v104, off, s[0:3], 0 offset:368
	buffer_store_dword v105, off, s[0:3], 0 offset:372
	v_cmpx_lt_u32_e32 45, v0
	s_cbranch_execz .LBB114_225
; %bb.224:
	s_clause 0x1
	buffer_load_dword v104, off, s[0:3], 0 offset:360
	buffer_load_dword v105, off, s[0:3], 0 offset:364
	v_mov_b32_e32 v106, 0
	buffer_store_dword v106, off, s[0:3], 0 offset:360
	buffer_store_dword v106, off, s[0:3], 0 offset:364
	s_waitcnt vmcnt(0)
	ds_write_b64 v103, v[104:105]
.LBB114_225:
	s_or_b32 exec_lo, exec_lo, s4
	s_waitcnt lgkmcnt(0)
	s_waitcnt_vscnt null, 0x0
	s_barrier
	buffer_gl0_inv
	s_clause 0xb
	buffer_load_dword v113, off, s[0:3], 0 offset:368
	buffer_load_dword v114, off, s[0:3], 0 offset:372
	;; [unrolled: 1-line block ×12, first 2 shown]
	v_mov_b32_e32 v104, 0
	ds_read_b128 v[105:108], v104 offset:784
	ds_read_b128 v[109:112], v104 offset:800
	s_mov_b32 s4, exec_lo
	s_waitcnt vmcnt(10) lgkmcnt(1)
	v_fma_f64 v[105:106], v[113:114], v[105:106], 0
	s_waitcnt vmcnt(8)
	v_fma_f64 v[105:106], v[115:116], v[107:108], v[105:106]
	ds_read_b64 v[107:108], v104 offset:816
	s_waitcnt vmcnt(6) lgkmcnt(1)
	v_fma_f64 v[105:106], v[117:118], v[109:110], v[105:106]
	s_waitcnt vmcnt(4)
	v_fma_f64 v[105:106], v[119:120], v[111:112], v[105:106]
	s_waitcnt vmcnt(2) lgkmcnt(0)
	v_fma_f64 v[105:106], v[121:122], v[107:108], v[105:106]
	s_waitcnt vmcnt(0)
	v_add_f64 v[105:106], v[123:124], -v[105:106]
	buffer_store_dword v105, off, s[0:3], 0 offset:360
	buffer_store_dword v106, off, s[0:3], 0 offset:364
	v_cmpx_lt_u32_e32 44, v0
	s_cbranch_execz .LBB114_227
; %bb.226:
	s_clause 0x1
	buffer_load_dword v105, off, s[0:3], 0 offset:352
	buffer_load_dword v106, off, s[0:3], 0 offset:356
	buffer_store_dword v104, off, s[0:3], 0 offset:352
	buffer_store_dword v104, off, s[0:3], 0 offset:356
	s_waitcnt vmcnt(0)
	ds_write_b64 v103, v[105:106]
.LBB114_227:
	s_or_b32 exec_lo, exec_lo, s4
	s_waitcnt lgkmcnt(0)
	s_waitcnt_vscnt null, 0x0
	s_barrier
	buffer_gl0_inv
	s_clause 0xd
	buffer_load_dword v113, off, s[0:3], 0 offset:360
	buffer_load_dword v114, off, s[0:3], 0 offset:364
	;; [unrolled: 1-line block ×14, first 2 shown]
	ds_read2_b64 v[105:108], v104 offset0:97 offset1:98
	ds_read2_b64 v[109:112], v104 offset0:99 offset1:100
	s_mov_b32 s4, exec_lo
	s_waitcnt vmcnt(12) lgkmcnt(1)
	v_fma_f64 v[105:106], v[113:114], v[105:106], 0
	s_waitcnt vmcnt(10)
	v_fma_f64 v[105:106], v[115:116], v[107:108], v[105:106]
	s_waitcnt vmcnt(8) lgkmcnt(0)
	v_fma_f64 v[105:106], v[117:118], v[109:110], v[105:106]
	s_waitcnt vmcnt(6)
	v_fma_f64 v[108:109], v[119:120], v[111:112], v[105:106]
	ds_read2_b64 v[104:107], v104 offset0:101 offset1:102
	s_waitcnt vmcnt(4) lgkmcnt(0)
	v_fma_f64 v[104:105], v[121:122], v[104:105], v[108:109]
	s_waitcnt vmcnt(2)
	v_fma_f64 v[104:105], v[123:124], v[106:107], v[104:105]
	s_waitcnt vmcnt(0)
	v_add_f64 v[104:105], v[125:126], -v[104:105]
	buffer_store_dword v104, off, s[0:3], 0 offset:352
	buffer_store_dword v105, off, s[0:3], 0 offset:356
	v_cmpx_lt_u32_e32 43, v0
	s_cbranch_execz .LBB114_229
; %bb.228:
	s_clause 0x1
	buffer_load_dword v104, off, s[0:3], 0 offset:344
	buffer_load_dword v105, off, s[0:3], 0 offset:348
	v_mov_b32_e32 v106, 0
	buffer_store_dword v106, off, s[0:3], 0 offset:344
	buffer_store_dword v106, off, s[0:3], 0 offset:348
	s_waitcnt vmcnt(0)
	ds_write_b64 v103, v[104:105]
.LBB114_229:
	s_or_b32 exec_lo, exec_lo, s4
	s_waitcnt lgkmcnt(0)
	s_waitcnt_vscnt null, 0x0
	s_barrier
	buffer_gl0_inv
	s_clause 0xf
	buffer_load_dword v113, off, s[0:3], 0 offset:352
	buffer_load_dword v114, off, s[0:3], 0 offset:356
	;; [unrolled: 1-line block ×16, first 2 shown]
	v_mov_b32_e32 v104, 0
	ds_read_b128 v[105:108], v104 offset:768
	ds_read_b128 v[109:112], v104 offset:784
	s_mov_b32 s4, exec_lo
	s_waitcnt vmcnt(14) lgkmcnt(1)
	v_fma_f64 v[105:106], v[113:114], v[105:106], 0
	s_waitcnt vmcnt(12)
	v_fma_f64 v[105:106], v[115:116], v[107:108], v[105:106]
	s_waitcnt vmcnt(10) lgkmcnt(0)
	v_fma_f64 v[105:106], v[117:118], v[109:110], v[105:106]
	s_waitcnt vmcnt(8)
	v_fma_f64 v[109:110], v[119:120], v[111:112], v[105:106]
	ds_read_b128 v[105:108], v104 offset:800
	ds_read_b64 v[111:112], v104 offset:816
	s_waitcnt vmcnt(6) lgkmcnt(1)
	v_fma_f64 v[105:106], v[121:122], v[105:106], v[109:110]
	s_waitcnt vmcnt(4)
	v_fma_f64 v[105:106], v[123:124], v[107:108], v[105:106]
	s_waitcnt vmcnt(2) lgkmcnt(0)
	v_fma_f64 v[105:106], v[125:126], v[111:112], v[105:106]
	s_waitcnt vmcnt(0)
	v_add_f64 v[105:106], v[127:128], -v[105:106]
	buffer_store_dword v105, off, s[0:3], 0 offset:344
	buffer_store_dword v106, off, s[0:3], 0 offset:348
	v_cmpx_lt_u32_e32 42, v0
	s_cbranch_execz .LBB114_231
; %bb.230:
	s_clause 0x1
	buffer_load_dword v105, off, s[0:3], 0 offset:336
	buffer_load_dword v106, off, s[0:3], 0 offset:340
	buffer_store_dword v104, off, s[0:3], 0 offset:336
	buffer_store_dword v104, off, s[0:3], 0 offset:340
	s_waitcnt vmcnt(0)
	ds_write_b64 v103, v[105:106]
.LBB114_231:
	s_or_b32 exec_lo, exec_lo, s4
	s_waitcnt lgkmcnt(0)
	s_waitcnt_vscnt null, 0x0
	s_barrier
	buffer_gl0_inv
	s_clause 0x11
	buffer_load_dword v113, off, s[0:3], 0 offset:344
	buffer_load_dword v114, off, s[0:3], 0 offset:348
	;; [unrolled: 1-line block ×18, first 2 shown]
	ds_read2_b64 v[105:108], v104 offset0:95 offset1:96
	ds_read2_b64 v[109:112], v104 offset0:97 offset1:98
	s_mov_b32 s4, exec_lo
	s_waitcnt vmcnt(16) lgkmcnt(1)
	v_fma_f64 v[105:106], v[113:114], v[105:106], 0
	s_waitcnt vmcnt(14)
	v_fma_f64 v[105:106], v[115:116], v[107:108], v[105:106]
	s_waitcnt vmcnt(12) lgkmcnt(0)
	v_fma_f64 v[105:106], v[117:118], v[109:110], v[105:106]
	s_waitcnt vmcnt(10)
	v_fma_f64 v[113:114], v[119:120], v[111:112], v[105:106]
	ds_read2_b64 v[105:108], v104 offset0:99 offset1:100
	ds_read2_b64 v[109:112], v104 offset0:101 offset1:102
	s_waitcnt vmcnt(8) lgkmcnt(1)
	v_fma_f64 v[104:105], v[121:122], v[105:106], v[113:114]
	s_waitcnt vmcnt(6)
	v_fma_f64 v[104:105], v[123:124], v[107:108], v[104:105]
	s_waitcnt vmcnt(4) lgkmcnt(0)
	v_fma_f64 v[104:105], v[125:126], v[109:110], v[104:105]
	s_waitcnt vmcnt(2)
	v_fma_f64 v[104:105], v[127:128], v[111:112], v[104:105]
	s_waitcnt vmcnt(0)
	v_add_f64 v[104:105], v[129:130], -v[104:105]
	buffer_store_dword v104, off, s[0:3], 0 offset:336
	buffer_store_dword v105, off, s[0:3], 0 offset:340
	v_cmpx_lt_u32_e32 41, v0
	s_cbranch_execz .LBB114_233
; %bb.232:
	s_clause 0x1
	buffer_load_dword v104, off, s[0:3], 0 offset:328
	buffer_load_dword v105, off, s[0:3], 0 offset:332
	v_mov_b32_e32 v106, 0
	buffer_store_dword v106, off, s[0:3], 0 offset:328
	buffer_store_dword v106, off, s[0:3], 0 offset:332
	s_waitcnt vmcnt(0)
	ds_write_b64 v103, v[104:105]
.LBB114_233:
	s_or_b32 exec_lo, exec_lo, s4
	s_waitcnt lgkmcnt(0)
	s_waitcnt_vscnt null, 0x0
	s_barrier
	buffer_gl0_inv
	s_clause 0x13
	buffer_load_dword v113, off, s[0:3], 0 offset:336
	buffer_load_dword v114, off, s[0:3], 0 offset:340
	;; [unrolled: 1-line block ×20, first 2 shown]
	v_mov_b32_e32 v104, 0
	ds_read_b128 v[105:108], v104 offset:752
	ds_read_b128 v[109:112], v104 offset:768
	s_mov_b32 s4, exec_lo
	s_waitcnt vmcnt(18) lgkmcnt(1)
	v_fma_f64 v[105:106], v[113:114], v[105:106], 0
	s_waitcnt vmcnt(16)
	v_fma_f64 v[105:106], v[115:116], v[107:108], v[105:106]
	s_waitcnt vmcnt(14) lgkmcnt(0)
	v_fma_f64 v[105:106], v[117:118], v[109:110], v[105:106]
	s_waitcnt vmcnt(12)
	v_fma_f64 v[113:114], v[119:120], v[111:112], v[105:106]
	ds_read_b128 v[105:108], v104 offset:784
	ds_read_b128 v[109:112], v104 offset:800
	s_waitcnt vmcnt(10) lgkmcnt(1)
	v_fma_f64 v[105:106], v[121:122], v[105:106], v[113:114]
	s_waitcnt vmcnt(8)
	v_fma_f64 v[105:106], v[123:124], v[107:108], v[105:106]
	ds_read_b64 v[107:108], v104 offset:816
	s_waitcnt vmcnt(6) lgkmcnt(1)
	v_fma_f64 v[105:106], v[125:126], v[109:110], v[105:106]
	s_waitcnt vmcnt(3)
	v_fma_f64 v[105:106], v[127:128], v[111:112], v[105:106]
	s_waitcnt vmcnt(2) lgkmcnt(0)
	v_fma_f64 v[105:106], v[129:130], v[107:108], v[105:106]
	s_waitcnt vmcnt(0)
	v_add_f64 v[105:106], v[131:132], -v[105:106]
	buffer_store_dword v105, off, s[0:3], 0 offset:328
	buffer_store_dword v106, off, s[0:3], 0 offset:332
	v_cmpx_lt_u32_e32 40, v0
	s_cbranch_execz .LBB114_235
; %bb.234:
	s_clause 0x1
	buffer_load_dword v105, off, s[0:3], 0 offset:320
	buffer_load_dword v106, off, s[0:3], 0 offset:324
	buffer_store_dword v104, off, s[0:3], 0 offset:320
	buffer_store_dword v104, off, s[0:3], 0 offset:324
	s_waitcnt vmcnt(0)
	ds_write_b64 v103, v[105:106]
.LBB114_235:
	s_or_b32 exec_lo, exec_lo, s4
	s_waitcnt lgkmcnt(0)
	s_waitcnt_vscnt null, 0x0
	s_barrier
	buffer_gl0_inv
	s_clause 0x15
	buffer_load_dword v113, off, s[0:3], 0 offset:328
	buffer_load_dword v114, off, s[0:3], 0 offset:332
	;; [unrolled: 1-line block ×22, first 2 shown]
	ds_read2_b64 v[105:108], v104 offset0:93 offset1:94
	ds_read2_b64 v[109:112], v104 offset0:95 offset1:96
	s_mov_b32 s4, exec_lo
	s_waitcnt vmcnt(20) lgkmcnt(1)
	v_fma_f64 v[105:106], v[113:114], v[105:106], 0
	s_waitcnt vmcnt(18)
	v_fma_f64 v[105:106], v[115:116], v[107:108], v[105:106]
	s_waitcnt vmcnt(16) lgkmcnt(0)
	v_fma_f64 v[105:106], v[117:118], v[109:110], v[105:106]
	s_waitcnt vmcnt(14)
	v_fma_f64 v[113:114], v[119:120], v[111:112], v[105:106]
	ds_read2_b64 v[105:108], v104 offset0:97 offset1:98
	ds_read2_b64 v[109:112], v104 offset0:99 offset1:100
	s_waitcnt vmcnt(12) lgkmcnt(1)
	v_fma_f64 v[105:106], v[121:122], v[105:106], v[113:114]
	s_waitcnt vmcnt(10)
	v_fma_f64 v[105:106], v[123:124], v[107:108], v[105:106]
	s_waitcnt vmcnt(8) lgkmcnt(0)
	v_fma_f64 v[105:106], v[125:126], v[109:110], v[105:106]
	s_waitcnt vmcnt(4)
	v_fma_f64 v[108:109], v[127:128], v[111:112], v[105:106]
	ds_read2_b64 v[104:107], v104 offset0:101 offset1:102
	s_waitcnt vmcnt(3) lgkmcnt(0)
	v_fma_f64 v[104:105], v[131:132], v[104:105], v[108:109]
	s_waitcnt vmcnt(2)
	v_fma_f64 v[104:105], v[129:130], v[106:107], v[104:105]
	s_waitcnt vmcnt(0)
	v_add_f64 v[104:105], v[133:134], -v[104:105]
	buffer_store_dword v104, off, s[0:3], 0 offset:320
	buffer_store_dword v105, off, s[0:3], 0 offset:324
	v_cmpx_lt_u32_e32 39, v0
	s_cbranch_execz .LBB114_237
; %bb.236:
	s_clause 0x1
	buffer_load_dword v104, off, s[0:3], 0 offset:312
	buffer_load_dword v105, off, s[0:3], 0 offset:316
	v_mov_b32_e32 v106, 0
	buffer_store_dword v106, off, s[0:3], 0 offset:312
	buffer_store_dword v106, off, s[0:3], 0 offset:316
	s_waitcnt vmcnt(0)
	ds_write_b64 v103, v[104:105]
.LBB114_237:
	s_or_b32 exec_lo, exec_lo, s4
	s_waitcnt lgkmcnt(0)
	s_waitcnt_vscnt null, 0x0
	s_barrier
	buffer_gl0_inv
	s_clause 0x17
	buffer_load_dword v113, off, s[0:3], 0 offset:320
	buffer_load_dword v114, off, s[0:3], 0 offset:324
	;; [unrolled: 1-line block ×24, first 2 shown]
	v_mov_b32_e32 v104, 0
	ds_read_b128 v[105:108], v104 offset:736
	ds_read_b128 v[109:112], v104 offset:752
	s_mov_b32 s4, exec_lo
	s_waitcnt vmcnt(22) lgkmcnt(1)
	v_fma_f64 v[105:106], v[113:114], v[105:106], 0
	s_waitcnt vmcnt(20)
	v_fma_f64 v[105:106], v[115:116], v[107:108], v[105:106]
	s_waitcnt vmcnt(18) lgkmcnt(0)
	v_fma_f64 v[105:106], v[117:118], v[109:110], v[105:106]
	s_waitcnt vmcnt(16)
	v_fma_f64 v[113:114], v[119:120], v[111:112], v[105:106]
	ds_read_b128 v[105:108], v104 offset:768
	ds_read_b128 v[109:112], v104 offset:784
	s_waitcnt vmcnt(14) lgkmcnt(1)
	v_fma_f64 v[105:106], v[121:122], v[105:106], v[113:114]
	s_waitcnt vmcnt(12)
	v_fma_f64 v[105:106], v[123:124], v[107:108], v[105:106]
	s_waitcnt vmcnt(10) lgkmcnt(0)
	v_fma_f64 v[105:106], v[125:126], v[109:110], v[105:106]
	s_waitcnt vmcnt(5)
	v_fma_f64 v[109:110], v[127:128], v[111:112], v[105:106]
	ds_read_b128 v[105:108], v104 offset:800
	ds_read_b64 v[111:112], v104 offset:816
	s_waitcnt vmcnt(4) lgkmcnt(1)
	v_fma_f64 v[105:106], v[133:134], v[105:106], v[109:110]
	s_waitcnt vmcnt(3)
	v_fma_f64 v[105:106], v[131:132], v[107:108], v[105:106]
	s_waitcnt vmcnt(2) lgkmcnt(0)
	v_fma_f64 v[105:106], v[129:130], v[111:112], v[105:106]
	s_waitcnt vmcnt(0)
	v_add_f64 v[105:106], v[135:136], -v[105:106]
	buffer_store_dword v106, off, s[0:3], 0 offset:316
	buffer_store_dword v105, off, s[0:3], 0 offset:312
	v_cmpx_lt_u32_e32 38, v0
	s_cbranch_execz .LBB114_239
; %bb.238:
	s_clause 0x1
	buffer_load_dword v105, off, s[0:3], 0 offset:304
	buffer_load_dword v106, off, s[0:3], 0 offset:308
	buffer_store_dword v104, off, s[0:3], 0 offset:304
	buffer_store_dword v104, off, s[0:3], 0 offset:308
	s_waitcnt vmcnt(0)
	ds_write_b64 v103, v[105:106]
.LBB114_239:
	s_or_b32 exec_lo, exec_lo, s4
	s_waitcnt lgkmcnt(0)
	s_waitcnt_vscnt null, 0x0
	s_barrier
	buffer_gl0_inv
	s_clause 0x19
	buffer_load_dword v113, off, s[0:3], 0 offset:312
	buffer_load_dword v114, off, s[0:3], 0 offset:316
	;; [unrolled: 1-line block ×26, first 2 shown]
	ds_read2_b64 v[105:108], v104 offset0:91 offset1:92
	ds_read2_b64 v[109:112], v104 offset0:93 offset1:94
	s_mov_b32 s4, exec_lo
	s_waitcnt vmcnt(24) lgkmcnt(1)
	v_fma_f64 v[105:106], v[113:114], v[105:106], 0
	s_waitcnt vmcnt(22)
	v_fma_f64 v[105:106], v[115:116], v[107:108], v[105:106]
	s_waitcnt vmcnt(20) lgkmcnt(0)
	v_fma_f64 v[105:106], v[117:118], v[109:110], v[105:106]
	s_waitcnt vmcnt(18)
	v_fma_f64 v[113:114], v[119:120], v[111:112], v[105:106]
	ds_read2_b64 v[105:108], v104 offset0:95 offset1:96
	ds_read2_b64 v[109:112], v104 offset0:97 offset1:98
	s_waitcnt vmcnt(16) lgkmcnt(1)
	v_fma_f64 v[105:106], v[121:122], v[105:106], v[113:114]
	s_waitcnt vmcnt(14)
	v_fma_f64 v[105:106], v[123:124], v[107:108], v[105:106]
	s_waitcnt vmcnt(12) lgkmcnt(0)
	v_fma_f64 v[105:106], v[125:126], v[109:110], v[105:106]
	s_waitcnt vmcnt(7)
	v_fma_f64 v[113:114], v[127:128], v[111:112], v[105:106]
	ds_read2_b64 v[105:108], v104 offset0:99 offset1:100
	ds_read2_b64 v[109:112], v104 offset0:101 offset1:102
	s_waitcnt vmcnt(6) lgkmcnt(1)
	v_fma_f64 v[104:105], v[133:134], v[105:106], v[113:114]
	s_waitcnt vmcnt(5)
	v_fma_f64 v[104:105], v[131:132], v[107:108], v[104:105]
	s_waitcnt vmcnt(4) lgkmcnt(0)
	v_fma_f64 v[104:105], v[129:130], v[109:110], v[104:105]
	s_waitcnt vmcnt(2)
	v_fma_f64 v[104:105], v[135:136], v[111:112], v[104:105]
	s_waitcnt vmcnt(0)
	v_add_f64 v[104:105], v[137:138], -v[104:105]
	buffer_store_dword v105, off, s[0:3], 0 offset:308
	buffer_store_dword v104, off, s[0:3], 0 offset:304
	v_cmpx_lt_u32_e32 37, v0
	s_cbranch_execz .LBB114_241
; %bb.240:
	s_clause 0x1
	buffer_load_dword v104, off, s[0:3], 0 offset:296
	buffer_load_dword v105, off, s[0:3], 0 offset:300
	v_mov_b32_e32 v106, 0
	buffer_store_dword v106, off, s[0:3], 0 offset:296
	buffer_store_dword v106, off, s[0:3], 0 offset:300
	s_waitcnt vmcnt(0)
	ds_write_b64 v103, v[104:105]
.LBB114_241:
	s_or_b32 exec_lo, exec_lo, s4
	s_waitcnt lgkmcnt(0)
	s_waitcnt_vscnt null, 0x0
	s_barrier
	buffer_gl0_inv
	s_clause 0x1b
	buffer_load_dword v113, off, s[0:3], 0 offset:304
	buffer_load_dword v114, off, s[0:3], 0 offset:308
	;; [unrolled: 1-line block ×28, first 2 shown]
	v_mov_b32_e32 v104, 0
	ds_read_b128 v[105:108], v104 offset:720
	ds_read_b128 v[109:112], v104 offset:736
	s_mov_b32 s4, exec_lo
	s_waitcnt vmcnt(26) lgkmcnt(1)
	v_fma_f64 v[105:106], v[113:114], v[105:106], 0
	s_waitcnt vmcnt(24)
	v_fma_f64 v[105:106], v[115:116], v[107:108], v[105:106]
	s_waitcnt vmcnt(22) lgkmcnt(0)
	v_fma_f64 v[105:106], v[117:118], v[109:110], v[105:106]
	s_waitcnt vmcnt(20)
	v_fma_f64 v[113:114], v[119:120], v[111:112], v[105:106]
	ds_read_b128 v[105:108], v104 offset:752
	ds_read_b128 v[109:112], v104 offset:768
	s_waitcnt vmcnt(18) lgkmcnt(1)
	v_fma_f64 v[105:106], v[121:122], v[105:106], v[113:114]
	s_waitcnt vmcnt(16)
	v_fma_f64 v[105:106], v[123:124], v[107:108], v[105:106]
	s_waitcnt vmcnt(14) lgkmcnt(0)
	v_fma_f64 v[105:106], v[125:126], v[109:110], v[105:106]
	s_waitcnt vmcnt(9)
	v_fma_f64 v[113:114], v[127:128], v[111:112], v[105:106]
	ds_read_b128 v[105:108], v104 offset:784
	ds_read_b128 v[109:112], v104 offset:800
	s_waitcnt vmcnt(8) lgkmcnt(1)
	v_fma_f64 v[105:106], v[133:134], v[105:106], v[113:114]
	s_waitcnt vmcnt(7)
	v_fma_f64 v[105:106], v[131:132], v[107:108], v[105:106]
	ds_read_b64 v[107:108], v104 offset:816
	s_waitcnt vmcnt(6) lgkmcnt(1)
	v_fma_f64 v[105:106], v[129:130], v[109:110], v[105:106]
	s_waitcnt vmcnt(3)
	v_fma_f64 v[105:106], v[135:136], v[111:112], v[105:106]
	s_waitcnt vmcnt(2) lgkmcnt(0)
	v_fma_f64 v[105:106], v[137:138], v[107:108], v[105:106]
	s_waitcnt vmcnt(0)
	v_add_f64 v[105:106], v[139:140], -v[105:106]
	buffer_store_dword v106, off, s[0:3], 0 offset:300
	buffer_store_dword v105, off, s[0:3], 0 offset:296
	v_cmpx_lt_u32_e32 36, v0
	s_cbranch_execz .LBB114_243
; %bb.242:
	s_clause 0x1
	buffer_load_dword v105, off, s[0:3], 0 offset:288
	buffer_load_dword v106, off, s[0:3], 0 offset:292
	buffer_store_dword v104, off, s[0:3], 0 offset:288
	buffer_store_dword v104, off, s[0:3], 0 offset:292
	s_waitcnt vmcnt(0)
	ds_write_b64 v103, v[105:106]
.LBB114_243:
	s_or_b32 exec_lo, exec_lo, s4
	s_waitcnt lgkmcnt(0)
	s_waitcnt_vscnt null, 0x0
	s_barrier
	buffer_gl0_inv
	s_clause 0x1b
	buffer_load_dword v109, off, s[0:3], 0 offset:296
	buffer_load_dword v110, off, s[0:3], 0 offset:300
	;; [unrolled: 1-line block ×28, first 2 shown]
	ds_read2_b64 v[105:108], v104 offset0:89 offset1:90
	s_clause 0x1
	buffer_load_dword v137, off, s[0:3], 0 offset:288
	buffer_load_dword v138, off, s[0:3], 0 offset:292
	s_mov_b32 s4, exec_lo
	s_waitcnt vmcnt(28) lgkmcnt(0)
	v_fma_f64 v[105:106], v[109:110], v[105:106], 0
	s_waitcnt vmcnt(26)
	v_fma_f64 v[109:110], v[111:112], v[107:108], v[105:106]
	ds_read2_b64 v[105:108], v104 offset0:91 offset1:92
	s_waitcnt vmcnt(24) lgkmcnt(0)
	v_fma_f64 v[105:106], v[113:114], v[105:106], v[109:110]
	s_waitcnt vmcnt(22)
	v_fma_f64 v[109:110], v[115:116], v[107:108], v[105:106]
	ds_read2_b64 v[105:108], v104 offset0:93 offset1:94
	;; [unrolled: 5-line block ×6, first 2 shown]
	s_waitcnt vmcnt(4) lgkmcnt(0)
	v_fma_f64 v[104:105], v[133:134], v[104:105], v[108:109]
	s_waitcnt vmcnt(2)
	v_fma_f64 v[104:105], v[135:136], v[106:107], v[104:105]
	s_waitcnt vmcnt(0)
	v_add_f64 v[104:105], v[137:138], -v[104:105]
	buffer_store_dword v105, off, s[0:3], 0 offset:292
	buffer_store_dword v104, off, s[0:3], 0 offset:288
	v_cmpx_lt_u32_e32 35, v0
	s_cbranch_execz .LBB114_245
; %bb.244:
	s_clause 0x1
	buffer_load_dword v104, off, s[0:3], 0 offset:280
	buffer_load_dword v105, off, s[0:3], 0 offset:284
	v_mov_b32_e32 v106, 0
	buffer_store_dword v106, off, s[0:3], 0 offset:280
	buffer_store_dword v106, off, s[0:3], 0 offset:284
	s_waitcnt vmcnt(0)
	ds_write_b64 v103, v[104:105]
.LBB114_245:
	s_or_b32 exec_lo, exec_lo, s4
	s_waitcnt lgkmcnt(0)
	s_waitcnt_vscnt null, 0x0
	s_barrier
	buffer_gl0_inv
	s_clause 0x1b
	buffer_load_dword v109, off, s[0:3], 0 offset:288
	buffer_load_dword v110, off, s[0:3], 0 offset:292
	;; [unrolled: 1-line block ×28, first 2 shown]
	v_mov_b32_e32 v104, 0
	s_mov_b32 s4, exec_lo
	ds_read_b128 v[105:108], v104 offset:704
	s_clause 0x1
	buffer_load_dword v137, off, s[0:3], 0 offset:400
	buffer_load_dword v138, off, s[0:3], 0 offset:404
	s_waitcnt vmcnt(28) lgkmcnt(0)
	v_fma_f64 v[105:106], v[109:110], v[105:106], 0
	s_clause 0x1
	buffer_load_dword v109, off, s[0:3], 0 offset:280
	buffer_load_dword v110, off, s[0:3], 0 offset:284
	s_waitcnt vmcnt(28)
	v_fma_f64 v[111:112], v[111:112], v[107:108], v[105:106]
	ds_read_b128 v[105:108], v104 offset:720
	s_waitcnt vmcnt(26) lgkmcnt(0)
	v_fma_f64 v[105:106], v[113:114], v[105:106], v[111:112]
	s_waitcnt vmcnt(24)
	v_fma_f64 v[111:112], v[115:116], v[107:108], v[105:106]
	ds_read_b128 v[105:108], v104 offset:736
	s_waitcnt vmcnt(22) lgkmcnt(0)
	v_fma_f64 v[105:106], v[117:118], v[105:106], v[111:112]
	;; [unrolled: 5-line block ×6, first 2 shown]
	s_waitcnt vmcnt(4)
	v_fma_f64 v[105:106], v[135:136], v[107:108], v[105:106]
	ds_read_b64 v[107:108], v104 offset:816
	s_waitcnt vmcnt(2) lgkmcnt(0)
	v_fma_f64 v[105:106], v[137:138], v[107:108], v[105:106]
	s_waitcnt vmcnt(0)
	v_add_f64 v[105:106], v[109:110], -v[105:106]
	buffer_store_dword v106, off, s[0:3], 0 offset:284
	buffer_store_dword v105, off, s[0:3], 0 offset:280
	v_cmpx_lt_u32_e32 34, v0
	s_cbranch_execz .LBB114_247
; %bb.246:
	s_clause 0x1
	buffer_load_dword v105, off, s[0:3], 0 offset:272
	buffer_load_dword v106, off, s[0:3], 0 offset:276
	buffer_store_dword v104, off, s[0:3], 0 offset:272
	buffer_store_dword v104, off, s[0:3], 0 offset:276
	s_waitcnt vmcnt(0)
	ds_write_b64 v103, v[105:106]
.LBB114_247:
	s_or_b32 exec_lo, exec_lo, s4
	s_waitcnt lgkmcnt(0)
	s_waitcnt_vscnt null, 0x0
	s_barrier
	buffer_gl0_inv
	s_clause 0x1b
	buffer_load_dword v109, off, s[0:3], 0 offset:280
	buffer_load_dword v110, off, s[0:3], 0 offset:284
	;; [unrolled: 1-line block ×28, first 2 shown]
	ds_read2_b64 v[105:108], v104 offset0:87 offset1:88
	s_clause 0x1
	buffer_load_dword v137, off, s[0:3], 0 offset:392
	buffer_load_dword v138, off, s[0:3], 0 offset:396
	s_mov_b32 s4, exec_lo
	s_waitcnt vmcnt(28) lgkmcnt(0)
	v_fma_f64 v[105:106], v[109:110], v[105:106], 0
	s_clause 0x1
	buffer_load_dword v110, off, s[0:3], 0 offset:404
	buffer_load_dword v109, off, s[0:3], 0 offset:400
	s_waitcnt vmcnt(28)
	v_fma_f64 v[111:112], v[111:112], v[107:108], v[105:106]
	ds_read2_b64 v[105:108], v104 offset0:89 offset1:90
	s_clause 0x1
	buffer_load_dword v139, off, s[0:3], 0 offset:272
	buffer_load_dword v140, off, s[0:3], 0 offset:276
	s_waitcnt vmcnt(28) lgkmcnt(0)
	v_fma_f64 v[105:106], v[113:114], v[105:106], v[111:112]
	s_waitcnt vmcnt(26)
	v_fma_f64 v[111:112], v[115:116], v[107:108], v[105:106]
	ds_read2_b64 v[105:108], v104 offset0:91 offset1:92
	s_waitcnt vmcnt(24) lgkmcnt(0)
	v_fma_f64 v[105:106], v[117:118], v[105:106], v[111:112]
	s_waitcnt vmcnt(22)
	v_fma_f64 v[111:112], v[119:120], v[107:108], v[105:106]
	ds_read2_b64 v[105:108], v104 offset0:93 offset1:94
	;; [unrolled: 5-line block ×6, first 2 shown]
	s_waitcnt vmcnt(4) lgkmcnt(0)
	v_fma_f64 v[104:105], v[137:138], v[104:105], v[111:112]
	s_waitcnt vmcnt(2)
	v_fma_f64 v[104:105], v[109:110], v[106:107], v[104:105]
	s_waitcnt vmcnt(0)
	v_add_f64 v[104:105], v[139:140], -v[104:105]
	buffer_store_dword v105, off, s[0:3], 0 offset:276
	buffer_store_dword v104, off, s[0:3], 0 offset:272
	v_cmpx_lt_u32_e32 33, v0
	s_cbranch_execz .LBB114_249
; %bb.248:
	s_clause 0x1
	buffer_load_dword v104, off, s[0:3], 0 offset:264
	buffer_load_dword v105, off, s[0:3], 0 offset:268
	v_mov_b32_e32 v106, 0
	buffer_store_dword v106, off, s[0:3], 0 offset:264
	buffer_store_dword v106, off, s[0:3], 0 offset:268
	s_waitcnt vmcnt(0)
	ds_write_b64 v103, v[104:105]
.LBB114_249:
	s_or_b32 exec_lo, exec_lo, s4
	s_waitcnt lgkmcnt(0)
	s_waitcnt_vscnt null, 0x0
	s_barrier
	buffer_gl0_inv
	s_clause 0x1b
	buffer_load_dword v109, off, s[0:3], 0 offset:272
	buffer_load_dword v110, off, s[0:3], 0 offset:276
	;; [unrolled: 1-line block ×28, first 2 shown]
	v_mov_b32_e32 v104, 0
	s_mov_b32 s4, exec_lo
	ds_read_b128 v[105:108], v104 offset:688
	s_clause 0x1
	buffer_load_dword v137, off, s[0:3], 0 offset:384
	buffer_load_dword v138, off, s[0:3], 0 offset:388
	s_waitcnt vmcnt(28) lgkmcnt(0)
	v_fma_f64 v[105:106], v[109:110], v[105:106], 0
	s_clause 0x1
	buffer_load_dword v110, off, s[0:3], 0 offset:396
	buffer_load_dword v109, off, s[0:3], 0 offset:392
	s_waitcnt vmcnt(28)
	v_fma_f64 v[111:112], v[111:112], v[107:108], v[105:106]
	ds_read_b128 v[105:108], v104 offset:704
	s_clause 0x1
	buffer_load_dword v139, off, s[0:3], 0 offset:400
	buffer_load_dword v140, off, s[0:3], 0 offset:404
	s_waitcnt vmcnt(28) lgkmcnt(0)
	v_fma_f64 v[105:106], v[113:114], v[105:106], v[111:112]
	s_clause 0x1
	buffer_load_dword v111, off, s[0:3], 0 offset:264
	buffer_load_dword v112, off, s[0:3], 0 offset:268
	s_waitcnt vmcnt(28)
	v_fma_f64 v[113:114], v[115:116], v[107:108], v[105:106]
	ds_read_b128 v[105:108], v104 offset:720
	s_waitcnt vmcnt(26) lgkmcnt(0)
	v_fma_f64 v[105:106], v[117:118], v[105:106], v[113:114]
	s_waitcnt vmcnt(24)
	v_fma_f64 v[113:114], v[119:120], v[107:108], v[105:106]
	ds_read_b128 v[105:108], v104 offset:736
	s_waitcnt vmcnt(22) lgkmcnt(0)
	v_fma_f64 v[105:106], v[121:122], v[105:106], v[113:114]
	;; [unrolled: 5-line block ×6, first 2 shown]
	s_waitcnt vmcnt(4)
	v_fma_f64 v[105:106], v[109:110], v[107:108], v[105:106]
	ds_read_b64 v[107:108], v104 offset:816
	s_waitcnt vmcnt(2) lgkmcnt(0)
	v_fma_f64 v[105:106], v[139:140], v[107:108], v[105:106]
	s_waitcnt vmcnt(0)
	v_add_f64 v[105:106], v[111:112], -v[105:106]
	buffer_store_dword v106, off, s[0:3], 0 offset:268
	buffer_store_dword v105, off, s[0:3], 0 offset:264
	v_cmpx_lt_u32_e32 32, v0
	s_cbranch_execz .LBB114_251
; %bb.250:
	s_clause 0x1
	buffer_load_dword v105, off, s[0:3], 0 offset:256
	buffer_load_dword v106, off, s[0:3], 0 offset:260
	buffer_store_dword v104, off, s[0:3], 0 offset:256
	buffer_store_dword v104, off, s[0:3], 0 offset:260
	s_waitcnt vmcnt(0)
	ds_write_b64 v103, v[105:106]
.LBB114_251:
	s_or_b32 exec_lo, exec_lo, s4
	s_waitcnt lgkmcnt(0)
	s_waitcnt_vscnt null, 0x0
	s_barrier
	buffer_gl0_inv
	s_clause 0x1b
	buffer_load_dword v109, off, s[0:3], 0 offset:264
	buffer_load_dword v110, off, s[0:3], 0 offset:268
	;; [unrolled: 1-line block ×28, first 2 shown]
	ds_read2_b64 v[105:108], v104 offset0:85 offset1:86
	s_clause 0x1
	buffer_load_dword v137, off, s[0:3], 0 offset:376
	buffer_load_dword v138, off, s[0:3], 0 offset:380
	s_mov_b32 s4, exec_lo
	s_waitcnt vmcnt(28) lgkmcnt(0)
	v_fma_f64 v[105:106], v[109:110], v[105:106], 0
	s_clause 0x1
	buffer_load_dword v110, off, s[0:3], 0 offset:388
	buffer_load_dword v109, off, s[0:3], 0 offset:384
	s_waitcnt vmcnt(28)
	v_fma_f64 v[111:112], v[111:112], v[107:108], v[105:106]
	ds_read2_b64 v[105:108], v104 offset0:87 offset1:88
	s_clause 0x1
	buffer_load_dword v139, off, s[0:3], 0 offset:392
	buffer_load_dword v140, off, s[0:3], 0 offset:396
	s_waitcnt vmcnt(28) lgkmcnt(0)
	v_fma_f64 v[105:106], v[113:114], v[105:106], v[111:112]
	s_clause 0x1
	buffer_load_dword v111, off, s[0:3], 0 offset:400
	buffer_load_dword v112, off, s[0:3], 0 offset:404
	s_waitcnt vmcnt(28)
	v_fma_f64 v[113:114], v[115:116], v[107:108], v[105:106]
	ds_read2_b64 v[105:108], v104 offset0:89 offset1:90
	s_clause 0x1
	buffer_load_dword v115, off, s[0:3], 0 offset:256
	buffer_load_dword v116, off, s[0:3], 0 offset:260
	s_waitcnt vmcnt(28) lgkmcnt(0)
	v_fma_f64 v[105:106], v[117:118], v[105:106], v[113:114]
	s_waitcnt vmcnt(26)
	v_fma_f64 v[113:114], v[119:120], v[107:108], v[105:106]
	ds_read2_b64 v[105:108], v104 offset0:91 offset1:92
	s_waitcnt vmcnt(24) lgkmcnt(0)
	v_fma_f64 v[105:106], v[121:122], v[105:106], v[113:114]
	s_waitcnt vmcnt(22)
	v_fma_f64 v[113:114], v[123:124], v[107:108], v[105:106]
	ds_read2_b64 v[105:108], v104 offset0:93 offset1:94
	;; [unrolled: 5-line block ×6, first 2 shown]
	s_waitcnt vmcnt(4) lgkmcnt(0)
	v_fma_f64 v[104:105], v[139:140], v[104:105], v[108:109]
	s_waitcnt vmcnt(2)
	v_fma_f64 v[104:105], v[111:112], v[106:107], v[104:105]
	s_waitcnt vmcnt(0)
	v_add_f64 v[104:105], v[115:116], -v[104:105]
	buffer_store_dword v105, off, s[0:3], 0 offset:260
	buffer_store_dword v104, off, s[0:3], 0 offset:256
	v_cmpx_lt_u32_e32 31, v0
	s_cbranch_execz .LBB114_253
; %bb.252:
	s_clause 0x1
	buffer_load_dword v104, off, s[0:3], 0 offset:248
	buffer_load_dword v105, off, s[0:3], 0 offset:252
	v_mov_b32_e32 v106, 0
	buffer_store_dword v106, off, s[0:3], 0 offset:248
	buffer_store_dword v106, off, s[0:3], 0 offset:252
	s_waitcnt vmcnt(0)
	ds_write_b64 v103, v[104:105]
.LBB114_253:
	s_or_b32 exec_lo, exec_lo, s4
	s_waitcnt lgkmcnt(0)
	s_waitcnt_vscnt null, 0x0
	s_barrier
	buffer_gl0_inv
	s_clause 0x1b
	buffer_load_dword v109, off, s[0:3], 0 offset:256
	buffer_load_dword v110, off, s[0:3], 0 offset:260
	;; [unrolled: 1-line block ×28, first 2 shown]
	v_mov_b32_e32 v104, 0
	s_mov_b32 s4, exec_lo
	ds_read_b128 v[105:108], v104 offset:672
	s_clause 0x1
	buffer_load_dword v137, off, s[0:3], 0 offset:368
	buffer_load_dword v138, off, s[0:3], 0 offset:372
	s_waitcnt vmcnt(28) lgkmcnt(0)
	v_fma_f64 v[105:106], v[109:110], v[105:106], 0
	s_clause 0x1
	buffer_load_dword v110, off, s[0:3], 0 offset:380
	buffer_load_dword v109, off, s[0:3], 0 offset:376
	s_waitcnt vmcnt(28)
	v_fma_f64 v[111:112], v[111:112], v[107:108], v[105:106]
	ds_read_b128 v[105:108], v104 offset:688
	s_clause 0x1
	buffer_load_dword v139, off, s[0:3], 0 offset:384
	buffer_load_dword v140, off, s[0:3], 0 offset:388
	s_waitcnt vmcnt(28) lgkmcnt(0)
	v_fma_f64 v[105:106], v[113:114], v[105:106], v[111:112]
	s_clause 0x1
	buffer_load_dword v111, off, s[0:3], 0 offset:392
	buffer_load_dword v112, off, s[0:3], 0 offset:396
	s_waitcnt vmcnt(28)
	v_fma_f64 v[113:114], v[115:116], v[107:108], v[105:106]
	ds_read_b128 v[105:108], v104 offset:704
	s_clause 0x1
	buffer_load_dword v115, off, s[0:3], 0 offset:400
	buffer_load_dword v116, off, s[0:3], 0 offset:404
	s_waitcnt vmcnt(28) lgkmcnt(0)
	v_fma_f64 v[105:106], v[117:118], v[105:106], v[113:114]
	s_clause 0x1
	buffer_load_dword v113, off, s[0:3], 0 offset:248
	buffer_load_dword v114, off, s[0:3], 0 offset:252
	s_waitcnt vmcnt(28)
	v_fma_f64 v[117:118], v[119:120], v[107:108], v[105:106]
	ds_read_b128 v[105:108], v104 offset:720
	s_waitcnt vmcnt(26) lgkmcnt(0)
	v_fma_f64 v[105:106], v[121:122], v[105:106], v[117:118]
	s_waitcnt vmcnt(24)
	v_fma_f64 v[117:118], v[123:124], v[107:108], v[105:106]
	ds_read_b128 v[105:108], v104 offset:736
	s_waitcnt vmcnt(22) lgkmcnt(0)
	v_fma_f64 v[105:106], v[125:126], v[105:106], v[117:118]
	s_waitcnt vmcnt(20)
	v_fma_f64 v[117:118], v[127:128], v[107:108], v[105:106]
	;; [unrolled: 5-line block ×6, first 2 shown]
	ds_read_b64 v[107:108], v104 offset:816
	s_waitcnt vmcnt(2) lgkmcnt(0)
	v_fma_f64 v[105:106], v[115:116], v[107:108], v[105:106]
	s_waitcnt vmcnt(0)
	v_add_f64 v[105:106], v[113:114], -v[105:106]
	buffer_store_dword v106, off, s[0:3], 0 offset:252
	buffer_store_dword v105, off, s[0:3], 0 offset:248
	v_cmpx_lt_u32_e32 30, v0
	s_cbranch_execz .LBB114_255
; %bb.254:
	s_clause 0x1
	buffer_load_dword v105, off, s[0:3], 0 offset:240
	buffer_load_dword v106, off, s[0:3], 0 offset:244
	buffer_store_dword v104, off, s[0:3], 0 offset:240
	buffer_store_dword v104, off, s[0:3], 0 offset:244
	s_waitcnt vmcnt(0)
	ds_write_b64 v103, v[105:106]
.LBB114_255:
	s_or_b32 exec_lo, exec_lo, s4
	s_waitcnt lgkmcnt(0)
	s_waitcnt_vscnt null, 0x0
	s_barrier
	buffer_gl0_inv
	s_clause 0x1b
	buffer_load_dword v109, off, s[0:3], 0 offset:248
	buffer_load_dword v110, off, s[0:3], 0 offset:252
	;; [unrolled: 1-line block ×28, first 2 shown]
	ds_read2_b64 v[105:108], v104 offset0:83 offset1:84
	s_clause 0x1
	buffer_load_dword v137, off, s[0:3], 0 offset:360
	buffer_load_dword v138, off, s[0:3], 0 offset:364
	s_mov_b32 s4, exec_lo
	s_waitcnt vmcnt(28) lgkmcnt(0)
	v_fma_f64 v[105:106], v[109:110], v[105:106], 0
	s_clause 0x1
	buffer_load_dword v110, off, s[0:3], 0 offset:372
	buffer_load_dword v109, off, s[0:3], 0 offset:368
	s_waitcnt vmcnt(28)
	v_fma_f64 v[111:112], v[111:112], v[107:108], v[105:106]
	ds_read2_b64 v[105:108], v104 offset0:85 offset1:86
	s_clause 0x1
	buffer_load_dword v139, off, s[0:3], 0 offset:376
	buffer_load_dword v140, off, s[0:3], 0 offset:380
	s_waitcnt vmcnt(28) lgkmcnt(0)
	v_fma_f64 v[105:106], v[113:114], v[105:106], v[111:112]
	s_clause 0x1
	buffer_load_dword v111, off, s[0:3], 0 offset:384
	buffer_load_dword v112, off, s[0:3], 0 offset:388
	s_waitcnt vmcnt(28)
	v_fma_f64 v[113:114], v[115:116], v[107:108], v[105:106]
	ds_read2_b64 v[105:108], v104 offset0:87 offset1:88
	s_clause 0x1
	buffer_load_dword v115, off, s[0:3], 0 offset:392
	buffer_load_dword v116, off, s[0:3], 0 offset:396
	;; [unrolled: 11-line block ×3, first 2 shown]
	s_waitcnt vmcnt(28) lgkmcnt(0)
	v_fma_f64 v[105:106], v[121:122], v[105:106], v[117:118]
	s_waitcnt vmcnt(26)
	v_fma_f64 v[117:118], v[123:124], v[107:108], v[105:106]
	ds_read2_b64 v[105:108], v104 offset0:91 offset1:92
	s_waitcnt vmcnt(24) lgkmcnt(0)
	v_fma_f64 v[105:106], v[125:126], v[105:106], v[117:118]
	s_waitcnt vmcnt(22)
	v_fma_f64 v[117:118], v[127:128], v[107:108], v[105:106]
	ds_read2_b64 v[105:108], v104 offset0:93 offset1:94
	;; [unrolled: 5-line block ×6, first 2 shown]
	s_waitcnt vmcnt(4) lgkmcnt(0)
	v_fma_f64 v[104:105], v[115:116], v[104:105], v[108:109]
	s_waitcnt vmcnt(2)
	v_fma_f64 v[104:105], v[113:114], v[106:107], v[104:105]
	s_waitcnt vmcnt(0)
	v_add_f64 v[104:105], v[119:120], -v[104:105]
	buffer_store_dword v105, off, s[0:3], 0 offset:244
	buffer_store_dword v104, off, s[0:3], 0 offset:240
	v_cmpx_lt_u32_e32 29, v0
	s_cbranch_execz .LBB114_257
; %bb.256:
	s_clause 0x1
	buffer_load_dword v104, off, s[0:3], 0 offset:232
	buffer_load_dword v105, off, s[0:3], 0 offset:236
	v_mov_b32_e32 v106, 0
	buffer_store_dword v106, off, s[0:3], 0 offset:232
	buffer_store_dword v106, off, s[0:3], 0 offset:236
	s_waitcnt vmcnt(0)
	ds_write_b64 v103, v[104:105]
.LBB114_257:
	s_or_b32 exec_lo, exec_lo, s4
	s_waitcnt lgkmcnt(0)
	s_waitcnt_vscnt null, 0x0
	s_barrier
	buffer_gl0_inv
	s_clause 0x1b
	buffer_load_dword v109, off, s[0:3], 0 offset:240
	buffer_load_dword v110, off, s[0:3], 0 offset:244
	;; [unrolled: 1-line block ×28, first 2 shown]
	v_mov_b32_e32 v104, 0
	s_mov_b32 s4, exec_lo
	ds_read_b128 v[105:108], v104 offset:656
	s_clause 0x1
	buffer_load_dword v137, off, s[0:3], 0 offset:352
	buffer_load_dword v138, off, s[0:3], 0 offset:356
	s_waitcnt vmcnt(28) lgkmcnt(0)
	v_fma_f64 v[105:106], v[109:110], v[105:106], 0
	s_clause 0x1
	buffer_load_dword v110, off, s[0:3], 0 offset:364
	buffer_load_dword v109, off, s[0:3], 0 offset:360
	s_waitcnt vmcnt(28)
	v_fma_f64 v[111:112], v[111:112], v[107:108], v[105:106]
	ds_read_b128 v[105:108], v104 offset:672
	s_clause 0x1
	buffer_load_dword v139, off, s[0:3], 0 offset:368
	buffer_load_dword v140, off, s[0:3], 0 offset:372
	s_waitcnt vmcnt(28) lgkmcnt(0)
	v_fma_f64 v[105:106], v[113:114], v[105:106], v[111:112]
	s_clause 0x1
	buffer_load_dword v111, off, s[0:3], 0 offset:376
	buffer_load_dword v112, off, s[0:3], 0 offset:380
	s_waitcnt vmcnt(28)
	v_fma_f64 v[113:114], v[115:116], v[107:108], v[105:106]
	;; [unrolled: 11-line block ×4, first 2 shown]
	ds_read_b128 v[105:108], v104 offset:720
	s_waitcnt vmcnt(26) lgkmcnt(0)
	v_fma_f64 v[105:106], v[125:126], v[105:106], v[121:122]
	s_waitcnt vmcnt(24)
	v_fma_f64 v[121:122], v[127:128], v[107:108], v[105:106]
	ds_read_b128 v[105:108], v104 offset:736
	s_waitcnt vmcnt(22) lgkmcnt(0)
	v_fma_f64 v[105:106], v[129:130], v[105:106], v[121:122]
	s_waitcnt vmcnt(20)
	v_fma_f64 v[121:122], v[131:132], v[107:108], v[105:106]
	;; [unrolled: 5-line block ×6, first 2 shown]
	ds_read_b64 v[107:108], v104 offset:816
	s_waitcnt vmcnt(2) lgkmcnt(0)
	v_fma_f64 v[105:106], v[119:120], v[107:108], v[105:106]
	s_waitcnt vmcnt(0)
	v_add_f64 v[105:106], v[117:118], -v[105:106]
	buffer_store_dword v106, off, s[0:3], 0 offset:236
	buffer_store_dword v105, off, s[0:3], 0 offset:232
	v_cmpx_lt_u32_e32 28, v0
	s_cbranch_execz .LBB114_259
; %bb.258:
	s_clause 0x1
	buffer_load_dword v105, off, s[0:3], 0 offset:224
	buffer_load_dword v106, off, s[0:3], 0 offset:228
	buffer_store_dword v104, off, s[0:3], 0 offset:224
	buffer_store_dword v104, off, s[0:3], 0 offset:228
	s_waitcnt vmcnt(0)
	ds_write_b64 v103, v[105:106]
.LBB114_259:
	s_or_b32 exec_lo, exec_lo, s4
	s_waitcnt lgkmcnt(0)
	s_waitcnt_vscnt null, 0x0
	s_barrier
	buffer_gl0_inv
	s_clause 0x1b
	buffer_load_dword v109, off, s[0:3], 0 offset:232
	buffer_load_dword v110, off, s[0:3], 0 offset:236
	;; [unrolled: 1-line block ×28, first 2 shown]
	ds_read2_b64 v[105:108], v104 offset0:81 offset1:82
	s_clause 0x1
	buffer_load_dword v137, off, s[0:3], 0 offset:344
	buffer_load_dword v138, off, s[0:3], 0 offset:348
	s_mov_b32 s4, exec_lo
	s_waitcnt vmcnt(28) lgkmcnt(0)
	v_fma_f64 v[105:106], v[109:110], v[105:106], 0
	s_clause 0x1
	buffer_load_dword v110, off, s[0:3], 0 offset:356
	buffer_load_dword v109, off, s[0:3], 0 offset:352
	s_waitcnt vmcnt(28)
	v_fma_f64 v[111:112], v[111:112], v[107:108], v[105:106]
	ds_read2_b64 v[105:108], v104 offset0:83 offset1:84
	s_clause 0x1
	buffer_load_dword v139, off, s[0:3], 0 offset:360
	buffer_load_dword v140, off, s[0:3], 0 offset:364
	s_waitcnt vmcnt(28) lgkmcnt(0)
	v_fma_f64 v[105:106], v[113:114], v[105:106], v[111:112]
	s_clause 0x1
	buffer_load_dword v111, off, s[0:3], 0 offset:368
	buffer_load_dword v112, off, s[0:3], 0 offset:372
	s_waitcnt vmcnt(28)
	v_fma_f64 v[113:114], v[115:116], v[107:108], v[105:106]
	ds_read2_b64 v[105:108], v104 offset0:85 offset1:86
	s_clause 0x1
	buffer_load_dword v115, off, s[0:3], 0 offset:376
	buffer_load_dword v116, off, s[0:3], 0 offset:380
	;; [unrolled: 11-line block ×4, first 2 shown]
	s_waitcnt vmcnt(28) lgkmcnt(0)
	v_fma_f64 v[105:106], v[125:126], v[105:106], v[121:122]
	s_waitcnt vmcnt(26)
	v_fma_f64 v[121:122], v[127:128], v[107:108], v[105:106]
	ds_read2_b64 v[105:108], v104 offset0:91 offset1:92
	s_waitcnt vmcnt(24) lgkmcnt(0)
	v_fma_f64 v[105:106], v[129:130], v[105:106], v[121:122]
	s_waitcnt vmcnt(22)
	v_fma_f64 v[121:122], v[131:132], v[107:108], v[105:106]
	ds_read2_b64 v[105:108], v104 offset0:93 offset1:94
	s_waitcnt vmcnt(20) lgkmcnt(0)
	v_fma_f64 v[105:106], v[133:134], v[105:106], v[121:122]
	s_waitcnt vmcnt(18)
	v_fma_f64 v[121:122], v[135:136], v[107:108], v[105:106]
	ds_read2_b64 v[105:108], v104 offset0:95 offset1:96
	s_waitcnt vmcnt(16) lgkmcnt(0)
	v_fma_f64 v[105:106], v[137:138], v[105:106], v[121:122]
	s_waitcnt vmcnt(14)
	v_fma_f64 v[109:110], v[109:110], v[107:108], v[105:106]
	ds_read2_b64 v[105:108], v104 offset0:97 offset1:98
	s_waitcnt vmcnt(12) lgkmcnt(0)
	v_fma_f64 v[105:106], v[139:140], v[105:106], v[109:110]
	s_waitcnt vmcnt(10)
	v_fma_f64 v[109:110], v[111:112], v[107:108], v[105:106]
	ds_read2_b64 v[105:108], v104 offset0:99 offset1:100
	s_waitcnt vmcnt(8) lgkmcnt(0)
	v_fma_f64 v[105:106], v[115:116], v[105:106], v[109:110]
	s_waitcnt vmcnt(6)
	v_fma_f64 v[108:109], v[113:114], v[107:108], v[105:106]
	ds_read2_b64 v[104:107], v104 offset0:101 offset1:102
	s_waitcnt vmcnt(4) lgkmcnt(0)
	v_fma_f64 v[104:105], v[119:120], v[104:105], v[108:109]
	s_waitcnt vmcnt(2)
	v_fma_f64 v[104:105], v[117:118], v[106:107], v[104:105]
	s_waitcnt vmcnt(0)
	v_add_f64 v[104:105], v[123:124], -v[104:105]
	buffer_store_dword v105, off, s[0:3], 0 offset:228
	buffer_store_dword v104, off, s[0:3], 0 offset:224
	v_cmpx_lt_u32_e32 27, v0
	s_cbranch_execz .LBB114_261
; %bb.260:
	s_clause 0x1
	buffer_load_dword v104, off, s[0:3], 0 offset:216
	buffer_load_dword v105, off, s[0:3], 0 offset:220
	v_mov_b32_e32 v106, 0
	buffer_store_dword v106, off, s[0:3], 0 offset:216
	buffer_store_dword v106, off, s[0:3], 0 offset:220
	s_waitcnt vmcnt(0)
	ds_write_b64 v103, v[104:105]
.LBB114_261:
	s_or_b32 exec_lo, exec_lo, s4
	s_waitcnt lgkmcnt(0)
	s_waitcnt_vscnt null, 0x0
	s_barrier
	buffer_gl0_inv
	s_clause 0x1b
	buffer_load_dword v109, off, s[0:3], 0 offset:224
	buffer_load_dword v110, off, s[0:3], 0 offset:228
	;; [unrolled: 1-line block ×28, first 2 shown]
	v_mov_b32_e32 v104, 0
	s_mov_b32 s4, exec_lo
	ds_read_b128 v[105:108], v104 offset:640
	s_clause 0x1
	buffer_load_dword v137, off, s[0:3], 0 offset:336
	buffer_load_dword v138, off, s[0:3], 0 offset:340
	s_waitcnt vmcnt(28) lgkmcnt(0)
	v_fma_f64 v[105:106], v[109:110], v[105:106], 0
	s_clause 0x1
	buffer_load_dword v110, off, s[0:3], 0 offset:348
	buffer_load_dword v109, off, s[0:3], 0 offset:344
	s_waitcnt vmcnt(28)
	v_fma_f64 v[111:112], v[111:112], v[107:108], v[105:106]
	ds_read_b128 v[105:108], v104 offset:656
	s_clause 0x1
	buffer_load_dword v139, off, s[0:3], 0 offset:352
	buffer_load_dword v140, off, s[0:3], 0 offset:356
	s_waitcnt vmcnt(28) lgkmcnt(0)
	v_fma_f64 v[105:106], v[113:114], v[105:106], v[111:112]
	s_clause 0x1
	buffer_load_dword v111, off, s[0:3], 0 offset:360
	buffer_load_dword v112, off, s[0:3], 0 offset:364
	s_waitcnt vmcnt(28)
	v_fma_f64 v[113:114], v[115:116], v[107:108], v[105:106]
	;; [unrolled: 11-line block ×5, first 2 shown]
	ds_read_b128 v[105:108], v104 offset:720
	s_waitcnt vmcnt(26) lgkmcnt(0)
	v_fma_f64 v[105:106], v[129:130], v[105:106], v[125:126]
	s_waitcnt vmcnt(24)
	v_fma_f64 v[125:126], v[131:132], v[107:108], v[105:106]
	ds_read_b128 v[105:108], v104 offset:736
	s_waitcnt vmcnt(22) lgkmcnt(0)
	v_fma_f64 v[105:106], v[133:134], v[105:106], v[125:126]
	s_waitcnt vmcnt(20)
	v_fma_f64 v[125:126], v[135:136], v[107:108], v[105:106]
	;; [unrolled: 5-line block ×6, first 2 shown]
	ds_read_b64 v[107:108], v104 offset:816
	s_waitcnt vmcnt(2) lgkmcnt(0)
	v_fma_f64 v[105:106], v[123:124], v[107:108], v[105:106]
	s_waitcnt vmcnt(0)
	v_add_f64 v[105:106], v[121:122], -v[105:106]
	buffer_store_dword v106, off, s[0:3], 0 offset:220
	buffer_store_dword v105, off, s[0:3], 0 offset:216
	v_cmpx_lt_u32_e32 26, v0
	s_cbranch_execz .LBB114_263
; %bb.262:
	s_clause 0x1
	buffer_load_dword v105, off, s[0:3], 0 offset:208
	buffer_load_dword v106, off, s[0:3], 0 offset:212
	buffer_store_dword v104, off, s[0:3], 0 offset:208
	buffer_store_dword v104, off, s[0:3], 0 offset:212
	s_waitcnt vmcnt(0)
	ds_write_b64 v103, v[105:106]
.LBB114_263:
	s_or_b32 exec_lo, exec_lo, s4
	s_waitcnt lgkmcnt(0)
	s_waitcnt_vscnt null, 0x0
	s_barrier
	buffer_gl0_inv
	s_clause 0x1b
	buffer_load_dword v109, off, s[0:3], 0 offset:216
	buffer_load_dword v110, off, s[0:3], 0 offset:220
	;; [unrolled: 1-line block ×28, first 2 shown]
	ds_read2_b64 v[105:108], v104 offset0:79 offset1:80
	s_clause 0x1
	buffer_load_dword v137, off, s[0:3], 0 offset:328
	buffer_load_dword v138, off, s[0:3], 0 offset:332
	s_mov_b32 s4, exec_lo
	s_waitcnt vmcnt(28) lgkmcnt(0)
	v_fma_f64 v[105:106], v[109:110], v[105:106], 0
	s_clause 0x1
	buffer_load_dword v110, off, s[0:3], 0 offset:340
	buffer_load_dword v109, off, s[0:3], 0 offset:336
	s_waitcnt vmcnt(28)
	v_fma_f64 v[111:112], v[111:112], v[107:108], v[105:106]
	ds_read2_b64 v[105:108], v104 offset0:81 offset1:82
	s_clause 0x1
	buffer_load_dword v139, off, s[0:3], 0 offset:344
	buffer_load_dword v140, off, s[0:3], 0 offset:348
	s_waitcnt vmcnt(28) lgkmcnt(0)
	v_fma_f64 v[105:106], v[113:114], v[105:106], v[111:112]
	s_clause 0x1
	buffer_load_dword v111, off, s[0:3], 0 offset:352
	buffer_load_dword v112, off, s[0:3], 0 offset:356
	s_waitcnt vmcnt(28)
	v_fma_f64 v[113:114], v[115:116], v[107:108], v[105:106]
	ds_read2_b64 v[105:108], v104 offset0:83 offset1:84
	s_clause 0x1
	buffer_load_dword v115, off, s[0:3], 0 offset:360
	buffer_load_dword v116, off, s[0:3], 0 offset:364
	;; [unrolled: 11-line block ×5, first 2 shown]
	s_waitcnt vmcnt(28) lgkmcnt(0)
	v_fma_f64 v[105:106], v[129:130], v[105:106], v[125:126]
	s_waitcnt vmcnt(26)
	v_fma_f64 v[125:126], v[131:132], v[107:108], v[105:106]
	ds_read2_b64 v[105:108], v104 offset0:91 offset1:92
	s_waitcnt vmcnt(24) lgkmcnt(0)
	v_fma_f64 v[105:106], v[133:134], v[105:106], v[125:126]
	s_waitcnt vmcnt(22)
	v_fma_f64 v[125:126], v[135:136], v[107:108], v[105:106]
	ds_read2_b64 v[105:108], v104 offset0:93 offset1:94
	;; [unrolled: 5-line block ×6, first 2 shown]
	s_waitcnt vmcnt(4) lgkmcnt(0)
	v_fma_f64 v[104:105], v[123:124], v[104:105], v[108:109]
	s_waitcnt vmcnt(2)
	v_fma_f64 v[104:105], v[121:122], v[106:107], v[104:105]
	s_waitcnt vmcnt(0)
	v_add_f64 v[104:105], v[127:128], -v[104:105]
	buffer_store_dword v105, off, s[0:3], 0 offset:212
	buffer_store_dword v104, off, s[0:3], 0 offset:208
	v_cmpx_lt_u32_e32 25, v0
	s_cbranch_execz .LBB114_265
; %bb.264:
	s_clause 0x1
	buffer_load_dword v104, off, s[0:3], 0 offset:200
	buffer_load_dword v105, off, s[0:3], 0 offset:204
	v_mov_b32_e32 v106, 0
	buffer_store_dword v106, off, s[0:3], 0 offset:200
	buffer_store_dword v106, off, s[0:3], 0 offset:204
	s_waitcnt vmcnt(0)
	ds_write_b64 v103, v[104:105]
.LBB114_265:
	s_or_b32 exec_lo, exec_lo, s4
	s_waitcnt lgkmcnt(0)
	s_waitcnt_vscnt null, 0x0
	s_barrier
	buffer_gl0_inv
	s_clause 0x1b
	buffer_load_dword v109, off, s[0:3], 0 offset:208
	buffer_load_dword v110, off, s[0:3], 0 offset:212
	;; [unrolled: 1-line block ×28, first 2 shown]
	v_mov_b32_e32 v104, 0
	s_mov_b32 s4, exec_lo
	ds_read_b128 v[105:108], v104 offset:624
	s_clause 0x1
	buffer_load_dword v137, off, s[0:3], 0 offset:320
	buffer_load_dword v138, off, s[0:3], 0 offset:324
	s_waitcnt vmcnt(28) lgkmcnt(0)
	v_fma_f64 v[105:106], v[109:110], v[105:106], 0
	s_clause 0x1
	buffer_load_dword v110, off, s[0:3], 0 offset:332
	buffer_load_dword v109, off, s[0:3], 0 offset:328
	s_waitcnt vmcnt(28)
	v_fma_f64 v[111:112], v[111:112], v[107:108], v[105:106]
	ds_read_b128 v[105:108], v104 offset:640
	s_clause 0x1
	buffer_load_dword v139, off, s[0:3], 0 offset:336
	buffer_load_dword v140, off, s[0:3], 0 offset:340
	s_waitcnt vmcnt(28) lgkmcnt(0)
	v_fma_f64 v[105:106], v[113:114], v[105:106], v[111:112]
	s_clause 0x1
	buffer_load_dword v111, off, s[0:3], 0 offset:344
	buffer_load_dword v112, off, s[0:3], 0 offset:348
	s_waitcnt vmcnt(28)
	v_fma_f64 v[113:114], v[115:116], v[107:108], v[105:106]
	;; [unrolled: 11-line block ×6, first 2 shown]
	ds_read_b128 v[105:108], v104 offset:720
	s_waitcnt vmcnt(26) lgkmcnt(0)
	v_fma_f64 v[105:106], v[133:134], v[105:106], v[129:130]
	s_waitcnt vmcnt(24)
	v_fma_f64 v[129:130], v[135:136], v[107:108], v[105:106]
	ds_read_b128 v[105:108], v104 offset:736
	s_waitcnt vmcnt(22) lgkmcnt(0)
	v_fma_f64 v[105:106], v[137:138], v[105:106], v[129:130]
	s_waitcnt vmcnt(20)
	v_fma_f64 v[109:110], v[109:110], v[107:108], v[105:106]
	;; [unrolled: 5-line block ×6, first 2 shown]
	ds_read_b64 v[107:108], v104 offset:816
	s_waitcnt vmcnt(2) lgkmcnt(0)
	v_fma_f64 v[105:106], v[127:128], v[107:108], v[105:106]
	s_waitcnt vmcnt(0)
	v_add_f64 v[105:106], v[125:126], -v[105:106]
	buffer_store_dword v106, off, s[0:3], 0 offset:204
	buffer_store_dword v105, off, s[0:3], 0 offset:200
	v_cmpx_lt_u32_e32 24, v0
	s_cbranch_execz .LBB114_267
; %bb.266:
	s_clause 0x1
	buffer_load_dword v105, off, s[0:3], 0 offset:192
	buffer_load_dword v106, off, s[0:3], 0 offset:196
	buffer_store_dword v104, off, s[0:3], 0 offset:192
	buffer_store_dword v104, off, s[0:3], 0 offset:196
	s_waitcnt vmcnt(0)
	ds_write_b64 v103, v[105:106]
.LBB114_267:
	s_or_b32 exec_lo, exec_lo, s4
	s_waitcnt lgkmcnt(0)
	s_waitcnt_vscnt null, 0x0
	s_barrier
	buffer_gl0_inv
	s_clause 0x1b
	buffer_load_dword v109, off, s[0:3], 0 offset:200
	buffer_load_dword v110, off, s[0:3], 0 offset:204
	;; [unrolled: 1-line block ×28, first 2 shown]
	ds_read2_b64 v[105:108], v104 offset0:77 offset1:78
	s_clause 0x1
	buffer_load_dword v137, off, s[0:3], 0 offset:312
	buffer_load_dword v138, off, s[0:3], 0 offset:316
	s_mov_b32 s4, exec_lo
	s_waitcnt vmcnt(28) lgkmcnt(0)
	v_fma_f64 v[105:106], v[109:110], v[105:106], 0
	s_clause 0x1
	buffer_load_dword v110, off, s[0:3], 0 offset:324
	buffer_load_dword v109, off, s[0:3], 0 offset:320
	s_waitcnt vmcnt(28)
	v_fma_f64 v[111:112], v[111:112], v[107:108], v[105:106]
	ds_read2_b64 v[105:108], v104 offset0:79 offset1:80
	s_clause 0x1
	buffer_load_dword v139, off, s[0:3], 0 offset:328
	buffer_load_dword v140, off, s[0:3], 0 offset:332
	s_waitcnt vmcnt(28) lgkmcnt(0)
	v_fma_f64 v[105:106], v[113:114], v[105:106], v[111:112]
	s_clause 0x1
	buffer_load_dword v111, off, s[0:3], 0 offset:336
	buffer_load_dword v112, off, s[0:3], 0 offset:340
	s_waitcnt vmcnt(28)
	v_fma_f64 v[113:114], v[115:116], v[107:108], v[105:106]
	ds_read2_b64 v[105:108], v104 offset0:81 offset1:82
	s_clause 0x1
	buffer_load_dword v115, off, s[0:3], 0 offset:344
	buffer_load_dword v116, off, s[0:3], 0 offset:348
	;; [unrolled: 11-line block ×6, first 2 shown]
	s_waitcnt vmcnt(28) lgkmcnt(0)
	v_fma_f64 v[105:106], v[133:134], v[105:106], v[129:130]
	s_waitcnt vmcnt(26)
	v_fma_f64 v[129:130], v[135:136], v[107:108], v[105:106]
	ds_read2_b64 v[105:108], v104 offset0:91 offset1:92
	s_waitcnt vmcnt(24) lgkmcnt(0)
	v_fma_f64 v[105:106], v[137:138], v[105:106], v[129:130]
	s_waitcnt vmcnt(22)
	v_fma_f64 v[109:110], v[109:110], v[107:108], v[105:106]
	ds_read2_b64 v[105:108], v104 offset0:93 offset1:94
	;; [unrolled: 5-line block ×6, first 2 shown]
	s_waitcnt vmcnt(4) lgkmcnt(0)
	v_fma_f64 v[104:105], v[127:128], v[104:105], v[108:109]
	s_waitcnt vmcnt(2)
	v_fma_f64 v[104:105], v[125:126], v[106:107], v[104:105]
	s_waitcnt vmcnt(0)
	v_add_f64 v[104:105], v[131:132], -v[104:105]
	buffer_store_dword v105, off, s[0:3], 0 offset:196
	buffer_store_dword v104, off, s[0:3], 0 offset:192
	v_cmpx_lt_u32_e32 23, v0
	s_cbranch_execz .LBB114_269
; %bb.268:
	s_clause 0x1
	buffer_load_dword v104, off, s[0:3], 0 offset:184
	buffer_load_dword v105, off, s[0:3], 0 offset:188
	v_mov_b32_e32 v106, 0
	buffer_store_dword v106, off, s[0:3], 0 offset:184
	buffer_store_dword v106, off, s[0:3], 0 offset:188
	s_waitcnt vmcnt(0)
	ds_write_b64 v103, v[104:105]
.LBB114_269:
	s_or_b32 exec_lo, exec_lo, s4
	s_waitcnt lgkmcnt(0)
	s_waitcnt_vscnt null, 0x0
	s_barrier
	buffer_gl0_inv
	s_clause 0x1b
	buffer_load_dword v109, off, s[0:3], 0 offset:192
	buffer_load_dword v110, off, s[0:3], 0 offset:196
	;; [unrolled: 1-line block ×28, first 2 shown]
	v_mov_b32_e32 v104, 0
	s_mov_b32 s4, exec_lo
	ds_read_b128 v[105:108], v104 offset:608
	s_clause 0x1
	buffer_load_dword v137, off, s[0:3], 0 offset:304
	buffer_load_dword v138, off, s[0:3], 0 offset:308
	s_waitcnt vmcnt(28) lgkmcnt(0)
	v_fma_f64 v[105:106], v[109:110], v[105:106], 0
	s_clause 0x1
	buffer_load_dword v110, off, s[0:3], 0 offset:316
	buffer_load_dword v109, off, s[0:3], 0 offset:312
	s_waitcnt vmcnt(28)
	v_fma_f64 v[111:112], v[111:112], v[107:108], v[105:106]
	ds_read_b128 v[105:108], v104 offset:624
	s_clause 0x1
	buffer_load_dword v139, off, s[0:3], 0 offset:320
	buffer_load_dword v140, off, s[0:3], 0 offset:324
	s_waitcnt vmcnt(28) lgkmcnt(0)
	v_fma_f64 v[105:106], v[113:114], v[105:106], v[111:112]
	s_clause 0x1
	buffer_load_dword v111, off, s[0:3], 0 offset:328
	buffer_load_dword v112, off, s[0:3], 0 offset:332
	s_waitcnt vmcnt(28)
	v_fma_f64 v[113:114], v[115:116], v[107:108], v[105:106]
	ds_read_b128 v[105:108], v104 offset:640
	s_clause 0x1
	buffer_load_dword v115, off, s[0:3], 0 offset:336
	buffer_load_dword v116, off, s[0:3], 0 offset:340
	s_waitcnt vmcnt(28) lgkmcnt(0)
	v_fma_f64 v[105:106], v[117:118], v[105:106], v[113:114]
	s_clause 0x1
	buffer_load_dword v114, off, s[0:3], 0 offset:348
	buffer_load_dword v113, off, s[0:3], 0 offset:344
	s_waitcnt vmcnt(28)
	v_fma_f64 v[117:118], v[119:120], v[107:108], v[105:106]
	ds_read_b128 v[105:108], v104 offset:656
	s_clause 0x1
	buffer_load_dword v119, off, s[0:3], 0 offset:352
	buffer_load_dword v120, off, s[0:3], 0 offset:356
	s_waitcnt vmcnt(28) lgkmcnt(0)
	v_fma_f64 v[105:106], v[121:122], v[105:106], v[117:118]
	s_clause 0x1
	buffer_load_dword v117, off, s[0:3], 0 offset:360
	buffer_load_dword v118, off, s[0:3], 0 offset:364
	s_waitcnt vmcnt(28)
	v_fma_f64 v[121:122], v[123:124], v[107:108], v[105:106]
	ds_read_b128 v[105:108], v104 offset:672
	s_clause 0x1
	buffer_load_dword v123, off, s[0:3], 0 offset:368
	buffer_load_dword v124, off, s[0:3], 0 offset:372
	s_waitcnt vmcnt(28) lgkmcnt(0)
	v_fma_f64 v[105:106], v[125:126], v[105:106], v[121:122]
	s_clause 0x1
	buffer_load_dword v122, off, s[0:3], 0 offset:380
	buffer_load_dword v121, off, s[0:3], 0 offset:376
	s_waitcnt vmcnt(28)
	v_fma_f64 v[125:126], v[127:128], v[107:108], v[105:106]
	ds_read_b128 v[105:108], v104 offset:688
	s_clause 0x1
	buffer_load_dword v127, off, s[0:3], 0 offset:384
	buffer_load_dword v128, off, s[0:3], 0 offset:388
	s_waitcnt vmcnt(28) lgkmcnt(0)
	v_fma_f64 v[105:106], v[129:130], v[105:106], v[125:126]
	s_clause 0x1
	buffer_load_dword v125, off, s[0:3], 0 offset:392
	buffer_load_dword v126, off, s[0:3], 0 offset:396
	s_waitcnt vmcnt(28)
	v_fma_f64 v[129:130], v[131:132], v[107:108], v[105:106]
	ds_read_b128 v[105:108], v104 offset:704
	s_clause 0x1
	buffer_load_dword v131, off, s[0:3], 0 offset:400
	buffer_load_dword v132, off, s[0:3], 0 offset:404
	s_waitcnt vmcnt(28) lgkmcnt(0)
	v_fma_f64 v[105:106], v[133:134], v[105:106], v[129:130]
	s_clause 0x1
	buffer_load_dword v129, off, s[0:3], 0 offset:184
	buffer_load_dword v130, off, s[0:3], 0 offset:188
	s_waitcnt vmcnt(28)
	v_fma_f64 v[133:134], v[135:136], v[107:108], v[105:106]
	ds_read_b128 v[105:108], v104 offset:720
	s_waitcnt vmcnt(26) lgkmcnt(0)
	v_fma_f64 v[105:106], v[137:138], v[105:106], v[133:134]
	s_waitcnt vmcnt(24)
	v_fma_f64 v[109:110], v[109:110], v[107:108], v[105:106]
	ds_read_b128 v[105:108], v104 offset:736
	s_waitcnt vmcnt(22) lgkmcnt(0)
	v_fma_f64 v[105:106], v[139:140], v[105:106], v[109:110]
	s_waitcnt vmcnt(20)
	v_fma_f64 v[109:110], v[111:112], v[107:108], v[105:106]
	;; [unrolled: 5-line block ×6, first 2 shown]
	ds_read_b64 v[107:108], v104 offset:816
	s_waitcnt vmcnt(2) lgkmcnt(0)
	v_fma_f64 v[105:106], v[131:132], v[107:108], v[105:106]
	s_waitcnt vmcnt(0)
	v_add_f64 v[105:106], v[129:130], -v[105:106]
	buffer_store_dword v106, off, s[0:3], 0 offset:188
	buffer_store_dword v105, off, s[0:3], 0 offset:184
	v_cmpx_lt_u32_e32 22, v0
	s_cbranch_execz .LBB114_271
; %bb.270:
	s_clause 0x1
	buffer_load_dword v105, off, s[0:3], 0 offset:176
	buffer_load_dword v106, off, s[0:3], 0 offset:180
	buffer_store_dword v104, off, s[0:3], 0 offset:176
	buffer_store_dword v104, off, s[0:3], 0 offset:180
	s_waitcnt vmcnt(0)
	ds_write_b64 v103, v[105:106]
.LBB114_271:
	s_or_b32 exec_lo, exec_lo, s4
	s_waitcnt lgkmcnt(0)
	s_waitcnt_vscnt null, 0x0
	s_barrier
	buffer_gl0_inv
	s_clause 0x1b
	buffer_load_dword v109, off, s[0:3], 0 offset:184
	buffer_load_dword v110, off, s[0:3], 0 offset:188
	;; [unrolled: 1-line block ×28, first 2 shown]
	ds_read2_b64 v[105:108], v104 offset0:75 offset1:76
	s_clause 0x1
	buffer_load_dword v137, off, s[0:3], 0 offset:296
	buffer_load_dword v138, off, s[0:3], 0 offset:300
	s_mov_b32 s4, exec_lo
	s_waitcnt vmcnt(28) lgkmcnt(0)
	v_fma_f64 v[105:106], v[109:110], v[105:106], 0
	s_clause 0x1
	buffer_load_dword v110, off, s[0:3], 0 offset:308
	buffer_load_dword v109, off, s[0:3], 0 offset:304
	s_waitcnt vmcnt(28)
	v_fma_f64 v[111:112], v[111:112], v[107:108], v[105:106]
	ds_read2_b64 v[105:108], v104 offset0:77 offset1:78
	s_clause 0x1
	buffer_load_dword v139, off, s[0:3], 0 offset:312
	buffer_load_dword v140, off, s[0:3], 0 offset:316
	s_waitcnt vmcnt(28) lgkmcnt(0)
	v_fma_f64 v[105:106], v[113:114], v[105:106], v[111:112]
	s_clause 0x1
	buffer_load_dword v111, off, s[0:3], 0 offset:320
	buffer_load_dword v112, off, s[0:3], 0 offset:324
	s_waitcnt vmcnt(28)
	v_fma_f64 v[113:114], v[115:116], v[107:108], v[105:106]
	ds_read2_b64 v[105:108], v104 offset0:79 offset1:80
	s_clause 0x1
	buffer_load_dword v115, off, s[0:3], 0 offset:328
	buffer_load_dword v116, off, s[0:3], 0 offset:332
	;; [unrolled: 11-line block ×7, first 2 shown]
	s_waitcnt vmcnt(28) lgkmcnt(0)
	v_fma_f64 v[105:106], v[137:138], v[105:106], v[133:134]
	s_waitcnt vmcnt(26)
	v_fma_f64 v[109:110], v[109:110], v[107:108], v[105:106]
	ds_read2_b64 v[105:108], v104 offset0:91 offset1:92
	s_waitcnt vmcnt(24) lgkmcnt(0)
	v_fma_f64 v[105:106], v[139:140], v[105:106], v[109:110]
	s_waitcnt vmcnt(22)
	v_fma_f64 v[109:110], v[111:112], v[107:108], v[105:106]
	ds_read2_b64 v[105:108], v104 offset0:93 offset1:94
	;; [unrolled: 5-line block ×6, first 2 shown]
	s_waitcnt vmcnt(4) lgkmcnt(0)
	v_fma_f64 v[104:105], v[131:132], v[104:105], v[108:109]
	s_waitcnt vmcnt(2)
	v_fma_f64 v[104:105], v[129:130], v[106:107], v[104:105]
	s_waitcnt vmcnt(0)
	v_add_f64 v[104:105], v[135:136], -v[104:105]
	buffer_store_dword v105, off, s[0:3], 0 offset:180
	buffer_store_dword v104, off, s[0:3], 0 offset:176
	v_cmpx_lt_u32_e32 21, v0
	s_cbranch_execz .LBB114_273
; %bb.272:
	s_clause 0x1
	buffer_load_dword v104, off, s[0:3], 0 offset:168
	buffer_load_dword v105, off, s[0:3], 0 offset:172
	v_mov_b32_e32 v106, 0
	buffer_store_dword v106, off, s[0:3], 0 offset:168
	buffer_store_dword v106, off, s[0:3], 0 offset:172
	s_waitcnt vmcnt(0)
	ds_write_b64 v103, v[104:105]
.LBB114_273:
	s_or_b32 exec_lo, exec_lo, s4
	s_waitcnt lgkmcnt(0)
	s_waitcnt_vscnt null, 0x0
	s_barrier
	buffer_gl0_inv
	s_clause 0x1b
	buffer_load_dword v109, off, s[0:3], 0 offset:176
	buffer_load_dword v110, off, s[0:3], 0 offset:180
	;; [unrolled: 1-line block ×28, first 2 shown]
	v_mov_b32_e32 v104, 0
	s_mov_b32 s4, exec_lo
	ds_read_b128 v[105:108], v104 offset:592
	s_clause 0x1
	buffer_load_dword v137, off, s[0:3], 0 offset:288
	buffer_load_dword v138, off, s[0:3], 0 offset:292
	s_waitcnt vmcnt(28) lgkmcnt(0)
	v_fma_f64 v[105:106], v[109:110], v[105:106], 0
	s_clause 0x1
	buffer_load_dword v110, off, s[0:3], 0 offset:300
	buffer_load_dword v109, off, s[0:3], 0 offset:296
	s_waitcnt vmcnt(28)
	v_fma_f64 v[111:112], v[111:112], v[107:108], v[105:106]
	ds_read_b128 v[105:108], v104 offset:608
	s_clause 0x1
	buffer_load_dword v139, off, s[0:3], 0 offset:304
	buffer_load_dword v140, off, s[0:3], 0 offset:308
	s_waitcnt vmcnt(28) lgkmcnt(0)
	v_fma_f64 v[105:106], v[113:114], v[105:106], v[111:112]
	s_clause 0x1
	buffer_load_dword v111, off, s[0:3], 0 offset:312
	buffer_load_dword v112, off, s[0:3], 0 offset:316
	s_waitcnt vmcnt(28)
	v_fma_f64 v[113:114], v[115:116], v[107:108], v[105:106]
	ds_read_b128 v[105:108], v104 offset:624
	s_clause 0x1
	buffer_load_dword v115, off, s[0:3], 0 offset:320
	buffer_load_dword v116, off, s[0:3], 0 offset:324
	s_waitcnt vmcnt(28) lgkmcnt(0)
	v_fma_f64 v[105:106], v[117:118], v[105:106], v[113:114]
	s_clause 0x1
	buffer_load_dword v114, off, s[0:3], 0 offset:332
	buffer_load_dword v113, off, s[0:3], 0 offset:328
	s_waitcnt vmcnt(28)
	v_fma_f64 v[117:118], v[119:120], v[107:108], v[105:106]
	ds_read_b128 v[105:108], v104 offset:640
	s_clause 0x1
	buffer_load_dword v119, off, s[0:3], 0 offset:336
	buffer_load_dword v120, off, s[0:3], 0 offset:340
	s_waitcnt vmcnt(28) lgkmcnt(0)
	v_fma_f64 v[105:106], v[121:122], v[105:106], v[117:118]
	s_clause 0x1
	buffer_load_dword v117, off, s[0:3], 0 offset:344
	buffer_load_dword v118, off, s[0:3], 0 offset:348
	s_waitcnt vmcnt(28)
	v_fma_f64 v[121:122], v[123:124], v[107:108], v[105:106]
	ds_read_b128 v[105:108], v104 offset:656
	s_clause 0x1
	buffer_load_dword v123, off, s[0:3], 0 offset:352
	buffer_load_dword v124, off, s[0:3], 0 offset:356
	s_waitcnt vmcnt(28) lgkmcnt(0)
	v_fma_f64 v[105:106], v[125:126], v[105:106], v[121:122]
	s_clause 0x1
	buffer_load_dword v122, off, s[0:3], 0 offset:364
	buffer_load_dword v121, off, s[0:3], 0 offset:360
	s_waitcnt vmcnt(28)
	v_fma_f64 v[125:126], v[127:128], v[107:108], v[105:106]
	ds_read_b128 v[105:108], v104 offset:672
	s_clause 0x1
	buffer_load_dword v127, off, s[0:3], 0 offset:368
	buffer_load_dword v128, off, s[0:3], 0 offset:372
	s_waitcnt vmcnt(28) lgkmcnt(0)
	v_fma_f64 v[105:106], v[129:130], v[105:106], v[125:126]
	s_clause 0x1
	buffer_load_dword v125, off, s[0:3], 0 offset:376
	buffer_load_dword v126, off, s[0:3], 0 offset:380
	s_waitcnt vmcnt(28)
	v_fma_f64 v[129:130], v[131:132], v[107:108], v[105:106]
	ds_read_b128 v[105:108], v104 offset:688
	s_clause 0x1
	buffer_load_dword v131, off, s[0:3], 0 offset:384
	buffer_load_dword v132, off, s[0:3], 0 offset:388
	s_waitcnt vmcnt(28) lgkmcnt(0)
	v_fma_f64 v[105:106], v[133:134], v[105:106], v[129:130]
	s_clause 0x1
	buffer_load_dword v130, off, s[0:3], 0 offset:396
	buffer_load_dword v129, off, s[0:3], 0 offset:392
	s_waitcnt vmcnt(28)
	v_fma_f64 v[133:134], v[135:136], v[107:108], v[105:106]
	ds_read_b128 v[105:108], v104 offset:704
	s_clause 0x1
	buffer_load_dword v135, off, s[0:3], 0 offset:400
	buffer_load_dword v136, off, s[0:3], 0 offset:404
	s_waitcnt vmcnt(28) lgkmcnt(0)
	v_fma_f64 v[105:106], v[137:138], v[105:106], v[133:134]
	s_clause 0x1
	buffer_load_dword v133, off, s[0:3], 0 offset:168
	buffer_load_dword v134, off, s[0:3], 0 offset:172
	s_waitcnt vmcnt(28)
	v_fma_f64 v[109:110], v[109:110], v[107:108], v[105:106]
	ds_read_b128 v[105:108], v104 offset:720
	s_waitcnt vmcnt(26) lgkmcnt(0)
	v_fma_f64 v[105:106], v[139:140], v[105:106], v[109:110]
	s_waitcnt vmcnt(24)
	v_fma_f64 v[109:110], v[111:112], v[107:108], v[105:106]
	ds_read_b128 v[105:108], v104 offset:736
	s_waitcnt vmcnt(22) lgkmcnt(0)
	v_fma_f64 v[105:106], v[115:116], v[105:106], v[109:110]
	s_waitcnt vmcnt(20)
	v_fma_f64 v[109:110], v[113:114], v[107:108], v[105:106]
	;; [unrolled: 5-line block ×6, first 2 shown]
	ds_read_b64 v[107:108], v104 offset:816
	s_waitcnt vmcnt(2) lgkmcnt(0)
	v_fma_f64 v[105:106], v[135:136], v[107:108], v[105:106]
	s_waitcnt vmcnt(0)
	v_add_f64 v[105:106], v[133:134], -v[105:106]
	buffer_store_dword v106, off, s[0:3], 0 offset:172
	buffer_store_dword v105, off, s[0:3], 0 offset:168
	v_cmpx_lt_u32_e32 20, v0
	s_cbranch_execz .LBB114_275
; %bb.274:
	s_clause 0x1
	buffer_load_dword v105, off, s[0:3], 0 offset:160
	buffer_load_dword v106, off, s[0:3], 0 offset:164
	buffer_store_dword v104, off, s[0:3], 0 offset:160
	buffer_store_dword v104, off, s[0:3], 0 offset:164
	s_waitcnt vmcnt(0)
	ds_write_b64 v103, v[105:106]
.LBB114_275:
	s_or_b32 exec_lo, exec_lo, s4
	s_waitcnt lgkmcnt(0)
	s_waitcnt_vscnt null, 0x0
	s_barrier
	buffer_gl0_inv
	s_clause 0x1b
	buffer_load_dword v109, off, s[0:3], 0 offset:168
	buffer_load_dword v110, off, s[0:3], 0 offset:172
	;; [unrolled: 1-line block ×28, first 2 shown]
	ds_read2_b64 v[105:108], v104 offset0:73 offset1:74
	s_clause 0x1
	buffer_load_dword v137, off, s[0:3], 0 offset:280
	buffer_load_dword v138, off, s[0:3], 0 offset:284
	s_mov_b32 s4, exec_lo
	s_waitcnt vmcnt(28) lgkmcnt(0)
	v_fma_f64 v[105:106], v[109:110], v[105:106], 0
	s_clause 0x1
	buffer_load_dword v110, off, s[0:3], 0 offset:292
	buffer_load_dword v109, off, s[0:3], 0 offset:288
	s_waitcnt vmcnt(28)
	v_fma_f64 v[111:112], v[111:112], v[107:108], v[105:106]
	ds_read2_b64 v[105:108], v104 offset0:75 offset1:76
	s_clause 0x1
	buffer_load_dword v139, off, s[0:3], 0 offset:296
	buffer_load_dword v140, off, s[0:3], 0 offset:300
	s_waitcnt vmcnt(28) lgkmcnt(0)
	v_fma_f64 v[105:106], v[113:114], v[105:106], v[111:112]
	s_clause 0x1
	buffer_load_dword v111, off, s[0:3], 0 offset:304
	buffer_load_dword v112, off, s[0:3], 0 offset:308
	s_waitcnt vmcnt(28)
	v_fma_f64 v[113:114], v[115:116], v[107:108], v[105:106]
	ds_read2_b64 v[105:108], v104 offset0:77 offset1:78
	s_clause 0x1
	buffer_load_dword v115, off, s[0:3], 0 offset:312
	buffer_load_dword v116, off, s[0:3], 0 offset:316
	s_waitcnt vmcnt(28) lgkmcnt(0)
	v_fma_f64 v[105:106], v[117:118], v[105:106], v[113:114]
	s_clause 0x1
	buffer_load_dword v114, off, s[0:3], 0 offset:324
	buffer_load_dword v113, off, s[0:3], 0 offset:320
	s_waitcnt vmcnt(28)
	v_fma_f64 v[117:118], v[119:120], v[107:108], v[105:106]
	ds_read2_b64 v[105:108], v104 offset0:79 offset1:80
	s_clause 0x1
	buffer_load_dword v119, off, s[0:3], 0 offset:328
	buffer_load_dword v120, off, s[0:3], 0 offset:332
	s_waitcnt vmcnt(28) lgkmcnt(0)
	v_fma_f64 v[105:106], v[121:122], v[105:106], v[117:118]
	s_clause 0x1
	buffer_load_dword v117, off, s[0:3], 0 offset:336
	buffer_load_dword v118, off, s[0:3], 0 offset:340
	s_waitcnt vmcnt(28)
	v_fma_f64 v[121:122], v[123:124], v[107:108], v[105:106]
	ds_read2_b64 v[105:108], v104 offset0:81 offset1:82
	s_clause 0x1
	buffer_load_dword v123, off, s[0:3], 0 offset:344
	buffer_load_dword v124, off, s[0:3], 0 offset:348
	s_waitcnt vmcnt(28) lgkmcnt(0)
	v_fma_f64 v[105:106], v[125:126], v[105:106], v[121:122]
	s_clause 0x1
	buffer_load_dword v122, off, s[0:3], 0 offset:356
	buffer_load_dword v121, off, s[0:3], 0 offset:352
	s_waitcnt vmcnt(28)
	v_fma_f64 v[125:126], v[127:128], v[107:108], v[105:106]
	ds_read2_b64 v[105:108], v104 offset0:83 offset1:84
	s_clause 0x1
	buffer_load_dword v127, off, s[0:3], 0 offset:360
	buffer_load_dword v128, off, s[0:3], 0 offset:364
	s_waitcnt vmcnt(28) lgkmcnt(0)
	v_fma_f64 v[105:106], v[129:130], v[105:106], v[125:126]
	s_clause 0x1
	buffer_load_dword v125, off, s[0:3], 0 offset:368
	buffer_load_dword v126, off, s[0:3], 0 offset:372
	s_waitcnt vmcnt(28)
	v_fma_f64 v[129:130], v[131:132], v[107:108], v[105:106]
	ds_read2_b64 v[105:108], v104 offset0:85 offset1:86
	s_clause 0x1
	buffer_load_dword v131, off, s[0:3], 0 offset:376
	buffer_load_dword v132, off, s[0:3], 0 offset:380
	s_waitcnt vmcnt(28) lgkmcnt(0)
	v_fma_f64 v[105:106], v[133:134], v[105:106], v[129:130]
	s_clause 0x1
	buffer_load_dword v130, off, s[0:3], 0 offset:388
	buffer_load_dword v129, off, s[0:3], 0 offset:384
	s_waitcnt vmcnt(28)
	v_fma_f64 v[133:134], v[135:136], v[107:108], v[105:106]
	ds_read2_b64 v[105:108], v104 offset0:87 offset1:88
	s_clause 0x1
	buffer_load_dword v135, off, s[0:3], 0 offset:392
	buffer_load_dword v136, off, s[0:3], 0 offset:396
	s_waitcnt vmcnt(28) lgkmcnt(0)
	v_fma_f64 v[105:106], v[137:138], v[105:106], v[133:134]
	s_clause 0x1
	buffer_load_dword v133, off, s[0:3], 0 offset:400
	buffer_load_dword v134, off, s[0:3], 0 offset:404
	s_waitcnt vmcnt(28)
	v_fma_f64 v[109:110], v[109:110], v[107:108], v[105:106]
	ds_read2_b64 v[105:108], v104 offset0:89 offset1:90
	s_clause 0x1
	buffer_load_dword v137, off, s[0:3], 0 offset:160
	buffer_load_dword v138, off, s[0:3], 0 offset:164
	s_waitcnt vmcnt(28) lgkmcnt(0)
	v_fma_f64 v[105:106], v[139:140], v[105:106], v[109:110]
	s_waitcnt vmcnt(26)
	v_fma_f64 v[109:110], v[111:112], v[107:108], v[105:106]
	ds_read2_b64 v[105:108], v104 offset0:91 offset1:92
	s_waitcnt vmcnt(24) lgkmcnt(0)
	v_fma_f64 v[105:106], v[115:116], v[105:106], v[109:110]
	s_waitcnt vmcnt(22)
	v_fma_f64 v[109:110], v[113:114], v[107:108], v[105:106]
	ds_read2_b64 v[105:108], v104 offset0:93 offset1:94
	;; [unrolled: 5-line block ×6, first 2 shown]
	s_waitcnt vmcnt(4) lgkmcnt(0)
	v_fma_f64 v[104:105], v[135:136], v[104:105], v[108:109]
	s_waitcnt vmcnt(2)
	v_fma_f64 v[104:105], v[133:134], v[106:107], v[104:105]
	s_waitcnt vmcnt(0)
	v_add_f64 v[104:105], v[137:138], -v[104:105]
	buffer_store_dword v105, off, s[0:3], 0 offset:164
	buffer_store_dword v104, off, s[0:3], 0 offset:160
	v_cmpx_lt_u32_e32 19, v0
	s_cbranch_execz .LBB114_277
; %bb.276:
	s_clause 0x1
	buffer_load_dword v104, off, s[0:3], 0 offset:152
	buffer_load_dword v105, off, s[0:3], 0 offset:156
	v_mov_b32_e32 v106, 0
	buffer_store_dword v106, off, s[0:3], 0 offset:152
	buffer_store_dword v106, off, s[0:3], 0 offset:156
	s_waitcnt vmcnt(0)
	ds_write_b64 v103, v[104:105]
.LBB114_277:
	s_or_b32 exec_lo, exec_lo, s4
	s_waitcnt lgkmcnt(0)
	s_waitcnt_vscnt null, 0x0
	s_barrier
	buffer_gl0_inv
	s_clause 0x1b
	buffer_load_dword v109, off, s[0:3], 0 offset:160
	buffer_load_dword v110, off, s[0:3], 0 offset:164
	;; [unrolled: 1-line block ×28, first 2 shown]
	v_mov_b32_e32 v104, 0
	s_mov_b32 s4, exec_lo
	ds_read_b128 v[105:108], v104 offset:576
	s_clause 0x1
	buffer_load_dword v137, off, s[0:3], 0 offset:272
	buffer_load_dword v138, off, s[0:3], 0 offset:276
	s_waitcnt vmcnt(28) lgkmcnt(0)
	v_fma_f64 v[105:106], v[109:110], v[105:106], 0
	s_clause 0x1
	buffer_load_dword v110, off, s[0:3], 0 offset:284
	buffer_load_dword v109, off, s[0:3], 0 offset:280
	s_waitcnt vmcnt(28)
	v_fma_f64 v[111:112], v[111:112], v[107:108], v[105:106]
	ds_read_b128 v[105:108], v104 offset:592
	s_clause 0x1
	buffer_load_dword v139, off, s[0:3], 0 offset:288
	buffer_load_dword v140, off, s[0:3], 0 offset:292
	s_waitcnt vmcnt(28) lgkmcnt(0)
	v_fma_f64 v[105:106], v[113:114], v[105:106], v[111:112]
	s_clause 0x1
	buffer_load_dword v111, off, s[0:3], 0 offset:296
	buffer_load_dword v112, off, s[0:3], 0 offset:300
	s_waitcnt vmcnt(28)
	v_fma_f64 v[113:114], v[115:116], v[107:108], v[105:106]
	;; [unrolled: 11-line block ×9, first 2 shown]
	ds_read_b128 v[105:108], v104 offset:720
	s_waitcnt vmcnt(26) lgkmcnt(0)
	v_fma_f64 v[105:106], v[115:116], v[105:106], v[111:112]
	s_waitcnt vmcnt(24)
	v_fma_f64 v[111:112], v[113:114], v[107:108], v[105:106]
	ds_read_b128 v[105:108], v104 offset:736
	s_waitcnt vmcnt(22) lgkmcnt(0)
	v_fma_f64 v[105:106], v[119:120], v[105:106], v[111:112]
	s_waitcnt vmcnt(20)
	v_fma_f64 v[111:112], v[117:118], v[107:108], v[105:106]
	;; [unrolled: 5-line block ×6, first 2 shown]
	ds_read_b64 v[107:108], v104 offset:816
	s_waitcnt vmcnt(2) lgkmcnt(0)
	v_fma_f64 v[105:106], v[137:138], v[107:108], v[105:106]
	s_waitcnt vmcnt(0)
	v_add_f64 v[105:106], v[109:110], -v[105:106]
	buffer_store_dword v106, off, s[0:3], 0 offset:156
	buffer_store_dword v105, off, s[0:3], 0 offset:152
	v_cmpx_lt_u32_e32 18, v0
	s_cbranch_execz .LBB114_279
; %bb.278:
	s_clause 0x1
	buffer_load_dword v105, off, s[0:3], 0 offset:144
	buffer_load_dword v106, off, s[0:3], 0 offset:148
	buffer_store_dword v104, off, s[0:3], 0 offset:144
	buffer_store_dword v104, off, s[0:3], 0 offset:148
	s_waitcnt vmcnt(0)
	ds_write_b64 v103, v[105:106]
.LBB114_279:
	s_or_b32 exec_lo, exec_lo, s4
	s_waitcnt lgkmcnt(0)
	s_waitcnt_vscnt null, 0x0
	s_barrier
	buffer_gl0_inv
	s_clause 0x1b
	buffer_load_dword v109, off, s[0:3], 0 offset:152
	buffer_load_dword v110, off, s[0:3], 0 offset:156
	;; [unrolled: 1-line block ×28, first 2 shown]
	ds_read2_b64 v[105:108], v104 offset0:71 offset1:72
	s_clause 0x1
	buffer_load_dword v137, off, s[0:3], 0 offset:264
	buffer_load_dword v138, off, s[0:3], 0 offset:268
	s_mov_b32 s4, exec_lo
	s_waitcnt vmcnt(28) lgkmcnt(0)
	v_fma_f64 v[105:106], v[109:110], v[105:106], 0
	s_clause 0x1
	buffer_load_dword v110, off, s[0:3], 0 offset:276
	buffer_load_dword v109, off, s[0:3], 0 offset:272
	s_waitcnt vmcnt(28)
	v_fma_f64 v[111:112], v[111:112], v[107:108], v[105:106]
	ds_read2_b64 v[105:108], v104 offset0:73 offset1:74
	s_clause 0x1
	buffer_load_dword v139, off, s[0:3], 0 offset:280
	buffer_load_dword v140, off, s[0:3], 0 offset:284
	s_waitcnt vmcnt(28) lgkmcnt(0)
	v_fma_f64 v[105:106], v[113:114], v[105:106], v[111:112]
	s_clause 0x1
	buffer_load_dword v111, off, s[0:3], 0 offset:288
	buffer_load_dword v112, off, s[0:3], 0 offset:292
	s_waitcnt vmcnt(28)
	v_fma_f64 v[113:114], v[115:116], v[107:108], v[105:106]
	ds_read2_b64 v[105:108], v104 offset0:75 offset1:76
	s_clause 0x1
	buffer_load_dword v115, off, s[0:3], 0 offset:296
	buffer_load_dword v116, off, s[0:3], 0 offset:300
	;; [unrolled: 11-line block ×9, first 2 shown]
	s_waitcnt vmcnt(28) lgkmcnt(0)
	v_fma_f64 v[105:106], v[115:116], v[105:106], v[111:112]
	s_waitcnt vmcnt(26)
	v_fma_f64 v[111:112], v[113:114], v[107:108], v[105:106]
	ds_read2_b64 v[105:108], v104 offset0:91 offset1:92
	s_waitcnt vmcnt(24) lgkmcnt(0)
	v_fma_f64 v[105:106], v[119:120], v[105:106], v[111:112]
	s_waitcnt vmcnt(22)
	v_fma_f64 v[111:112], v[117:118], v[107:108], v[105:106]
	ds_read2_b64 v[105:108], v104 offset0:93 offset1:94
	;; [unrolled: 5-line block ×6, first 2 shown]
	s_waitcnt vmcnt(4) lgkmcnt(0)
	v_fma_f64 v[104:105], v[137:138], v[104:105], v[111:112]
	s_waitcnt vmcnt(2)
	v_fma_f64 v[104:105], v[109:110], v[106:107], v[104:105]
	s_waitcnt vmcnt(0)
	v_add_f64 v[104:105], v[139:140], -v[104:105]
	buffer_store_dword v105, off, s[0:3], 0 offset:148
	buffer_store_dword v104, off, s[0:3], 0 offset:144
	v_cmpx_lt_u32_e32 17, v0
	s_cbranch_execz .LBB114_281
; %bb.280:
	s_clause 0x1
	buffer_load_dword v104, off, s[0:3], 0 offset:136
	buffer_load_dword v105, off, s[0:3], 0 offset:140
	v_mov_b32_e32 v106, 0
	buffer_store_dword v106, off, s[0:3], 0 offset:136
	buffer_store_dword v106, off, s[0:3], 0 offset:140
	s_waitcnt vmcnt(0)
	ds_write_b64 v103, v[104:105]
.LBB114_281:
	s_or_b32 exec_lo, exec_lo, s4
	s_waitcnt lgkmcnt(0)
	s_waitcnt_vscnt null, 0x0
	s_barrier
	buffer_gl0_inv
	s_clause 0x1b
	buffer_load_dword v109, off, s[0:3], 0 offset:144
	buffer_load_dword v110, off, s[0:3], 0 offset:148
	;; [unrolled: 1-line block ×28, first 2 shown]
	v_mov_b32_e32 v104, 0
	s_mov_b32 s4, exec_lo
	ds_read_b128 v[105:108], v104 offset:560
	s_clause 0x1
	buffer_load_dword v137, off, s[0:3], 0 offset:256
	buffer_load_dword v138, off, s[0:3], 0 offset:260
	s_waitcnt vmcnt(28) lgkmcnt(0)
	v_fma_f64 v[105:106], v[109:110], v[105:106], 0
	s_clause 0x1
	buffer_load_dword v110, off, s[0:3], 0 offset:268
	buffer_load_dword v109, off, s[0:3], 0 offset:264
	s_waitcnt vmcnt(28)
	v_fma_f64 v[111:112], v[111:112], v[107:108], v[105:106]
	ds_read_b128 v[105:108], v104 offset:576
	s_clause 0x1
	buffer_load_dword v139, off, s[0:3], 0 offset:272
	buffer_load_dword v140, off, s[0:3], 0 offset:276
	s_waitcnt vmcnt(28) lgkmcnt(0)
	v_fma_f64 v[105:106], v[113:114], v[105:106], v[111:112]
	s_clause 0x1
	buffer_load_dword v111, off, s[0:3], 0 offset:280
	buffer_load_dword v112, off, s[0:3], 0 offset:284
	s_waitcnt vmcnt(28)
	v_fma_f64 v[113:114], v[115:116], v[107:108], v[105:106]
	ds_read_b128 v[105:108], v104 offset:592
	s_clause 0x1
	buffer_load_dword v115, off, s[0:3], 0 offset:288
	buffer_load_dword v116, off, s[0:3], 0 offset:292
	s_waitcnt vmcnt(28) lgkmcnt(0)
	v_fma_f64 v[105:106], v[117:118], v[105:106], v[113:114]
	s_clause 0x1
	buffer_load_dword v114, off, s[0:3], 0 offset:300
	buffer_load_dword v113, off, s[0:3], 0 offset:296
	s_waitcnt vmcnt(28)
	v_fma_f64 v[117:118], v[119:120], v[107:108], v[105:106]
	ds_read_b128 v[105:108], v104 offset:608
	s_clause 0x1
	buffer_load_dword v119, off, s[0:3], 0 offset:304
	buffer_load_dword v120, off, s[0:3], 0 offset:308
	s_waitcnt vmcnt(28) lgkmcnt(0)
	v_fma_f64 v[105:106], v[121:122], v[105:106], v[117:118]
	s_clause 0x1
	buffer_load_dword v117, off, s[0:3], 0 offset:312
	buffer_load_dword v118, off, s[0:3], 0 offset:316
	s_waitcnt vmcnt(28)
	v_fma_f64 v[121:122], v[123:124], v[107:108], v[105:106]
	ds_read_b128 v[105:108], v104 offset:624
	s_clause 0x1
	buffer_load_dword v123, off, s[0:3], 0 offset:320
	buffer_load_dword v124, off, s[0:3], 0 offset:324
	s_waitcnt vmcnt(28) lgkmcnt(0)
	v_fma_f64 v[105:106], v[125:126], v[105:106], v[121:122]
	s_clause 0x1
	buffer_load_dword v122, off, s[0:3], 0 offset:332
	buffer_load_dword v121, off, s[0:3], 0 offset:328
	s_waitcnt vmcnt(28)
	v_fma_f64 v[125:126], v[127:128], v[107:108], v[105:106]
	ds_read_b128 v[105:108], v104 offset:640
	s_clause 0x1
	buffer_load_dword v127, off, s[0:3], 0 offset:336
	buffer_load_dword v128, off, s[0:3], 0 offset:340
	s_waitcnt vmcnt(28) lgkmcnt(0)
	v_fma_f64 v[105:106], v[129:130], v[105:106], v[125:126]
	s_clause 0x1
	buffer_load_dword v125, off, s[0:3], 0 offset:344
	buffer_load_dword v126, off, s[0:3], 0 offset:348
	s_waitcnt vmcnt(28)
	v_fma_f64 v[129:130], v[131:132], v[107:108], v[105:106]
	ds_read_b128 v[105:108], v104 offset:656
	s_clause 0x1
	buffer_load_dword v131, off, s[0:3], 0 offset:352
	buffer_load_dword v132, off, s[0:3], 0 offset:356
	s_waitcnt vmcnt(28) lgkmcnt(0)
	v_fma_f64 v[105:106], v[133:134], v[105:106], v[129:130]
	s_clause 0x1
	buffer_load_dword v130, off, s[0:3], 0 offset:364
	buffer_load_dword v129, off, s[0:3], 0 offset:360
	s_waitcnt vmcnt(28)
	v_fma_f64 v[133:134], v[135:136], v[107:108], v[105:106]
	ds_read_b128 v[105:108], v104 offset:672
	s_clause 0x1
	buffer_load_dword v135, off, s[0:3], 0 offset:368
	buffer_load_dword v136, off, s[0:3], 0 offset:372
	s_waitcnt vmcnt(28) lgkmcnt(0)
	v_fma_f64 v[105:106], v[137:138], v[105:106], v[133:134]
	s_clause 0x1
	buffer_load_dword v133, off, s[0:3], 0 offset:376
	buffer_load_dword v134, off, s[0:3], 0 offset:380
	s_waitcnt vmcnt(28)
	v_fma_f64 v[109:110], v[109:110], v[107:108], v[105:106]
	ds_read_b128 v[105:108], v104 offset:688
	s_clause 0x1
	buffer_load_dword v137, off, s[0:3], 0 offset:384
	buffer_load_dword v138, off, s[0:3], 0 offset:388
	s_waitcnt vmcnt(28) lgkmcnt(0)
	v_fma_f64 v[105:106], v[139:140], v[105:106], v[109:110]
	s_clause 0x1
	buffer_load_dword v110, off, s[0:3], 0 offset:396
	buffer_load_dword v109, off, s[0:3], 0 offset:392
	s_waitcnt vmcnt(28)
	v_fma_f64 v[111:112], v[111:112], v[107:108], v[105:106]
	ds_read_b128 v[105:108], v104 offset:704
	s_clause 0x1
	buffer_load_dword v139, off, s[0:3], 0 offset:400
	buffer_load_dword v140, off, s[0:3], 0 offset:404
	s_waitcnt vmcnt(28) lgkmcnt(0)
	v_fma_f64 v[105:106], v[115:116], v[105:106], v[111:112]
	s_clause 0x1
	buffer_load_dword v111, off, s[0:3], 0 offset:136
	buffer_load_dword v112, off, s[0:3], 0 offset:140
	s_waitcnt vmcnt(28)
	v_fma_f64 v[113:114], v[113:114], v[107:108], v[105:106]
	ds_read_b128 v[105:108], v104 offset:720
	s_waitcnt vmcnt(26) lgkmcnt(0)
	v_fma_f64 v[105:106], v[119:120], v[105:106], v[113:114]
	s_waitcnt vmcnt(24)
	v_fma_f64 v[113:114], v[117:118], v[107:108], v[105:106]
	ds_read_b128 v[105:108], v104 offset:736
	s_waitcnt vmcnt(22) lgkmcnt(0)
	v_fma_f64 v[105:106], v[123:124], v[105:106], v[113:114]
	s_waitcnt vmcnt(20)
	v_fma_f64 v[113:114], v[121:122], v[107:108], v[105:106]
	;; [unrolled: 5-line block ×6, first 2 shown]
	ds_read_b64 v[107:108], v104 offset:816
	s_waitcnt vmcnt(2) lgkmcnt(0)
	v_fma_f64 v[105:106], v[139:140], v[107:108], v[105:106]
	s_waitcnt vmcnt(0)
	v_add_f64 v[105:106], v[111:112], -v[105:106]
	buffer_store_dword v106, off, s[0:3], 0 offset:140
	buffer_store_dword v105, off, s[0:3], 0 offset:136
	v_cmpx_lt_u32_e32 16, v0
	s_cbranch_execz .LBB114_283
; %bb.282:
	s_clause 0x1
	buffer_load_dword v105, off, s[0:3], 0 offset:128
	buffer_load_dword v106, off, s[0:3], 0 offset:132
	buffer_store_dword v104, off, s[0:3], 0 offset:128
	buffer_store_dword v104, off, s[0:3], 0 offset:132
	s_waitcnt vmcnt(0)
	ds_write_b64 v103, v[105:106]
.LBB114_283:
	s_or_b32 exec_lo, exec_lo, s4
	s_waitcnt lgkmcnt(0)
	s_waitcnt_vscnt null, 0x0
	s_barrier
	buffer_gl0_inv
	s_clause 0x1b
	buffer_load_dword v109, off, s[0:3], 0 offset:136
	buffer_load_dword v110, off, s[0:3], 0 offset:140
	;; [unrolled: 1-line block ×28, first 2 shown]
	ds_read2_b64 v[105:108], v104 offset0:69 offset1:70
	s_clause 0x1
	buffer_load_dword v137, off, s[0:3], 0 offset:248
	buffer_load_dword v138, off, s[0:3], 0 offset:252
	s_mov_b32 s4, exec_lo
	s_waitcnt vmcnt(28) lgkmcnt(0)
	v_fma_f64 v[105:106], v[109:110], v[105:106], 0
	s_clause 0x1
	buffer_load_dword v110, off, s[0:3], 0 offset:260
	buffer_load_dword v109, off, s[0:3], 0 offset:256
	s_waitcnt vmcnt(28)
	v_fma_f64 v[111:112], v[111:112], v[107:108], v[105:106]
	ds_read2_b64 v[105:108], v104 offset0:71 offset1:72
	s_clause 0x1
	buffer_load_dword v139, off, s[0:3], 0 offset:264
	buffer_load_dword v140, off, s[0:3], 0 offset:268
	s_waitcnt vmcnt(28) lgkmcnt(0)
	v_fma_f64 v[105:106], v[113:114], v[105:106], v[111:112]
	s_clause 0x1
	buffer_load_dword v111, off, s[0:3], 0 offset:272
	buffer_load_dword v112, off, s[0:3], 0 offset:276
	s_waitcnt vmcnt(28)
	v_fma_f64 v[113:114], v[115:116], v[107:108], v[105:106]
	ds_read2_b64 v[105:108], v104 offset0:73 offset1:74
	s_clause 0x1
	buffer_load_dword v115, off, s[0:3], 0 offset:280
	buffer_load_dword v116, off, s[0:3], 0 offset:284
	s_waitcnt vmcnt(28) lgkmcnt(0)
	v_fma_f64 v[105:106], v[117:118], v[105:106], v[113:114]
	s_clause 0x1
	buffer_load_dword v114, off, s[0:3], 0 offset:292
	buffer_load_dword v113, off, s[0:3], 0 offset:288
	s_waitcnt vmcnt(28)
	v_fma_f64 v[117:118], v[119:120], v[107:108], v[105:106]
	ds_read2_b64 v[105:108], v104 offset0:75 offset1:76
	s_clause 0x1
	buffer_load_dword v119, off, s[0:3], 0 offset:296
	buffer_load_dword v120, off, s[0:3], 0 offset:300
	s_waitcnt vmcnt(28) lgkmcnt(0)
	v_fma_f64 v[105:106], v[121:122], v[105:106], v[117:118]
	s_clause 0x1
	buffer_load_dword v117, off, s[0:3], 0 offset:304
	buffer_load_dword v118, off, s[0:3], 0 offset:308
	s_waitcnt vmcnt(28)
	v_fma_f64 v[121:122], v[123:124], v[107:108], v[105:106]
	ds_read2_b64 v[105:108], v104 offset0:77 offset1:78
	s_clause 0x1
	buffer_load_dword v123, off, s[0:3], 0 offset:312
	buffer_load_dword v124, off, s[0:3], 0 offset:316
	s_waitcnt vmcnt(28) lgkmcnt(0)
	v_fma_f64 v[105:106], v[125:126], v[105:106], v[121:122]
	s_clause 0x1
	buffer_load_dword v122, off, s[0:3], 0 offset:324
	buffer_load_dword v121, off, s[0:3], 0 offset:320
	s_waitcnt vmcnt(28)
	v_fma_f64 v[125:126], v[127:128], v[107:108], v[105:106]
	ds_read2_b64 v[105:108], v104 offset0:79 offset1:80
	s_clause 0x1
	buffer_load_dword v127, off, s[0:3], 0 offset:328
	buffer_load_dword v128, off, s[0:3], 0 offset:332
	s_waitcnt vmcnt(28) lgkmcnt(0)
	v_fma_f64 v[105:106], v[129:130], v[105:106], v[125:126]
	s_clause 0x1
	buffer_load_dword v125, off, s[0:3], 0 offset:336
	buffer_load_dword v126, off, s[0:3], 0 offset:340
	s_waitcnt vmcnt(28)
	v_fma_f64 v[129:130], v[131:132], v[107:108], v[105:106]
	ds_read2_b64 v[105:108], v104 offset0:81 offset1:82
	s_clause 0x1
	buffer_load_dword v131, off, s[0:3], 0 offset:344
	buffer_load_dword v132, off, s[0:3], 0 offset:348
	s_waitcnt vmcnt(28) lgkmcnt(0)
	v_fma_f64 v[105:106], v[133:134], v[105:106], v[129:130]
	s_clause 0x1
	buffer_load_dword v130, off, s[0:3], 0 offset:356
	buffer_load_dword v129, off, s[0:3], 0 offset:352
	s_waitcnt vmcnt(28)
	v_fma_f64 v[133:134], v[135:136], v[107:108], v[105:106]
	ds_read2_b64 v[105:108], v104 offset0:83 offset1:84
	s_clause 0x1
	buffer_load_dword v135, off, s[0:3], 0 offset:360
	buffer_load_dword v136, off, s[0:3], 0 offset:364
	s_waitcnt vmcnt(28) lgkmcnt(0)
	v_fma_f64 v[105:106], v[137:138], v[105:106], v[133:134]
	s_clause 0x1
	buffer_load_dword v133, off, s[0:3], 0 offset:368
	buffer_load_dword v134, off, s[0:3], 0 offset:372
	s_waitcnt vmcnt(28)
	v_fma_f64 v[109:110], v[109:110], v[107:108], v[105:106]
	ds_read2_b64 v[105:108], v104 offset0:85 offset1:86
	s_clause 0x1
	buffer_load_dword v137, off, s[0:3], 0 offset:376
	buffer_load_dword v138, off, s[0:3], 0 offset:380
	s_waitcnt vmcnt(28) lgkmcnt(0)
	v_fma_f64 v[105:106], v[139:140], v[105:106], v[109:110]
	s_clause 0x1
	buffer_load_dword v110, off, s[0:3], 0 offset:388
	buffer_load_dword v109, off, s[0:3], 0 offset:384
	s_waitcnt vmcnt(28)
	v_fma_f64 v[111:112], v[111:112], v[107:108], v[105:106]
	ds_read2_b64 v[105:108], v104 offset0:87 offset1:88
	s_clause 0x1
	buffer_load_dword v139, off, s[0:3], 0 offset:392
	buffer_load_dword v140, off, s[0:3], 0 offset:396
	s_waitcnt vmcnt(28) lgkmcnt(0)
	v_fma_f64 v[105:106], v[115:116], v[105:106], v[111:112]
	s_clause 0x1
	buffer_load_dword v111, off, s[0:3], 0 offset:400
	buffer_load_dword v112, off, s[0:3], 0 offset:404
	s_waitcnt vmcnt(28)
	v_fma_f64 v[113:114], v[113:114], v[107:108], v[105:106]
	ds_read2_b64 v[105:108], v104 offset0:89 offset1:90
	s_clause 0x1
	buffer_load_dword v115, off, s[0:3], 0 offset:128
	buffer_load_dword v116, off, s[0:3], 0 offset:132
	s_waitcnt vmcnt(28) lgkmcnt(0)
	v_fma_f64 v[105:106], v[119:120], v[105:106], v[113:114]
	s_waitcnt vmcnt(26)
	v_fma_f64 v[113:114], v[117:118], v[107:108], v[105:106]
	ds_read2_b64 v[105:108], v104 offset0:91 offset1:92
	s_waitcnt vmcnt(24) lgkmcnt(0)
	v_fma_f64 v[105:106], v[123:124], v[105:106], v[113:114]
	s_waitcnt vmcnt(22)
	v_fma_f64 v[113:114], v[121:122], v[107:108], v[105:106]
	ds_read2_b64 v[105:108], v104 offset0:93 offset1:94
	s_waitcnt vmcnt(20) lgkmcnt(0)
	v_fma_f64 v[105:106], v[127:128], v[105:106], v[113:114]
	s_waitcnt vmcnt(18)
	v_fma_f64 v[113:114], v[125:126], v[107:108], v[105:106]
	ds_read2_b64 v[105:108], v104 offset0:95 offset1:96
	s_waitcnt vmcnt(16) lgkmcnt(0)
	v_fma_f64 v[105:106], v[131:132], v[105:106], v[113:114]
	s_waitcnt vmcnt(14)
	v_fma_f64 v[113:114], v[129:130], v[107:108], v[105:106]
	ds_read2_b64 v[105:108], v104 offset0:97 offset1:98
	s_waitcnt vmcnt(12) lgkmcnt(0)
	v_fma_f64 v[105:106], v[135:136], v[105:106], v[113:114]
	s_waitcnt vmcnt(10)
	v_fma_f64 v[113:114], v[133:134], v[107:108], v[105:106]
	ds_read2_b64 v[105:108], v104 offset0:99 offset1:100
	s_waitcnt vmcnt(8) lgkmcnt(0)
	v_fma_f64 v[105:106], v[137:138], v[105:106], v[113:114]
	s_waitcnt vmcnt(6)
	v_fma_f64 v[108:109], v[109:110], v[107:108], v[105:106]
	ds_read2_b64 v[104:107], v104 offset0:101 offset1:102
	s_waitcnt vmcnt(4) lgkmcnt(0)
	v_fma_f64 v[104:105], v[139:140], v[104:105], v[108:109]
	s_waitcnt vmcnt(2)
	v_fma_f64 v[104:105], v[111:112], v[106:107], v[104:105]
	s_waitcnt vmcnt(0)
	v_add_f64 v[104:105], v[115:116], -v[104:105]
	buffer_store_dword v105, off, s[0:3], 0 offset:132
	buffer_store_dword v104, off, s[0:3], 0 offset:128
	v_cmpx_lt_u32_e32 15, v0
	s_cbranch_execz .LBB114_285
; %bb.284:
	s_clause 0x1
	buffer_load_dword v104, off, s[0:3], 0 offset:120
	buffer_load_dword v105, off, s[0:3], 0 offset:124
	v_mov_b32_e32 v106, 0
	buffer_store_dword v106, off, s[0:3], 0 offset:120
	buffer_store_dword v106, off, s[0:3], 0 offset:124
	s_waitcnt vmcnt(0)
	ds_write_b64 v103, v[104:105]
.LBB114_285:
	s_or_b32 exec_lo, exec_lo, s4
	s_waitcnt lgkmcnt(0)
	s_waitcnt_vscnt null, 0x0
	s_barrier
	buffer_gl0_inv
	s_clause 0x1b
	buffer_load_dword v109, off, s[0:3], 0 offset:128
	buffer_load_dword v110, off, s[0:3], 0 offset:132
	;; [unrolled: 1-line block ×28, first 2 shown]
	v_mov_b32_e32 v104, 0
	s_mov_b32 s4, exec_lo
	ds_read_b128 v[105:108], v104 offset:544
	s_clause 0x1
	buffer_load_dword v137, off, s[0:3], 0 offset:240
	buffer_load_dword v138, off, s[0:3], 0 offset:244
	s_waitcnt vmcnt(28) lgkmcnt(0)
	v_fma_f64 v[105:106], v[109:110], v[105:106], 0
	s_clause 0x1
	buffer_load_dword v110, off, s[0:3], 0 offset:252
	buffer_load_dword v109, off, s[0:3], 0 offset:248
	s_waitcnt vmcnt(28)
	v_fma_f64 v[111:112], v[111:112], v[107:108], v[105:106]
	ds_read_b128 v[105:108], v104 offset:560
	s_clause 0x1
	buffer_load_dword v139, off, s[0:3], 0 offset:256
	buffer_load_dword v140, off, s[0:3], 0 offset:260
	s_waitcnt vmcnt(28) lgkmcnt(0)
	v_fma_f64 v[105:106], v[113:114], v[105:106], v[111:112]
	s_clause 0x1
	buffer_load_dword v111, off, s[0:3], 0 offset:264
	buffer_load_dword v112, off, s[0:3], 0 offset:268
	s_waitcnt vmcnt(28)
	v_fma_f64 v[113:114], v[115:116], v[107:108], v[105:106]
	;; [unrolled: 11-line block ×11, first 2 shown]
	ds_read_b128 v[105:108], v104 offset:720
	s_waitcnt vmcnt(26) lgkmcnt(0)
	v_fma_f64 v[105:106], v[123:124], v[105:106], v[117:118]
	s_waitcnt vmcnt(24)
	v_fma_f64 v[117:118], v[121:122], v[107:108], v[105:106]
	ds_read_b128 v[105:108], v104 offset:736
	s_waitcnt vmcnt(22) lgkmcnt(0)
	v_fma_f64 v[105:106], v[127:128], v[105:106], v[117:118]
	s_waitcnt vmcnt(20)
	v_fma_f64 v[117:118], v[125:126], v[107:108], v[105:106]
	;; [unrolled: 5-line block ×6, first 2 shown]
	ds_read_b64 v[107:108], v104 offset:816
	s_waitcnt vmcnt(2) lgkmcnt(0)
	v_fma_f64 v[105:106], v[115:116], v[107:108], v[105:106]
	s_waitcnt vmcnt(0)
	v_add_f64 v[105:106], v[113:114], -v[105:106]
	buffer_store_dword v106, off, s[0:3], 0 offset:124
	buffer_store_dword v105, off, s[0:3], 0 offset:120
	v_cmpx_lt_u32_e32 14, v0
	s_cbranch_execz .LBB114_287
; %bb.286:
	s_clause 0x1
	buffer_load_dword v105, off, s[0:3], 0 offset:112
	buffer_load_dword v106, off, s[0:3], 0 offset:116
	buffer_store_dword v104, off, s[0:3], 0 offset:112
	buffer_store_dword v104, off, s[0:3], 0 offset:116
	s_waitcnt vmcnt(0)
	ds_write_b64 v103, v[105:106]
.LBB114_287:
	s_or_b32 exec_lo, exec_lo, s4
	s_waitcnt lgkmcnt(0)
	s_waitcnt_vscnt null, 0x0
	s_barrier
	buffer_gl0_inv
	s_clause 0x1b
	buffer_load_dword v109, off, s[0:3], 0 offset:120
	buffer_load_dword v110, off, s[0:3], 0 offset:124
	;; [unrolled: 1-line block ×28, first 2 shown]
	ds_read2_b64 v[105:108], v104 offset0:67 offset1:68
	s_clause 0x1
	buffer_load_dword v137, off, s[0:3], 0 offset:232
	buffer_load_dword v138, off, s[0:3], 0 offset:236
	s_mov_b32 s4, exec_lo
	s_waitcnt vmcnt(28) lgkmcnt(0)
	v_fma_f64 v[105:106], v[109:110], v[105:106], 0
	s_clause 0x1
	buffer_load_dword v110, off, s[0:3], 0 offset:244
	buffer_load_dword v109, off, s[0:3], 0 offset:240
	s_waitcnt vmcnt(28)
	v_fma_f64 v[111:112], v[111:112], v[107:108], v[105:106]
	ds_read2_b64 v[105:108], v104 offset0:69 offset1:70
	s_clause 0x1
	buffer_load_dword v139, off, s[0:3], 0 offset:248
	buffer_load_dword v140, off, s[0:3], 0 offset:252
	s_waitcnt vmcnt(28) lgkmcnt(0)
	v_fma_f64 v[105:106], v[113:114], v[105:106], v[111:112]
	s_clause 0x1
	buffer_load_dword v111, off, s[0:3], 0 offset:256
	buffer_load_dword v112, off, s[0:3], 0 offset:260
	s_waitcnt vmcnt(28)
	v_fma_f64 v[113:114], v[115:116], v[107:108], v[105:106]
	ds_read2_b64 v[105:108], v104 offset0:71 offset1:72
	s_clause 0x1
	buffer_load_dword v115, off, s[0:3], 0 offset:264
	buffer_load_dword v116, off, s[0:3], 0 offset:268
	;; [unrolled: 11-line block ×11, first 2 shown]
	s_waitcnt vmcnt(28) lgkmcnt(0)
	v_fma_f64 v[105:106], v[123:124], v[105:106], v[117:118]
	s_waitcnt vmcnt(26)
	v_fma_f64 v[117:118], v[121:122], v[107:108], v[105:106]
	ds_read2_b64 v[105:108], v104 offset0:91 offset1:92
	s_waitcnt vmcnt(24) lgkmcnt(0)
	v_fma_f64 v[105:106], v[127:128], v[105:106], v[117:118]
	s_waitcnt vmcnt(22)
	v_fma_f64 v[117:118], v[125:126], v[107:108], v[105:106]
	ds_read2_b64 v[105:108], v104 offset0:93 offset1:94
	;; [unrolled: 5-line block ×6, first 2 shown]
	s_waitcnt vmcnt(4) lgkmcnt(0)
	v_fma_f64 v[104:105], v[115:116], v[104:105], v[108:109]
	s_waitcnt vmcnt(2)
	v_fma_f64 v[104:105], v[113:114], v[106:107], v[104:105]
	s_waitcnt vmcnt(0)
	v_add_f64 v[104:105], v[119:120], -v[104:105]
	buffer_store_dword v105, off, s[0:3], 0 offset:116
	buffer_store_dword v104, off, s[0:3], 0 offset:112
	v_cmpx_lt_u32_e32 13, v0
	s_cbranch_execz .LBB114_289
; %bb.288:
	s_clause 0x1
	buffer_load_dword v104, off, s[0:3], 0 offset:104
	buffer_load_dword v105, off, s[0:3], 0 offset:108
	v_mov_b32_e32 v106, 0
	buffer_store_dword v106, off, s[0:3], 0 offset:104
	buffer_store_dword v106, off, s[0:3], 0 offset:108
	s_waitcnt vmcnt(0)
	ds_write_b64 v103, v[104:105]
.LBB114_289:
	s_or_b32 exec_lo, exec_lo, s4
	s_waitcnt lgkmcnt(0)
	s_waitcnt_vscnt null, 0x0
	s_barrier
	buffer_gl0_inv
	s_clause 0x1b
	buffer_load_dword v109, off, s[0:3], 0 offset:112
	buffer_load_dword v110, off, s[0:3], 0 offset:116
	;; [unrolled: 1-line block ×28, first 2 shown]
	v_mov_b32_e32 v104, 0
	s_mov_b32 s4, exec_lo
	ds_read_b128 v[105:108], v104 offset:528
	s_clause 0x1
	buffer_load_dword v137, off, s[0:3], 0 offset:224
	buffer_load_dword v138, off, s[0:3], 0 offset:228
	s_waitcnt vmcnt(28) lgkmcnt(0)
	v_fma_f64 v[105:106], v[109:110], v[105:106], 0
	s_clause 0x1
	buffer_load_dword v110, off, s[0:3], 0 offset:236
	buffer_load_dword v109, off, s[0:3], 0 offset:232
	s_waitcnt vmcnt(28)
	v_fma_f64 v[111:112], v[111:112], v[107:108], v[105:106]
	ds_read_b128 v[105:108], v104 offset:544
	s_clause 0x1
	buffer_load_dword v139, off, s[0:3], 0 offset:240
	buffer_load_dword v140, off, s[0:3], 0 offset:244
	s_waitcnt vmcnt(28) lgkmcnt(0)
	v_fma_f64 v[105:106], v[113:114], v[105:106], v[111:112]
	s_clause 0x1
	buffer_load_dword v111, off, s[0:3], 0 offset:248
	buffer_load_dword v112, off, s[0:3], 0 offset:252
	s_waitcnt vmcnt(28)
	v_fma_f64 v[113:114], v[115:116], v[107:108], v[105:106]
	;; [unrolled: 11-line block ×12, first 2 shown]
	ds_read_b128 v[105:108], v104 offset:720
	s_waitcnt vmcnt(26) lgkmcnt(0)
	v_fma_f64 v[105:106], v[127:128], v[105:106], v[121:122]
	s_waitcnt vmcnt(24)
	v_fma_f64 v[121:122], v[125:126], v[107:108], v[105:106]
	ds_read_b128 v[105:108], v104 offset:736
	s_waitcnt vmcnt(22) lgkmcnt(0)
	v_fma_f64 v[105:106], v[131:132], v[105:106], v[121:122]
	s_waitcnt vmcnt(20)
	v_fma_f64 v[121:122], v[129:130], v[107:108], v[105:106]
	;; [unrolled: 5-line block ×6, first 2 shown]
	ds_read_b64 v[107:108], v104 offset:816
	s_waitcnt vmcnt(2) lgkmcnt(0)
	v_fma_f64 v[105:106], v[119:120], v[107:108], v[105:106]
	s_waitcnt vmcnt(0)
	v_add_f64 v[105:106], v[117:118], -v[105:106]
	buffer_store_dword v106, off, s[0:3], 0 offset:108
	buffer_store_dword v105, off, s[0:3], 0 offset:104
	v_cmpx_lt_u32_e32 12, v0
	s_cbranch_execz .LBB114_291
; %bb.290:
	s_clause 0x1
	buffer_load_dword v105, off, s[0:3], 0 offset:96
	buffer_load_dword v106, off, s[0:3], 0 offset:100
	buffer_store_dword v104, off, s[0:3], 0 offset:96
	buffer_store_dword v104, off, s[0:3], 0 offset:100
	s_waitcnt vmcnt(0)
	ds_write_b64 v103, v[105:106]
.LBB114_291:
	s_or_b32 exec_lo, exec_lo, s4
	s_waitcnt lgkmcnt(0)
	s_waitcnt_vscnt null, 0x0
	s_barrier
	buffer_gl0_inv
	s_clause 0x1b
	buffer_load_dword v109, off, s[0:3], 0 offset:104
	buffer_load_dword v110, off, s[0:3], 0 offset:108
	;; [unrolled: 1-line block ×28, first 2 shown]
	ds_read2_b64 v[105:108], v104 offset0:65 offset1:66
	s_clause 0x1
	buffer_load_dword v137, off, s[0:3], 0 offset:216
	buffer_load_dword v138, off, s[0:3], 0 offset:220
	s_mov_b32 s4, exec_lo
	s_waitcnt vmcnt(28) lgkmcnt(0)
	v_fma_f64 v[105:106], v[109:110], v[105:106], 0
	s_clause 0x1
	buffer_load_dword v110, off, s[0:3], 0 offset:228
	buffer_load_dword v109, off, s[0:3], 0 offset:224
	s_waitcnt vmcnt(28)
	v_fma_f64 v[111:112], v[111:112], v[107:108], v[105:106]
	ds_read2_b64 v[105:108], v104 offset0:67 offset1:68
	s_clause 0x1
	buffer_load_dword v139, off, s[0:3], 0 offset:232
	buffer_load_dword v140, off, s[0:3], 0 offset:236
	s_waitcnt vmcnt(28) lgkmcnt(0)
	v_fma_f64 v[105:106], v[113:114], v[105:106], v[111:112]
	s_clause 0x1
	buffer_load_dword v111, off, s[0:3], 0 offset:240
	buffer_load_dword v112, off, s[0:3], 0 offset:244
	s_waitcnt vmcnt(28)
	v_fma_f64 v[113:114], v[115:116], v[107:108], v[105:106]
	ds_read2_b64 v[105:108], v104 offset0:69 offset1:70
	s_clause 0x1
	buffer_load_dword v115, off, s[0:3], 0 offset:248
	buffer_load_dword v116, off, s[0:3], 0 offset:252
	;; [unrolled: 11-line block ×12, first 2 shown]
	s_waitcnt vmcnt(28) lgkmcnt(0)
	v_fma_f64 v[105:106], v[127:128], v[105:106], v[121:122]
	s_waitcnt vmcnt(26)
	v_fma_f64 v[121:122], v[125:126], v[107:108], v[105:106]
	ds_read2_b64 v[105:108], v104 offset0:91 offset1:92
	s_waitcnt vmcnt(24) lgkmcnt(0)
	v_fma_f64 v[105:106], v[131:132], v[105:106], v[121:122]
	s_waitcnt vmcnt(22)
	v_fma_f64 v[121:122], v[129:130], v[107:108], v[105:106]
	ds_read2_b64 v[105:108], v104 offset0:93 offset1:94
	;; [unrolled: 5-line block ×6, first 2 shown]
	s_waitcnt vmcnt(4) lgkmcnt(0)
	v_fma_f64 v[104:105], v[119:120], v[104:105], v[108:109]
	s_waitcnt vmcnt(2)
	v_fma_f64 v[104:105], v[117:118], v[106:107], v[104:105]
	s_waitcnt vmcnt(0)
	v_add_f64 v[104:105], v[123:124], -v[104:105]
	buffer_store_dword v105, off, s[0:3], 0 offset:100
	buffer_store_dword v104, off, s[0:3], 0 offset:96
	v_cmpx_lt_u32_e32 11, v0
	s_cbranch_execz .LBB114_293
; %bb.292:
	s_clause 0x1
	buffer_load_dword v104, off, s[0:3], 0 offset:88
	buffer_load_dword v105, off, s[0:3], 0 offset:92
	v_mov_b32_e32 v106, 0
	buffer_store_dword v106, off, s[0:3], 0 offset:88
	buffer_store_dword v106, off, s[0:3], 0 offset:92
	s_waitcnt vmcnt(0)
	ds_write_b64 v103, v[104:105]
.LBB114_293:
	s_or_b32 exec_lo, exec_lo, s4
	s_waitcnt lgkmcnt(0)
	s_waitcnt_vscnt null, 0x0
	s_barrier
	buffer_gl0_inv
	s_clause 0x1b
	buffer_load_dword v109, off, s[0:3], 0 offset:96
	buffer_load_dword v110, off, s[0:3], 0 offset:100
	;; [unrolled: 1-line block ×28, first 2 shown]
	v_mov_b32_e32 v104, 0
	s_mov_b32 s4, exec_lo
	ds_read_b128 v[105:108], v104 offset:512
	s_clause 0x1
	buffer_load_dword v137, off, s[0:3], 0 offset:208
	buffer_load_dword v138, off, s[0:3], 0 offset:212
	s_waitcnt vmcnt(28) lgkmcnt(0)
	v_fma_f64 v[105:106], v[109:110], v[105:106], 0
	s_clause 0x1
	buffer_load_dword v110, off, s[0:3], 0 offset:220
	buffer_load_dword v109, off, s[0:3], 0 offset:216
	s_waitcnt vmcnt(28)
	v_fma_f64 v[111:112], v[111:112], v[107:108], v[105:106]
	ds_read_b128 v[105:108], v104 offset:528
	s_clause 0x1
	buffer_load_dword v139, off, s[0:3], 0 offset:224
	buffer_load_dword v140, off, s[0:3], 0 offset:228
	s_waitcnt vmcnt(28) lgkmcnt(0)
	v_fma_f64 v[105:106], v[113:114], v[105:106], v[111:112]
	s_clause 0x1
	buffer_load_dword v111, off, s[0:3], 0 offset:232
	buffer_load_dword v112, off, s[0:3], 0 offset:236
	s_waitcnt vmcnt(28)
	v_fma_f64 v[113:114], v[115:116], v[107:108], v[105:106]
	;; [unrolled: 11-line block ×13, first 2 shown]
	ds_read_b128 v[105:108], v104 offset:720
	s_waitcnt vmcnt(26) lgkmcnt(0)
	v_fma_f64 v[105:106], v[131:132], v[105:106], v[125:126]
	s_waitcnt vmcnt(24)
	v_fma_f64 v[125:126], v[129:130], v[107:108], v[105:106]
	ds_read_b128 v[105:108], v104 offset:736
	s_waitcnt vmcnt(22) lgkmcnt(0)
	v_fma_f64 v[105:106], v[135:136], v[105:106], v[125:126]
	s_waitcnt vmcnt(20)
	v_fma_f64 v[125:126], v[133:134], v[107:108], v[105:106]
	;; [unrolled: 5-line block ×6, first 2 shown]
	ds_read_b64 v[107:108], v104 offset:816
	s_waitcnt vmcnt(2) lgkmcnt(0)
	v_fma_f64 v[105:106], v[123:124], v[107:108], v[105:106]
	s_waitcnt vmcnt(0)
	v_add_f64 v[105:106], v[121:122], -v[105:106]
	buffer_store_dword v106, off, s[0:3], 0 offset:92
	buffer_store_dword v105, off, s[0:3], 0 offset:88
	v_cmpx_lt_u32_e32 10, v0
	s_cbranch_execz .LBB114_295
; %bb.294:
	s_clause 0x1
	buffer_load_dword v105, off, s[0:3], 0 offset:80
	buffer_load_dword v106, off, s[0:3], 0 offset:84
	buffer_store_dword v104, off, s[0:3], 0 offset:80
	buffer_store_dword v104, off, s[0:3], 0 offset:84
	s_waitcnt vmcnt(0)
	ds_write_b64 v103, v[105:106]
.LBB114_295:
	s_or_b32 exec_lo, exec_lo, s4
	s_waitcnt lgkmcnt(0)
	s_waitcnt_vscnt null, 0x0
	s_barrier
	buffer_gl0_inv
	s_clause 0x1b
	buffer_load_dword v109, off, s[0:3], 0 offset:88
	buffer_load_dword v110, off, s[0:3], 0 offset:92
	;; [unrolled: 1-line block ×28, first 2 shown]
	ds_read2_b64 v[105:108], v104 offset0:63 offset1:64
	s_clause 0x1
	buffer_load_dword v137, off, s[0:3], 0 offset:200
	buffer_load_dword v138, off, s[0:3], 0 offset:204
	s_mov_b32 s4, exec_lo
	s_waitcnt vmcnt(28) lgkmcnt(0)
	v_fma_f64 v[105:106], v[109:110], v[105:106], 0
	s_clause 0x1
	buffer_load_dword v110, off, s[0:3], 0 offset:212
	buffer_load_dword v109, off, s[0:3], 0 offset:208
	s_waitcnt vmcnt(28)
	v_fma_f64 v[111:112], v[111:112], v[107:108], v[105:106]
	ds_read2_b64 v[105:108], v104 offset0:65 offset1:66
	s_clause 0x1
	buffer_load_dword v139, off, s[0:3], 0 offset:216
	buffer_load_dword v140, off, s[0:3], 0 offset:220
	s_waitcnt vmcnt(28) lgkmcnt(0)
	v_fma_f64 v[105:106], v[113:114], v[105:106], v[111:112]
	s_clause 0x1
	buffer_load_dword v111, off, s[0:3], 0 offset:224
	buffer_load_dword v112, off, s[0:3], 0 offset:228
	s_waitcnt vmcnt(28)
	v_fma_f64 v[113:114], v[115:116], v[107:108], v[105:106]
	ds_read2_b64 v[105:108], v104 offset0:67 offset1:68
	s_clause 0x1
	buffer_load_dword v115, off, s[0:3], 0 offset:232
	buffer_load_dword v116, off, s[0:3], 0 offset:236
	s_waitcnt vmcnt(28) lgkmcnt(0)
	v_fma_f64 v[105:106], v[117:118], v[105:106], v[113:114]
	s_clause 0x1
	buffer_load_dword v114, off, s[0:3], 0 offset:244
	buffer_load_dword v113, off, s[0:3], 0 offset:240
	s_waitcnt vmcnt(28)
	v_fma_f64 v[117:118], v[119:120], v[107:108], v[105:106]
	ds_read2_b64 v[105:108], v104 offset0:69 offset1:70
	s_clause 0x1
	buffer_load_dword v119, off, s[0:3], 0 offset:248
	buffer_load_dword v120, off, s[0:3], 0 offset:252
	s_waitcnt vmcnt(28) lgkmcnt(0)
	v_fma_f64 v[105:106], v[121:122], v[105:106], v[117:118]
	s_clause 0x1
	buffer_load_dword v117, off, s[0:3], 0 offset:256
	buffer_load_dword v118, off, s[0:3], 0 offset:260
	s_waitcnt vmcnt(28)
	v_fma_f64 v[121:122], v[123:124], v[107:108], v[105:106]
	ds_read2_b64 v[105:108], v104 offset0:71 offset1:72
	s_clause 0x1
	buffer_load_dword v123, off, s[0:3], 0 offset:264
	buffer_load_dword v124, off, s[0:3], 0 offset:268
	s_waitcnt vmcnt(28) lgkmcnt(0)
	v_fma_f64 v[105:106], v[125:126], v[105:106], v[121:122]
	s_clause 0x1
	buffer_load_dword v122, off, s[0:3], 0 offset:276
	buffer_load_dword v121, off, s[0:3], 0 offset:272
	s_waitcnt vmcnt(28)
	v_fma_f64 v[125:126], v[127:128], v[107:108], v[105:106]
	ds_read2_b64 v[105:108], v104 offset0:73 offset1:74
	s_clause 0x1
	buffer_load_dword v127, off, s[0:3], 0 offset:280
	buffer_load_dword v128, off, s[0:3], 0 offset:284
	s_waitcnt vmcnt(28) lgkmcnt(0)
	v_fma_f64 v[105:106], v[129:130], v[105:106], v[125:126]
	s_clause 0x1
	buffer_load_dword v125, off, s[0:3], 0 offset:288
	buffer_load_dword v126, off, s[0:3], 0 offset:292
	s_waitcnt vmcnt(28)
	v_fma_f64 v[129:130], v[131:132], v[107:108], v[105:106]
	ds_read2_b64 v[105:108], v104 offset0:75 offset1:76
	s_clause 0x1
	buffer_load_dword v131, off, s[0:3], 0 offset:296
	buffer_load_dword v132, off, s[0:3], 0 offset:300
	s_waitcnt vmcnt(28) lgkmcnt(0)
	v_fma_f64 v[105:106], v[133:134], v[105:106], v[129:130]
	s_clause 0x1
	buffer_load_dword v130, off, s[0:3], 0 offset:308
	buffer_load_dword v129, off, s[0:3], 0 offset:304
	s_waitcnt vmcnt(28)
	v_fma_f64 v[133:134], v[135:136], v[107:108], v[105:106]
	ds_read2_b64 v[105:108], v104 offset0:77 offset1:78
	s_clause 0x1
	buffer_load_dword v135, off, s[0:3], 0 offset:312
	buffer_load_dword v136, off, s[0:3], 0 offset:316
	s_waitcnt vmcnt(28) lgkmcnt(0)
	v_fma_f64 v[105:106], v[137:138], v[105:106], v[133:134]
	s_clause 0x1
	buffer_load_dword v133, off, s[0:3], 0 offset:320
	buffer_load_dword v134, off, s[0:3], 0 offset:324
	s_waitcnt vmcnt(28)
	v_fma_f64 v[109:110], v[109:110], v[107:108], v[105:106]
	ds_read2_b64 v[105:108], v104 offset0:79 offset1:80
	s_clause 0x1
	buffer_load_dword v137, off, s[0:3], 0 offset:328
	buffer_load_dword v138, off, s[0:3], 0 offset:332
	s_waitcnt vmcnt(28) lgkmcnt(0)
	v_fma_f64 v[105:106], v[139:140], v[105:106], v[109:110]
	s_clause 0x1
	buffer_load_dword v110, off, s[0:3], 0 offset:340
	buffer_load_dword v109, off, s[0:3], 0 offset:336
	s_waitcnt vmcnt(28)
	v_fma_f64 v[111:112], v[111:112], v[107:108], v[105:106]
	ds_read2_b64 v[105:108], v104 offset0:81 offset1:82
	s_clause 0x1
	buffer_load_dword v139, off, s[0:3], 0 offset:344
	buffer_load_dword v140, off, s[0:3], 0 offset:348
	s_waitcnt vmcnt(28) lgkmcnt(0)
	v_fma_f64 v[105:106], v[115:116], v[105:106], v[111:112]
	s_clause 0x1
	buffer_load_dword v111, off, s[0:3], 0 offset:352
	buffer_load_dword v112, off, s[0:3], 0 offset:356
	s_waitcnt vmcnt(28)
	v_fma_f64 v[113:114], v[113:114], v[107:108], v[105:106]
	ds_read2_b64 v[105:108], v104 offset0:83 offset1:84
	s_clause 0x1
	buffer_load_dword v115, off, s[0:3], 0 offset:360
	buffer_load_dword v116, off, s[0:3], 0 offset:364
	s_waitcnt vmcnt(28) lgkmcnt(0)
	v_fma_f64 v[105:106], v[119:120], v[105:106], v[113:114]
	s_clause 0x1
	buffer_load_dword v114, off, s[0:3], 0 offset:372
	buffer_load_dword v113, off, s[0:3], 0 offset:368
	s_waitcnt vmcnt(28)
	v_fma_f64 v[117:118], v[117:118], v[107:108], v[105:106]
	ds_read2_b64 v[105:108], v104 offset0:85 offset1:86
	s_clause 0x1
	buffer_load_dword v119, off, s[0:3], 0 offset:376
	buffer_load_dword v120, off, s[0:3], 0 offset:380
	s_waitcnt vmcnt(28) lgkmcnt(0)
	v_fma_f64 v[105:106], v[123:124], v[105:106], v[117:118]
	s_clause 0x1
	buffer_load_dword v117, off, s[0:3], 0 offset:384
	buffer_load_dword v118, off, s[0:3], 0 offset:388
	s_waitcnt vmcnt(28)
	v_fma_f64 v[121:122], v[121:122], v[107:108], v[105:106]
	ds_read2_b64 v[105:108], v104 offset0:87 offset1:88
	s_clause 0x1
	buffer_load_dword v123, off, s[0:3], 0 offset:392
	buffer_load_dword v124, off, s[0:3], 0 offset:396
	s_waitcnt vmcnt(28) lgkmcnt(0)
	v_fma_f64 v[105:106], v[127:128], v[105:106], v[121:122]
	s_clause 0x1
	buffer_load_dword v122, off, s[0:3], 0 offset:404
	buffer_load_dword v121, off, s[0:3], 0 offset:400
	s_waitcnt vmcnt(28)
	v_fma_f64 v[125:126], v[125:126], v[107:108], v[105:106]
	ds_read2_b64 v[105:108], v104 offset0:89 offset1:90
	s_clause 0x1
	buffer_load_dword v127, off, s[0:3], 0 offset:80
	buffer_load_dword v128, off, s[0:3], 0 offset:84
	s_waitcnt vmcnt(28) lgkmcnt(0)
	v_fma_f64 v[105:106], v[131:132], v[105:106], v[125:126]
	s_waitcnt vmcnt(26)
	v_fma_f64 v[125:126], v[129:130], v[107:108], v[105:106]
	ds_read2_b64 v[105:108], v104 offset0:91 offset1:92
	s_waitcnt vmcnt(24) lgkmcnt(0)
	v_fma_f64 v[105:106], v[135:136], v[105:106], v[125:126]
	s_waitcnt vmcnt(22)
	v_fma_f64 v[125:126], v[133:134], v[107:108], v[105:106]
	ds_read2_b64 v[105:108], v104 offset0:93 offset1:94
	;; [unrolled: 5-line block ×6, first 2 shown]
	s_waitcnt vmcnt(4) lgkmcnt(0)
	v_fma_f64 v[104:105], v[123:124], v[104:105], v[108:109]
	s_waitcnt vmcnt(2)
	v_fma_f64 v[104:105], v[121:122], v[106:107], v[104:105]
	s_waitcnt vmcnt(0)
	v_add_f64 v[104:105], v[127:128], -v[104:105]
	buffer_store_dword v105, off, s[0:3], 0 offset:84
	buffer_store_dword v104, off, s[0:3], 0 offset:80
	v_cmpx_lt_u32_e32 9, v0
	s_cbranch_execz .LBB114_297
; %bb.296:
	s_clause 0x1
	buffer_load_dword v104, off, s[0:3], 0 offset:72
	buffer_load_dword v105, off, s[0:3], 0 offset:76
	v_mov_b32_e32 v106, 0
	buffer_store_dword v106, off, s[0:3], 0 offset:72
	buffer_store_dword v106, off, s[0:3], 0 offset:76
	s_waitcnt vmcnt(0)
	ds_write_b64 v103, v[104:105]
.LBB114_297:
	s_or_b32 exec_lo, exec_lo, s4
	s_waitcnt lgkmcnt(0)
	s_waitcnt_vscnt null, 0x0
	s_barrier
	buffer_gl0_inv
	s_clause 0x1b
	buffer_load_dword v109, off, s[0:3], 0 offset:80
	buffer_load_dword v110, off, s[0:3], 0 offset:84
	;; [unrolled: 1-line block ×28, first 2 shown]
	v_mov_b32_e32 v104, 0
	s_mov_b32 s4, exec_lo
	ds_read_b128 v[105:108], v104 offset:496
	s_clause 0x1
	buffer_load_dword v137, off, s[0:3], 0 offset:192
	buffer_load_dword v138, off, s[0:3], 0 offset:196
	s_waitcnt vmcnt(28) lgkmcnt(0)
	v_fma_f64 v[105:106], v[109:110], v[105:106], 0
	s_clause 0x1
	buffer_load_dword v110, off, s[0:3], 0 offset:204
	buffer_load_dword v109, off, s[0:3], 0 offset:200
	s_waitcnt vmcnt(28)
	v_fma_f64 v[111:112], v[111:112], v[107:108], v[105:106]
	ds_read_b128 v[105:108], v104 offset:512
	s_clause 0x1
	buffer_load_dword v139, off, s[0:3], 0 offset:208
	buffer_load_dword v140, off, s[0:3], 0 offset:212
	s_waitcnt vmcnt(28) lgkmcnt(0)
	v_fma_f64 v[105:106], v[113:114], v[105:106], v[111:112]
	s_clause 0x1
	buffer_load_dword v111, off, s[0:3], 0 offset:216
	buffer_load_dword v112, off, s[0:3], 0 offset:220
	s_waitcnt vmcnt(28)
	v_fma_f64 v[113:114], v[115:116], v[107:108], v[105:106]
	;; [unrolled: 11-line block ×14, first 2 shown]
	ds_read_b128 v[105:108], v104 offset:720
	s_waitcnt vmcnt(26) lgkmcnt(0)
	v_fma_f64 v[105:106], v[135:136], v[105:106], v[129:130]
	s_waitcnt vmcnt(24)
	v_fma_f64 v[129:130], v[133:134], v[107:108], v[105:106]
	ds_read_b128 v[105:108], v104 offset:736
	s_waitcnt vmcnt(22) lgkmcnt(0)
	v_fma_f64 v[105:106], v[137:138], v[105:106], v[129:130]
	s_waitcnt vmcnt(20)
	v_fma_f64 v[109:110], v[109:110], v[107:108], v[105:106]
	;; [unrolled: 5-line block ×6, first 2 shown]
	ds_read_b64 v[107:108], v104 offset:816
	s_waitcnt vmcnt(2) lgkmcnt(0)
	v_fma_f64 v[105:106], v[127:128], v[107:108], v[105:106]
	s_waitcnt vmcnt(0)
	v_add_f64 v[105:106], v[125:126], -v[105:106]
	buffer_store_dword v106, off, s[0:3], 0 offset:76
	buffer_store_dword v105, off, s[0:3], 0 offset:72
	v_cmpx_lt_u32_e32 8, v0
	s_cbranch_execz .LBB114_299
; %bb.298:
	s_clause 0x1
	buffer_load_dword v105, off, s[0:3], 0 offset:64
	buffer_load_dword v106, off, s[0:3], 0 offset:68
	buffer_store_dword v104, off, s[0:3], 0 offset:64
	buffer_store_dword v104, off, s[0:3], 0 offset:68
	s_waitcnt vmcnt(0)
	ds_write_b64 v103, v[105:106]
.LBB114_299:
	s_or_b32 exec_lo, exec_lo, s4
	s_waitcnt lgkmcnt(0)
	s_waitcnt_vscnt null, 0x0
	s_barrier
	buffer_gl0_inv
	s_clause 0x1b
	buffer_load_dword v109, off, s[0:3], 0 offset:72
	buffer_load_dword v110, off, s[0:3], 0 offset:76
	buffer_load_dword v111, off, s[0:3], 0 offset:80
	buffer_load_dword v112, off, s[0:3], 0 offset:84
	buffer_load_dword v113, off, s[0:3], 0 offset:88
	buffer_load_dword v114, off, s[0:3], 0 offset:92
	buffer_load_dword v115, off, s[0:3], 0 offset:96
	buffer_load_dword v116, off, s[0:3], 0 offset:100
	buffer_load_dword v117, off, s[0:3], 0 offset:104
	buffer_load_dword v118, off, s[0:3], 0 offset:108
	buffer_load_dword v119, off, s[0:3], 0 offset:112
	buffer_load_dword v120, off, s[0:3], 0 offset:116
	buffer_load_dword v121, off, s[0:3], 0 offset:120
	buffer_load_dword v122, off, s[0:3], 0 offset:124
	buffer_load_dword v124, off, s[0:3], 0 offset:132
	buffer_load_dword v123, off, s[0:3], 0 offset:128
	buffer_load_dword v125, off, s[0:3], 0 offset:136
	buffer_load_dword v126, off, s[0:3], 0 offset:140
	buffer_load_dword v127, off, s[0:3], 0 offset:144
	buffer_load_dword v128, off, s[0:3], 0 offset:148
	buffer_load_dword v129, off, s[0:3], 0 offset:152
	buffer_load_dword v130, off, s[0:3], 0 offset:156
	buffer_load_dword v132, off, s[0:3], 0 offset:164
	buffer_load_dword v131, off, s[0:3], 0 offset:160
	buffer_load_dword v133, off, s[0:3], 0 offset:168
	buffer_load_dword v134, off, s[0:3], 0 offset:172
	buffer_load_dword v135, off, s[0:3], 0 offset:176
	buffer_load_dword v136, off, s[0:3], 0 offset:180
	ds_read2_b64 v[105:108], v104 offset0:61 offset1:62
	s_clause 0x1
	buffer_load_dword v137, off, s[0:3], 0 offset:184
	buffer_load_dword v138, off, s[0:3], 0 offset:188
	s_mov_b32 s4, exec_lo
	s_waitcnt vmcnt(28) lgkmcnt(0)
	v_fma_f64 v[105:106], v[109:110], v[105:106], 0
	s_clause 0x1
	buffer_load_dword v110, off, s[0:3], 0 offset:196
	buffer_load_dword v109, off, s[0:3], 0 offset:192
	s_waitcnt vmcnt(28)
	v_fma_f64 v[111:112], v[111:112], v[107:108], v[105:106]
	ds_read2_b64 v[105:108], v104 offset0:63 offset1:64
	s_clause 0x1
	buffer_load_dword v139, off, s[0:3], 0 offset:200
	buffer_load_dword v140, off, s[0:3], 0 offset:204
	s_waitcnt vmcnt(28) lgkmcnt(0)
	v_fma_f64 v[105:106], v[113:114], v[105:106], v[111:112]
	s_clause 0x1
	buffer_load_dword v111, off, s[0:3], 0 offset:208
	buffer_load_dword v112, off, s[0:3], 0 offset:212
	s_waitcnt vmcnt(28)
	v_fma_f64 v[113:114], v[115:116], v[107:108], v[105:106]
	ds_read2_b64 v[105:108], v104 offset0:65 offset1:66
	s_clause 0x1
	buffer_load_dword v115, off, s[0:3], 0 offset:216
	buffer_load_dword v116, off, s[0:3], 0 offset:220
	;; [unrolled: 11-line block ×14, first 2 shown]
	s_waitcnt vmcnt(28) lgkmcnt(0)
	v_fma_f64 v[105:106], v[135:136], v[105:106], v[129:130]
	s_waitcnt vmcnt(26)
	v_fma_f64 v[129:130], v[133:134], v[107:108], v[105:106]
	ds_read2_b64 v[105:108], v104 offset0:91 offset1:92
	s_waitcnt vmcnt(24) lgkmcnt(0)
	v_fma_f64 v[105:106], v[137:138], v[105:106], v[129:130]
	s_waitcnt vmcnt(22)
	v_fma_f64 v[109:110], v[109:110], v[107:108], v[105:106]
	ds_read2_b64 v[105:108], v104 offset0:93 offset1:94
	;; [unrolled: 5-line block ×6, first 2 shown]
	s_waitcnt vmcnt(4) lgkmcnt(0)
	v_fma_f64 v[104:105], v[127:128], v[104:105], v[108:109]
	s_waitcnt vmcnt(2)
	v_fma_f64 v[104:105], v[125:126], v[106:107], v[104:105]
	s_waitcnt vmcnt(0)
	v_add_f64 v[104:105], v[131:132], -v[104:105]
	buffer_store_dword v105, off, s[0:3], 0 offset:68
	buffer_store_dword v104, off, s[0:3], 0 offset:64
	v_cmpx_lt_u32_e32 7, v0
	s_cbranch_execz .LBB114_301
; %bb.300:
	s_clause 0x1
	buffer_load_dword v104, off, s[0:3], 0 offset:56
	buffer_load_dword v105, off, s[0:3], 0 offset:60
	v_mov_b32_e32 v106, 0
	buffer_store_dword v106, off, s[0:3], 0 offset:56
	buffer_store_dword v106, off, s[0:3], 0 offset:60
	s_waitcnt vmcnt(0)
	ds_write_b64 v103, v[104:105]
.LBB114_301:
	s_or_b32 exec_lo, exec_lo, s4
	s_waitcnt lgkmcnt(0)
	s_waitcnt_vscnt null, 0x0
	s_barrier
	buffer_gl0_inv
	s_clause 0x1b
	buffer_load_dword v109, off, s[0:3], 0 offset:64
	buffer_load_dword v110, off, s[0:3], 0 offset:68
	;; [unrolled: 1-line block ×28, first 2 shown]
	v_mov_b32_e32 v104, 0
	s_mov_b32 s4, exec_lo
	ds_read_b128 v[105:108], v104 offset:480
	s_clause 0x1
	buffer_load_dword v137, off, s[0:3], 0 offset:176
	buffer_load_dword v138, off, s[0:3], 0 offset:180
	s_waitcnt vmcnt(28) lgkmcnt(0)
	v_fma_f64 v[105:106], v[109:110], v[105:106], 0
	s_clause 0x1
	buffer_load_dword v110, off, s[0:3], 0 offset:188
	buffer_load_dword v109, off, s[0:3], 0 offset:184
	s_waitcnt vmcnt(28)
	v_fma_f64 v[111:112], v[111:112], v[107:108], v[105:106]
	ds_read_b128 v[105:108], v104 offset:496
	s_clause 0x1
	buffer_load_dword v139, off, s[0:3], 0 offset:192
	buffer_load_dword v140, off, s[0:3], 0 offset:196
	s_waitcnt vmcnt(28) lgkmcnt(0)
	v_fma_f64 v[105:106], v[113:114], v[105:106], v[111:112]
	s_clause 0x1
	buffer_load_dword v111, off, s[0:3], 0 offset:200
	buffer_load_dword v112, off, s[0:3], 0 offset:204
	s_waitcnt vmcnt(28)
	v_fma_f64 v[113:114], v[115:116], v[107:108], v[105:106]
	;; [unrolled: 11-line block ×15, first 2 shown]
	ds_read_b128 v[105:108], v104 offset:720
	s_waitcnt vmcnt(26) lgkmcnt(0)
	v_fma_f64 v[105:106], v[137:138], v[105:106], v[133:134]
	s_waitcnt vmcnt(24)
	v_fma_f64 v[109:110], v[109:110], v[107:108], v[105:106]
	ds_read_b128 v[105:108], v104 offset:736
	s_waitcnt vmcnt(22) lgkmcnt(0)
	v_fma_f64 v[105:106], v[139:140], v[105:106], v[109:110]
	s_waitcnt vmcnt(20)
	v_fma_f64 v[109:110], v[111:112], v[107:108], v[105:106]
	;; [unrolled: 5-line block ×6, first 2 shown]
	ds_read_b64 v[107:108], v104 offset:816
	s_waitcnt vmcnt(2) lgkmcnt(0)
	v_fma_f64 v[105:106], v[131:132], v[107:108], v[105:106]
	s_waitcnt vmcnt(0)
	v_add_f64 v[105:106], v[129:130], -v[105:106]
	buffer_store_dword v106, off, s[0:3], 0 offset:60
	buffer_store_dword v105, off, s[0:3], 0 offset:56
	v_cmpx_lt_u32_e32 6, v0
	s_cbranch_execz .LBB114_303
; %bb.302:
	s_clause 0x1
	buffer_load_dword v105, off, s[0:3], 0 offset:48
	buffer_load_dword v106, off, s[0:3], 0 offset:52
	buffer_store_dword v104, off, s[0:3], 0 offset:48
	buffer_store_dword v104, off, s[0:3], 0 offset:52
	s_waitcnt vmcnt(0)
	ds_write_b64 v103, v[105:106]
.LBB114_303:
	s_or_b32 exec_lo, exec_lo, s4
	s_waitcnt lgkmcnt(0)
	s_waitcnt_vscnt null, 0x0
	s_barrier
	buffer_gl0_inv
	s_clause 0x1b
	buffer_load_dword v109, off, s[0:3], 0 offset:56
	buffer_load_dword v110, off, s[0:3], 0 offset:60
	;; [unrolled: 1-line block ×28, first 2 shown]
	ds_read2_b64 v[105:108], v104 offset0:59 offset1:60
	s_clause 0x1
	buffer_load_dword v137, off, s[0:3], 0 offset:168
	buffer_load_dword v138, off, s[0:3], 0 offset:172
	s_mov_b32 s4, exec_lo
	s_waitcnt vmcnt(28) lgkmcnt(0)
	v_fma_f64 v[105:106], v[109:110], v[105:106], 0
	s_clause 0x1
	buffer_load_dword v110, off, s[0:3], 0 offset:180
	buffer_load_dword v109, off, s[0:3], 0 offset:176
	s_waitcnt vmcnt(28)
	v_fma_f64 v[111:112], v[111:112], v[107:108], v[105:106]
	ds_read2_b64 v[105:108], v104 offset0:61 offset1:62
	s_clause 0x1
	buffer_load_dword v139, off, s[0:3], 0 offset:184
	buffer_load_dword v140, off, s[0:3], 0 offset:188
	s_waitcnt vmcnt(28) lgkmcnt(0)
	v_fma_f64 v[105:106], v[113:114], v[105:106], v[111:112]
	s_clause 0x1
	buffer_load_dword v111, off, s[0:3], 0 offset:192
	buffer_load_dword v112, off, s[0:3], 0 offset:196
	s_waitcnt vmcnt(28)
	v_fma_f64 v[113:114], v[115:116], v[107:108], v[105:106]
	ds_read2_b64 v[105:108], v104 offset0:63 offset1:64
	s_clause 0x1
	buffer_load_dword v115, off, s[0:3], 0 offset:200
	buffer_load_dword v116, off, s[0:3], 0 offset:204
	;; [unrolled: 11-line block ×15, first 2 shown]
	s_waitcnt vmcnt(28) lgkmcnt(0)
	v_fma_f64 v[105:106], v[137:138], v[105:106], v[133:134]
	s_waitcnt vmcnt(26)
	v_fma_f64 v[109:110], v[109:110], v[107:108], v[105:106]
	ds_read2_b64 v[105:108], v104 offset0:91 offset1:92
	s_waitcnt vmcnt(24) lgkmcnt(0)
	v_fma_f64 v[105:106], v[139:140], v[105:106], v[109:110]
	s_waitcnt vmcnt(22)
	v_fma_f64 v[109:110], v[111:112], v[107:108], v[105:106]
	ds_read2_b64 v[105:108], v104 offset0:93 offset1:94
	;; [unrolled: 5-line block ×6, first 2 shown]
	s_waitcnt vmcnt(4) lgkmcnt(0)
	v_fma_f64 v[104:105], v[131:132], v[104:105], v[108:109]
	s_waitcnt vmcnt(2)
	v_fma_f64 v[104:105], v[129:130], v[106:107], v[104:105]
	s_waitcnt vmcnt(0)
	v_add_f64 v[104:105], v[135:136], -v[104:105]
	buffer_store_dword v105, off, s[0:3], 0 offset:52
	buffer_store_dword v104, off, s[0:3], 0 offset:48
	v_cmpx_lt_u32_e32 5, v0
	s_cbranch_execz .LBB114_305
; %bb.304:
	s_clause 0x1
	buffer_load_dword v104, off, s[0:3], 0 offset:40
	buffer_load_dword v105, off, s[0:3], 0 offset:44
	v_mov_b32_e32 v106, 0
	buffer_store_dword v106, off, s[0:3], 0 offset:40
	buffer_store_dword v106, off, s[0:3], 0 offset:44
	s_waitcnt vmcnt(0)
	ds_write_b64 v103, v[104:105]
.LBB114_305:
	s_or_b32 exec_lo, exec_lo, s4
	s_waitcnt lgkmcnt(0)
	s_waitcnt_vscnt null, 0x0
	s_barrier
	buffer_gl0_inv
	s_clause 0x1b
	buffer_load_dword v109, off, s[0:3], 0 offset:48
	buffer_load_dword v110, off, s[0:3], 0 offset:52
	;; [unrolled: 1-line block ×28, first 2 shown]
	v_mov_b32_e32 v104, 0
	s_mov_b32 s4, exec_lo
	ds_read_b128 v[105:108], v104 offset:464
	s_clause 0x1
	buffer_load_dword v137, off, s[0:3], 0 offset:160
	buffer_load_dword v138, off, s[0:3], 0 offset:164
	s_waitcnt vmcnt(28) lgkmcnt(0)
	v_fma_f64 v[105:106], v[109:110], v[105:106], 0
	s_clause 0x1
	buffer_load_dword v110, off, s[0:3], 0 offset:172
	buffer_load_dword v109, off, s[0:3], 0 offset:168
	s_waitcnt vmcnt(28)
	v_fma_f64 v[111:112], v[111:112], v[107:108], v[105:106]
	ds_read_b128 v[105:108], v104 offset:480
	s_clause 0x1
	buffer_load_dword v139, off, s[0:3], 0 offset:176
	buffer_load_dword v140, off, s[0:3], 0 offset:180
	s_waitcnt vmcnt(28) lgkmcnt(0)
	v_fma_f64 v[105:106], v[113:114], v[105:106], v[111:112]
	s_clause 0x1
	buffer_load_dword v111, off, s[0:3], 0 offset:184
	buffer_load_dword v112, off, s[0:3], 0 offset:188
	s_waitcnt vmcnt(28)
	v_fma_f64 v[113:114], v[115:116], v[107:108], v[105:106]
	;; [unrolled: 11-line block ×16, first 2 shown]
	ds_read_b128 v[105:108], v104 offset:720
	s_waitcnt vmcnt(26) lgkmcnt(0)
	v_fma_f64 v[105:106], v[139:140], v[105:106], v[109:110]
	s_waitcnt vmcnt(24)
	v_fma_f64 v[109:110], v[111:112], v[107:108], v[105:106]
	ds_read_b128 v[105:108], v104 offset:736
	s_waitcnt vmcnt(22) lgkmcnt(0)
	v_fma_f64 v[105:106], v[115:116], v[105:106], v[109:110]
	s_waitcnt vmcnt(20)
	v_fma_f64 v[109:110], v[113:114], v[107:108], v[105:106]
	;; [unrolled: 5-line block ×6, first 2 shown]
	ds_read_b64 v[107:108], v104 offset:816
	s_waitcnt vmcnt(2) lgkmcnt(0)
	v_fma_f64 v[105:106], v[135:136], v[107:108], v[105:106]
	s_waitcnt vmcnt(0)
	v_add_f64 v[105:106], v[133:134], -v[105:106]
	buffer_store_dword v106, off, s[0:3], 0 offset:44
	buffer_store_dword v105, off, s[0:3], 0 offset:40
	v_cmpx_lt_u32_e32 4, v0
	s_cbranch_execz .LBB114_307
; %bb.306:
	s_clause 0x1
	buffer_load_dword v105, off, s[0:3], 0 offset:32
	buffer_load_dword v106, off, s[0:3], 0 offset:36
	buffer_store_dword v104, off, s[0:3], 0 offset:32
	buffer_store_dword v104, off, s[0:3], 0 offset:36
	s_waitcnt vmcnt(0)
	ds_write_b64 v103, v[105:106]
.LBB114_307:
	s_or_b32 exec_lo, exec_lo, s4
	s_waitcnt lgkmcnt(0)
	s_waitcnt_vscnt null, 0x0
	s_barrier
	buffer_gl0_inv
	s_clause 0x1b
	buffer_load_dword v109, off, s[0:3], 0 offset:40
	buffer_load_dword v110, off, s[0:3], 0 offset:44
	buffer_load_dword v111, off, s[0:3], 0 offset:48
	buffer_load_dword v112, off, s[0:3], 0 offset:52
	buffer_load_dword v113, off, s[0:3], 0 offset:56
	buffer_load_dword v114, off, s[0:3], 0 offset:60
	buffer_load_dword v115, off, s[0:3], 0 offset:64
	buffer_load_dword v116, off, s[0:3], 0 offset:68
	buffer_load_dword v117, off, s[0:3], 0 offset:72
	buffer_load_dword v118, off, s[0:3], 0 offset:76
	buffer_load_dword v119, off, s[0:3], 0 offset:80
	buffer_load_dword v120, off, s[0:3], 0 offset:84
	buffer_load_dword v121, off, s[0:3], 0 offset:88
	buffer_load_dword v122, off, s[0:3], 0 offset:92
	buffer_load_dword v124, off, s[0:3], 0 offset:100
	buffer_load_dword v123, off, s[0:3], 0 offset:96
	buffer_load_dword v125, off, s[0:3], 0 offset:104
	buffer_load_dword v126, off, s[0:3], 0 offset:108
	buffer_load_dword v127, off, s[0:3], 0 offset:112
	buffer_load_dword v128, off, s[0:3], 0 offset:116
	buffer_load_dword v129, off, s[0:3], 0 offset:120
	buffer_load_dword v130, off, s[0:3], 0 offset:124
	buffer_load_dword v132, off, s[0:3], 0 offset:132
	buffer_load_dword v131, off, s[0:3], 0 offset:128
	buffer_load_dword v133, off, s[0:3], 0 offset:136
	buffer_load_dword v134, off, s[0:3], 0 offset:140
	buffer_load_dword v135, off, s[0:3], 0 offset:144
	buffer_load_dword v136, off, s[0:3], 0 offset:148
	ds_read2_b64 v[105:108], v104 offset0:57 offset1:58
	s_clause 0x1
	buffer_load_dword v137, off, s[0:3], 0 offset:152
	buffer_load_dword v138, off, s[0:3], 0 offset:156
	s_mov_b32 s4, exec_lo
	s_waitcnt vmcnt(28) lgkmcnt(0)
	v_fma_f64 v[105:106], v[109:110], v[105:106], 0
	s_clause 0x1
	buffer_load_dword v110, off, s[0:3], 0 offset:164
	buffer_load_dword v109, off, s[0:3], 0 offset:160
	s_waitcnt vmcnt(28)
	v_fma_f64 v[111:112], v[111:112], v[107:108], v[105:106]
	ds_read2_b64 v[105:108], v104 offset0:59 offset1:60
	s_clause 0x1
	buffer_load_dword v139, off, s[0:3], 0 offset:168
	buffer_load_dword v140, off, s[0:3], 0 offset:172
	s_waitcnt vmcnt(28) lgkmcnt(0)
	v_fma_f64 v[105:106], v[113:114], v[105:106], v[111:112]
	s_clause 0x1
	buffer_load_dword v111, off, s[0:3], 0 offset:176
	buffer_load_dword v112, off, s[0:3], 0 offset:180
	s_waitcnt vmcnt(28)
	v_fma_f64 v[113:114], v[115:116], v[107:108], v[105:106]
	ds_read2_b64 v[105:108], v104 offset0:61 offset1:62
	s_clause 0x1
	buffer_load_dword v115, off, s[0:3], 0 offset:184
	buffer_load_dword v116, off, s[0:3], 0 offset:188
	;; [unrolled: 11-line block ×16, first 2 shown]
	s_waitcnt vmcnt(28) lgkmcnt(0)
	v_fma_f64 v[105:106], v[139:140], v[105:106], v[109:110]
	s_waitcnt vmcnt(26)
	v_fma_f64 v[109:110], v[111:112], v[107:108], v[105:106]
	ds_read2_b64 v[105:108], v104 offset0:91 offset1:92
	s_waitcnt vmcnt(24) lgkmcnt(0)
	v_fma_f64 v[105:106], v[115:116], v[105:106], v[109:110]
	s_waitcnt vmcnt(22)
	v_fma_f64 v[109:110], v[113:114], v[107:108], v[105:106]
	ds_read2_b64 v[105:108], v104 offset0:93 offset1:94
	;; [unrolled: 5-line block ×6, first 2 shown]
	s_waitcnt vmcnt(4) lgkmcnt(0)
	v_fma_f64 v[104:105], v[135:136], v[104:105], v[108:109]
	s_waitcnt vmcnt(2)
	v_fma_f64 v[104:105], v[133:134], v[106:107], v[104:105]
	s_waitcnt vmcnt(0)
	v_add_f64 v[104:105], v[137:138], -v[104:105]
	buffer_store_dword v105, off, s[0:3], 0 offset:36
	buffer_store_dword v104, off, s[0:3], 0 offset:32
	v_cmpx_lt_u32_e32 3, v0
	s_cbranch_execz .LBB114_309
; %bb.308:
	s_clause 0x1
	buffer_load_dword v104, off, s[0:3], 0 offset:24
	buffer_load_dword v105, off, s[0:3], 0 offset:28
	v_mov_b32_e32 v106, 0
	buffer_store_dword v106, off, s[0:3], 0 offset:24
	buffer_store_dword v106, off, s[0:3], 0 offset:28
	s_waitcnt vmcnt(0)
	ds_write_b64 v103, v[104:105]
.LBB114_309:
	s_or_b32 exec_lo, exec_lo, s4
	s_waitcnt lgkmcnt(0)
	s_waitcnt_vscnt null, 0x0
	s_barrier
	buffer_gl0_inv
	s_clause 0x1b
	buffer_load_dword v109, off, s[0:3], 0 offset:32
	buffer_load_dword v110, off, s[0:3], 0 offset:36
	;; [unrolled: 1-line block ×28, first 2 shown]
	v_mov_b32_e32 v104, 0
	s_mov_b32 s4, exec_lo
	ds_read_b128 v[105:108], v104 offset:448
	s_clause 0x1
	buffer_load_dword v137, off, s[0:3], 0 offset:144
	buffer_load_dword v138, off, s[0:3], 0 offset:148
	s_waitcnt vmcnt(28) lgkmcnt(0)
	v_fma_f64 v[105:106], v[109:110], v[105:106], 0
	s_clause 0x1
	buffer_load_dword v110, off, s[0:3], 0 offset:156
	buffer_load_dword v109, off, s[0:3], 0 offset:152
	s_waitcnt vmcnt(28)
	v_fma_f64 v[111:112], v[111:112], v[107:108], v[105:106]
	ds_read_b128 v[105:108], v104 offset:464
	s_clause 0x1
	buffer_load_dword v139, off, s[0:3], 0 offset:160
	buffer_load_dword v140, off, s[0:3], 0 offset:164
	s_waitcnt vmcnt(28) lgkmcnt(0)
	v_fma_f64 v[105:106], v[113:114], v[105:106], v[111:112]
	s_clause 0x1
	buffer_load_dword v111, off, s[0:3], 0 offset:168
	buffer_load_dword v112, off, s[0:3], 0 offset:172
	s_waitcnt vmcnt(28)
	v_fma_f64 v[113:114], v[115:116], v[107:108], v[105:106]
	ds_read_b128 v[105:108], v104 offset:480
	s_clause 0x1
	buffer_load_dword v115, off, s[0:3], 0 offset:176
	buffer_load_dword v116, off, s[0:3], 0 offset:180
	s_waitcnt vmcnt(28) lgkmcnt(0)
	v_fma_f64 v[105:106], v[117:118], v[105:106], v[113:114]
	s_clause 0x1
	buffer_load_dword v114, off, s[0:3], 0 offset:188
	buffer_load_dword v113, off, s[0:3], 0 offset:184
	s_waitcnt vmcnt(28)
	v_fma_f64 v[117:118], v[119:120], v[107:108], v[105:106]
	ds_read_b128 v[105:108], v104 offset:496
	s_clause 0x1
	buffer_load_dword v119, off, s[0:3], 0 offset:192
	buffer_load_dword v120, off, s[0:3], 0 offset:196
	s_waitcnt vmcnt(28) lgkmcnt(0)
	v_fma_f64 v[105:106], v[121:122], v[105:106], v[117:118]
	s_clause 0x1
	buffer_load_dword v117, off, s[0:3], 0 offset:200
	buffer_load_dword v118, off, s[0:3], 0 offset:204
	s_waitcnt vmcnt(28)
	v_fma_f64 v[121:122], v[123:124], v[107:108], v[105:106]
	ds_read_b128 v[105:108], v104 offset:512
	s_clause 0x1
	buffer_load_dword v123, off, s[0:3], 0 offset:208
	buffer_load_dword v124, off, s[0:3], 0 offset:212
	s_waitcnt vmcnt(28) lgkmcnt(0)
	v_fma_f64 v[105:106], v[125:126], v[105:106], v[121:122]
	s_clause 0x1
	buffer_load_dword v122, off, s[0:3], 0 offset:220
	buffer_load_dword v121, off, s[0:3], 0 offset:216
	s_waitcnt vmcnt(28)
	v_fma_f64 v[125:126], v[127:128], v[107:108], v[105:106]
	ds_read_b128 v[105:108], v104 offset:528
	s_clause 0x1
	buffer_load_dword v127, off, s[0:3], 0 offset:224
	buffer_load_dword v128, off, s[0:3], 0 offset:228
	s_waitcnt vmcnt(28) lgkmcnt(0)
	v_fma_f64 v[105:106], v[129:130], v[105:106], v[125:126]
	s_clause 0x1
	buffer_load_dword v125, off, s[0:3], 0 offset:232
	buffer_load_dword v126, off, s[0:3], 0 offset:236
	s_waitcnt vmcnt(28)
	v_fma_f64 v[129:130], v[131:132], v[107:108], v[105:106]
	ds_read_b128 v[105:108], v104 offset:544
	s_clause 0x1
	buffer_load_dword v131, off, s[0:3], 0 offset:240
	buffer_load_dword v132, off, s[0:3], 0 offset:244
	s_waitcnt vmcnt(28) lgkmcnt(0)
	v_fma_f64 v[105:106], v[133:134], v[105:106], v[129:130]
	s_clause 0x1
	buffer_load_dword v130, off, s[0:3], 0 offset:252
	buffer_load_dword v129, off, s[0:3], 0 offset:248
	s_waitcnt vmcnt(28)
	v_fma_f64 v[133:134], v[135:136], v[107:108], v[105:106]
	ds_read_b128 v[105:108], v104 offset:560
	s_clause 0x1
	buffer_load_dword v135, off, s[0:3], 0 offset:256
	buffer_load_dword v136, off, s[0:3], 0 offset:260
	s_waitcnt vmcnt(28) lgkmcnt(0)
	v_fma_f64 v[105:106], v[137:138], v[105:106], v[133:134]
	s_clause 0x1
	buffer_load_dword v133, off, s[0:3], 0 offset:264
	buffer_load_dword v134, off, s[0:3], 0 offset:268
	s_waitcnt vmcnt(28)
	v_fma_f64 v[109:110], v[109:110], v[107:108], v[105:106]
	ds_read_b128 v[105:108], v104 offset:576
	s_clause 0x1
	buffer_load_dword v137, off, s[0:3], 0 offset:272
	buffer_load_dword v138, off, s[0:3], 0 offset:276
	s_waitcnt vmcnt(28) lgkmcnt(0)
	v_fma_f64 v[105:106], v[139:140], v[105:106], v[109:110]
	s_clause 0x1
	buffer_load_dword v110, off, s[0:3], 0 offset:284
	buffer_load_dword v109, off, s[0:3], 0 offset:280
	s_waitcnt vmcnt(28)
	v_fma_f64 v[111:112], v[111:112], v[107:108], v[105:106]
	ds_read_b128 v[105:108], v104 offset:592
	s_clause 0x1
	buffer_load_dword v139, off, s[0:3], 0 offset:288
	buffer_load_dword v140, off, s[0:3], 0 offset:292
	s_waitcnt vmcnt(28) lgkmcnt(0)
	v_fma_f64 v[105:106], v[115:116], v[105:106], v[111:112]
	s_clause 0x1
	buffer_load_dword v111, off, s[0:3], 0 offset:296
	buffer_load_dword v112, off, s[0:3], 0 offset:300
	s_waitcnt vmcnt(28)
	v_fma_f64 v[113:114], v[113:114], v[107:108], v[105:106]
	ds_read_b128 v[105:108], v104 offset:608
	s_clause 0x1
	buffer_load_dword v115, off, s[0:3], 0 offset:304
	buffer_load_dword v116, off, s[0:3], 0 offset:308
	s_waitcnt vmcnt(28) lgkmcnt(0)
	v_fma_f64 v[105:106], v[119:120], v[105:106], v[113:114]
	s_clause 0x1
	buffer_load_dword v114, off, s[0:3], 0 offset:316
	buffer_load_dword v113, off, s[0:3], 0 offset:312
	s_waitcnt vmcnt(28)
	v_fma_f64 v[117:118], v[117:118], v[107:108], v[105:106]
	ds_read_b128 v[105:108], v104 offset:624
	s_clause 0x1
	buffer_load_dword v119, off, s[0:3], 0 offset:320
	buffer_load_dword v120, off, s[0:3], 0 offset:324
	s_waitcnt vmcnt(28) lgkmcnt(0)
	v_fma_f64 v[105:106], v[123:124], v[105:106], v[117:118]
	s_clause 0x1
	buffer_load_dword v117, off, s[0:3], 0 offset:328
	buffer_load_dword v118, off, s[0:3], 0 offset:332
	s_waitcnt vmcnt(28)
	v_fma_f64 v[121:122], v[121:122], v[107:108], v[105:106]
	ds_read_b128 v[105:108], v104 offset:640
	s_clause 0x1
	buffer_load_dword v123, off, s[0:3], 0 offset:336
	buffer_load_dword v124, off, s[0:3], 0 offset:340
	s_waitcnt vmcnt(28) lgkmcnt(0)
	v_fma_f64 v[105:106], v[127:128], v[105:106], v[121:122]
	s_clause 0x1
	buffer_load_dword v122, off, s[0:3], 0 offset:348
	buffer_load_dword v121, off, s[0:3], 0 offset:344
	s_waitcnt vmcnt(28)
	v_fma_f64 v[125:126], v[125:126], v[107:108], v[105:106]
	ds_read_b128 v[105:108], v104 offset:656
	s_clause 0x1
	buffer_load_dword v127, off, s[0:3], 0 offset:352
	buffer_load_dword v128, off, s[0:3], 0 offset:356
	s_waitcnt vmcnt(28) lgkmcnt(0)
	v_fma_f64 v[105:106], v[131:132], v[105:106], v[125:126]
	s_clause 0x1
	buffer_load_dword v125, off, s[0:3], 0 offset:360
	buffer_load_dword v126, off, s[0:3], 0 offset:364
	s_waitcnt vmcnt(28)
	v_fma_f64 v[129:130], v[129:130], v[107:108], v[105:106]
	ds_read_b128 v[105:108], v104 offset:672
	s_clause 0x1
	buffer_load_dword v131, off, s[0:3], 0 offset:368
	buffer_load_dword v132, off, s[0:3], 0 offset:372
	s_waitcnt vmcnt(28) lgkmcnt(0)
	v_fma_f64 v[105:106], v[135:136], v[105:106], v[129:130]
	s_clause 0x1
	buffer_load_dword v130, off, s[0:3], 0 offset:380
	buffer_load_dword v129, off, s[0:3], 0 offset:376
	s_waitcnt vmcnt(28)
	v_fma_f64 v[133:134], v[133:134], v[107:108], v[105:106]
	ds_read_b128 v[105:108], v104 offset:688
	s_clause 0x1
	buffer_load_dword v135, off, s[0:3], 0 offset:384
	buffer_load_dword v136, off, s[0:3], 0 offset:388
	s_waitcnt vmcnt(28) lgkmcnt(0)
	v_fma_f64 v[105:106], v[137:138], v[105:106], v[133:134]
	s_clause 0x1
	buffer_load_dword v133, off, s[0:3], 0 offset:392
	buffer_load_dword v134, off, s[0:3], 0 offset:396
	s_waitcnt vmcnt(28)
	v_fma_f64 v[109:110], v[109:110], v[107:108], v[105:106]
	ds_read_b128 v[105:108], v104 offset:704
	s_clause 0x1
	buffer_load_dword v137, off, s[0:3], 0 offset:400
	buffer_load_dword v138, off, s[0:3], 0 offset:404
	s_waitcnt vmcnt(28) lgkmcnt(0)
	v_fma_f64 v[105:106], v[139:140], v[105:106], v[109:110]
	s_clause 0x1
	buffer_load_dword v109, off, s[0:3], 0 offset:24
	buffer_load_dword v110, off, s[0:3], 0 offset:28
	s_waitcnt vmcnt(28)
	v_fma_f64 v[111:112], v[111:112], v[107:108], v[105:106]
	ds_read_b128 v[105:108], v104 offset:720
	s_waitcnt vmcnt(26) lgkmcnt(0)
	v_fma_f64 v[105:106], v[115:116], v[105:106], v[111:112]
	s_waitcnt vmcnt(24)
	v_fma_f64 v[111:112], v[113:114], v[107:108], v[105:106]
	ds_read_b128 v[105:108], v104 offset:736
	s_waitcnt vmcnt(22) lgkmcnt(0)
	v_fma_f64 v[105:106], v[119:120], v[105:106], v[111:112]
	s_waitcnt vmcnt(20)
	v_fma_f64 v[111:112], v[117:118], v[107:108], v[105:106]
	;; [unrolled: 5-line block ×6, first 2 shown]
	ds_read_b64 v[107:108], v104 offset:816
	s_waitcnt vmcnt(2) lgkmcnt(0)
	v_fma_f64 v[105:106], v[137:138], v[107:108], v[105:106]
	s_waitcnt vmcnt(0)
	v_add_f64 v[105:106], v[109:110], -v[105:106]
	buffer_store_dword v106, off, s[0:3], 0 offset:28
	buffer_store_dword v105, off, s[0:3], 0 offset:24
	v_cmpx_lt_u32_e32 2, v0
	s_cbranch_execz .LBB114_311
; %bb.310:
	s_clause 0x1
	buffer_load_dword v105, off, s[0:3], 0 offset:16
	buffer_load_dword v106, off, s[0:3], 0 offset:20
	buffer_store_dword v104, off, s[0:3], 0 offset:16
	buffer_store_dword v104, off, s[0:3], 0 offset:20
	s_waitcnt vmcnt(0)
	ds_write_b64 v103, v[105:106]
.LBB114_311:
	s_or_b32 exec_lo, exec_lo, s4
	s_waitcnt lgkmcnt(0)
	s_waitcnt_vscnt null, 0x0
	s_barrier
	buffer_gl0_inv
	s_clause 0x1b
	buffer_load_dword v109, off, s[0:3], 0 offset:24
	buffer_load_dword v110, off, s[0:3], 0 offset:28
	;; [unrolled: 1-line block ×28, first 2 shown]
	ds_read2_b64 v[105:108], v104 offset0:55 offset1:56
	s_clause 0x1
	buffer_load_dword v137, off, s[0:3], 0 offset:136
	buffer_load_dword v138, off, s[0:3], 0 offset:140
	s_mov_b32 s4, exec_lo
	s_waitcnt vmcnt(28) lgkmcnt(0)
	v_fma_f64 v[105:106], v[109:110], v[105:106], 0
	s_clause 0x1
	buffer_load_dword v110, off, s[0:3], 0 offset:148
	buffer_load_dword v109, off, s[0:3], 0 offset:144
	s_waitcnt vmcnt(28)
	v_fma_f64 v[111:112], v[111:112], v[107:108], v[105:106]
	ds_read2_b64 v[105:108], v104 offset0:57 offset1:58
	s_clause 0x1
	buffer_load_dword v139, off, s[0:3], 0 offset:152
	buffer_load_dword v140, off, s[0:3], 0 offset:156
	s_waitcnt vmcnt(28) lgkmcnt(0)
	v_fma_f64 v[105:106], v[113:114], v[105:106], v[111:112]
	s_clause 0x1
	buffer_load_dword v111, off, s[0:3], 0 offset:160
	buffer_load_dword v112, off, s[0:3], 0 offset:164
	s_waitcnt vmcnt(28)
	v_fma_f64 v[113:114], v[115:116], v[107:108], v[105:106]
	ds_read2_b64 v[105:108], v104 offset0:59 offset1:60
	s_clause 0x1
	buffer_load_dword v115, off, s[0:3], 0 offset:168
	buffer_load_dword v116, off, s[0:3], 0 offset:172
	s_waitcnt vmcnt(28) lgkmcnt(0)
	v_fma_f64 v[105:106], v[117:118], v[105:106], v[113:114]
	s_clause 0x1
	buffer_load_dword v114, off, s[0:3], 0 offset:180
	buffer_load_dword v113, off, s[0:3], 0 offset:176
	s_waitcnt vmcnt(28)
	v_fma_f64 v[117:118], v[119:120], v[107:108], v[105:106]
	ds_read2_b64 v[105:108], v104 offset0:61 offset1:62
	s_clause 0x1
	buffer_load_dword v119, off, s[0:3], 0 offset:184
	buffer_load_dword v120, off, s[0:3], 0 offset:188
	s_waitcnt vmcnt(28) lgkmcnt(0)
	v_fma_f64 v[105:106], v[121:122], v[105:106], v[117:118]
	s_clause 0x1
	buffer_load_dword v117, off, s[0:3], 0 offset:192
	buffer_load_dword v118, off, s[0:3], 0 offset:196
	s_waitcnt vmcnt(28)
	v_fma_f64 v[121:122], v[123:124], v[107:108], v[105:106]
	ds_read2_b64 v[105:108], v104 offset0:63 offset1:64
	s_clause 0x1
	buffer_load_dword v123, off, s[0:3], 0 offset:200
	buffer_load_dword v124, off, s[0:3], 0 offset:204
	s_waitcnt vmcnt(28) lgkmcnt(0)
	v_fma_f64 v[105:106], v[125:126], v[105:106], v[121:122]
	s_clause 0x1
	buffer_load_dword v122, off, s[0:3], 0 offset:212
	buffer_load_dword v121, off, s[0:3], 0 offset:208
	s_waitcnt vmcnt(28)
	v_fma_f64 v[125:126], v[127:128], v[107:108], v[105:106]
	ds_read2_b64 v[105:108], v104 offset0:65 offset1:66
	s_clause 0x1
	buffer_load_dword v127, off, s[0:3], 0 offset:216
	buffer_load_dword v128, off, s[0:3], 0 offset:220
	s_waitcnt vmcnt(28) lgkmcnt(0)
	v_fma_f64 v[105:106], v[129:130], v[105:106], v[125:126]
	s_clause 0x1
	buffer_load_dword v125, off, s[0:3], 0 offset:224
	buffer_load_dword v126, off, s[0:3], 0 offset:228
	s_waitcnt vmcnt(28)
	v_fma_f64 v[129:130], v[131:132], v[107:108], v[105:106]
	ds_read2_b64 v[105:108], v104 offset0:67 offset1:68
	s_clause 0x1
	buffer_load_dword v131, off, s[0:3], 0 offset:232
	buffer_load_dword v132, off, s[0:3], 0 offset:236
	s_waitcnt vmcnt(28) lgkmcnt(0)
	v_fma_f64 v[105:106], v[133:134], v[105:106], v[129:130]
	s_clause 0x1
	buffer_load_dword v130, off, s[0:3], 0 offset:244
	buffer_load_dword v129, off, s[0:3], 0 offset:240
	s_waitcnt vmcnt(28)
	v_fma_f64 v[133:134], v[135:136], v[107:108], v[105:106]
	ds_read2_b64 v[105:108], v104 offset0:69 offset1:70
	s_clause 0x1
	buffer_load_dword v135, off, s[0:3], 0 offset:248
	buffer_load_dword v136, off, s[0:3], 0 offset:252
	s_waitcnt vmcnt(28) lgkmcnt(0)
	v_fma_f64 v[105:106], v[137:138], v[105:106], v[133:134]
	s_clause 0x1
	buffer_load_dword v133, off, s[0:3], 0 offset:256
	buffer_load_dword v134, off, s[0:3], 0 offset:260
	s_waitcnt vmcnt(28)
	v_fma_f64 v[109:110], v[109:110], v[107:108], v[105:106]
	ds_read2_b64 v[105:108], v104 offset0:71 offset1:72
	s_clause 0x1
	buffer_load_dword v137, off, s[0:3], 0 offset:264
	buffer_load_dword v138, off, s[0:3], 0 offset:268
	s_waitcnt vmcnt(28) lgkmcnt(0)
	v_fma_f64 v[105:106], v[139:140], v[105:106], v[109:110]
	s_clause 0x1
	buffer_load_dword v110, off, s[0:3], 0 offset:276
	buffer_load_dword v109, off, s[0:3], 0 offset:272
	s_waitcnt vmcnt(28)
	v_fma_f64 v[111:112], v[111:112], v[107:108], v[105:106]
	ds_read2_b64 v[105:108], v104 offset0:73 offset1:74
	s_clause 0x1
	buffer_load_dword v139, off, s[0:3], 0 offset:280
	buffer_load_dword v140, off, s[0:3], 0 offset:284
	s_waitcnt vmcnt(28) lgkmcnt(0)
	v_fma_f64 v[105:106], v[115:116], v[105:106], v[111:112]
	s_clause 0x1
	buffer_load_dword v111, off, s[0:3], 0 offset:288
	buffer_load_dword v112, off, s[0:3], 0 offset:292
	s_waitcnt vmcnt(28)
	v_fma_f64 v[113:114], v[113:114], v[107:108], v[105:106]
	ds_read2_b64 v[105:108], v104 offset0:75 offset1:76
	s_clause 0x1
	buffer_load_dword v115, off, s[0:3], 0 offset:296
	buffer_load_dword v116, off, s[0:3], 0 offset:300
	s_waitcnt vmcnt(28) lgkmcnt(0)
	v_fma_f64 v[105:106], v[119:120], v[105:106], v[113:114]
	s_clause 0x1
	buffer_load_dword v114, off, s[0:3], 0 offset:308
	buffer_load_dword v113, off, s[0:3], 0 offset:304
	s_waitcnt vmcnt(28)
	v_fma_f64 v[117:118], v[117:118], v[107:108], v[105:106]
	ds_read2_b64 v[105:108], v104 offset0:77 offset1:78
	s_clause 0x1
	buffer_load_dword v119, off, s[0:3], 0 offset:312
	buffer_load_dword v120, off, s[0:3], 0 offset:316
	s_waitcnt vmcnt(28) lgkmcnt(0)
	v_fma_f64 v[105:106], v[123:124], v[105:106], v[117:118]
	s_clause 0x1
	buffer_load_dword v117, off, s[0:3], 0 offset:320
	buffer_load_dword v118, off, s[0:3], 0 offset:324
	s_waitcnt vmcnt(28)
	v_fma_f64 v[121:122], v[121:122], v[107:108], v[105:106]
	ds_read2_b64 v[105:108], v104 offset0:79 offset1:80
	s_clause 0x1
	buffer_load_dword v123, off, s[0:3], 0 offset:328
	buffer_load_dword v124, off, s[0:3], 0 offset:332
	s_waitcnt vmcnt(28) lgkmcnt(0)
	v_fma_f64 v[105:106], v[127:128], v[105:106], v[121:122]
	s_clause 0x1
	buffer_load_dword v122, off, s[0:3], 0 offset:340
	buffer_load_dword v121, off, s[0:3], 0 offset:336
	s_waitcnt vmcnt(28)
	v_fma_f64 v[125:126], v[125:126], v[107:108], v[105:106]
	ds_read2_b64 v[105:108], v104 offset0:81 offset1:82
	s_clause 0x1
	buffer_load_dword v127, off, s[0:3], 0 offset:344
	buffer_load_dword v128, off, s[0:3], 0 offset:348
	s_waitcnt vmcnt(28) lgkmcnt(0)
	v_fma_f64 v[105:106], v[131:132], v[105:106], v[125:126]
	s_clause 0x1
	buffer_load_dword v125, off, s[0:3], 0 offset:352
	buffer_load_dword v126, off, s[0:3], 0 offset:356
	s_waitcnt vmcnt(28)
	v_fma_f64 v[129:130], v[129:130], v[107:108], v[105:106]
	ds_read2_b64 v[105:108], v104 offset0:83 offset1:84
	s_clause 0x1
	buffer_load_dword v131, off, s[0:3], 0 offset:360
	buffer_load_dword v132, off, s[0:3], 0 offset:364
	s_waitcnt vmcnt(28) lgkmcnt(0)
	v_fma_f64 v[105:106], v[135:136], v[105:106], v[129:130]
	s_clause 0x1
	buffer_load_dword v130, off, s[0:3], 0 offset:372
	buffer_load_dword v129, off, s[0:3], 0 offset:368
	s_waitcnt vmcnt(28)
	v_fma_f64 v[133:134], v[133:134], v[107:108], v[105:106]
	ds_read2_b64 v[105:108], v104 offset0:85 offset1:86
	s_clause 0x1
	buffer_load_dword v135, off, s[0:3], 0 offset:376
	buffer_load_dword v136, off, s[0:3], 0 offset:380
	s_waitcnt vmcnt(28) lgkmcnt(0)
	v_fma_f64 v[105:106], v[137:138], v[105:106], v[133:134]
	s_clause 0x1
	buffer_load_dword v133, off, s[0:3], 0 offset:384
	buffer_load_dword v134, off, s[0:3], 0 offset:388
	s_waitcnt vmcnt(28)
	v_fma_f64 v[109:110], v[109:110], v[107:108], v[105:106]
	ds_read2_b64 v[105:108], v104 offset0:87 offset1:88
	s_clause 0x1
	buffer_load_dword v137, off, s[0:3], 0 offset:392
	buffer_load_dword v138, off, s[0:3], 0 offset:396
	s_waitcnt vmcnt(28) lgkmcnt(0)
	v_fma_f64 v[105:106], v[139:140], v[105:106], v[109:110]
	s_clause 0x1
	buffer_load_dword v110, off, s[0:3], 0 offset:404
	buffer_load_dword v109, off, s[0:3], 0 offset:400
	s_waitcnt vmcnt(28)
	v_fma_f64 v[111:112], v[111:112], v[107:108], v[105:106]
	ds_read2_b64 v[105:108], v104 offset0:89 offset1:90
	s_clause 0x1
	buffer_load_dword v139, off, s[0:3], 0 offset:16
	buffer_load_dword v140, off, s[0:3], 0 offset:20
	s_waitcnt vmcnt(28) lgkmcnt(0)
	v_fma_f64 v[105:106], v[115:116], v[105:106], v[111:112]
	s_waitcnt vmcnt(26)
	v_fma_f64 v[111:112], v[113:114], v[107:108], v[105:106]
	ds_read2_b64 v[105:108], v104 offset0:91 offset1:92
	s_waitcnt vmcnt(24) lgkmcnt(0)
	v_fma_f64 v[105:106], v[119:120], v[105:106], v[111:112]
	s_waitcnt vmcnt(22)
	v_fma_f64 v[111:112], v[117:118], v[107:108], v[105:106]
	ds_read2_b64 v[105:108], v104 offset0:93 offset1:94
	;; [unrolled: 5-line block ×6, first 2 shown]
	s_waitcnt vmcnt(4) lgkmcnt(0)
	v_fma_f64 v[104:105], v[137:138], v[104:105], v[111:112]
	s_waitcnt vmcnt(2)
	v_fma_f64 v[104:105], v[109:110], v[106:107], v[104:105]
	s_waitcnt vmcnt(0)
	v_add_f64 v[104:105], v[139:140], -v[104:105]
	buffer_store_dword v105, off, s[0:3], 0 offset:20
	buffer_store_dword v104, off, s[0:3], 0 offset:16
	v_cmpx_lt_u32_e32 1, v0
	s_cbranch_execz .LBB114_313
; %bb.312:
	s_clause 0x1
	buffer_load_dword v104, off, s[0:3], 0 offset:8
	buffer_load_dword v105, off, s[0:3], 0 offset:12
	v_mov_b32_e32 v106, 0
	buffer_store_dword v106, off, s[0:3], 0 offset:8
	buffer_store_dword v106, off, s[0:3], 0 offset:12
	s_waitcnt vmcnt(0)
	ds_write_b64 v103, v[104:105]
.LBB114_313:
	s_or_b32 exec_lo, exec_lo, s4
	s_waitcnt lgkmcnt(0)
	s_waitcnt_vscnt null, 0x0
	s_barrier
	buffer_gl0_inv
	s_clause 0x1b
	buffer_load_dword v110, off, s[0:3], 0 offset:16
	buffer_load_dword v111, off, s[0:3], 0 offset:20
	buffer_load_dword v112, off, s[0:3], 0 offset:24
	buffer_load_dword v113, off, s[0:3], 0 offset:28
	buffer_load_dword v114, off, s[0:3], 0 offset:32
	buffer_load_dword v115, off, s[0:3], 0 offset:36
	buffer_load_dword v116, off, s[0:3], 0 offset:40
	buffer_load_dword v117, off, s[0:3], 0 offset:44
	buffer_load_dword v118, off, s[0:3], 0 offset:48
	buffer_load_dword v119, off, s[0:3], 0 offset:52
	buffer_load_dword v120, off, s[0:3], 0 offset:56
	buffer_load_dword v121, off, s[0:3], 0 offset:60
	buffer_load_dword v122, off, s[0:3], 0 offset:64
	buffer_load_dword v123, off, s[0:3], 0 offset:68
	buffer_load_dword v125, off, s[0:3], 0 offset:76
	buffer_load_dword v124, off, s[0:3], 0 offset:72
	buffer_load_dword v126, off, s[0:3], 0 offset:80
	buffer_load_dword v127, off, s[0:3], 0 offset:84
	buffer_load_dword v128, off, s[0:3], 0 offset:88
	buffer_load_dword v129, off, s[0:3], 0 offset:92
	buffer_load_dword v130, off, s[0:3], 0 offset:96
	buffer_load_dword v131, off, s[0:3], 0 offset:100
	buffer_load_dword v133, off, s[0:3], 0 offset:108
	buffer_load_dword v132, off, s[0:3], 0 offset:104
	buffer_load_dword v134, off, s[0:3], 0 offset:112
	buffer_load_dword v135, off, s[0:3], 0 offset:116
	buffer_load_dword v136, off, s[0:3], 0 offset:120
	buffer_load_dword v137, off, s[0:3], 0 offset:124
	v_mov_b32_e32 v105, 0
	s_mov_b32 s4, exec_lo
	ds_read_b128 v[106:109], v105 offset:432
	s_clause 0x1
	buffer_load_dword v138, off, s[0:3], 0 offset:128
	buffer_load_dword v139, off, s[0:3], 0 offset:132
	s_waitcnt vmcnt(28) lgkmcnt(0)
	v_fma_f64 v[106:107], v[110:111], v[106:107], 0
	s_clause 0x1
	buffer_load_dword v111, off, s[0:3], 0 offset:140
	buffer_load_dword v110, off, s[0:3], 0 offset:136
	s_waitcnt vmcnt(28)
	v_fma_f64 v[112:113], v[112:113], v[108:109], v[106:107]
	ds_read_b128 v[106:109], v105 offset:448
	s_clause 0x1
	buffer_load_dword v140, off, s[0:3], 0 offset:144
	buffer_load_dword v141, off, s[0:3], 0 offset:148
	s_waitcnt vmcnt(28) lgkmcnt(0)
	v_fma_f64 v[106:107], v[114:115], v[106:107], v[112:113]
	s_clause 0x1
	buffer_load_dword v112, off, s[0:3], 0 offset:152
	buffer_load_dword v113, off, s[0:3], 0 offset:156
	s_waitcnt vmcnt(28)
	v_fma_f64 v[114:115], v[116:117], v[108:109], v[106:107]
	;; [unrolled: 11-line block ×18, first 2 shown]
	ds_read_b128 v[106:109], v105 offset:720
	s_waitcnt vmcnt(26) lgkmcnt(0)
	v_fma_f64 v[106:107], v[120:121], v[106:107], v[114:115]
	s_waitcnt vmcnt(24)
	v_fma_f64 v[114:115], v[118:119], v[108:109], v[106:107]
	ds_read_b128 v[106:109], v105 offset:736
	s_waitcnt vmcnt(22) lgkmcnt(0)
	v_fma_f64 v[106:107], v[124:125], v[106:107], v[114:115]
	s_waitcnt vmcnt(20)
	v_fma_f64 v[114:115], v[122:123], v[108:109], v[106:107]
	;; [unrolled: 5-line block ×6, first 2 shown]
	ds_read_b64 v[108:109], v105 offset:816
	s_waitcnt vmcnt(2) lgkmcnt(0)
	v_fma_f64 v[106:107], v[140:141], v[108:109], v[106:107]
	s_waitcnt vmcnt(0)
	v_add_f64 v[106:107], v[112:113], -v[106:107]
	buffer_store_dword v107, off, s[0:3], 0 offset:12
	buffer_store_dword v106, off, s[0:3], 0 offset:8
	v_cmpx_ne_u32_e32 0, v0
	s_cbranch_execz .LBB114_315
; %bb.314:
	s_clause 0x1
	buffer_load_dword v106, off, s[0:3], 0
	buffer_load_dword v107, off, s[0:3], 0 offset:4
	buffer_store_dword v105, off, s[0:3], 0
	buffer_store_dword v105, off, s[0:3], 0 offset:4
	s_waitcnt vmcnt(0)
	ds_write_b64 v103, v[106:107]
.LBB114_315:
	s_or_b32 exec_lo, exec_lo, s4
	s_waitcnt lgkmcnt(0)
	s_waitcnt_vscnt null, 0x0
	s_barrier
	buffer_gl0_inv
	s_clause 0x1b
	buffer_load_dword v103, off, s[0:3], 0 offset:8
	buffer_load_dword v104, off, s[0:3], 0 offset:12
	;; [unrolled: 1-line block ×28, first 2 shown]
	ds_read2_b64 v[106:109], v105 offset0:53 offset1:54
	s_clause 0x3
	buffer_load_dword v136, off, s[0:3], 0 offset:120
	buffer_load_dword v137, off, s[0:3], 0 offset:124
	;; [unrolled: 1-line block ×4, first 2 shown]
	s_and_b32 vcc_lo, exec_lo, s16
	s_waitcnt vmcnt(30) lgkmcnt(0)
	v_fma_f64 v[103:104], v[103:104], v[106:107], 0
	s_waitcnt vmcnt(28)
	v_fma_f64 v[103:104], v[110:111], v[108:109], v[103:104]
	ds_read2_b64 v[106:109], v105 offset0:55 offset1:56
	s_clause 0x1
	buffer_load_dword v110, off, s[0:3], 0 offset:136
	buffer_load_dword v111, off, s[0:3], 0 offset:140
	s_waitcnt vmcnt(28) lgkmcnt(0)
	v_fma_f64 v[103:104], v[112:113], v[106:107], v[103:104]
	s_clause 0x1
	buffer_load_dword v112, off, s[0:3], 0 offset:144
	buffer_load_dword v113, off, s[0:3], 0 offset:148
	s_waitcnt vmcnt(28)
	v_fma_f64 v[103:104], v[114:115], v[108:109], v[103:104]
	ds_read2_b64 v[106:109], v105 offset0:57 offset1:58
	s_clause 0x1
	buffer_load_dword v114, off, s[0:3], 0 offset:152
	buffer_load_dword v115, off, s[0:3], 0 offset:156
	s_waitcnt vmcnt(28) lgkmcnt(0)
	v_fma_f64 v[103:104], v[116:117], v[106:107], v[103:104]
	s_clause 0x1
	buffer_load_dword v117, off, s[0:3], 0 offset:164
	buffer_load_dword v116, off, s[0:3], 0 offset:160
	s_waitcnt vmcnt(28)
	v_fma_f64 v[103:104], v[118:119], v[108:109], v[103:104]
	ds_read2_b64 v[106:109], v105 offset0:59 offset1:60
	s_clause 0x1
	buffer_load_dword v118, off, s[0:3], 0 offset:168
	buffer_load_dword v119, off, s[0:3], 0 offset:172
	s_waitcnt vmcnt(28) lgkmcnt(0)
	v_fma_f64 v[103:104], v[120:121], v[106:107], v[103:104]
	s_clause 0x1
	buffer_load_dword v120, off, s[0:3], 0 offset:176
	buffer_load_dword v121, off, s[0:3], 0 offset:180
	s_waitcnt vmcnt(28)
	v_fma_f64 v[103:104], v[122:123], v[108:109], v[103:104]
	ds_read2_b64 v[106:109], v105 offset0:61 offset1:62
	s_clause 0x1
	buffer_load_dword v122, off, s[0:3], 0 offset:184
	buffer_load_dword v123, off, s[0:3], 0 offset:188
	s_waitcnt vmcnt(28) lgkmcnt(0)
	v_fma_f64 v[103:104], v[124:125], v[106:107], v[103:104]
	s_clause 0x1
	buffer_load_dword v125, off, s[0:3], 0 offset:196
	buffer_load_dword v124, off, s[0:3], 0 offset:192
	s_waitcnt vmcnt(28)
	v_fma_f64 v[103:104], v[126:127], v[108:109], v[103:104]
	ds_read2_b64 v[106:109], v105 offset0:63 offset1:64
	s_clause 0x1
	buffer_load_dword v126, off, s[0:3], 0 offset:200
	buffer_load_dword v127, off, s[0:3], 0 offset:204
	s_waitcnt vmcnt(28) lgkmcnt(0)
	v_fma_f64 v[103:104], v[128:129], v[106:107], v[103:104]
	s_clause 0x1
	buffer_load_dword v128, off, s[0:3], 0 offset:208
	buffer_load_dword v129, off, s[0:3], 0 offset:212
	s_waitcnt vmcnt(28)
	v_fma_f64 v[103:104], v[130:131], v[108:109], v[103:104]
	ds_read2_b64 v[106:109], v105 offset0:65 offset1:66
	s_clause 0x1
	buffer_load_dword v130, off, s[0:3], 0 offset:216
	buffer_load_dword v131, off, s[0:3], 0 offset:220
	s_waitcnt vmcnt(28) lgkmcnt(0)
	v_fma_f64 v[103:104], v[132:133], v[106:107], v[103:104]
	s_clause 0x1
	buffer_load_dword v133, off, s[0:3], 0 offset:228
	buffer_load_dword v132, off, s[0:3], 0 offset:224
	s_waitcnt vmcnt(28)
	v_fma_f64 v[103:104], v[134:135], v[108:109], v[103:104]
	ds_read2_b64 v[106:109], v105 offset0:67 offset1:68
	s_clause 0x1
	buffer_load_dword v134, off, s[0:3], 0 offset:232
	buffer_load_dword v135, off, s[0:3], 0 offset:236
	s_waitcnt vmcnt(28) lgkmcnt(0)
	v_fma_f64 v[103:104], v[136:137], v[106:107], v[103:104]
	s_clause 0x1
	buffer_load_dword v136, off, s[0:3], 0 offset:240
	buffer_load_dword v137, off, s[0:3], 0 offset:244
	s_waitcnt vmcnt(28)
	v_fma_f64 v[103:104], v[138:139], v[108:109], v[103:104]
	ds_read2_b64 v[106:109], v105 offset0:69 offset1:70
	s_clause 0x1
	buffer_load_dword v138, off, s[0:3], 0 offset:248
	buffer_load_dword v139, off, s[0:3], 0 offset:252
	s_waitcnt vmcnt(28) lgkmcnt(0)
	v_fma_f64 v[103:104], v[110:111], v[106:107], v[103:104]
	s_clause 0x1
	buffer_load_dword v111, off, s[0:3], 0 offset:260
	buffer_load_dword v110, off, s[0:3], 0 offset:256
	s_waitcnt vmcnt(28)
	v_fma_f64 v[103:104], v[112:113], v[108:109], v[103:104]
	ds_read2_b64 v[106:109], v105 offset0:71 offset1:72
	s_clause 0x1
	buffer_load_dword v112, off, s[0:3], 0 offset:264
	buffer_load_dword v113, off, s[0:3], 0 offset:268
	s_waitcnt vmcnt(28) lgkmcnt(0)
	v_fma_f64 v[103:104], v[114:115], v[106:107], v[103:104]
	s_clause 0x1
	buffer_load_dword v114, off, s[0:3], 0 offset:272
	buffer_load_dword v115, off, s[0:3], 0 offset:276
	s_waitcnt vmcnt(28)
	v_fma_f64 v[103:104], v[116:117], v[108:109], v[103:104]
	ds_read2_b64 v[106:109], v105 offset0:73 offset1:74
	s_clause 0x1
	buffer_load_dword v116, off, s[0:3], 0 offset:280
	buffer_load_dword v117, off, s[0:3], 0 offset:284
	s_waitcnt vmcnt(28) lgkmcnt(0)
	v_fma_f64 v[103:104], v[118:119], v[106:107], v[103:104]
	s_clause 0x1
	buffer_load_dword v119, off, s[0:3], 0 offset:292
	buffer_load_dword v118, off, s[0:3], 0 offset:288
	s_waitcnt vmcnt(28)
	v_fma_f64 v[103:104], v[120:121], v[108:109], v[103:104]
	ds_read2_b64 v[106:109], v105 offset0:75 offset1:76
	s_clause 0x1
	buffer_load_dword v120, off, s[0:3], 0 offset:296
	buffer_load_dword v121, off, s[0:3], 0 offset:300
	s_waitcnt vmcnt(28) lgkmcnt(0)
	v_fma_f64 v[103:104], v[122:123], v[106:107], v[103:104]
	s_clause 0x1
	buffer_load_dword v122, off, s[0:3], 0 offset:304
	buffer_load_dword v123, off, s[0:3], 0 offset:308
	s_waitcnt vmcnt(28)
	v_fma_f64 v[103:104], v[124:125], v[108:109], v[103:104]
	ds_read2_b64 v[106:109], v105 offset0:77 offset1:78
	s_clause 0x1
	buffer_load_dword v124, off, s[0:3], 0 offset:312
	buffer_load_dword v125, off, s[0:3], 0 offset:316
	s_waitcnt vmcnt(28) lgkmcnt(0)
	v_fma_f64 v[103:104], v[126:127], v[106:107], v[103:104]
	s_clause 0x1
	buffer_load_dword v127, off, s[0:3], 0 offset:324
	buffer_load_dword v126, off, s[0:3], 0 offset:320
	s_waitcnt vmcnt(28)
	v_fma_f64 v[103:104], v[128:129], v[108:109], v[103:104]
	ds_read2_b64 v[106:109], v105 offset0:79 offset1:80
	s_clause 0x1
	buffer_load_dword v128, off, s[0:3], 0 offset:328
	buffer_load_dword v129, off, s[0:3], 0 offset:332
	s_waitcnt vmcnt(28) lgkmcnt(0)
	v_fma_f64 v[103:104], v[130:131], v[106:107], v[103:104]
	s_clause 0x1
	buffer_load_dword v130, off, s[0:3], 0 offset:336
	buffer_load_dword v131, off, s[0:3], 0 offset:340
	s_waitcnt vmcnt(28)
	v_fma_f64 v[103:104], v[132:133], v[108:109], v[103:104]
	ds_read2_b64 v[106:109], v105 offset0:81 offset1:82
	s_clause 0x1
	buffer_load_dword v132, off, s[0:3], 0 offset:344
	buffer_load_dword v133, off, s[0:3], 0 offset:348
	s_waitcnt vmcnt(28) lgkmcnt(0)
	v_fma_f64 v[103:104], v[134:135], v[106:107], v[103:104]
	s_clause 0x1
	buffer_load_dword v135, off, s[0:3], 0 offset:356
	buffer_load_dword v134, off, s[0:3], 0 offset:352
	s_waitcnt vmcnt(28)
	v_fma_f64 v[103:104], v[136:137], v[108:109], v[103:104]
	ds_read2_b64 v[106:109], v105 offset0:83 offset1:84
	s_clause 0x1
	buffer_load_dword v136, off, s[0:3], 0 offset:360
	buffer_load_dword v137, off, s[0:3], 0 offset:364
	s_waitcnt vmcnt(28) lgkmcnt(0)
	v_fma_f64 v[103:104], v[138:139], v[106:107], v[103:104]
	s_clause 0x1
	buffer_load_dword v138, off, s[0:3], 0 offset:368
	buffer_load_dword v139, off, s[0:3], 0 offset:372
	s_waitcnt vmcnt(28)
	v_fma_f64 v[103:104], v[110:111], v[108:109], v[103:104]
	ds_read2_b64 v[106:109], v105 offset0:85 offset1:86
	s_clause 0x1
	buffer_load_dword v110, off, s[0:3], 0 offset:376
	buffer_load_dword v111, off, s[0:3], 0 offset:380
	s_waitcnt vmcnt(28) lgkmcnt(0)
	v_fma_f64 v[103:104], v[112:113], v[106:107], v[103:104]
	s_clause 0x1
	buffer_load_dword v113, off, s[0:3], 0 offset:388
	buffer_load_dword v112, off, s[0:3], 0 offset:384
	s_waitcnt vmcnt(28)
	v_fma_f64 v[114:115], v[114:115], v[108:109], v[103:104]
	ds_read2_b64 v[106:109], v105 offset0:87 offset1:88
	s_clause 0x1
	buffer_load_dword v103, off, s[0:3], 0 offset:392
	buffer_load_dword v104, off, s[0:3], 0 offset:396
	s_waitcnt vmcnt(28) lgkmcnt(0)
	v_fma_f64 v[106:107], v[116:117], v[106:107], v[114:115]
	s_clause 0x1
	buffer_load_dword v114, off, s[0:3], 0 offset:400
	buffer_load_dword v115, off, s[0:3], 0 offset:404
	s_waitcnt vmcnt(28)
	v_fma_f64 v[116:117], v[118:119], v[108:109], v[106:107]
	ds_read2_b64 v[106:109], v105 offset0:89 offset1:90
	s_clause 0x1
	buffer_load_dword v118, off, s[0:3], 0
	buffer_load_dword v119, off, s[0:3], 0 offset:4
	s_waitcnt vmcnt(28) lgkmcnt(0)
	v_fma_f64 v[106:107], v[120:121], v[106:107], v[116:117]
	s_waitcnt vmcnt(26)
	v_fma_f64 v[116:117], v[122:123], v[108:109], v[106:107]
	ds_read2_b64 v[106:109], v105 offset0:91 offset1:92
	s_waitcnt vmcnt(24) lgkmcnt(0)
	v_fma_f64 v[106:107], v[124:125], v[106:107], v[116:117]
	s_waitcnt vmcnt(22)
	v_fma_f64 v[116:117], v[126:127], v[108:109], v[106:107]
	ds_read2_b64 v[106:109], v105 offset0:93 offset1:94
	;; [unrolled: 5-line block ×6, first 2 shown]
	s_waitcnt vmcnt(4) lgkmcnt(0)
	v_fma_f64 v[105:106], v[103:104], v[105:106], v[109:110]
	s_waitcnt vmcnt(2)
	v_fma_f64 v[105:106], v[114:115], v[107:108], v[105:106]
	s_waitcnt vmcnt(0)
	v_add_f64 v[105:106], v[118:119], -v[105:106]
	buffer_store_dword v106, off, s[0:3], 0 offset:4
	buffer_store_dword v105, off, s[0:3], 0
	s_cbranch_vccz .LBB114_416
; %bb.316:
	v_mov_b32_e32 v0, 0
	global_load_dword v105, v0, s[12:13] offset:196
	s_waitcnt vmcnt(0)
	v_add_nc_u32_e32 v105, -1, v105
	v_cmp_ne_u32_e32 vcc_lo, 49, v105
	s_cbranch_vccz .LBB114_318
; %bb.317:
	v_lshlrev_b32_e32 v105, 3, v105
	s_clause 0x1
	buffer_load_dword v106, v105, s[0:3], 0 offen
	buffer_load_dword v107, v105, s[0:3], 0 offen offset:4
	s_waitcnt vmcnt(1)
	buffer_store_dword v106, off, s[0:3], 0 offset:392
	s_waitcnt vmcnt(0)
	buffer_store_dword v107, off, s[0:3], 0 offset:396
	buffer_store_dword v103, v105, s[0:3], 0 offen
	buffer_store_dword v104, v105, s[0:3], 0 offen offset:4
.LBB114_318:
	global_load_dword v0, v0, s[12:13] offset:192
	s_waitcnt vmcnt(0)
	v_add_nc_u32_e32 v0, -1, v0
	v_cmp_eq_u32_e32 vcc_lo, 48, v0
	s_cbranch_vccnz .LBB114_320
; %bb.319:
	v_lshlrev_b32_e32 v0, 3, v0
	s_clause 0x3
	buffer_load_dword v103, v0, s[0:3], 0 offen
	buffer_load_dword v104, v0, s[0:3], 0 offen offset:4
	buffer_load_dword v105, off, s[0:3], 0 offset:388
	buffer_load_dword v106, off, s[0:3], 0 offset:384
	s_waitcnt vmcnt(3)
	buffer_store_dword v103, off, s[0:3], 0 offset:384
	s_waitcnt vmcnt(2)
	buffer_store_dword v104, off, s[0:3], 0 offset:388
	s_waitcnt vmcnt(1)
	buffer_store_dword v105, v0, s[0:3], 0 offen offset:4
	s_waitcnt vmcnt(0)
	buffer_store_dword v106, v0, s[0:3], 0 offen
.LBB114_320:
	v_mov_b32_e32 v0, 0
	global_load_dword v103, v0, s[12:13] offset:188
	s_waitcnt vmcnt(0)
	v_add_nc_u32_e32 v103, -1, v103
	v_cmp_eq_u32_e32 vcc_lo, 47, v103
	s_cbranch_vccnz .LBB114_322
; %bb.321:
	v_lshlrev_b32_e32 v103, 3, v103
	s_clause 0x3
	buffer_load_dword v104, v103, s[0:3], 0 offen
	buffer_load_dword v105, v103, s[0:3], 0 offen offset:4
	buffer_load_dword v106, off, s[0:3], 0 offset:376
	buffer_load_dword v107, off, s[0:3], 0 offset:380
	s_waitcnt vmcnt(3)
	buffer_store_dword v104, off, s[0:3], 0 offset:376
	s_waitcnt vmcnt(2)
	buffer_store_dword v105, off, s[0:3], 0 offset:380
	s_waitcnt vmcnt(1)
	buffer_store_dword v106, v103, s[0:3], 0 offen
	s_waitcnt vmcnt(0)
	buffer_store_dword v107, v103, s[0:3], 0 offen offset:4
.LBB114_322:
	global_load_dword v0, v0, s[12:13] offset:184
	s_waitcnt vmcnt(0)
	v_add_nc_u32_e32 v0, -1, v0
	v_cmp_eq_u32_e32 vcc_lo, 46, v0
	s_cbranch_vccnz .LBB114_324
; %bb.323:
	v_lshlrev_b32_e32 v0, 3, v0
	s_clause 0x3
	buffer_load_dword v103, v0, s[0:3], 0 offen
	buffer_load_dword v104, v0, s[0:3], 0 offen offset:4
	buffer_load_dword v105, off, s[0:3], 0 offset:372
	buffer_load_dword v106, off, s[0:3], 0 offset:368
	s_waitcnt vmcnt(3)
	buffer_store_dword v103, off, s[0:3], 0 offset:368
	s_waitcnt vmcnt(2)
	buffer_store_dword v104, off, s[0:3], 0 offset:372
	s_waitcnt vmcnt(1)
	buffer_store_dword v105, v0, s[0:3], 0 offen offset:4
	s_waitcnt vmcnt(0)
	buffer_store_dword v106, v0, s[0:3], 0 offen
.LBB114_324:
	v_mov_b32_e32 v0, 0
	global_load_dword v103, v0, s[12:13] offset:180
	s_waitcnt vmcnt(0)
	v_add_nc_u32_e32 v103, -1, v103
	v_cmp_eq_u32_e32 vcc_lo, 45, v103
	s_cbranch_vccnz .LBB114_326
; %bb.325:
	v_lshlrev_b32_e32 v103, 3, v103
	s_clause 0x3
	buffer_load_dword v104, v103, s[0:3], 0 offen
	buffer_load_dword v105, v103, s[0:3], 0 offen offset:4
	buffer_load_dword v106, off, s[0:3], 0 offset:360
	buffer_load_dword v107, off, s[0:3], 0 offset:364
	s_waitcnt vmcnt(3)
	buffer_store_dword v104, off, s[0:3], 0 offset:360
	s_waitcnt vmcnt(2)
	buffer_store_dword v105, off, s[0:3], 0 offset:364
	s_waitcnt vmcnt(1)
	buffer_store_dword v106, v103, s[0:3], 0 offen
	s_waitcnt vmcnt(0)
	buffer_store_dword v107, v103, s[0:3], 0 offen offset:4
.LBB114_326:
	;; [unrolled: 43-line block ×24, first 2 shown]
	global_load_dword v0, v0, s[12:13]
	s_clause 0x1
	buffer_load_dword v105, off, s[0:3], 0
	buffer_load_dword v106, off, s[0:3], 0 offset:4
	s_waitcnt vmcnt(2)
	v_add_nc_u32_e32 v0, -1, v0
	v_cmp_eq_u32_e32 vcc_lo, 0, v0
	s_cbranch_vccnz .LBB114_416
; %bb.415:
	v_lshlrev_b32_e32 v0, 3, v0
	s_clause 0x1
	buffer_load_dword v103, v0, s[0:3], 0 offen offset:4
	buffer_load_dword v104, v0, s[0:3], 0 offen
	s_waitcnt vmcnt(1)
	buffer_store_dword v103, off, s[0:3], 0 offset:4
	s_waitcnt vmcnt(0)
	buffer_store_dword v104, off, s[0:3], 0
	buffer_store_dword v106, v0, s[0:3], 0 offen offset:4
	buffer_store_dword v105, v0, s[0:3], 0 offen
	s_clause 0x1
	buffer_load_dword v105, off, s[0:3], 0
	buffer_load_dword v106, off, s[0:3], 0 offset:4
.LBB114_416:
	s_waitcnt vmcnt(0)
	flat_store_dwordx2 v[1:2], v[105:106]
	s_clause 0x1
	buffer_load_dword v0, off, s[0:3], 0 offset:8
	buffer_load_dword v1, off, s[0:3], 0 offset:12
	s_waitcnt vmcnt(0)
	flat_store_dwordx2 v[3:4], v[0:1]
	s_clause 0x1
	buffer_load_dword v0, off, s[0:3], 0 offset:16
	buffer_load_dword v1, off, s[0:3], 0 offset:20
	;; [unrolled: 5-line block ×50, first 2 shown]
	s_waitcnt vmcnt(0)
	flat_store_dwordx2 v[101:102], v[0:1]
	s_endpgm
	.section	.rodata,"a",@progbits
	.p2align	6, 0x0
	.amdhsa_kernel _ZN9rocsolver6v33100L18getri_kernel_smallILi51EdPKPdEEvT1_iilPiilS6_bb
		.amdhsa_group_segment_fixed_size 824
		.amdhsa_private_segment_fixed_size 416
		.amdhsa_kernarg_size 60
		.amdhsa_user_sgpr_count 6
		.amdhsa_user_sgpr_private_segment_buffer 1
		.amdhsa_user_sgpr_dispatch_ptr 0
		.amdhsa_user_sgpr_queue_ptr 0
		.amdhsa_user_sgpr_kernarg_segment_ptr 1
		.amdhsa_user_sgpr_dispatch_id 0
		.amdhsa_user_sgpr_flat_scratch_init 0
		.amdhsa_user_sgpr_private_segment_size 0
		.amdhsa_wavefront_size32 1
		.amdhsa_uses_dynamic_stack 0
		.amdhsa_system_sgpr_private_segment_wavefront_offset 1
		.amdhsa_system_sgpr_workgroup_id_x 1
		.amdhsa_system_sgpr_workgroup_id_y 0
		.amdhsa_system_sgpr_workgroup_id_z 0
		.amdhsa_system_sgpr_workgroup_info 0
		.amdhsa_system_vgpr_workitem_id 0
		.amdhsa_next_free_vgpr 142
		.amdhsa_next_free_sgpr 20
		.amdhsa_reserve_vcc 1
		.amdhsa_reserve_flat_scratch 0
		.amdhsa_float_round_mode_32 0
		.amdhsa_float_round_mode_16_64 0
		.amdhsa_float_denorm_mode_32 3
		.amdhsa_float_denorm_mode_16_64 3
		.amdhsa_dx10_clamp 1
		.amdhsa_ieee_mode 1
		.amdhsa_fp16_overflow 0
		.amdhsa_workgroup_processor_mode 1
		.amdhsa_memory_ordered 1
		.amdhsa_forward_progress 1
		.amdhsa_shared_vgpr_count 0
		.amdhsa_exception_fp_ieee_invalid_op 0
		.amdhsa_exception_fp_denorm_src 0
		.amdhsa_exception_fp_ieee_div_zero 0
		.amdhsa_exception_fp_ieee_overflow 0
		.amdhsa_exception_fp_ieee_underflow 0
		.amdhsa_exception_fp_ieee_inexact 0
		.amdhsa_exception_int_div_zero 0
	.end_amdhsa_kernel
	.section	.text._ZN9rocsolver6v33100L18getri_kernel_smallILi51EdPKPdEEvT1_iilPiilS6_bb,"axG",@progbits,_ZN9rocsolver6v33100L18getri_kernel_smallILi51EdPKPdEEvT1_iilPiilS6_bb,comdat
.Lfunc_end114:
	.size	_ZN9rocsolver6v33100L18getri_kernel_smallILi51EdPKPdEEvT1_iilPiilS6_bb, .Lfunc_end114-_ZN9rocsolver6v33100L18getri_kernel_smallILi51EdPKPdEEvT1_iilPiilS6_bb
                                        ; -- End function
	.set _ZN9rocsolver6v33100L18getri_kernel_smallILi51EdPKPdEEvT1_iilPiilS6_bb.num_vgpr, 142
	.set _ZN9rocsolver6v33100L18getri_kernel_smallILi51EdPKPdEEvT1_iilPiilS6_bb.num_agpr, 0
	.set _ZN9rocsolver6v33100L18getri_kernel_smallILi51EdPKPdEEvT1_iilPiilS6_bb.numbered_sgpr, 20
	.set _ZN9rocsolver6v33100L18getri_kernel_smallILi51EdPKPdEEvT1_iilPiilS6_bb.num_named_barrier, 0
	.set _ZN9rocsolver6v33100L18getri_kernel_smallILi51EdPKPdEEvT1_iilPiilS6_bb.private_seg_size, 416
	.set _ZN9rocsolver6v33100L18getri_kernel_smallILi51EdPKPdEEvT1_iilPiilS6_bb.uses_vcc, 1
	.set _ZN9rocsolver6v33100L18getri_kernel_smallILi51EdPKPdEEvT1_iilPiilS6_bb.uses_flat_scratch, 0
	.set _ZN9rocsolver6v33100L18getri_kernel_smallILi51EdPKPdEEvT1_iilPiilS6_bb.has_dyn_sized_stack, 0
	.set _ZN9rocsolver6v33100L18getri_kernel_smallILi51EdPKPdEEvT1_iilPiilS6_bb.has_recursion, 0
	.set _ZN9rocsolver6v33100L18getri_kernel_smallILi51EdPKPdEEvT1_iilPiilS6_bb.has_indirect_call, 0
	.section	.AMDGPU.csdata,"",@progbits
; Kernel info:
; codeLenInByte = 72504
; TotalNumSgprs: 22
; NumVgprs: 142
; ScratchSize: 416
; MemoryBound: 1
; FloatMode: 240
; IeeeMode: 1
; LDSByteSize: 824 bytes/workgroup (compile time only)
; SGPRBlocks: 0
; VGPRBlocks: 17
; NumSGPRsForWavesPerEU: 22
; NumVGPRsForWavesPerEU: 142
; Occupancy: 7
; WaveLimiterHint : 1
; COMPUTE_PGM_RSRC2:SCRATCH_EN: 1
; COMPUTE_PGM_RSRC2:USER_SGPR: 6
; COMPUTE_PGM_RSRC2:TRAP_HANDLER: 0
; COMPUTE_PGM_RSRC2:TGID_X_EN: 1
; COMPUTE_PGM_RSRC2:TGID_Y_EN: 0
; COMPUTE_PGM_RSRC2:TGID_Z_EN: 0
; COMPUTE_PGM_RSRC2:TIDIG_COMP_CNT: 0
	.section	.text._ZN9rocsolver6v33100L18getri_kernel_smallILi52EdPKPdEEvT1_iilPiilS6_bb,"axG",@progbits,_ZN9rocsolver6v33100L18getri_kernel_smallILi52EdPKPdEEvT1_iilPiilS6_bb,comdat
	.globl	_ZN9rocsolver6v33100L18getri_kernel_smallILi52EdPKPdEEvT1_iilPiilS6_bb ; -- Begin function _ZN9rocsolver6v33100L18getri_kernel_smallILi52EdPKPdEEvT1_iilPiilS6_bb
	.p2align	8
	.type	_ZN9rocsolver6v33100L18getri_kernel_smallILi52EdPKPdEEvT1_iilPiilS6_bb,@function
_ZN9rocsolver6v33100L18getri_kernel_smallILi52EdPKPdEEvT1_iilPiilS6_bb: ; @_ZN9rocsolver6v33100L18getri_kernel_smallILi52EdPKPdEEvT1_iilPiilS6_bb
; %bb.0:
	s_add_u32 s0, s0, s7
	s_addc_u32 s1, s1, 0
	s_mov_b32 s7, exec_lo
	v_cmpx_gt_u32_e32 52, v0
	s_cbranch_execz .LBB115_218
; %bb.1:
	s_clause 0x2
	s_load_dword s17, s[4:5], 0x38
	s_load_dwordx2 s[12:13], s[4:5], 0x0
	s_load_dwordx4 s[8:11], s[4:5], 0x28
	s_waitcnt lgkmcnt(0)
	s_bitcmp1_b32 s17, 8
	s_cselect_b32 s16, -1, 0
	s_ashr_i32 s7, s6, 31
	s_lshl_b64 s[14:15], s[6:7], 3
	s_add_u32 s12, s12, s14
	s_addc_u32 s13, s13, s15
	s_load_dwordx2 s[14:15], s[12:13], 0x0
	s_bfe_u32 s12, s17, 0x10008
	s_cmp_eq_u32 s12, 0
                                        ; implicit-def: $sgpr12_sgpr13
	s_cbranch_scc1 .LBB115_3
; %bb.2:
	s_clause 0x1
	s_load_dword s12, s[4:5], 0x20
	s_load_dwordx2 s[18:19], s[4:5], 0x18
	s_mul_i32 s13, s8, s7
	s_mul_hi_u32 s17, s8, s6
	s_mul_i32 s9, s9, s6
	s_add_i32 s13, s17, s13
	s_mul_i32 s8, s8, s6
	s_add_i32 s9, s13, s9
	s_lshl_b64 s[8:9], s[8:9], 2
	s_waitcnt lgkmcnt(0)
	s_ashr_i32 s13, s12, 31
	s_add_u32 s17, s18, s8
	s_addc_u32 s18, s19, s9
	s_lshl_b64 s[8:9], s[12:13], 2
	s_add_u32 s12, s17, s8
	s_addc_u32 s13, s18, s9
.LBB115_3:
	s_clause 0x1
	s_load_dwordx2 s[8:9], s[4:5], 0x8
	s_load_dword s17, s[4:5], 0x38
	v_lshlrev_b32_e32 v107, 3, v0
	s_waitcnt lgkmcnt(0)
	s_ashr_i32 s5, s8, 31
	s_mov_b32 s4, s8
	v_add3_u32 v9, s9, s9, v0
	s_lshl_b64 s[4:5], s[4:5], 3
	s_add_u32 s4, s14, s4
	s_addc_u32 s5, s15, s5
	v_add_co_u32 v1, s8, s4, v107
	v_add_co_ci_u32_e64 v2, null, s5, 0, s8
	s_mov_b32 s14, s9
	s_ashr_i32 s15, s9, 31
	v_ashrrev_i32_e32 v10, 31, v9
	flat_load_dwordx2 v[5:6], v[1:2]
	s_lshl_b64 s[14:15], s[14:15], 3
	v_add_nc_u32_e32 v12, s9, v9
	v_add_co_u32 v3, vcc_lo, v1, s14
	v_add_co_ci_u32_e64 v4, null, s15, v2, vcc_lo
	v_ashrrev_i32_e32 v13, 31, v12
	s_bitcmp0_b32 s17, 0
	s_waitcnt vmcnt(0) lgkmcnt(0)
	buffer_store_dword v6, off, s[0:3], 0 offset:4
	buffer_store_dword v5, off, s[0:3], 0
	flat_load_dwordx2 v[7:8], v[3:4]
	v_lshlrev_b64 v[5:6], 3, v[9:10]
	s_waitcnt vmcnt(0) lgkmcnt(0)
	buffer_store_dword v8, off, s[0:3], 0 offset:12
	buffer_store_dword v7, off, s[0:3], 0 offset:8
	v_add_co_u32 v5, vcc_lo, s4, v5
	v_add_co_ci_u32_e64 v6, null, s5, v6, vcc_lo
	v_lshlrev_b64 v[7:8], 3, v[12:13]
	flat_load_dwordx2 v[10:11], v[5:6]
	s_waitcnt vmcnt(0) lgkmcnt(0)
	buffer_store_dword v11, off, s[0:3], 0 offset:20
	buffer_store_dword v10, off, s[0:3], 0 offset:16
	v_add_co_u32 v7, vcc_lo, s4, v7
	v_add_co_ci_u32_e64 v8, null, s5, v8, vcc_lo
	v_add_nc_u32_e32 v11, s9, v12
	flat_load_dwordx2 v[13:14], v[7:8]
	s_waitcnt vmcnt(0) lgkmcnt(0)
	buffer_store_dword v14, off, s[0:3], 0 offset:28
	buffer_store_dword v13, off, s[0:3], 0 offset:24
	v_ashrrev_i32_e32 v12, 31, v11
	v_add_nc_u32_e32 v15, s9, v11
	v_lshlrev_b64 v[9:10], 3, v[11:12]
	v_ashrrev_i32_e32 v16, 31, v15
	v_add_nc_u32_e32 v18, s9, v15
	v_add_co_u32 v9, vcc_lo, s4, v9
	v_add_co_ci_u32_e64 v10, null, s5, v10, vcc_lo
	v_lshlrev_b64 v[11:12], 3, v[15:16]
	v_ashrrev_i32_e32 v19, 31, v18
	flat_load_dwordx2 v[13:14], v[9:10]
	s_waitcnt vmcnt(0) lgkmcnt(0)
	buffer_store_dword v14, off, s[0:3], 0 offset:36
	buffer_store_dword v13, off, s[0:3], 0 offset:32
	v_add_co_u32 v11, vcc_lo, s4, v11
	v_add_co_ci_u32_e64 v12, null, s5, v12, vcc_lo
	v_lshlrev_b64 v[13:14], 3, v[18:19]
	flat_load_dwordx2 v[16:17], v[11:12]
	s_waitcnt vmcnt(0) lgkmcnt(0)
	buffer_store_dword v17, off, s[0:3], 0 offset:44
	buffer_store_dword v16, off, s[0:3], 0 offset:40
	v_add_co_u32 v13, vcc_lo, s4, v13
	v_add_co_ci_u32_e64 v14, null, s5, v14, vcc_lo
	v_add_nc_u32_e32 v17, s9, v18
	flat_load_dwordx2 v[19:20], v[13:14]
	s_waitcnt vmcnt(0) lgkmcnt(0)
	buffer_store_dword v20, off, s[0:3], 0 offset:52
	buffer_store_dword v19, off, s[0:3], 0 offset:48
	v_ashrrev_i32_e32 v18, 31, v17
	v_add_nc_u32_e32 v21, s9, v17
	v_lshlrev_b64 v[15:16], 3, v[17:18]
	v_ashrrev_i32_e32 v22, 31, v21
	v_add_nc_u32_e32 v24, s9, v21
	v_add_co_u32 v15, vcc_lo, s4, v15
	v_add_co_ci_u32_e64 v16, null, s5, v16, vcc_lo
	v_lshlrev_b64 v[17:18], 3, v[21:22]
	v_ashrrev_i32_e32 v25, 31, v24
	flat_load_dwordx2 v[19:20], v[15:16]
	;; [unrolled: 27-line block ×15, first 2 shown]
	s_waitcnt vmcnt(0) lgkmcnt(0)
	buffer_store_dword v98, off, s[0:3], 0 offset:372
	buffer_store_dword v97, off, s[0:3], 0 offset:368
	v_add_co_u32 v95, vcc_lo, s4, v95
	v_add_co_ci_u32_e64 v96, null, s5, v96, vcc_lo
	v_lshlrev_b64 v[97:98], 3, v[102:103]
	flat_load_dwordx2 v[100:101], v[95:96]
	s_waitcnt vmcnt(0) lgkmcnt(0)
	buffer_store_dword v101, off, s[0:3], 0 offset:380
	buffer_store_dword v100, off, s[0:3], 0 offset:376
	v_add_co_u32 v97, vcc_lo, s4, v97
	v_add_co_ci_u32_e64 v98, null, s5, v98, vcc_lo
	v_add_nc_u32_e32 v101, s9, v102
	flat_load_dwordx2 v[103:104], v[97:98]
	s_waitcnt vmcnt(0) lgkmcnt(0)
	buffer_store_dword v104, off, s[0:3], 0 offset:388
	buffer_store_dword v103, off, s[0:3], 0 offset:384
	v_ashrrev_i32_e32 v102, 31, v101
	v_add_nc_u32_e32 v105, s9, v101
	v_lshlrev_b64 v[99:100], 3, v[101:102]
	v_ashrrev_i32_e32 v106, 31, v105
	v_add_co_u32 v99, vcc_lo, s4, v99
	v_add_co_ci_u32_e64 v100, null, s5, v100, vcc_lo
	v_lshlrev_b64 v[101:102], 3, v[105:106]
	flat_load_dwordx2 v[103:104], v[99:100]
	s_waitcnt vmcnt(0) lgkmcnt(0)
	buffer_store_dword v104, off, s[0:3], 0 offset:396
	buffer_store_dword v103, off, s[0:3], 0 offset:392
	v_add_co_u32 v101, vcc_lo, s4, v101
	v_add_co_ci_u32_e64 v102, null, s5, v102, vcc_lo
	v_add_nc_u32_e32 v103, s9, v105
	flat_load_dwordx2 v[108:109], v[101:102]
	s_waitcnt vmcnt(0) lgkmcnt(0)
	buffer_store_dword v109, off, s[0:3], 0 offset:404
	buffer_store_dword v108, off, s[0:3], 0 offset:400
	v_ashrrev_i32_e32 v104, 31, v103
	v_lshlrev_b64 v[103:104], 3, v[103:104]
	v_add_co_u32 v103, vcc_lo, s4, v103
	v_add_co_ci_u32_e64 v104, null, s5, v104, vcc_lo
	s_mov_b32 s5, -1
	flat_load_dwordx2 v[105:106], v[103:104]
	s_waitcnt vmcnt(0) lgkmcnt(0)
	buffer_store_dword v106, off, s[0:3], 0 offset:412
	buffer_store_dword v105, off, s[0:3], 0 offset:408
	s_cbranch_scc1 .LBB115_216
; %bb.4:
	v_cmp_eq_u32_e64 s4, 0, v0
	s_and_saveexec_b32 s5, s4
; %bb.5:
	v_mov_b32_e32 v105, 0
	ds_write_b32 v105, v105 offset:832
; %bb.6:
	s_or_b32 exec_lo, exec_lo, s5
	v_lshl_add_u32 v105, v0, 3, 0
	s_waitcnt lgkmcnt(0)
	s_waitcnt_vscnt null, 0x0
	s_barrier
	buffer_gl0_inv
	s_mov_b32 s8, exec_lo
	s_clause 0x1
	buffer_load_dword v108, v105, s[0:3], 0 offen
	buffer_load_dword v109, v105, s[0:3], 0 offen offset:4
	s_waitcnt vmcnt(0)
	v_cmpx_eq_f64_e32 0, v[108:109]
	s_cbranch_execz .LBB115_10
; %bb.7:
	v_mov_b32_e32 v106, 0
	s_mov_b32 s9, 0
	ds_read_b32 v108, v106 offset:832
	s_waitcnt lgkmcnt(0)
	v_readfirstlane_b32 s5, v108
	v_add_nc_u32_e32 v108, 1, v0
	s_cmp_eq_u32 s5, 0
	v_cmp_gt_i32_e32 vcc_lo, s5, v108
	s_cselect_b32 s14, -1, 0
	s_or_b32 s14, s14, vcc_lo
	s_and_b32 exec_lo, exec_lo, s14
	s_cbranch_execz .LBB115_10
; %bb.8:
	v_mov_b32_e32 v109, s5
.LBB115_9:                              ; =>This Inner Loop Header: Depth=1
	ds_cmpst_rtn_b32 v109, v106, v109, v108 offset:832
	s_waitcnt lgkmcnt(0)
	v_cmp_ne_u32_e32 vcc_lo, 0, v109
	v_cmp_le_i32_e64 s5, v109, v108
	s_and_b32 s5, vcc_lo, s5
	s_and_b32 s5, exec_lo, s5
	s_or_b32 s9, s5, s9
	s_andn2_b32 exec_lo, exec_lo, s9
	s_cbranch_execnz .LBB115_9
.LBB115_10:
	s_or_b32 exec_lo, exec_lo, s8
	v_mov_b32_e32 v106, 0
	s_barrier
	buffer_gl0_inv
	ds_read_b32 v108, v106 offset:832
	s_and_saveexec_b32 s5, s4
	s_cbranch_execz .LBB115_12
; %bb.11:
	s_lshl_b64 s[8:9], s[6:7], 2
	s_add_u32 s8, s10, s8
	s_addc_u32 s9, s11, s9
	s_waitcnt lgkmcnt(0)
	global_store_dword v106, v108, s[8:9]
.LBB115_12:
	s_or_b32 exec_lo, exec_lo, s5
	s_waitcnt lgkmcnt(0)
	v_cmp_ne_u32_e32 vcc_lo, 0, v108
	s_mov_b32 s5, 0
	s_cbranch_vccnz .LBB115_216
; %bb.13:
	s_clause 0x1
	buffer_load_dword v108, v105, s[0:3], 0 offen
	buffer_load_dword v109, v105, s[0:3], 0 offen offset:4
	s_waitcnt vmcnt(0)
	v_div_scale_f64 v[110:111], null, v[108:109], v[108:109], 1.0
	v_div_scale_f64 v[116:117], vcc_lo, 1.0, v[108:109], 1.0
	v_rcp_f64_e32 v[112:113], v[110:111]
	v_fma_f64 v[114:115], -v[110:111], v[112:113], 1.0
	v_fma_f64 v[112:113], v[112:113], v[114:115], v[112:113]
	v_fma_f64 v[114:115], -v[110:111], v[112:113], 1.0
	v_fma_f64 v[112:113], v[112:113], v[114:115], v[112:113]
	v_mul_f64 v[114:115], v[116:117], v[112:113]
	v_fma_f64 v[110:111], -v[110:111], v[114:115], v[116:117]
	v_div_fmas_f64 v[110:111], v[110:111], v[112:113], v[114:115]
	v_div_fixup_f64 v[109:110], v[110:111], v[108:109], 1.0
	v_add_nc_u32_e32 v108, 0x1a0, v107
	buffer_store_dword v110, v105, s[0:3], 0 offen offset:4
	buffer_store_dword v109, v105, s[0:3], 0 offen
	s_clause 0x1
	buffer_load_dword v112, off, s[0:3], 0 offset:12
	buffer_load_dword v111, off, s[0:3], 0 offset:8
	v_xor_b32_e32 v110, 0x80000000, v110
	s_waitcnt vmcnt(0)
	ds_write2_b64 v107, v[109:110], v[111:112] offset1:52
	s_waitcnt lgkmcnt(0)
	s_waitcnt_vscnt null, 0x0
	s_barrier
	buffer_gl0_inv
	s_and_saveexec_b32 s5, s4
	s_cbranch_execz .LBB115_15
; %bb.14:
	s_clause 0x1
	buffer_load_dword v109, v105, s[0:3], 0 offen
	buffer_load_dword v110, v105, s[0:3], 0 offen offset:4
	ds_read_b64 v[111:112], v108
	v_mov_b32_e32 v106, 0
	ds_read_b64 v[113:114], v106 offset:8
	s_waitcnt vmcnt(0) lgkmcnt(1)
	v_fma_f64 v[109:110], v[109:110], v[111:112], 0
	s_waitcnt lgkmcnt(0)
	v_mul_f64 v[109:110], v[109:110], v[113:114]
	buffer_store_dword v109, off, s[0:3], 0 offset:8
	buffer_store_dword v110, off, s[0:3], 0 offset:12
.LBB115_15:
	s_or_b32 exec_lo, exec_lo, s5
	s_waitcnt_vscnt null, 0x0
	s_barrier
	buffer_gl0_inv
	s_clause 0x1
	buffer_load_dword v109, off, s[0:3], 0 offset:16
	buffer_load_dword v110, off, s[0:3], 0 offset:20
	s_mov_b32 s5, exec_lo
	s_waitcnt vmcnt(0)
	ds_write_b64 v108, v[109:110]
	s_waitcnt lgkmcnt(0)
	s_barrier
	buffer_gl0_inv
	v_cmpx_gt_u32_e32 2, v0
	s_cbranch_execz .LBB115_19
; %bb.16:
	s_clause 0x1
	buffer_load_dword v109, v105, s[0:3], 0 offen
	buffer_load_dword v110, v105, s[0:3], 0 offen offset:4
	ds_read_b64 v[105:106], v108
	s_waitcnt vmcnt(0) lgkmcnt(0)
	v_fma_f64 v[105:106], v[109:110], v[105:106], 0
	s_and_saveexec_b32 s8, s4
	s_cbranch_execz .LBB115_18
; %bb.17:
	s_clause 0x1
	buffer_load_dword v109, off, s[0:3], 0 offset:8
	buffer_load_dword v110, off, s[0:3], 0 offset:12
	v_mov_b32_e32 v111, 0
	ds_read_b64 v[111:112], v111 offset:424
	s_waitcnt vmcnt(0) lgkmcnt(0)
	v_fma_f64 v[105:106], v[109:110], v[111:112], v[105:106]
.LBB115_18:
	s_or_b32 exec_lo, exec_lo, s8
	v_mov_b32_e32 v109, 0
	ds_read_b64 v[109:110], v109 offset:16
	s_waitcnt lgkmcnt(0)
	v_mul_f64 v[105:106], v[105:106], v[109:110]
	buffer_store_dword v106, off, s[0:3], 0 offset:20
	buffer_store_dword v105, off, s[0:3], 0 offset:16
.LBB115_19:
	s_or_b32 exec_lo, exec_lo, s5
	s_waitcnt_vscnt null, 0x0
	s_barrier
	buffer_gl0_inv
	s_clause 0x1
	buffer_load_dword v105, off, s[0:3], 0 offset:24
	buffer_load_dword v106, off, s[0:3], 0 offset:28
	v_add_nc_u32_e32 v109, -1, v0
	s_mov_b32 s4, exec_lo
	s_waitcnt vmcnt(0)
	ds_write_b64 v108, v[105:106]
	s_waitcnt lgkmcnt(0)
	s_barrier
	buffer_gl0_inv
	v_cmpx_gt_u32_e32 3, v0
	s_cbranch_execz .LBB115_23
; %bb.20:
	v_mov_b32_e32 v105, 0
	v_add_nc_u32_e32 v110, -1, v0
	v_add_nc_u32_e32 v111, 0x1a0, v107
	v_mov_b32_e32 v106, 0
	v_mov_b32_e32 v112, v107
	s_mov_b32 s5, 0
.LBB115_21:                             ; =>This Inner Loop Header: Depth=1
	s_clause 0x1
	buffer_load_dword v113, v112, s[0:3], 0 offen
	buffer_load_dword v114, v112, s[0:3], 0 offen offset:4
	ds_read_b64 v[115:116], v111
	v_add_nc_u32_e32 v110, 1, v110
	v_add_nc_u32_e32 v111, 8, v111
	v_add_nc_u32_e32 v112, 8, v112
	v_cmp_lt_u32_e32 vcc_lo, 1, v110
	s_or_b32 s5, vcc_lo, s5
	s_waitcnt vmcnt(0) lgkmcnt(0)
	v_fma_f64 v[105:106], v[113:114], v[115:116], v[105:106]
	s_andn2_b32 exec_lo, exec_lo, s5
	s_cbranch_execnz .LBB115_21
; %bb.22:
	s_or_b32 exec_lo, exec_lo, s5
	v_mov_b32_e32 v110, 0
	ds_read_b64 v[110:111], v110 offset:24
	s_waitcnt lgkmcnt(0)
	v_mul_f64 v[105:106], v[105:106], v[110:111]
	buffer_store_dword v106, off, s[0:3], 0 offset:28
	buffer_store_dword v105, off, s[0:3], 0 offset:24
.LBB115_23:
	s_or_b32 exec_lo, exec_lo, s4
	s_waitcnt_vscnt null, 0x0
	s_barrier
	buffer_gl0_inv
	s_clause 0x1
	buffer_load_dword v105, off, s[0:3], 0 offset:32
	buffer_load_dword v106, off, s[0:3], 0 offset:36
	s_mov_b32 s4, exec_lo
	s_waitcnt vmcnt(0)
	ds_write_b64 v108, v[105:106]
	s_waitcnt lgkmcnt(0)
	s_barrier
	buffer_gl0_inv
	v_cmpx_gt_u32_e32 4, v0
	s_cbranch_execz .LBB115_27
; %bb.24:
	v_mov_b32_e32 v105, 0
	v_add_nc_u32_e32 v110, -1, v0
	v_add_nc_u32_e32 v111, 0x1a0, v107
	v_mov_b32_e32 v106, 0
	v_mov_b32_e32 v112, v107
	s_mov_b32 s5, 0
.LBB115_25:                             ; =>This Inner Loop Header: Depth=1
	s_clause 0x1
	buffer_load_dword v113, v112, s[0:3], 0 offen
	buffer_load_dword v114, v112, s[0:3], 0 offen offset:4
	ds_read_b64 v[115:116], v111
	v_add_nc_u32_e32 v110, 1, v110
	v_add_nc_u32_e32 v111, 8, v111
	v_add_nc_u32_e32 v112, 8, v112
	v_cmp_lt_u32_e32 vcc_lo, 2, v110
	s_or_b32 s5, vcc_lo, s5
	s_waitcnt vmcnt(0) lgkmcnt(0)
	v_fma_f64 v[105:106], v[113:114], v[115:116], v[105:106]
	s_andn2_b32 exec_lo, exec_lo, s5
	s_cbranch_execnz .LBB115_25
; %bb.26:
	s_or_b32 exec_lo, exec_lo, s5
	v_mov_b32_e32 v110, 0
	ds_read_b64 v[110:111], v110 offset:32
	s_waitcnt lgkmcnt(0)
	v_mul_f64 v[105:106], v[105:106], v[110:111]
	buffer_store_dword v106, off, s[0:3], 0 offset:36
	buffer_store_dword v105, off, s[0:3], 0 offset:32
.LBB115_27:
	s_or_b32 exec_lo, exec_lo, s4
	s_waitcnt_vscnt null, 0x0
	s_barrier
	buffer_gl0_inv
	s_clause 0x1
	buffer_load_dword v105, off, s[0:3], 0 offset:40
	buffer_load_dword v106, off, s[0:3], 0 offset:44
	;; [unrolled: 45-line block ×20, first 2 shown]
	s_mov_b32 s4, exec_lo
	s_waitcnt vmcnt(0)
	ds_write_b64 v108, v[105:106]
	s_waitcnt lgkmcnt(0)
	s_barrier
	buffer_gl0_inv
	v_cmpx_gt_u32_e32 23, v0
	s_cbranch_execz .LBB115_103
; %bb.100:
	v_mov_b32_e32 v105, 0
	v_add_nc_u32_e32 v110, -1, v0
	v_add_nc_u32_e32 v111, 0x1a0, v107
	v_mov_b32_e32 v106, 0
	v_mov_b32_e32 v112, v107
	s_mov_b32 s5, 0
.LBB115_101:                            ; =>This Inner Loop Header: Depth=1
	s_clause 0x1
	buffer_load_dword v113, v112, s[0:3], 0 offen
	buffer_load_dword v114, v112, s[0:3], 0 offen offset:4
	ds_read_b64 v[115:116], v111
	v_add_nc_u32_e32 v110, 1, v110
	v_add_nc_u32_e32 v111, 8, v111
	v_add_nc_u32_e32 v112, 8, v112
	v_cmp_lt_u32_e32 vcc_lo, 21, v110
	s_or_b32 s5, vcc_lo, s5
	s_waitcnt vmcnt(0) lgkmcnt(0)
	v_fma_f64 v[105:106], v[113:114], v[115:116], v[105:106]
	s_andn2_b32 exec_lo, exec_lo, s5
	s_cbranch_execnz .LBB115_101
; %bb.102:
	s_or_b32 exec_lo, exec_lo, s5
	v_mov_b32_e32 v110, 0
	ds_read_b64 v[110:111], v110 offset:184
	s_waitcnt lgkmcnt(0)
	v_mul_f64 v[105:106], v[105:106], v[110:111]
	buffer_store_dword v106, off, s[0:3], 0 offset:188
	buffer_store_dword v105, off, s[0:3], 0 offset:184
.LBB115_103:
	s_or_b32 exec_lo, exec_lo, s4
	s_waitcnt_vscnt null, 0x0
	s_barrier
	buffer_gl0_inv
	s_clause 0x1
	buffer_load_dword v105, off, s[0:3], 0 offset:192
	buffer_load_dword v106, off, s[0:3], 0 offset:196
	s_mov_b32 s4, exec_lo
	s_waitcnt vmcnt(0)
	ds_write_b64 v108, v[105:106]
	s_waitcnt lgkmcnt(0)
	s_barrier
	buffer_gl0_inv
	v_cmpx_gt_u32_e32 24, v0
	s_cbranch_execz .LBB115_107
; %bb.104:
	v_mov_b32_e32 v105, 0
	v_add_nc_u32_e32 v110, -1, v0
	v_add_nc_u32_e32 v111, 0x1a0, v107
	v_mov_b32_e32 v106, 0
	v_mov_b32_e32 v112, v107
	s_mov_b32 s5, 0
.LBB115_105:                            ; =>This Inner Loop Header: Depth=1
	s_clause 0x1
	buffer_load_dword v113, v112, s[0:3], 0 offen
	buffer_load_dword v114, v112, s[0:3], 0 offen offset:4
	ds_read_b64 v[115:116], v111
	v_add_nc_u32_e32 v110, 1, v110
	v_add_nc_u32_e32 v111, 8, v111
	v_add_nc_u32_e32 v112, 8, v112
	v_cmp_lt_u32_e32 vcc_lo, 22, v110
	s_or_b32 s5, vcc_lo, s5
	s_waitcnt vmcnt(0) lgkmcnt(0)
	v_fma_f64 v[105:106], v[113:114], v[115:116], v[105:106]
	s_andn2_b32 exec_lo, exec_lo, s5
	s_cbranch_execnz .LBB115_105
; %bb.106:
	s_or_b32 exec_lo, exec_lo, s5
	v_mov_b32_e32 v110, 0
	ds_read_b64 v[110:111], v110 offset:192
	s_waitcnt lgkmcnt(0)
	v_mul_f64 v[105:106], v[105:106], v[110:111]
	buffer_store_dword v106, off, s[0:3], 0 offset:196
	buffer_store_dword v105, off, s[0:3], 0 offset:192
.LBB115_107:
	s_or_b32 exec_lo, exec_lo, s4
	s_waitcnt_vscnt null, 0x0
	s_barrier
	buffer_gl0_inv
	s_clause 0x1
	buffer_load_dword v105, off, s[0:3], 0 offset:200
	buffer_load_dword v106, off, s[0:3], 0 offset:204
	;; [unrolled: 45-line block ×28, first 2 shown]
	s_mov_b32 s4, exec_lo
	s_waitcnt vmcnt(0)
	ds_write_b64 v108, v[105:106]
	s_waitcnt lgkmcnt(0)
	s_barrier
	buffer_gl0_inv
	v_cmpx_ne_u32_e32 51, v0
	s_cbranch_execz .LBB115_215
; %bb.212:
	v_mov_b32_e32 v105, 0
	v_mov_b32_e32 v106, 0
	s_mov_b32 s5, 0
.LBB115_213:                            ; =>This Inner Loop Header: Depth=1
	s_clause 0x1
	buffer_load_dword v110, v107, s[0:3], 0 offen
	buffer_load_dword v111, v107, s[0:3], 0 offen offset:4
	ds_read_b64 v[112:113], v108
	v_add_nc_u32_e32 v109, 1, v109
	v_add_nc_u32_e32 v108, 8, v108
	;; [unrolled: 1-line block ×3, first 2 shown]
	v_cmp_lt_u32_e32 vcc_lo, 49, v109
	s_or_b32 s5, vcc_lo, s5
	s_waitcnt vmcnt(0) lgkmcnt(0)
	v_fma_f64 v[105:106], v[110:111], v[112:113], v[105:106]
	s_andn2_b32 exec_lo, exec_lo, s5
	s_cbranch_execnz .LBB115_213
; %bb.214:
	s_or_b32 exec_lo, exec_lo, s5
	v_mov_b32_e32 v107, 0
	ds_read_b64 v[107:108], v107 offset:408
	s_waitcnt lgkmcnt(0)
	v_mul_f64 v[105:106], v[105:106], v[107:108]
	buffer_store_dword v106, off, s[0:3], 0 offset:412
	buffer_store_dword v105, off, s[0:3], 0 offset:408
.LBB115_215:
	s_or_b32 exec_lo, exec_lo, s4
	s_mov_b32 s5, -1
	s_waitcnt_vscnt null, 0x0
	s_barrier
	buffer_gl0_inv
.LBB115_216:
	s_and_b32 vcc_lo, exec_lo, s5
	s_cbranch_vccz .LBB115_218
; %bb.217:
	s_lshl_b64 s[4:5], s[6:7], 2
	v_mov_b32_e32 v105, 0
	s_add_u32 s4, s10, s4
	s_addc_u32 s5, s11, s5
	global_load_dword v105, v105, s[4:5]
	s_waitcnt vmcnt(0)
	v_cmp_ne_u32_e32 vcc_lo, 0, v105
	s_cbranch_vccz .LBB115_219
.LBB115_218:
	s_endpgm
.LBB115_219:
	v_lshl_add_u32 v105, v0, 3, 0x1a0
	s_mov_b32 s4, exec_lo
	v_cmpx_eq_u32_e32 51, v0
	s_cbranch_execz .LBB115_221
; %bb.220:
	s_clause 0x1
	buffer_load_dword v106, off, s[0:3], 0 offset:400
	buffer_load_dword v107, off, s[0:3], 0 offset:404
	v_mov_b32_e32 v108, 0
	buffer_store_dword v108, off, s[0:3], 0 offset:400
	buffer_store_dword v108, off, s[0:3], 0 offset:404
	s_waitcnt vmcnt(0)
	ds_write_b64 v105, v[106:107]
.LBB115_221:
	s_or_b32 exec_lo, exec_lo, s4
	s_waitcnt lgkmcnt(0)
	s_waitcnt_vscnt null, 0x0
	s_barrier
	buffer_gl0_inv
	s_clause 0x3
	buffer_load_dword v107, off, s[0:3], 0 offset:408
	buffer_load_dword v108, off, s[0:3], 0 offset:412
	;; [unrolled: 1-line block ×4, first 2 shown]
	v_mov_b32_e32 v106, 0
	s_mov_b32 s4, exec_lo
	ds_read_b64 v[111:112], v106 offset:824
	s_waitcnt vmcnt(2) lgkmcnt(0)
	v_fma_f64 v[107:108], v[107:108], v[111:112], 0
	s_waitcnt vmcnt(0)
	v_add_f64 v[107:108], v[109:110], -v[107:108]
	buffer_store_dword v107, off, s[0:3], 0 offset:400
	buffer_store_dword v108, off, s[0:3], 0 offset:404
	v_cmpx_lt_u32_e32 49, v0
	s_cbranch_execz .LBB115_223
; %bb.222:
	s_clause 0x1
	buffer_load_dword v107, off, s[0:3], 0 offset:392
	buffer_load_dword v108, off, s[0:3], 0 offset:396
	buffer_store_dword v106, off, s[0:3], 0 offset:392
	buffer_store_dword v106, off, s[0:3], 0 offset:396
	s_waitcnt vmcnt(0)
	ds_write_b64 v105, v[107:108]
.LBB115_223:
	s_or_b32 exec_lo, exec_lo, s4
	s_waitcnt lgkmcnt(0)
	s_waitcnt_vscnt null, 0x0
	s_barrier
	buffer_gl0_inv
	s_clause 0x5
	buffer_load_dword v110, off, s[0:3], 0 offset:400
	buffer_load_dword v111, off, s[0:3], 0 offset:404
	;; [unrolled: 1-line block ×6, first 2 shown]
	ds_read_b128 v[106:109], v106 offset:816
	s_mov_b32 s4, exec_lo
	s_waitcnt vmcnt(4) lgkmcnt(0)
	v_fma_f64 v[106:107], v[110:111], v[106:107], 0
	s_waitcnt vmcnt(2)
	v_fma_f64 v[106:107], v[112:113], v[108:109], v[106:107]
	s_waitcnt vmcnt(0)
	v_add_f64 v[106:107], v[114:115], -v[106:107]
	buffer_store_dword v106, off, s[0:3], 0 offset:392
	buffer_store_dword v107, off, s[0:3], 0 offset:396
	v_cmpx_lt_u32_e32 48, v0
	s_cbranch_execz .LBB115_225
; %bb.224:
	s_clause 0x1
	buffer_load_dword v106, off, s[0:3], 0 offset:384
	buffer_load_dword v107, off, s[0:3], 0 offset:388
	v_mov_b32_e32 v108, 0
	buffer_store_dword v108, off, s[0:3], 0 offset:384
	buffer_store_dword v108, off, s[0:3], 0 offset:388
	s_waitcnt vmcnt(0)
	ds_write_b64 v105, v[106:107]
.LBB115_225:
	s_or_b32 exec_lo, exec_lo, s4
	s_waitcnt lgkmcnt(0)
	s_waitcnt_vscnt null, 0x0
	s_barrier
	buffer_gl0_inv
	s_clause 0x7
	buffer_load_dword v111, off, s[0:3], 0 offset:392
	buffer_load_dword v112, off, s[0:3], 0 offset:396
	;; [unrolled: 1-line block ×8, first 2 shown]
	v_mov_b32_e32 v106, 0
	ds_read2_b64 v[107:110], v106 offset0:101 offset1:102
	ds_read_b64 v[119:120], v106 offset:824
	s_mov_b32 s4, exec_lo
	s_waitcnt vmcnt(6) lgkmcnt(1)
	v_fma_f64 v[107:108], v[111:112], v[107:108], 0
	s_waitcnt vmcnt(4)
	v_fma_f64 v[107:108], v[113:114], v[109:110], v[107:108]
	s_waitcnt vmcnt(2) lgkmcnt(0)
	v_fma_f64 v[107:108], v[115:116], v[119:120], v[107:108]
	s_waitcnt vmcnt(0)
	v_add_f64 v[107:108], v[117:118], -v[107:108]
	buffer_store_dword v107, off, s[0:3], 0 offset:384
	buffer_store_dword v108, off, s[0:3], 0 offset:388
	v_cmpx_lt_u32_e32 47, v0
	s_cbranch_execz .LBB115_227
; %bb.226:
	s_clause 0x1
	buffer_load_dword v107, off, s[0:3], 0 offset:376
	buffer_load_dword v108, off, s[0:3], 0 offset:380
	buffer_store_dword v106, off, s[0:3], 0 offset:376
	buffer_store_dword v106, off, s[0:3], 0 offset:380
	s_waitcnt vmcnt(0)
	ds_write_b64 v105, v[107:108]
.LBB115_227:
	s_or_b32 exec_lo, exec_lo, s4
	s_waitcnt lgkmcnt(0)
	s_waitcnt_vscnt null, 0x0
	s_barrier
	buffer_gl0_inv
	s_clause 0x9
	buffer_load_dword v115, off, s[0:3], 0 offset:384
	buffer_load_dword v116, off, s[0:3], 0 offset:388
	;; [unrolled: 1-line block ×10, first 2 shown]
	ds_read_b128 v[107:110], v106 offset:800
	ds_read_b128 v[111:114], v106 offset:816
	s_mov_b32 s4, exec_lo
	s_waitcnt vmcnt(8) lgkmcnt(1)
	v_fma_f64 v[106:107], v[115:116], v[107:108], 0
	s_waitcnt vmcnt(6)
	v_fma_f64 v[106:107], v[117:118], v[109:110], v[106:107]
	s_waitcnt vmcnt(4) lgkmcnt(0)
	v_fma_f64 v[106:107], v[119:120], v[111:112], v[106:107]
	s_waitcnt vmcnt(2)
	v_fma_f64 v[106:107], v[121:122], v[113:114], v[106:107]
	s_waitcnt vmcnt(0)
	v_add_f64 v[106:107], v[123:124], -v[106:107]
	buffer_store_dword v106, off, s[0:3], 0 offset:376
	buffer_store_dword v107, off, s[0:3], 0 offset:380
	v_cmpx_lt_u32_e32 46, v0
	s_cbranch_execz .LBB115_229
; %bb.228:
	s_clause 0x1
	buffer_load_dword v106, off, s[0:3], 0 offset:368
	buffer_load_dword v107, off, s[0:3], 0 offset:372
	v_mov_b32_e32 v108, 0
	buffer_store_dword v108, off, s[0:3], 0 offset:368
	buffer_store_dword v108, off, s[0:3], 0 offset:372
	s_waitcnt vmcnt(0)
	ds_write_b64 v105, v[106:107]
.LBB115_229:
	s_or_b32 exec_lo, exec_lo, s4
	s_waitcnt lgkmcnt(0)
	s_waitcnt_vscnt null, 0x0
	s_barrier
	buffer_gl0_inv
	s_clause 0xb
	buffer_load_dword v115, off, s[0:3], 0 offset:376
	buffer_load_dword v116, off, s[0:3], 0 offset:380
	;; [unrolled: 1-line block ×12, first 2 shown]
	v_mov_b32_e32 v106, 0
	ds_read2_b64 v[107:110], v106 offset0:99 offset1:100
	ds_read2_b64 v[111:114], v106 offset0:101 offset1:102
	s_mov_b32 s4, exec_lo
	s_waitcnt vmcnt(10) lgkmcnt(1)
	v_fma_f64 v[107:108], v[115:116], v[107:108], 0
	s_waitcnt vmcnt(8)
	v_fma_f64 v[107:108], v[117:118], v[109:110], v[107:108]
	ds_read_b64 v[109:110], v106 offset:824
	s_waitcnt vmcnt(6) lgkmcnt(1)
	v_fma_f64 v[107:108], v[119:120], v[111:112], v[107:108]
	s_waitcnt vmcnt(4)
	v_fma_f64 v[107:108], v[121:122], v[113:114], v[107:108]
	s_waitcnt vmcnt(2) lgkmcnt(0)
	v_fma_f64 v[107:108], v[123:124], v[109:110], v[107:108]
	s_waitcnt vmcnt(0)
	v_add_f64 v[107:108], v[125:126], -v[107:108]
	buffer_store_dword v107, off, s[0:3], 0 offset:368
	buffer_store_dword v108, off, s[0:3], 0 offset:372
	v_cmpx_lt_u32_e32 45, v0
	s_cbranch_execz .LBB115_231
; %bb.230:
	s_clause 0x1
	buffer_load_dword v107, off, s[0:3], 0 offset:360
	buffer_load_dword v108, off, s[0:3], 0 offset:364
	buffer_store_dword v106, off, s[0:3], 0 offset:360
	buffer_store_dword v106, off, s[0:3], 0 offset:364
	s_waitcnt vmcnt(0)
	ds_write_b64 v105, v[107:108]
.LBB115_231:
	s_or_b32 exec_lo, exec_lo, s4
	s_waitcnt lgkmcnt(0)
	s_waitcnt_vscnt null, 0x0
	s_barrier
	buffer_gl0_inv
	s_clause 0xd
	buffer_load_dword v115, off, s[0:3], 0 offset:368
	buffer_load_dword v116, off, s[0:3], 0 offset:372
	;; [unrolled: 1-line block ×14, first 2 shown]
	ds_read_b128 v[107:110], v106 offset:784
	ds_read_b128 v[111:114], v106 offset:800
	s_mov_b32 s4, exec_lo
	s_waitcnt vmcnt(12) lgkmcnt(1)
	v_fma_f64 v[107:108], v[115:116], v[107:108], 0
	s_waitcnt vmcnt(10)
	v_fma_f64 v[107:108], v[117:118], v[109:110], v[107:108]
	s_waitcnt vmcnt(8) lgkmcnt(0)
	v_fma_f64 v[107:108], v[119:120], v[111:112], v[107:108]
	s_waitcnt vmcnt(6)
	v_fma_f64 v[110:111], v[121:122], v[113:114], v[107:108]
	ds_read_b128 v[106:109], v106 offset:816
	s_waitcnt vmcnt(4) lgkmcnt(0)
	v_fma_f64 v[106:107], v[123:124], v[106:107], v[110:111]
	s_waitcnt vmcnt(2)
	v_fma_f64 v[106:107], v[125:126], v[108:109], v[106:107]
	s_waitcnt vmcnt(0)
	v_add_f64 v[106:107], v[127:128], -v[106:107]
	buffer_store_dword v106, off, s[0:3], 0 offset:360
	buffer_store_dword v107, off, s[0:3], 0 offset:364
	v_cmpx_lt_u32_e32 44, v0
	s_cbranch_execz .LBB115_233
; %bb.232:
	s_clause 0x1
	buffer_load_dword v106, off, s[0:3], 0 offset:352
	buffer_load_dword v107, off, s[0:3], 0 offset:356
	v_mov_b32_e32 v108, 0
	buffer_store_dword v108, off, s[0:3], 0 offset:352
	buffer_store_dword v108, off, s[0:3], 0 offset:356
	s_waitcnt vmcnt(0)
	ds_write_b64 v105, v[106:107]
.LBB115_233:
	s_or_b32 exec_lo, exec_lo, s4
	s_waitcnt lgkmcnt(0)
	s_waitcnt_vscnt null, 0x0
	s_barrier
	buffer_gl0_inv
	s_clause 0xf
	buffer_load_dword v115, off, s[0:3], 0 offset:360
	buffer_load_dword v116, off, s[0:3], 0 offset:364
	;; [unrolled: 1-line block ×16, first 2 shown]
	v_mov_b32_e32 v106, 0
	ds_read2_b64 v[107:110], v106 offset0:97 offset1:98
	ds_read2_b64 v[111:114], v106 offset0:99 offset1:100
	s_mov_b32 s4, exec_lo
	s_waitcnt vmcnt(14) lgkmcnt(1)
	v_fma_f64 v[107:108], v[115:116], v[107:108], 0
	s_waitcnt vmcnt(12)
	v_fma_f64 v[107:108], v[117:118], v[109:110], v[107:108]
	s_waitcnt vmcnt(10) lgkmcnt(0)
	v_fma_f64 v[107:108], v[119:120], v[111:112], v[107:108]
	s_waitcnt vmcnt(8)
	v_fma_f64 v[111:112], v[121:122], v[113:114], v[107:108]
	ds_read2_b64 v[107:110], v106 offset0:101 offset1:102
	ds_read_b64 v[113:114], v106 offset:824
	s_waitcnt vmcnt(6) lgkmcnt(1)
	v_fma_f64 v[107:108], v[123:124], v[107:108], v[111:112]
	s_waitcnt vmcnt(4)
	v_fma_f64 v[107:108], v[125:126], v[109:110], v[107:108]
	s_waitcnt vmcnt(2) lgkmcnt(0)
	v_fma_f64 v[107:108], v[127:128], v[113:114], v[107:108]
	s_waitcnt vmcnt(0)
	v_add_f64 v[107:108], v[129:130], -v[107:108]
	buffer_store_dword v107, off, s[0:3], 0 offset:352
	buffer_store_dword v108, off, s[0:3], 0 offset:356
	v_cmpx_lt_u32_e32 43, v0
	s_cbranch_execz .LBB115_235
; %bb.234:
	s_clause 0x1
	buffer_load_dword v107, off, s[0:3], 0 offset:344
	buffer_load_dword v108, off, s[0:3], 0 offset:348
	buffer_store_dword v106, off, s[0:3], 0 offset:344
	buffer_store_dword v106, off, s[0:3], 0 offset:348
	s_waitcnt vmcnt(0)
	ds_write_b64 v105, v[107:108]
.LBB115_235:
	s_or_b32 exec_lo, exec_lo, s4
	s_waitcnt lgkmcnt(0)
	s_waitcnt_vscnt null, 0x0
	s_barrier
	buffer_gl0_inv
	s_clause 0x11
	buffer_load_dword v115, off, s[0:3], 0 offset:352
	buffer_load_dword v116, off, s[0:3], 0 offset:356
	;; [unrolled: 1-line block ×18, first 2 shown]
	ds_read_b128 v[107:110], v106 offset:768
	ds_read_b128 v[111:114], v106 offset:784
	s_mov_b32 s4, exec_lo
	s_waitcnt vmcnt(16) lgkmcnt(1)
	v_fma_f64 v[107:108], v[115:116], v[107:108], 0
	s_waitcnt vmcnt(14)
	v_fma_f64 v[107:108], v[117:118], v[109:110], v[107:108]
	s_waitcnt vmcnt(12) lgkmcnt(0)
	v_fma_f64 v[107:108], v[119:120], v[111:112], v[107:108]
	s_waitcnt vmcnt(10)
	v_fma_f64 v[115:116], v[121:122], v[113:114], v[107:108]
	ds_read_b128 v[107:110], v106 offset:800
	ds_read_b128 v[111:114], v106 offset:816
	s_waitcnt vmcnt(8) lgkmcnt(1)
	v_fma_f64 v[106:107], v[123:124], v[107:108], v[115:116]
	s_waitcnt vmcnt(6)
	v_fma_f64 v[106:107], v[125:126], v[109:110], v[106:107]
	s_waitcnt vmcnt(4) lgkmcnt(0)
	v_fma_f64 v[106:107], v[127:128], v[111:112], v[106:107]
	s_waitcnt vmcnt(2)
	v_fma_f64 v[106:107], v[129:130], v[113:114], v[106:107]
	s_waitcnt vmcnt(0)
	v_add_f64 v[106:107], v[131:132], -v[106:107]
	buffer_store_dword v106, off, s[0:3], 0 offset:344
	buffer_store_dword v107, off, s[0:3], 0 offset:348
	v_cmpx_lt_u32_e32 42, v0
	s_cbranch_execz .LBB115_237
; %bb.236:
	s_clause 0x1
	buffer_load_dword v106, off, s[0:3], 0 offset:336
	buffer_load_dword v107, off, s[0:3], 0 offset:340
	v_mov_b32_e32 v108, 0
	buffer_store_dword v108, off, s[0:3], 0 offset:336
	buffer_store_dword v108, off, s[0:3], 0 offset:340
	s_waitcnt vmcnt(0)
	ds_write_b64 v105, v[106:107]
.LBB115_237:
	s_or_b32 exec_lo, exec_lo, s4
	s_waitcnt lgkmcnt(0)
	s_waitcnt_vscnt null, 0x0
	s_barrier
	buffer_gl0_inv
	s_clause 0x13
	buffer_load_dword v115, off, s[0:3], 0 offset:344
	buffer_load_dword v116, off, s[0:3], 0 offset:348
	;; [unrolled: 1-line block ×20, first 2 shown]
	v_mov_b32_e32 v106, 0
	ds_read2_b64 v[107:110], v106 offset0:95 offset1:96
	ds_read2_b64 v[111:114], v106 offset0:97 offset1:98
	s_mov_b32 s4, exec_lo
	s_waitcnt vmcnt(18) lgkmcnt(1)
	v_fma_f64 v[107:108], v[115:116], v[107:108], 0
	s_waitcnt vmcnt(16)
	v_fma_f64 v[107:108], v[117:118], v[109:110], v[107:108]
	s_waitcnt vmcnt(14) lgkmcnt(0)
	v_fma_f64 v[107:108], v[119:120], v[111:112], v[107:108]
	s_waitcnt vmcnt(12)
	v_fma_f64 v[115:116], v[121:122], v[113:114], v[107:108]
	ds_read2_b64 v[107:110], v106 offset0:99 offset1:100
	ds_read2_b64 v[111:114], v106 offset0:101 offset1:102
	s_waitcnt vmcnt(10) lgkmcnt(1)
	v_fma_f64 v[107:108], v[123:124], v[107:108], v[115:116]
	s_waitcnt vmcnt(8)
	v_fma_f64 v[107:108], v[125:126], v[109:110], v[107:108]
	ds_read_b64 v[109:110], v106 offset:824
	s_waitcnt vmcnt(6) lgkmcnt(1)
	v_fma_f64 v[107:108], v[127:128], v[111:112], v[107:108]
	s_waitcnt vmcnt(3)
	v_fma_f64 v[107:108], v[129:130], v[113:114], v[107:108]
	s_waitcnt vmcnt(2) lgkmcnt(0)
	v_fma_f64 v[107:108], v[131:132], v[109:110], v[107:108]
	s_waitcnt vmcnt(0)
	v_add_f64 v[107:108], v[133:134], -v[107:108]
	buffer_store_dword v107, off, s[0:3], 0 offset:336
	buffer_store_dword v108, off, s[0:3], 0 offset:340
	v_cmpx_lt_u32_e32 41, v0
	s_cbranch_execz .LBB115_239
; %bb.238:
	s_clause 0x1
	buffer_load_dword v107, off, s[0:3], 0 offset:328
	buffer_load_dword v108, off, s[0:3], 0 offset:332
	buffer_store_dword v106, off, s[0:3], 0 offset:328
	buffer_store_dword v106, off, s[0:3], 0 offset:332
	s_waitcnt vmcnt(0)
	ds_write_b64 v105, v[107:108]
.LBB115_239:
	s_or_b32 exec_lo, exec_lo, s4
	s_waitcnt lgkmcnt(0)
	s_waitcnt_vscnt null, 0x0
	s_barrier
	buffer_gl0_inv
	s_clause 0x15
	buffer_load_dword v115, off, s[0:3], 0 offset:336
	buffer_load_dword v116, off, s[0:3], 0 offset:340
	;; [unrolled: 1-line block ×22, first 2 shown]
	ds_read_b128 v[107:110], v106 offset:752
	ds_read_b128 v[111:114], v106 offset:768
	s_mov_b32 s4, exec_lo
	s_waitcnt vmcnt(20) lgkmcnt(1)
	v_fma_f64 v[107:108], v[115:116], v[107:108], 0
	s_waitcnt vmcnt(18)
	v_fma_f64 v[107:108], v[117:118], v[109:110], v[107:108]
	s_waitcnt vmcnt(16) lgkmcnt(0)
	v_fma_f64 v[107:108], v[119:120], v[111:112], v[107:108]
	s_waitcnt vmcnt(14)
	v_fma_f64 v[115:116], v[121:122], v[113:114], v[107:108]
	ds_read_b128 v[107:110], v106 offset:784
	ds_read_b128 v[111:114], v106 offset:800
	s_waitcnt vmcnt(12) lgkmcnt(1)
	v_fma_f64 v[107:108], v[123:124], v[107:108], v[115:116]
	s_waitcnt vmcnt(10)
	v_fma_f64 v[107:108], v[125:126], v[109:110], v[107:108]
	s_waitcnt vmcnt(8) lgkmcnt(0)
	v_fma_f64 v[107:108], v[127:128], v[111:112], v[107:108]
	s_waitcnt vmcnt(4)
	v_fma_f64 v[110:111], v[129:130], v[113:114], v[107:108]
	ds_read_b128 v[106:109], v106 offset:816
	s_waitcnt vmcnt(3) lgkmcnt(0)
	v_fma_f64 v[106:107], v[133:134], v[106:107], v[110:111]
	s_waitcnt vmcnt(2)
	v_fma_f64 v[106:107], v[131:132], v[108:109], v[106:107]
	s_waitcnt vmcnt(0)
	v_add_f64 v[106:107], v[135:136], -v[106:107]
	buffer_store_dword v106, off, s[0:3], 0 offset:328
	buffer_store_dword v107, off, s[0:3], 0 offset:332
	v_cmpx_lt_u32_e32 40, v0
	s_cbranch_execz .LBB115_241
; %bb.240:
	s_clause 0x1
	buffer_load_dword v106, off, s[0:3], 0 offset:320
	buffer_load_dword v107, off, s[0:3], 0 offset:324
	v_mov_b32_e32 v108, 0
	buffer_store_dword v108, off, s[0:3], 0 offset:320
	buffer_store_dword v108, off, s[0:3], 0 offset:324
	s_waitcnt vmcnt(0)
	ds_write_b64 v105, v[106:107]
.LBB115_241:
	s_or_b32 exec_lo, exec_lo, s4
	s_waitcnt lgkmcnt(0)
	s_waitcnt_vscnt null, 0x0
	s_barrier
	buffer_gl0_inv
	s_clause 0x17
	buffer_load_dword v115, off, s[0:3], 0 offset:328
	buffer_load_dword v116, off, s[0:3], 0 offset:332
	;; [unrolled: 1-line block ×24, first 2 shown]
	v_mov_b32_e32 v106, 0
	ds_read2_b64 v[107:110], v106 offset0:93 offset1:94
	ds_read2_b64 v[111:114], v106 offset0:95 offset1:96
	s_mov_b32 s4, exec_lo
	s_waitcnt vmcnt(22) lgkmcnt(1)
	v_fma_f64 v[107:108], v[115:116], v[107:108], 0
	s_waitcnt vmcnt(20)
	v_fma_f64 v[107:108], v[117:118], v[109:110], v[107:108]
	s_waitcnt vmcnt(18) lgkmcnt(0)
	v_fma_f64 v[107:108], v[119:120], v[111:112], v[107:108]
	s_waitcnt vmcnt(16)
	v_fma_f64 v[115:116], v[121:122], v[113:114], v[107:108]
	ds_read2_b64 v[107:110], v106 offset0:97 offset1:98
	ds_read2_b64 v[111:114], v106 offset0:99 offset1:100
	s_waitcnt vmcnt(14) lgkmcnt(1)
	v_fma_f64 v[107:108], v[123:124], v[107:108], v[115:116]
	s_waitcnt vmcnt(12)
	v_fma_f64 v[107:108], v[125:126], v[109:110], v[107:108]
	s_waitcnt vmcnt(10) lgkmcnt(0)
	v_fma_f64 v[107:108], v[127:128], v[111:112], v[107:108]
	s_waitcnt vmcnt(5)
	v_fma_f64 v[111:112], v[129:130], v[113:114], v[107:108]
	ds_read2_b64 v[107:110], v106 offset0:101 offset1:102
	ds_read_b64 v[113:114], v106 offset:824
	s_waitcnt vmcnt(4) lgkmcnt(1)
	v_fma_f64 v[107:108], v[135:136], v[107:108], v[111:112]
	s_waitcnt vmcnt(3)
	v_fma_f64 v[107:108], v[133:134], v[109:110], v[107:108]
	s_waitcnt vmcnt(2) lgkmcnt(0)
	v_fma_f64 v[107:108], v[131:132], v[113:114], v[107:108]
	s_waitcnt vmcnt(0)
	v_add_f64 v[107:108], v[137:138], -v[107:108]
	buffer_store_dword v108, off, s[0:3], 0 offset:324
	buffer_store_dword v107, off, s[0:3], 0 offset:320
	v_cmpx_lt_u32_e32 39, v0
	s_cbranch_execz .LBB115_243
; %bb.242:
	s_clause 0x1
	buffer_load_dword v107, off, s[0:3], 0 offset:312
	buffer_load_dword v108, off, s[0:3], 0 offset:316
	buffer_store_dword v106, off, s[0:3], 0 offset:312
	buffer_store_dword v106, off, s[0:3], 0 offset:316
	s_waitcnt vmcnt(0)
	ds_write_b64 v105, v[107:108]
.LBB115_243:
	s_or_b32 exec_lo, exec_lo, s4
	s_waitcnt lgkmcnt(0)
	s_waitcnt_vscnt null, 0x0
	s_barrier
	buffer_gl0_inv
	s_clause 0x19
	buffer_load_dword v115, off, s[0:3], 0 offset:320
	buffer_load_dword v116, off, s[0:3], 0 offset:324
	;; [unrolled: 1-line block ×26, first 2 shown]
	ds_read_b128 v[107:110], v106 offset:736
	ds_read_b128 v[111:114], v106 offset:752
	s_mov_b32 s4, exec_lo
	s_waitcnt vmcnt(24) lgkmcnt(1)
	v_fma_f64 v[107:108], v[115:116], v[107:108], 0
	s_waitcnt vmcnt(22)
	v_fma_f64 v[107:108], v[117:118], v[109:110], v[107:108]
	s_waitcnt vmcnt(20) lgkmcnt(0)
	v_fma_f64 v[107:108], v[119:120], v[111:112], v[107:108]
	s_waitcnt vmcnt(18)
	v_fma_f64 v[115:116], v[121:122], v[113:114], v[107:108]
	ds_read_b128 v[107:110], v106 offset:768
	ds_read_b128 v[111:114], v106 offset:784
	s_waitcnt vmcnt(16) lgkmcnt(1)
	v_fma_f64 v[107:108], v[123:124], v[107:108], v[115:116]
	s_waitcnt vmcnt(14)
	v_fma_f64 v[107:108], v[125:126], v[109:110], v[107:108]
	s_waitcnt vmcnt(12) lgkmcnt(0)
	v_fma_f64 v[107:108], v[127:128], v[111:112], v[107:108]
	s_waitcnt vmcnt(7)
	v_fma_f64 v[115:116], v[129:130], v[113:114], v[107:108]
	ds_read_b128 v[107:110], v106 offset:800
	ds_read_b128 v[111:114], v106 offset:816
	s_waitcnt vmcnt(6) lgkmcnt(1)
	v_fma_f64 v[106:107], v[135:136], v[107:108], v[115:116]
	s_waitcnt vmcnt(5)
	v_fma_f64 v[106:107], v[133:134], v[109:110], v[106:107]
	s_waitcnt vmcnt(4) lgkmcnt(0)
	v_fma_f64 v[106:107], v[131:132], v[111:112], v[106:107]
	s_waitcnt vmcnt(2)
	v_fma_f64 v[106:107], v[137:138], v[113:114], v[106:107]
	s_waitcnt vmcnt(0)
	v_add_f64 v[106:107], v[139:140], -v[106:107]
	buffer_store_dword v107, off, s[0:3], 0 offset:316
	buffer_store_dword v106, off, s[0:3], 0 offset:312
	v_cmpx_lt_u32_e32 38, v0
	s_cbranch_execz .LBB115_245
; %bb.244:
	s_clause 0x1
	buffer_load_dword v106, off, s[0:3], 0 offset:304
	buffer_load_dword v107, off, s[0:3], 0 offset:308
	v_mov_b32_e32 v108, 0
	buffer_store_dword v108, off, s[0:3], 0 offset:304
	buffer_store_dword v108, off, s[0:3], 0 offset:308
	s_waitcnt vmcnt(0)
	ds_write_b64 v105, v[106:107]
.LBB115_245:
	s_or_b32 exec_lo, exec_lo, s4
	s_waitcnt lgkmcnt(0)
	s_waitcnt_vscnt null, 0x0
	s_barrier
	buffer_gl0_inv
	s_clause 0x1b
	buffer_load_dword v111, off, s[0:3], 0 offset:312
	buffer_load_dword v112, off, s[0:3], 0 offset:316
	;; [unrolled: 1-line block ×28, first 2 shown]
	v_mov_b32_e32 v106, 0
	s_mov_b32 s4, exec_lo
	ds_read2_b64 v[107:110], v106 offset0:91 offset1:92
	s_waitcnt vmcnt(26) lgkmcnt(0)
	v_fma_f64 v[107:108], v[111:112], v[107:108], 0
	s_waitcnt vmcnt(24)
	v_fma_f64 v[111:112], v[113:114], v[109:110], v[107:108]
	ds_read2_b64 v[107:110], v106 offset0:93 offset1:94
	s_waitcnt vmcnt(22) lgkmcnt(0)
	v_fma_f64 v[107:108], v[115:116], v[107:108], v[111:112]
	s_waitcnt vmcnt(20)
	v_fma_f64 v[111:112], v[117:118], v[109:110], v[107:108]
	;; [unrolled: 5-line block ×6, first 2 shown]
	ds_read_b64 v[109:110], v106 offset:824
	s_waitcnt vmcnt(2) lgkmcnt(0)
	v_fma_f64 v[107:108], v[135:136], v[109:110], v[107:108]
	s_waitcnt vmcnt(0)
	v_add_f64 v[107:108], v[137:138], -v[107:108]
	buffer_store_dword v108, off, s[0:3], 0 offset:308
	buffer_store_dword v107, off, s[0:3], 0 offset:304
	v_cmpx_lt_u32_e32 37, v0
	s_cbranch_execz .LBB115_247
; %bb.246:
	s_clause 0x1
	buffer_load_dword v107, off, s[0:3], 0 offset:296
	buffer_load_dword v108, off, s[0:3], 0 offset:300
	buffer_store_dword v106, off, s[0:3], 0 offset:296
	buffer_store_dword v106, off, s[0:3], 0 offset:300
	s_waitcnt vmcnt(0)
	ds_write_b64 v105, v[107:108]
.LBB115_247:
	s_or_b32 exec_lo, exec_lo, s4
	s_waitcnt lgkmcnt(0)
	s_waitcnt_vscnt null, 0x0
	s_barrier
	buffer_gl0_inv
	s_clause 0x1b
	buffer_load_dword v111, off, s[0:3], 0 offset:304
	buffer_load_dword v112, off, s[0:3], 0 offset:308
	;; [unrolled: 1-line block ×28, first 2 shown]
	ds_read_b128 v[107:110], v106 offset:720
	s_clause 0x1
	buffer_load_dword v139, off, s[0:3], 0 offset:296
	buffer_load_dword v140, off, s[0:3], 0 offset:300
	s_mov_b32 s4, exec_lo
	s_waitcnt vmcnt(28) lgkmcnt(0)
	v_fma_f64 v[107:108], v[111:112], v[107:108], 0
	s_waitcnt vmcnt(26)
	v_fma_f64 v[111:112], v[113:114], v[109:110], v[107:108]
	ds_read_b128 v[107:110], v106 offset:736
	s_waitcnt vmcnt(24) lgkmcnt(0)
	v_fma_f64 v[107:108], v[115:116], v[107:108], v[111:112]
	s_waitcnt vmcnt(22)
	v_fma_f64 v[111:112], v[117:118], v[109:110], v[107:108]
	ds_read_b128 v[107:110], v106 offset:752
	;; [unrolled: 5-line block ×6, first 2 shown]
	s_waitcnt vmcnt(4) lgkmcnt(0)
	v_fma_f64 v[106:107], v[135:136], v[106:107], v[110:111]
	s_waitcnt vmcnt(2)
	v_fma_f64 v[106:107], v[137:138], v[108:109], v[106:107]
	s_waitcnt vmcnt(0)
	v_add_f64 v[106:107], v[139:140], -v[106:107]
	buffer_store_dword v107, off, s[0:3], 0 offset:300
	buffer_store_dword v106, off, s[0:3], 0 offset:296
	v_cmpx_lt_u32_e32 36, v0
	s_cbranch_execz .LBB115_249
; %bb.248:
	s_clause 0x1
	buffer_load_dword v106, off, s[0:3], 0 offset:288
	buffer_load_dword v107, off, s[0:3], 0 offset:292
	v_mov_b32_e32 v108, 0
	buffer_store_dword v108, off, s[0:3], 0 offset:288
	buffer_store_dword v108, off, s[0:3], 0 offset:292
	s_waitcnt vmcnt(0)
	ds_write_b64 v105, v[106:107]
.LBB115_249:
	s_or_b32 exec_lo, exec_lo, s4
	s_waitcnt lgkmcnt(0)
	s_waitcnt_vscnt null, 0x0
	s_barrier
	buffer_gl0_inv
	s_clause 0x1b
	buffer_load_dword v111, off, s[0:3], 0 offset:296
	buffer_load_dword v112, off, s[0:3], 0 offset:300
	;; [unrolled: 1-line block ×28, first 2 shown]
	v_mov_b32_e32 v106, 0
	s_mov_b32 s4, exec_lo
	ds_read2_b64 v[107:110], v106 offset0:89 offset1:90
	s_clause 0x1
	buffer_load_dword v139, off, s[0:3], 0 offset:408
	buffer_load_dword v140, off, s[0:3], 0 offset:412
	s_waitcnt vmcnt(28) lgkmcnt(0)
	v_fma_f64 v[107:108], v[111:112], v[107:108], 0
	s_clause 0x1
	buffer_load_dword v111, off, s[0:3], 0 offset:288
	buffer_load_dword v112, off, s[0:3], 0 offset:292
	s_waitcnt vmcnt(28)
	v_fma_f64 v[113:114], v[113:114], v[109:110], v[107:108]
	ds_read2_b64 v[107:110], v106 offset0:91 offset1:92
	s_waitcnt vmcnt(26) lgkmcnt(0)
	v_fma_f64 v[107:108], v[115:116], v[107:108], v[113:114]
	s_waitcnt vmcnt(24)
	v_fma_f64 v[113:114], v[117:118], v[109:110], v[107:108]
	ds_read2_b64 v[107:110], v106 offset0:93 offset1:94
	s_waitcnt vmcnt(22) lgkmcnt(0)
	v_fma_f64 v[107:108], v[119:120], v[107:108], v[113:114]
	;; [unrolled: 5-line block ×6, first 2 shown]
	s_waitcnt vmcnt(4)
	v_fma_f64 v[107:108], v[137:138], v[109:110], v[107:108]
	ds_read_b64 v[109:110], v106 offset:824
	s_waitcnt vmcnt(2) lgkmcnt(0)
	v_fma_f64 v[107:108], v[139:140], v[109:110], v[107:108]
	s_waitcnt vmcnt(0)
	v_add_f64 v[107:108], v[111:112], -v[107:108]
	buffer_store_dword v108, off, s[0:3], 0 offset:292
	buffer_store_dword v107, off, s[0:3], 0 offset:288
	v_cmpx_lt_u32_e32 35, v0
	s_cbranch_execz .LBB115_251
; %bb.250:
	s_clause 0x1
	buffer_load_dword v107, off, s[0:3], 0 offset:280
	buffer_load_dword v108, off, s[0:3], 0 offset:284
	buffer_store_dword v106, off, s[0:3], 0 offset:280
	buffer_store_dword v106, off, s[0:3], 0 offset:284
	s_waitcnt vmcnt(0)
	ds_write_b64 v105, v[107:108]
.LBB115_251:
	s_or_b32 exec_lo, exec_lo, s4
	s_waitcnt lgkmcnt(0)
	s_waitcnt_vscnt null, 0x0
	s_barrier
	buffer_gl0_inv
	s_clause 0x1b
	buffer_load_dword v111, off, s[0:3], 0 offset:288
	buffer_load_dword v112, off, s[0:3], 0 offset:292
	buffer_load_dword v113, off, s[0:3], 0 offset:296
	buffer_load_dword v114, off, s[0:3], 0 offset:300
	buffer_load_dword v115, off, s[0:3], 0 offset:304
	buffer_load_dword v116, off, s[0:3], 0 offset:308
	buffer_load_dword v117, off, s[0:3], 0 offset:312
	buffer_load_dword v118, off, s[0:3], 0 offset:316
	buffer_load_dword v119, off, s[0:3], 0 offset:320
	buffer_load_dword v120, off, s[0:3], 0 offset:324
	buffer_load_dword v121, off, s[0:3], 0 offset:328
	buffer_load_dword v122, off, s[0:3], 0 offset:332
	buffer_load_dword v123, off, s[0:3], 0 offset:336
	buffer_load_dword v124, off, s[0:3], 0 offset:340
	buffer_load_dword v126, off, s[0:3], 0 offset:348
	buffer_load_dword v125, off, s[0:3], 0 offset:344
	buffer_load_dword v127, off, s[0:3], 0 offset:352
	buffer_load_dword v128, off, s[0:3], 0 offset:356
	buffer_load_dword v129, off, s[0:3], 0 offset:360
	buffer_load_dword v130, off, s[0:3], 0 offset:364
	buffer_load_dword v131, off, s[0:3], 0 offset:368
	buffer_load_dword v132, off, s[0:3], 0 offset:372
	buffer_load_dword v134, off, s[0:3], 0 offset:380
	buffer_load_dword v133, off, s[0:3], 0 offset:376
	buffer_load_dword v135, off, s[0:3], 0 offset:384
	buffer_load_dword v136, off, s[0:3], 0 offset:388
	buffer_load_dword v137, off, s[0:3], 0 offset:392
	buffer_load_dword v138, off, s[0:3], 0 offset:396
	ds_read_b128 v[107:110], v106 offset:704
	s_clause 0x1
	buffer_load_dword v139, off, s[0:3], 0 offset:400
	buffer_load_dword v140, off, s[0:3], 0 offset:404
	s_mov_b32 s4, exec_lo
	s_waitcnt vmcnt(28) lgkmcnt(0)
	v_fma_f64 v[107:108], v[111:112], v[107:108], 0
	s_clause 0x1
	buffer_load_dword v112, off, s[0:3], 0 offset:412
	buffer_load_dword v111, off, s[0:3], 0 offset:408
	s_waitcnt vmcnt(28)
	v_fma_f64 v[113:114], v[113:114], v[109:110], v[107:108]
	ds_read_b128 v[107:110], v106 offset:720
	s_clause 0x1
	buffer_load_dword v141, off, s[0:3], 0 offset:280
	buffer_load_dword v142, off, s[0:3], 0 offset:284
	s_waitcnt vmcnt(28) lgkmcnt(0)
	v_fma_f64 v[107:108], v[115:116], v[107:108], v[113:114]
	s_waitcnt vmcnt(26)
	v_fma_f64 v[113:114], v[117:118], v[109:110], v[107:108]
	ds_read_b128 v[107:110], v106 offset:736
	s_waitcnt vmcnt(24) lgkmcnt(0)
	v_fma_f64 v[107:108], v[119:120], v[107:108], v[113:114]
	s_waitcnt vmcnt(22)
	v_fma_f64 v[113:114], v[121:122], v[109:110], v[107:108]
	ds_read_b128 v[107:110], v106 offset:752
	;; [unrolled: 5-line block ×6, first 2 shown]
	s_waitcnt vmcnt(4) lgkmcnt(0)
	v_fma_f64 v[106:107], v[139:140], v[106:107], v[113:114]
	s_waitcnt vmcnt(2)
	v_fma_f64 v[106:107], v[111:112], v[108:109], v[106:107]
	s_waitcnt vmcnt(0)
	v_add_f64 v[106:107], v[141:142], -v[106:107]
	buffer_store_dword v107, off, s[0:3], 0 offset:284
	buffer_store_dword v106, off, s[0:3], 0 offset:280
	v_cmpx_lt_u32_e32 34, v0
	s_cbranch_execz .LBB115_253
; %bb.252:
	s_clause 0x1
	buffer_load_dword v106, off, s[0:3], 0 offset:272
	buffer_load_dword v107, off, s[0:3], 0 offset:276
	v_mov_b32_e32 v108, 0
	buffer_store_dword v108, off, s[0:3], 0 offset:272
	buffer_store_dword v108, off, s[0:3], 0 offset:276
	s_waitcnt vmcnt(0)
	ds_write_b64 v105, v[106:107]
.LBB115_253:
	s_or_b32 exec_lo, exec_lo, s4
	s_waitcnt lgkmcnt(0)
	s_waitcnt_vscnt null, 0x0
	s_barrier
	buffer_gl0_inv
	s_clause 0x1c
	buffer_load_dword v115, off, s[0:3], 0 offset:280
	buffer_load_dword v116, off, s[0:3], 0 offset:284
	;; [unrolled: 1-line block ×29, first 2 shown]
	v_mov_b32_e32 v106, 0
	buffer_load_dword v140, off, s[0:3], 0 offset:396
	s_mov_b32 s4, exec_lo
	ds_read2_b64 v[107:110], v106 offset0:87 offset1:88
	ds_read2_b64 v[111:114], v106 offset0:89 offset1:90
	s_waitcnt vmcnt(28) lgkmcnt(1)
	v_fma_f64 v[107:108], v[115:116], v[107:108], 0
	s_clause 0x3
	buffer_load_dword v116, off, s[0:3], 0 offset:404
	buffer_load_dword v145, off, s[0:3], 0 offset:408
	;; [unrolled: 1-line block ×4, first 2 shown]
	s_waitcnt vmcnt(30)
	v_fma_f64 v[107:108], v[117:118], v[109:110], v[107:108]
	s_clause 0x1
	buffer_load_dword v117, off, s[0:3], 0 offset:272
	buffer_load_dword v118, off, s[0:3], 0 offset:276
	s_waitcnt vmcnt(30) lgkmcnt(0)
	v_fma_f64 v[107:108], v[119:120], v[111:112], v[107:108]
	s_waitcnt vmcnt(28)
	v_fma_f64 v[119:120], v[121:122], v[113:114], v[107:108]
	ds_read2_b64 v[107:110], v106 offset0:91 offset1:92
	ds_read2_b64 v[111:114], v106 offset0:93 offset1:94
	s_waitcnt vmcnt(26) lgkmcnt(1)
	v_fma_f64 v[107:108], v[123:124], v[107:108], v[119:120]
	s_waitcnt vmcnt(24)
	v_fma_f64 v[107:108], v[125:126], v[109:110], v[107:108]
	s_waitcnt vmcnt(22) lgkmcnt(0)
	v_fma_f64 v[107:108], v[127:128], v[111:112], v[107:108]
	s_waitcnt vmcnt(17)
	v_fma_f64 v[119:120], v[129:130], v[113:114], v[107:108]
	ds_read2_b64 v[107:110], v106 offset0:95 offset1:96
	ds_read2_b64 v[111:114], v106 offset0:97 offset1:98
	s_waitcnt vmcnt(16) lgkmcnt(1)
	v_fma_f64 v[107:108], v[135:136], v[107:108], v[119:120]
	s_waitcnt vmcnt(15)
	v_fma_f64 v[107:108], v[133:134], v[109:110], v[107:108]
	;; [unrolled: 10-line block ×3, first 2 shown]
	ds_read_b64 v[109:110], v106 offset:824
	s_waitcnt vmcnt(6) lgkmcnt(1)
	v_fma_f64 v[107:108], v[139:140], v[111:112], v[107:108]
	s_waitcnt vmcnt(3)
	v_fma_f64 v[107:108], v[115:116], v[113:114], v[107:108]
	s_waitcnt vmcnt(2) lgkmcnt(0)
	v_fma_f64 v[107:108], v[145:146], v[109:110], v[107:108]
	s_waitcnt vmcnt(0)
	v_add_f64 v[107:108], v[117:118], -v[107:108]
	buffer_store_dword v108, off, s[0:3], 0 offset:276
	buffer_store_dword v107, off, s[0:3], 0 offset:272
	v_cmpx_lt_u32_e32 33, v0
	s_cbranch_execz .LBB115_255
; %bb.254:
	s_clause 0x1
	buffer_load_dword v107, off, s[0:3], 0 offset:264
	buffer_load_dword v108, off, s[0:3], 0 offset:268
	buffer_store_dword v106, off, s[0:3], 0 offset:264
	buffer_store_dword v106, off, s[0:3], 0 offset:268
	s_waitcnt vmcnt(0)
	ds_write_b64 v105, v[107:108]
.LBB115_255:
	s_or_b32 exec_lo, exec_lo, s4
	s_waitcnt lgkmcnt(0)
	s_waitcnt_vscnt null, 0x0
	s_barrier
	buffer_gl0_inv
	s_clause 0x1c
	buffer_load_dword v115, off, s[0:3], 0 offset:272
	buffer_load_dword v116, off, s[0:3], 0 offset:276
	;; [unrolled: 1-line block ×29, first 2 shown]
	ds_read_b128 v[107:110], v106 offset:688
	ds_read_b128 v[111:114], v106 offset:704
	buffer_load_dword v140, off, s[0:3], 0 offset:388
	s_mov_b32 s4, exec_lo
	s_waitcnt vmcnt(28) lgkmcnt(1)
	v_fma_f64 v[107:108], v[115:116], v[107:108], 0
	s_clause 0x5
	buffer_load_dword v116, off, s[0:3], 0 offset:396
	buffer_load_dword v145, off, s[0:3], 0 offset:408
	;; [unrolled: 1-line block ×6, first 2 shown]
	s_waitcnt vmcnt(32)
	v_fma_f64 v[107:108], v[117:118], v[109:110], v[107:108]
	s_waitcnt vmcnt(30) lgkmcnt(0)
	v_fma_f64 v[107:108], v[119:120], v[111:112], v[107:108]
	s_waitcnt vmcnt(28)
	v_fma_f64 v[117:118], v[121:122], v[113:114], v[107:108]
	ds_read_b128 v[107:110], v106 offset:720
	s_clause 0x1
	buffer_load_dword v119, off, s[0:3], 0 offset:264
	buffer_load_dword v120, off, s[0:3], 0 offset:268
	ds_read_b128 v[111:114], v106 offset:736
	s_waitcnt vmcnt(28) lgkmcnt(1)
	v_fma_f64 v[107:108], v[123:124], v[107:108], v[117:118]
	s_waitcnt vmcnt(26)
	v_fma_f64 v[107:108], v[125:126], v[109:110], v[107:108]
	s_waitcnt vmcnt(24) lgkmcnt(0)
	v_fma_f64 v[107:108], v[127:128], v[111:112], v[107:108]
	s_waitcnt vmcnt(19)
	v_fma_f64 v[117:118], v[129:130], v[113:114], v[107:108]
	ds_read_b128 v[107:110], v106 offset:752
	ds_read_b128 v[111:114], v106 offset:768
	s_waitcnt vmcnt(18) lgkmcnt(1)
	v_fma_f64 v[107:108], v[135:136], v[107:108], v[117:118]
	s_waitcnt vmcnt(17)
	v_fma_f64 v[107:108], v[133:134], v[109:110], v[107:108]
	s_waitcnt vmcnt(16) lgkmcnt(0)
	v_fma_f64 v[107:108], v[131:132], v[111:112], v[107:108]
	s_waitcnt vmcnt(11)
	v_fma_f64 v[117:118], v[137:138], v[113:114], v[107:108]
	ds_read_b128 v[107:110], v106 offset:784
	;; [unrolled: 10-line block ×3, first 2 shown]
	s_waitcnt vmcnt(3) lgkmcnt(0)
	v_fma_f64 v[106:107], v[147:148], v[106:107], v[110:111]
	s_waitcnt vmcnt(2)
	v_fma_f64 v[106:107], v[145:146], v[108:109], v[106:107]
	s_waitcnt vmcnt(0)
	v_add_f64 v[106:107], v[119:120], -v[106:107]
	buffer_store_dword v107, off, s[0:3], 0 offset:268
	buffer_store_dword v106, off, s[0:3], 0 offset:264
	v_cmpx_lt_u32_e32 32, v0
	s_cbranch_execz .LBB115_257
; %bb.256:
	s_clause 0x1
	buffer_load_dword v106, off, s[0:3], 0 offset:256
	buffer_load_dword v107, off, s[0:3], 0 offset:260
	v_mov_b32_e32 v108, 0
	buffer_store_dword v108, off, s[0:3], 0 offset:256
	buffer_store_dword v108, off, s[0:3], 0 offset:260
	s_waitcnt vmcnt(0)
	ds_write_b64 v105, v[106:107]
.LBB115_257:
	s_or_b32 exec_lo, exec_lo, s4
	s_waitcnt lgkmcnt(0)
	s_waitcnt_vscnt null, 0x0
	s_barrier
	buffer_gl0_inv
	s_clause 0x1c
	buffer_load_dword v115, off, s[0:3], 0 offset:264
	buffer_load_dword v116, off, s[0:3], 0 offset:268
	;; [unrolled: 1-line block ×29, first 2 shown]
	v_mov_b32_e32 v106, 0
	buffer_load_dword v140, off, s[0:3], 0 offset:380
	s_mov_b32 s4, exec_lo
	ds_read2_b64 v[107:110], v106 offset0:85 offset1:86
	ds_read2_b64 v[111:114], v106 offset0:87 offset1:88
	s_waitcnt vmcnt(28) lgkmcnt(1)
	v_fma_f64 v[107:108], v[115:116], v[107:108], 0
	s_clause 0x7
	buffer_load_dword v116, off, s[0:3], 0 offset:388
	buffer_load_dword v145, off, s[0:3], 0 offset:408
	;; [unrolled: 1-line block ×8, first 2 shown]
	s_waitcnt vmcnt(34)
	v_fma_f64 v[107:108], v[117:118], v[109:110], v[107:108]
	s_waitcnt vmcnt(32) lgkmcnt(0)
	v_fma_f64 v[107:108], v[119:120], v[111:112], v[107:108]
	s_waitcnt vmcnt(30)
	v_fma_f64 v[117:118], v[121:122], v[113:114], v[107:108]
	ds_read2_b64 v[107:110], v106 offset0:89 offset1:90
	ds_read2_b64 v[111:114], v106 offset0:91 offset1:92
	s_waitcnt vmcnt(28) lgkmcnt(1)
	v_fma_f64 v[107:108], v[123:124], v[107:108], v[117:118]
	s_clause 0x1
	buffer_load_dword v117, off, s[0:3], 0 offset:256
	buffer_load_dword v118, off, s[0:3], 0 offset:260
	s_waitcnt vmcnt(28)
	v_fma_f64 v[107:108], v[125:126], v[109:110], v[107:108]
	s_waitcnt vmcnt(26) lgkmcnt(0)
	v_fma_f64 v[107:108], v[127:128], v[111:112], v[107:108]
	s_waitcnt vmcnt(21)
	v_fma_f64 v[119:120], v[129:130], v[113:114], v[107:108]
	ds_read2_b64 v[107:110], v106 offset0:93 offset1:94
	ds_read2_b64 v[111:114], v106 offset0:95 offset1:96
	s_waitcnt vmcnt(20) lgkmcnt(1)
	v_fma_f64 v[107:108], v[135:136], v[107:108], v[119:120]
	s_waitcnt vmcnt(19)
	v_fma_f64 v[107:108], v[133:134], v[109:110], v[107:108]
	s_waitcnt vmcnt(18) lgkmcnt(0)
	v_fma_f64 v[107:108], v[131:132], v[111:112], v[107:108]
	s_waitcnt vmcnt(13)
	v_fma_f64 v[119:120], v[137:138], v[113:114], v[107:108]
	ds_read2_b64 v[107:110], v106 offset0:97 offset1:98
	ds_read2_b64 v[111:114], v106 offset0:99 offset1:100
	s_waitcnt vmcnt(12) lgkmcnt(1)
	v_fma_f64 v[107:108], v[143:144], v[107:108], v[119:120]
	s_waitcnt vmcnt(11)
	v_fma_f64 v[107:108], v[141:142], v[109:110], v[107:108]
	s_waitcnt vmcnt(10) lgkmcnt(0)
	v_fma_f64 v[107:108], v[139:140], v[111:112], v[107:108]
	s_waitcnt vmcnt(5)
	v_fma_f64 v[111:112], v[115:116], v[113:114], v[107:108]
	ds_read2_b64 v[107:110], v106 offset0:101 offset1:102
	ds_read_b64 v[113:114], v106 offset:824
	s_waitcnt vmcnt(4) lgkmcnt(1)
	v_fma_f64 v[107:108], v[149:150], v[107:108], v[111:112]
	s_waitcnt vmcnt(3)
	v_fma_f64 v[107:108], v[147:148], v[109:110], v[107:108]
	s_waitcnt vmcnt(2) lgkmcnt(0)
	v_fma_f64 v[107:108], v[145:146], v[113:114], v[107:108]
	s_waitcnt vmcnt(0)
	v_add_f64 v[107:108], v[117:118], -v[107:108]
	buffer_store_dword v108, off, s[0:3], 0 offset:260
	buffer_store_dword v107, off, s[0:3], 0 offset:256
	v_cmpx_lt_u32_e32 31, v0
	s_cbranch_execz .LBB115_259
; %bb.258:
	s_clause 0x1
	buffer_load_dword v107, off, s[0:3], 0 offset:248
	buffer_load_dword v108, off, s[0:3], 0 offset:252
	buffer_store_dword v106, off, s[0:3], 0 offset:248
	buffer_store_dword v106, off, s[0:3], 0 offset:252
	s_waitcnt vmcnt(0)
	ds_write_b64 v105, v[107:108]
.LBB115_259:
	s_or_b32 exec_lo, exec_lo, s4
	s_waitcnt lgkmcnt(0)
	s_waitcnt_vscnt null, 0x0
	s_barrier
	buffer_gl0_inv
	s_clause 0x1c
	buffer_load_dword v115, off, s[0:3], 0 offset:256
	buffer_load_dword v116, off, s[0:3], 0 offset:260
	;; [unrolled: 1-line block ×29, first 2 shown]
	ds_read_b128 v[107:110], v106 offset:672
	ds_read_b128 v[111:114], v106 offset:688
	buffer_load_dword v140, off, s[0:3], 0 offset:372
	s_mov_b32 s4, exec_lo
	s_waitcnt vmcnt(28) lgkmcnt(1)
	v_fma_f64 v[107:108], v[115:116], v[107:108], 0
	s_clause 0x7
	buffer_load_dword v116, off, s[0:3], 0 offset:380
	buffer_load_dword v145, off, s[0:3], 0 offset:400
	;; [unrolled: 1-line block ×8, first 2 shown]
	s_waitcnt vmcnt(34)
	v_fma_f64 v[107:108], v[117:118], v[109:110], v[107:108]
	s_waitcnt vmcnt(32) lgkmcnt(0)
	v_fma_f64 v[107:108], v[119:120], v[111:112], v[107:108]
	s_waitcnt vmcnt(30)
	v_fma_f64 v[117:118], v[121:122], v[113:114], v[107:108]
	ds_read_b128 v[107:110], v106 offset:704
	ds_read_b128 v[111:114], v106 offset:720
	s_waitcnt vmcnt(28) lgkmcnt(1)
	v_fma_f64 v[107:108], v[123:124], v[107:108], v[117:118]
	s_clause 0x3
	buffer_load_dword v118, off, s[0:3], 0 offset:412
	buffer_load_dword v117, off, s[0:3], 0 offset:408
	buffer_load_dword v119, off, s[0:3], 0 offset:248
	buffer_load_dword v120, off, s[0:3], 0 offset:252
	s_waitcnt vmcnt(30)
	v_fma_f64 v[107:108], v[125:126], v[109:110], v[107:108]
	s_waitcnt vmcnt(28) lgkmcnt(0)
	v_fma_f64 v[107:108], v[127:128], v[111:112], v[107:108]
	s_waitcnt vmcnt(23)
	v_fma_f64 v[121:122], v[129:130], v[113:114], v[107:108]
	ds_read_b128 v[107:110], v106 offset:736
	ds_read_b128 v[111:114], v106 offset:752
	s_waitcnt vmcnt(22) lgkmcnt(1)
	v_fma_f64 v[107:108], v[135:136], v[107:108], v[121:122]
	s_waitcnt vmcnt(21)
	v_fma_f64 v[107:108], v[133:134], v[109:110], v[107:108]
	s_waitcnt vmcnt(20) lgkmcnt(0)
	v_fma_f64 v[107:108], v[131:132], v[111:112], v[107:108]
	s_waitcnt vmcnt(15)
	v_fma_f64 v[121:122], v[137:138], v[113:114], v[107:108]
	ds_read_b128 v[107:110], v106 offset:768
	ds_read_b128 v[111:114], v106 offset:784
	s_waitcnt vmcnt(14) lgkmcnt(1)
	v_fma_f64 v[107:108], v[143:144], v[107:108], v[121:122]
	s_waitcnt vmcnt(13)
	v_fma_f64 v[107:108], v[141:142], v[109:110], v[107:108]
	s_waitcnt vmcnt(12) lgkmcnt(0)
	v_fma_f64 v[107:108], v[139:140], v[111:112], v[107:108]
	s_waitcnt vmcnt(7)
	v_fma_f64 v[115:116], v[115:116], v[113:114], v[107:108]
	ds_read_b128 v[107:110], v106 offset:800
	ds_read_b128 v[111:114], v106 offset:816
	s_waitcnt vmcnt(6) lgkmcnt(1)
	v_fma_f64 v[106:107], v[149:150], v[107:108], v[115:116]
	s_waitcnt vmcnt(5)
	v_fma_f64 v[106:107], v[147:148], v[109:110], v[106:107]
	s_waitcnt vmcnt(4) lgkmcnt(0)
	v_fma_f64 v[106:107], v[145:146], v[111:112], v[106:107]
	s_waitcnt vmcnt(2)
	v_fma_f64 v[106:107], v[117:118], v[113:114], v[106:107]
	s_waitcnt vmcnt(0)
	v_add_f64 v[106:107], v[119:120], -v[106:107]
	buffer_store_dword v107, off, s[0:3], 0 offset:252
	buffer_store_dword v106, off, s[0:3], 0 offset:248
	v_cmpx_lt_u32_e32 30, v0
	s_cbranch_execz .LBB115_261
; %bb.260:
	s_clause 0x1
	buffer_load_dword v106, off, s[0:3], 0 offset:240
	buffer_load_dword v107, off, s[0:3], 0 offset:244
	v_mov_b32_e32 v108, 0
	buffer_store_dword v108, off, s[0:3], 0 offset:240
	buffer_store_dword v108, off, s[0:3], 0 offset:244
	s_waitcnt vmcnt(0)
	ds_write_b64 v105, v[106:107]
.LBB115_261:
	s_or_b32 exec_lo, exec_lo, s4
	s_waitcnt lgkmcnt(0)
	s_waitcnt_vscnt null, 0x0
	s_barrier
	buffer_gl0_inv
	s_clause 0x1c
	buffer_load_dword v115, off, s[0:3], 0 offset:248
	buffer_load_dword v116, off, s[0:3], 0 offset:252
	;; [unrolled: 1-line block ×29, first 2 shown]
	v_mov_b32_e32 v106, 0
	buffer_load_dword v140, off, s[0:3], 0 offset:364
	s_mov_b32 s4, exec_lo
	ds_read2_b64 v[107:110], v106 offset0:83 offset1:84
	ds_read2_b64 v[111:114], v106 offset0:85 offset1:86
	s_waitcnt vmcnt(28) lgkmcnt(1)
	v_fma_f64 v[107:108], v[115:116], v[107:108], 0
	s_clause 0x7
	buffer_load_dword v116, off, s[0:3], 0 offset:372
	buffer_load_dword v145, off, s[0:3], 0 offset:392
	;; [unrolled: 1-line block ×8, first 2 shown]
	s_waitcnt vmcnt(34)
	v_fma_f64 v[107:108], v[117:118], v[109:110], v[107:108]
	s_waitcnt vmcnt(32) lgkmcnt(0)
	v_fma_f64 v[107:108], v[119:120], v[111:112], v[107:108]
	s_waitcnt vmcnt(30)
	v_fma_f64 v[117:118], v[121:122], v[113:114], v[107:108]
	ds_read2_b64 v[107:110], v106 offset0:87 offset1:88
	ds_read2_b64 v[111:114], v106 offset0:89 offset1:90
	s_waitcnt vmcnt(28) lgkmcnt(1)
	v_fma_f64 v[107:108], v[123:124], v[107:108], v[117:118]
	s_clause 0x5
	buffer_load_dword v118, off, s[0:3], 0 offset:404
	buffer_load_dword v119, off, s[0:3], 0 offset:408
	;; [unrolled: 1-line block ×6, first 2 shown]
	s_waitcnt vmcnt(32)
	v_fma_f64 v[107:108], v[125:126], v[109:110], v[107:108]
	s_waitcnt vmcnt(30) lgkmcnt(0)
	v_fma_f64 v[107:108], v[127:128], v[111:112], v[107:108]
	s_waitcnt vmcnt(25)
	v_fma_f64 v[123:124], v[129:130], v[113:114], v[107:108]
	ds_read2_b64 v[107:110], v106 offset0:91 offset1:92
	ds_read2_b64 v[111:114], v106 offset0:93 offset1:94
	s_waitcnt vmcnt(24) lgkmcnt(1)
	v_fma_f64 v[107:108], v[135:136], v[107:108], v[123:124]
	s_waitcnt vmcnt(23)
	v_fma_f64 v[107:108], v[133:134], v[109:110], v[107:108]
	s_waitcnt vmcnt(22) lgkmcnt(0)
	v_fma_f64 v[107:108], v[131:132], v[111:112], v[107:108]
	s_waitcnt vmcnt(17)
	v_fma_f64 v[123:124], v[137:138], v[113:114], v[107:108]
	ds_read2_b64 v[107:110], v106 offset0:95 offset1:96
	ds_read2_b64 v[111:114], v106 offset0:97 offset1:98
	s_waitcnt vmcnt(16) lgkmcnt(1)
	v_fma_f64 v[107:108], v[143:144], v[107:108], v[123:124]
	s_waitcnt vmcnt(15)
	v_fma_f64 v[107:108], v[141:142], v[109:110], v[107:108]
	s_waitcnt vmcnt(14) lgkmcnt(0)
	v_fma_f64 v[107:108], v[139:140], v[111:112], v[107:108]
	s_waitcnt vmcnt(9)
	v_fma_f64 v[115:116], v[115:116], v[113:114], v[107:108]
	ds_read2_b64 v[107:110], v106 offset0:99 offset1:100
	ds_read2_b64 v[111:114], v106 offset0:101 offset1:102
	s_waitcnt vmcnt(8) lgkmcnt(1)
	v_fma_f64 v[107:108], v[149:150], v[107:108], v[115:116]
	s_waitcnt vmcnt(7)
	v_fma_f64 v[107:108], v[147:148], v[109:110], v[107:108]
	ds_read_b64 v[109:110], v106 offset:824
	s_waitcnt vmcnt(6) lgkmcnt(1)
	v_fma_f64 v[107:108], v[145:146], v[111:112], v[107:108]
	s_waitcnt vmcnt(3)
	v_fma_f64 v[107:108], v[117:118], v[113:114], v[107:108]
	s_waitcnt vmcnt(2) lgkmcnt(0)
	v_fma_f64 v[107:108], v[119:120], v[109:110], v[107:108]
	s_waitcnt vmcnt(0)
	v_add_f64 v[107:108], v[121:122], -v[107:108]
	buffer_store_dword v108, off, s[0:3], 0 offset:244
	buffer_store_dword v107, off, s[0:3], 0 offset:240
	v_cmpx_lt_u32_e32 29, v0
	s_cbranch_execz .LBB115_263
; %bb.262:
	s_clause 0x1
	buffer_load_dword v107, off, s[0:3], 0 offset:232
	buffer_load_dword v108, off, s[0:3], 0 offset:236
	buffer_store_dword v106, off, s[0:3], 0 offset:232
	buffer_store_dword v106, off, s[0:3], 0 offset:236
	s_waitcnt vmcnt(0)
	ds_write_b64 v105, v[107:108]
.LBB115_263:
	s_or_b32 exec_lo, exec_lo, s4
	s_waitcnt lgkmcnt(0)
	s_waitcnt_vscnt null, 0x0
	s_barrier
	buffer_gl0_inv
	s_clause 0x1c
	buffer_load_dword v115, off, s[0:3], 0 offset:240
	buffer_load_dword v116, off, s[0:3], 0 offset:244
	;; [unrolled: 1-line block ×29, first 2 shown]
	ds_read_b128 v[107:110], v106 offset:656
	ds_read_b128 v[111:114], v106 offset:672
	buffer_load_dword v140, off, s[0:3], 0 offset:356
	s_mov_b32 s4, exec_lo
	s_waitcnt vmcnt(28) lgkmcnt(1)
	v_fma_f64 v[107:108], v[115:116], v[107:108], 0
	s_clause 0x7
	buffer_load_dword v116, off, s[0:3], 0 offset:364
	buffer_load_dword v145, off, s[0:3], 0 offset:384
	;; [unrolled: 1-line block ×8, first 2 shown]
	s_waitcnt vmcnt(34)
	v_fma_f64 v[107:108], v[117:118], v[109:110], v[107:108]
	s_waitcnt vmcnt(32) lgkmcnt(0)
	v_fma_f64 v[107:108], v[119:120], v[111:112], v[107:108]
	s_waitcnt vmcnt(30)
	v_fma_f64 v[117:118], v[121:122], v[113:114], v[107:108]
	ds_read_b128 v[107:110], v106 offset:688
	ds_read_b128 v[111:114], v106 offset:704
	s_waitcnt vmcnt(28) lgkmcnt(1)
	v_fma_f64 v[107:108], v[123:124], v[107:108], v[117:118]
	s_clause 0x5
	buffer_load_dword v118, off, s[0:3], 0 offset:396
	buffer_load_dword v119, off, s[0:3], 0 offset:408
	;; [unrolled: 1-line block ×6, first 2 shown]
	s_waitcnt vmcnt(32)
	v_fma_f64 v[107:108], v[125:126], v[109:110], v[107:108]
	s_waitcnt vmcnt(30) lgkmcnt(0)
	v_fma_f64 v[107:108], v[127:128], v[111:112], v[107:108]
	s_waitcnt vmcnt(25)
	v_fma_f64 v[123:124], v[129:130], v[113:114], v[107:108]
	ds_read_b128 v[107:110], v106 offset:720
	s_clause 0x1
	buffer_load_dword v125, off, s[0:3], 0 offset:232
	buffer_load_dword v126, off, s[0:3], 0 offset:236
	ds_read_b128 v[111:114], v106 offset:736
	s_waitcnt vmcnt(26) lgkmcnt(1)
	v_fma_f64 v[107:108], v[135:136], v[107:108], v[123:124]
	s_waitcnt vmcnt(25)
	v_fma_f64 v[107:108], v[133:134], v[109:110], v[107:108]
	s_waitcnt vmcnt(24) lgkmcnt(0)
	v_fma_f64 v[107:108], v[131:132], v[111:112], v[107:108]
	s_waitcnt vmcnt(19)
	v_fma_f64 v[123:124], v[137:138], v[113:114], v[107:108]
	ds_read_b128 v[107:110], v106 offset:752
	ds_read_b128 v[111:114], v106 offset:768
	s_waitcnt vmcnt(18) lgkmcnt(1)
	v_fma_f64 v[107:108], v[143:144], v[107:108], v[123:124]
	s_waitcnt vmcnt(17)
	v_fma_f64 v[107:108], v[141:142], v[109:110], v[107:108]
	s_waitcnt vmcnt(16) lgkmcnt(0)
	v_fma_f64 v[107:108], v[139:140], v[111:112], v[107:108]
	s_waitcnt vmcnt(11)
	v_fma_f64 v[115:116], v[115:116], v[113:114], v[107:108]
	ds_read_b128 v[107:110], v106 offset:784
	;; [unrolled: 10-line block ×3, first 2 shown]
	s_waitcnt vmcnt(3) lgkmcnt(0)
	v_fma_f64 v[106:107], v[121:122], v[106:107], v[110:111]
	s_waitcnt vmcnt(2)
	v_fma_f64 v[106:107], v[119:120], v[108:109], v[106:107]
	s_waitcnt vmcnt(0)
	v_add_f64 v[106:107], v[125:126], -v[106:107]
	buffer_store_dword v107, off, s[0:3], 0 offset:236
	buffer_store_dword v106, off, s[0:3], 0 offset:232
	v_cmpx_lt_u32_e32 28, v0
	s_cbranch_execz .LBB115_265
; %bb.264:
	s_clause 0x1
	buffer_load_dword v106, off, s[0:3], 0 offset:224
	buffer_load_dword v107, off, s[0:3], 0 offset:228
	v_mov_b32_e32 v108, 0
	buffer_store_dword v108, off, s[0:3], 0 offset:224
	buffer_store_dword v108, off, s[0:3], 0 offset:228
	s_waitcnt vmcnt(0)
	ds_write_b64 v105, v[106:107]
.LBB115_265:
	s_or_b32 exec_lo, exec_lo, s4
	s_waitcnt lgkmcnt(0)
	s_waitcnt_vscnt null, 0x0
	s_barrier
	buffer_gl0_inv
	s_clause 0x1c
	buffer_load_dword v115, off, s[0:3], 0 offset:232
	buffer_load_dword v116, off, s[0:3], 0 offset:236
	;; [unrolled: 1-line block ×29, first 2 shown]
	v_mov_b32_e32 v106, 0
	buffer_load_dword v140, off, s[0:3], 0 offset:348
	s_mov_b32 s4, exec_lo
	ds_read2_b64 v[107:110], v106 offset0:81 offset1:82
	ds_read2_b64 v[111:114], v106 offset0:83 offset1:84
	s_waitcnt vmcnt(28) lgkmcnt(1)
	v_fma_f64 v[107:108], v[115:116], v[107:108], 0
	s_clause 0x7
	buffer_load_dword v116, off, s[0:3], 0 offset:356
	buffer_load_dword v145, off, s[0:3], 0 offset:376
	;; [unrolled: 1-line block ×8, first 2 shown]
	s_waitcnt vmcnt(34)
	v_fma_f64 v[107:108], v[117:118], v[109:110], v[107:108]
	s_waitcnt vmcnt(32) lgkmcnt(0)
	v_fma_f64 v[107:108], v[119:120], v[111:112], v[107:108]
	s_waitcnt vmcnt(30)
	v_fma_f64 v[117:118], v[121:122], v[113:114], v[107:108]
	ds_read2_b64 v[107:110], v106 offset0:85 offset1:86
	ds_read2_b64 v[111:114], v106 offset0:87 offset1:88
	s_waitcnt vmcnt(28) lgkmcnt(1)
	v_fma_f64 v[107:108], v[123:124], v[107:108], v[117:118]
	s_clause 0x7
	buffer_load_dword v118, off, s[0:3], 0 offset:388
	buffer_load_dword v119, off, s[0:3], 0 offset:408
	;; [unrolled: 1-line block ×8, first 2 shown]
	s_waitcnt vmcnt(34)
	v_fma_f64 v[107:108], v[125:126], v[109:110], v[107:108]
	s_waitcnt vmcnt(32) lgkmcnt(0)
	v_fma_f64 v[107:108], v[127:128], v[111:112], v[107:108]
	s_waitcnt vmcnt(27)
	v_fma_f64 v[125:126], v[129:130], v[113:114], v[107:108]
	ds_read2_b64 v[107:110], v106 offset0:89 offset1:90
	ds_read2_b64 v[111:114], v106 offset0:91 offset1:92
	s_waitcnt vmcnt(26) lgkmcnt(1)
	v_fma_f64 v[107:108], v[135:136], v[107:108], v[125:126]
	s_clause 0x1
	buffer_load_dword v125, off, s[0:3], 0 offset:224
	buffer_load_dword v126, off, s[0:3], 0 offset:228
	s_waitcnt vmcnt(27)
	v_fma_f64 v[107:108], v[133:134], v[109:110], v[107:108]
	s_waitcnt vmcnt(26) lgkmcnt(0)
	v_fma_f64 v[107:108], v[131:132], v[111:112], v[107:108]
	s_waitcnt vmcnt(21)
	v_fma_f64 v[127:128], v[137:138], v[113:114], v[107:108]
	ds_read2_b64 v[107:110], v106 offset0:93 offset1:94
	ds_read2_b64 v[111:114], v106 offset0:95 offset1:96
	s_waitcnt vmcnt(20) lgkmcnt(1)
	v_fma_f64 v[107:108], v[143:144], v[107:108], v[127:128]
	s_waitcnt vmcnt(19)
	v_fma_f64 v[107:108], v[141:142], v[109:110], v[107:108]
	s_waitcnt vmcnt(18) lgkmcnt(0)
	v_fma_f64 v[107:108], v[139:140], v[111:112], v[107:108]
	s_waitcnt vmcnt(13)
	v_fma_f64 v[115:116], v[115:116], v[113:114], v[107:108]
	ds_read2_b64 v[107:110], v106 offset0:97 offset1:98
	ds_read2_b64 v[111:114], v106 offset0:99 offset1:100
	s_waitcnt vmcnt(12) lgkmcnt(1)
	v_fma_f64 v[107:108], v[149:150], v[107:108], v[115:116]
	s_waitcnt vmcnt(11)
	v_fma_f64 v[107:108], v[147:148], v[109:110], v[107:108]
	s_waitcnt vmcnt(10) lgkmcnt(0)
	v_fma_f64 v[107:108], v[145:146], v[111:112], v[107:108]
	s_waitcnt vmcnt(5)
	v_fma_f64 v[111:112], v[117:118], v[113:114], v[107:108]
	ds_read2_b64 v[107:110], v106 offset0:101 offset1:102
	ds_read_b64 v[113:114], v106 offset:824
	s_waitcnt vmcnt(4) lgkmcnt(1)
	v_fma_f64 v[107:108], v[123:124], v[107:108], v[111:112]
	s_waitcnt vmcnt(3)
	v_fma_f64 v[107:108], v[121:122], v[109:110], v[107:108]
	s_waitcnt vmcnt(2) lgkmcnt(0)
	v_fma_f64 v[107:108], v[119:120], v[113:114], v[107:108]
	s_waitcnt vmcnt(0)
	v_add_f64 v[107:108], v[125:126], -v[107:108]
	buffer_store_dword v108, off, s[0:3], 0 offset:228
	buffer_store_dword v107, off, s[0:3], 0 offset:224
	v_cmpx_lt_u32_e32 27, v0
	s_cbranch_execz .LBB115_267
; %bb.266:
	s_clause 0x1
	buffer_load_dword v107, off, s[0:3], 0 offset:216
	buffer_load_dword v108, off, s[0:3], 0 offset:220
	buffer_store_dword v106, off, s[0:3], 0 offset:216
	buffer_store_dword v106, off, s[0:3], 0 offset:220
	s_waitcnt vmcnt(0)
	ds_write_b64 v105, v[107:108]
.LBB115_267:
	s_or_b32 exec_lo, exec_lo, s4
	s_waitcnt lgkmcnt(0)
	s_waitcnt_vscnt null, 0x0
	s_barrier
	buffer_gl0_inv
	s_clause 0x1c
	buffer_load_dword v115, off, s[0:3], 0 offset:224
	buffer_load_dword v116, off, s[0:3], 0 offset:228
	buffer_load_dword v117, off, s[0:3], 0 offset:232
	buffer_load_dword v118, off, s[0:3], 0 offset:236
	buffer_load_dword v119, off, s[0:3], 0 offset:240
	buffer_load_dword v120, off, s[0:3], 0 offset:244
	buffer_load_dword v121, off, s[0:3], 0 offset:248
	buffer_load_dword v122, off, s[0:3], 0 offset:252
	buffer_load_dword v123, off, s[0:3], 0 offset:256
	buffer_load_dword v124, off, s[0:3], 0 offset:260
	buffer_load_dword v125, off, s[0:3], 0 offset:264
	buffer_load_dword v126, off, s[0:3], 0 offset:268
	buffer_load_dword v127, off, s[0:3], 0 offset:272
	buffer_load_dword v128, off, s[0:3], 0 offset:276
	buffer_load_dword v130, off, s[0:3], 0 offset:284
	buffer_load_dword v131, off, s[0:3], 0 offset:304
	buffer_load_dword v133, off, s[0:3], 0 offset:296
	buffer_load_dword v135, off, s[0:3], 0 offset:288
	buffer_load_dword v129, off, s[0:3], 0 offset:280
	buffer_load_dword v136, off, s[0:3], 0 offset:292
	buffer_load_dword v134, off, s[0:3], 0 offset:300
	buffer_load_dword v132, off, s[0:3], 0 offset:308
	buffer_load_dword v138, off, s[0:3], 0 offset:316
	buffer_load_dword v139, off, s[0:3], 0 offset:336
	buffer_load_dword v141, off, s[0:3], 0 offset:328
	buffer_load_dword v143, off, s[0:3], 0 offset:320
	buffer_load_dword v137, off, s[0:3], 0 offset:312
	buffer_load_dword v144, off, s[0:3], 0 offset:324
	buffer_load_dword v142, off, s[0:3], 0 offset:332
	ds_read_b128 v[107:110], v106 offset:640
	ds_read_b128 v[111:114], v106 offset:656
	buffer_load_dword v140, off, s[0:3], 0 offset:340
	s_mov_b32 s4, exec_lo
	s_waitcnt vmcnt(28) lgkmcnt(1)
	v_fma_f64 v[107:108], v[115:116], v[107:108], 0
	s_clause 0x7
	buffer_load_dword v116, off, s[0:3], 0 offset:348
	buffer_load_dword v145, off, s[0:3], 0 offset:368
	;; [unrolled: 1-line block ×8, first 2 shown]
	s_waitcnt vmcnt(34)
	v_fma_f64 v[107:108], v[117:118], v[109:110], v[107:108]
	s_waitcnt vmcnt(32) lgkmcnt(0)
	v_fma_f64 v[107:108], v[119:120], v[111:112], v[107:108]
	s_waitcnt vmcnt(30)
	v_fma_f64 v[117:118], v[121:122], v[113:114], v[107:108]
	ds_read_b128 v[107:110], v106 offset:672
	ds_read_b128 v[111:114], v106 offset:688
	s_waitcnt vmcnt(28) lgkmcnt(1)
	v_fma_f64 v[107:108], v[123:124], v[107:108], v[117:118]
	s_clause 0x7
	buffer_load_dword v118, off, s[0:3], 0 offset:380
	buffer_load_dword v119, off, s[0:3], 0 offset:400
	;; [unrolled: 1-line block ×8, first 2 shown]
	s_waitcnt vmcnt(34)
	v_fma_f64 v[107:108], v[125:126], v[109:110], v[107:108]
	s_waitcnt vmcnt(32) lgkmcnt(0)
	v_fma_f64 v[107:108], v[127:128], v[111:112], v[107:108]
	s_waitcnt vmcnt(27)
	v_fma_f64 v[125:126], v[129:130], v[113:114], v[107:108]
	ds_read_b128 v[107:110], v106 offset:704
	ds_read_b128 v[111:114], v106 offset:720
	s_waitcnt vmcnt(26) lgkmcnt(1)
	v_fma_f64 v[107:108], v[135:136], v[107:108], v[125:126]
	s_clause 0x3
	buffer_load_dword v126, off, s[0:3], 0 offset:412
	buffer_load_dword v125, off, s[0:3], 0 offset:408
	;; [unrolled: 1-line block ×4, first 2 shown]
	s_waitcnt vmcnt(29)
	v_fma_f64 v[107:108], v[133:134], v[109:110], v[107:108]
	s_waitcnt vmcnt(28) lgkmcnt(0)
	v_fma_f64 v[107:108], v[131:132], v[111:112], v[107:108]
	s_waitcnt vmcnt(23)
	v_fma_f64 v[129:130], v[137:138], v[113:114], v[107:108]
	ds_read_b128 v[107:110], v106 offset:736
	ds_read_b128 v[111:114], v106 offset:752
	s_waitcnt vmcnt(22) lgkmcnt(1)
	v_fma_f64 v[107:108], v[143:144], v[107:108], v[129:130]
	s_waitcnt vmcnt(21)
	v_fma_f64 v[107:108], v[141:142], v[109:110], v[107:108]
	s_waitcnt vmcnt(20) lgkmcnt(0)
	v_fma_f64 v[107:108], v[139:140], v[111:112], v[107:108]
	s_waitcnt vmcnt(15)
	v_fma_f64 v[115:116], v[115:116], v[113:114], v[107:108]
	ds_read_b128 v[107:110], v106 offset:768
	ds_read_b128 v[111:114], v106 offset:784
	s_waitcnt vmcnt(14) lgkmcnt(1)
	v_fma_f64 v[107:108], v[149:150], v[107:108], v[115:116]
	s_waitcnt vmcnt(13)
	v_fma_f64 v[107:108], v[147:148], v[109:110], v[107:108]
	s_waitcnt vmcnt(12) lgkmcnt(0)
	v_fma_f64 v[107:108], v[145:146], v[111:112], v[107:108]
	s_waitcnt vmcnt(7)
	v_fma_f64 v[115:116], v[117:118], v[113:114], v[107:108]
	ds_read_b128 v[107:110], v106 offset:800
	ds_read_b128 v[111:114], v106 offset:816
	s_waitcnt vmcnt(6) lgkmcnt(1)
	v_fma_f64 v[106:107], v[123:124], v[107:108], v[115:116]
	s_waitcnt vmcnt(5)
	v_fma_f64 v[106:107], v[121:122], v[109:110], v[106:107]
	s_waitcnt vmcnt(4) lgkmcnt(0)
	v_fma_f64 v[106:107], v[119:120], v[111:112], v[106:107]
	s_waitcnt vmcnt(2)
	v_fma_f64 v[106:107], v[125:126], v[113:114], v[106:107]
	s_waitcnt vmcnt(0)
	v_add_f64 v[106:107], v[127:128], -v[106:107]
	buffer_store_dword v107, off, s[0:3], 0 offset:220
	buffer_store_dword v106, off, s[0:3], 0 offset:216
	v_cmpx_lt_u32_e32 26, v0
	s_cbranch_execz .LBB115_269
; %bb.268:
	s_clause 0x1
	buffer_load_dword v106, off, s[0:3], 0 offset:208
	buffer_load_dword v107, off, s[0:3], 0 offset:212
	v_mov_b32_e32 v108, 0
	buffer_store_dword v108, off, s[0:3], 0 offset:208
	buffer_store_dword v108, off, s[0:3], 0 offset:212
	s_waitcnt vmcnt(0)
	ds_write_b64 v105, v[106:107]
.LBB115_269:
	s_or_b32 exec_lo, exec_lo, s4
	s_waitcnt lgkmcnt(0)
	s_waitcnt_vscnt null, 0x0
	s_barrier
	buffer_gl0_inv
	s_clause 0x1c
	buffer_load_dword v115, off, s[0:3], 0 offset:216
	buffer_load_dword v116, off, s[0:3], 0 offset:220
	;; [unrolled: 1-line block ×29, first 2 shown]
	v_mov_b32_e32 v106, 0
	buffer_load_dword v140, off, s[0:3], 0 offset:332
	s_mov_b32 s4, exec_lo
	ds_read2_b64 v[107:110], v106 offset0:79 offset1:80
	ds_read2_b64 v[111:114], v106 offset0:81 offset1:82
	s_waitcnt vmcnt(28) lgkmcnt(1)
	v_fma_f64 v[107:108], v[115:116], v[107:108], 0
	s_clause 0x7
	buffer_load_dword v116, off, s[0:3], 0 offset:340
	buffer_load_dword v145, off, s[0:3], 0 offset:360
	;; [unrolled: 1-line block ×8, first 2 shown]
	s_waitcnt vmcnt(34)
	v_fma_f64 v[107:108], v[117:118], v[109:110], v[107:108]
	s_waitcnt vmcnt(32) lgkmcnt(0)
	v_fma_f64 v[107:108], v[119:120], v[111:112], v[107:108]
	s_waitcnt vmcnt(30)
	v_fma_f64 v[117:118], v[121:122], v[113:114], v[107:108]
	ds_read2_b64 v[107:110], v106 offset0:83 offset1:84
	ds_read2_b64 v[111:114], v106 offset0:85 offset1:86
	s_waitcnt vmcnt(28) lgkmcnt(1)
	v_fma_f64 v[107:108], v[123:124], v[107:108], v[117:118]
	s_clause 0x7
	buffer_load_dword v118, off, s[0:3], 0 offset:372
	buffer_load_dword v119, off, s[0:3], 0 offset:392
	;; [unrolled: 1-line block ×8, first 2 shown]
	s_waitcnt vmcnt(34)
	v_fma_f64 v[107:108], v[125:126], v[109:110], v[107:108]
	s_waitcnt vmcnt(32) lgkmcnt(0)
	v_fma_f64 v[107:108], v[127:128], v[111:112], v[107:108]
	s_waitcnt vmcnt(27)
	v_fma_f64 v[125:126], v[129:130], v[113:114], v[107:108]
	ds_read2_b64 v[107:110], v106 offset0:87 offset1:88
	ds_read2_b64 v[111:114], v106 offset0:89 offset1:90
	s_waitcnt vmcnt(26) lgkmcnt(1)
	v_fma_f64 v[107:108], v[135:136], v[107:108], v[125:126]
	s_clause 0x5
	buffer_load_dword v126, off, s[0:3], 0 offset:404
	buffer_load_dword v127, off, s[0:3], 0 offset:408
	;; [unrolled: 1-line block ×6, first 2 shown]
	s_waitcnt vmcnt(31)
	v_fma_f64 v[107:108], v[133:134], v[109:110], v[107:108]
	s_waitcnt vmcnt(30) lgkmcnt(0)
	v_fma_f64 v[107:108], v[131:132], v[111:112], v[107:108]
	s_waitcnt vmcnt(25)
	v_fma_f64 v[131:132], v[137:138], v[113:114], v[107:108]
	ds_read2_b64 v[107:110], v106 offset0:91 offset1:92
	ds_read2_b64 v[111:114], v106 offset0:93 offset1:94
	s_waitcnt vmcnt(24) lgkmcnt(1)
	v_fma_f64 v[107:108], v[143:144], v[107:108], v[131:132]
	s_waitcnt vmcnt(23)
	v_fma_f64 v[107:108], v[141:142], v[109:110], v[107:108]
	s_waitcnt vmcnt(22) lgkmcnt(0)
	v_fma_f64 v[107:108], v[139:140], v[111:112], v[107:108]
	s_waitcnt vmcnt(17)
	v_fma_f64 v[115:116], v[115:116], v[113:114], v[107:108]
	ds_read2_b64 v[107:110], v106 offset0:95 offset1:96
	ds_read2_b64 v[111:114], v106 offset0:97 offset1:98
	s_waitcnt vmcnt(16) lgkmcnt(1)
	v_fma_f64 v[107:108], v[149:150], v[107:108], v[115:116]
	;; [unrolled: 10-line block ×3, first 2 shown]
	s_waitcnt vmcnt(7)
	v_fma_f64 v[107:108], v[121:122], v[109:110], v[107:108]
	ds_read_b64 v[109:110], v106 offset:824
	s_waitcnt vmcnt(6) lgkmcnt(1)
	v_fma_f64 v[107:108], v[119:120], v[111:112], v[107:108]
	s_waitcnt vmcnt(3)
	v_fma_f64 v[107:108], v[125:126], v[113:114], v[107:108]
	s_waitcnt vmcnt(2) lgkmcnt(0)
	v_fma_f64 v[107:108], v[127:128], v[109:110], v[107:108]
	s_waitcnt vmcnt(0)
	v_add_f64 v[107:108], v[129:130], -v[107:108]
	buffer_store_dword v108, off, s[0:3], 0 offset:212
	buffer_store_dword v107, off, s[0:3], 0 offset:208
	v_cmpx_lt_u32_e32 25, v0
	s_cbranch_execz .LBB115_271
; %bb.270:
	s_clause 0x1
	buffer_load_dword v107, off, s[0:3], 0 offset:200
	buffer_load_dword v108, off, s[0:3], 0 offset:204
	buffer_store_dword v106, off, s[0:3], 0 offset:200
	buffer_store_dword v106, off, s[0:3], 0 offset:204
	s_waitcnt vmcnt(0)
	ds_write_b64 v105, v[107:108]
.LBB115_271:
	s_or_b32 exec_lo, exec_lo, s4
	s_waitcnt lgkmcnt(0)
	s_waitcnt_vscnt null, 0x0
	s_barrier
	buffer_gl0_inv
	s_clause 0x1c
	buffer_load_dword v115, off, s[0:3], 0 offset:208
	buffer_load_dword v116, off, s[0:3], 0 offset:212
	;; [unrolled: 1-line block ×29, first 2 shown]
	ds_read_b128 v[107:110], v106 offset:624
	ds_read_b128 v[111:114], v106 offset:640
	buffer_load_dword v140, off, s[0:3], 0 offset:324
	s_mov_b32 s4, exec_lo
	s_waitcnt vmcnt(28) lgkmcnt(1)
	v_fma_f64 v[107:108], v[115:116], v[107:108], 0
	s_clause 0x7
	buffer_load_dword v116, off, s[0:3], 0 offset:332
	buffer_load_dword v145, off, s[0:3], 0 offset:352
	;; [unrolled: 1-line block ×8, first 2 shown]
	s_waitcnt vmcnt(34)
	v_fma_f64 v[107:108], v[117:118], v[109:110], v[107:108]
	s_waitcnt vmcnt(32) lgkmcnt(0)
	v_fma_f64 v[107:108], v[119:120], v[111:112], v[107:108]
	s_waitcnt vmcnt(30)
	v_fma_f64 v[117:118], v[121:122], v[113:114], v[107:108]
	ds_read_b128 v[107:110], v106 offset:656
	ds_read_b128 v[111:114], v106 offset:672
	s_waitcnt vmcnt(28) lgkmcnt(1)
	v_fma_f64 v[107:108], v[123:124], v[107:108], v[117:118]
	s_clause 0x7
	buffer_load_dword v118, off, s[0:3], 0 offset:364
	buffer_load_dword v119, off, s[0:3], 0 offset:384
	;; [unrolled: 1-line block ×8, first 2 shown]
	s_waitcnt vmcnt(34)
	v_fma_f64 v[107:108], v[125:126], v[109:110], v[107:108]
	s_waitcnt vmcnt(32) lgkmcnt(0)
	v_fma_f64 v[107:108], v[127:128], v[111:112], v[107:108]
	s_waitcnt vmcnt(27)
	v_fma_f64 v[125:126], v[129:130], v[113:114], v[107:108]
	ds_read_b128 v[107:110], v106 offset:688
	ds_read_b128 v[111:114], v106 offset:704
	s_waitcnt vmcnt(26) lgkmcnt(1)
	v_fma_f64 v[107:108], v[135:136], v[107:108], v[125:126]
	s_clause 0x5
	buffer_load_dword v126, off, s[0:3], 0 offset:396
	buffer_load_dword v127, off, s[0:3], 0 offset:408
	;; [unrolled: 1-line block ×6, first 2 shown]
	s_waitcnt vmcnt(31)
	v_fma_f64 v[107:108], v[133:134], v[109:110], v[107:108]
	s_waitcnt vmcnt(30) lgkmcnt(0)
	v_fma_f64 v[107:108], v[131:132], v[111:112], v[107:108]
	s_waitcnt vmcnt(25)
	v_fma_f64 v[131:132], v[137:138], v[113:114], v[107:108]
	ds_read_b128 v[107:110], v106 offset:720
	s_clause 0x1
	buffer_load_dword v133, off, s[0:3], 0 offset:200
	buffer_load_dword v134, off, s[0:3], 0 offset:204
	ds_read_b128 v[111:114], v106 offset:736
	s_waitcnt vmcnt(26) lgkmcnt(1)
	v_fma_f64 v[107:108], v[143:144], v[107:108], v[131:132]
	s_waitcnt vmcnt(25)
	v_fma_f64 v[107:108], v[141:142], v[109:110], v[107:108]
	s_waitcnt vmcnt(24) lgkmcnt(0)
	v_fma_f64 v[107:108], v[139:140], v[111:112], v[107:108]
	s_waitcnt vmcnt(19)
	v_fma_f64 v[115:116], v[115:116], v[113:114], v[107:108]
	ds_read_b128 v[107:110], v106 offset:752
	ds_read_b128 v[111:114], v106 offset:768
	s_waitcnt vmcnt(18) lgkmcnt(1)
	v_fma_f64 v[107:108], v[149:150], v[107:108], v[115:116]
	s_waitcnt vmcnt(17)
	v_fma_f64 v[107:108], v[147:148], v[109:110], v[107:108]
	s_waitcnt vmcnt(16) lgkmcnt(0)
	v_fma_f64 v[107:108], v[145:146], v[111:112], v[107:108]
	s_waitcnt vmcnt(11)
	v_fma_f64 v[115:116], v[117:118], v[113:114], v[107:108]
	ds_read_b128 v[107:110], v106 offset:784
	;; [unrolled: 10-line block ×3, first 2 shown]
	s_waitcnt vmcnt(3) lgkmcnt(0)
	v_fma_f64 v[106:107], v[129:130], v[106:107], v[110:111]
	s_waitcnt vmcnt(2)
	v_fma_f64 v[106:107], v[127:128], v[108:109], v[106:107]
	s_waitcnt vmcnt(0)
	v_add_f64 v[106:107], v[133:134], -v[106:107]
	buffer_store_dword v107, off, s[0:3], 0 offset:204
	buffer_store_dword v106, off, s[0:3], 0 offset:200
	v_cmpx_lt_u32_e32 24, v0
	s_cbranch_execz .LBB115_273
; %bb.272:
	s_clause 0x1
	buffer_load_dword v106, off, s[0:3], 0 offset:192
	buffer_load_dword v107, off, s[0:3], 0 offset:196
	v_mov_b32_e32 v108, 0
	buffer_store_dword v108, off, s[0:3], 0 offset:192
	buffer_store_dword v108, off, s[0:3], 0 offset:196
	s_waitcnt vmcnt(0)
	ds_write_b64 v105, v[106:107]
.LBB115_273:
	s_or_b32 exec_lo, exec_lo, s4
	s_waitcnt lgkmcnt(0)
	s_waitcnt_vscnt null, 0x0
	s_barrier
	buffer_gl0_inv
	s_clause 0x1c
	buffer_load_dword v115, off, s[0:3], 0 offset:200
	buffer_load_dword v116, off, s[0:3], 0 offset:204
	;; [unrolled: 1-line block ×29, first 2 shown]
	v_mov_b32_e32 v106, 0
	buffer_load_dword v140, off, s[0:3], 0 offset:316
	s_mov_b32 s4, exec_lo
	ds_read2_b64 v[107:110], v106 offset0:77 offset1:78
	ds_read2_b64 v[111:114], v106 offset0:79 offset1:80
	s_waitcnt vmcnt(28) lgkmcnt(1)
	v_fma_f64 v[107:108], v[115:116], v[107:108], 0
	s_clause 0x7
	buffer_load_dword v116, off, s[0:3], 0 offset:324
	buffer_load_dword v145, off, s[0:3], 0 offset:344
	buffer_load_dword v147, off, s[0:3], 0 offset:336
	buffer_load_dword v149, off, s[0:3], 0 offset:328
	buffer_load_dword v115, off, s[0:3], 0 offset:320
	buffer_load_dword v150, off, s[0:3], 0 offset:332
	buffer_load_dword v148, off, s[0:3], 0 offset:340
	buffer_load_dword v146, off, s[0:3], 0 offset:348
	s_waitcnt vmcnt(34)
	v_fma_f64 v[107:108], v[117:118], v[109:110], v[107:108]
	s_waitcnt vmcnt(32) lgkmcnt(0)
	v_fma_f64 v[107:108], v[119:120], v[111:112], v[107:108]
	s_waitcnt vmcnt(30)
	v_fma_f64 v[117:118], v[121:122], v[113:114], v[107:108]
	ds_read2_b64 v[107:110], v106 offset0:81 offset1:82
	ds_read2_b64 v[111:114], v106 offset0:83 offset1:84
	s_waitcnt vmcnt(28) lgkmcnt(1)
	v_fma_f64 v[107:108], v[123:124], v[107:108], v[117:118]
	s_clause 0x7
	buffer_load_dword v118, off, s[0:3], 0 offset:356
	buffer_load_dword v119, off, s[0:3], 0 offset:376
	buffer_load_dword v121, off, s[0:3], 0 offset:368
	buffer_load_dword v123, off, s[0:3], 0 offset:360
	buffer_load_dword v117, off, s[0:3], 0 offset:352
	buffer_load_dword v124, off, s[0:3], 0 offset:364
	buffer_load_dword v122, off, s[0:3], 0 offset:372
	buffer_load_dword v120, off, s[0:3], 0 offset:380
	s_waitcnt vmcnt(34)
	v_fma_f64 v[107:108], v[125:126], v[109:110], v[107:108]
	s_waitcnt vmcnt(32) lgkmcnt(0)
	v_fma_f64 v[107:108], v[127:128], v[111:112], v[107:108]
	s_waitcnt vmcnt(27)
	v_fma_f64 v[125:126], v[129:130], v[113:114], v[107:108]
	;; [unrolled: 19-line block ×3, first 2 shown]
	ds_read2_b64 v[107:110], v106 offset0:89 offset1:90
	ds_read2_b64 v[111:114], v106 offset0:91 offset1:92
	s_waitcnt vmcnt(26) lgkmcnt(1)
	v_fma_f64 v[107:108], v[143:144], v[107:108], v[131:132]
	s_clause 0x1
	buffer_load_dword v131, off, s[0:3], 0 offset:192
	buffer_load_dword v132, off, s[0:3], 0 offset:196
	s_waitcnt vmcnt(27)
	v_fma_f64 v[107:108], v[141:142], v[109:110], v[107:108]
	s_waitcnt vmcnt(26) lgkmcnt(0)
	v_fma_f64 v[107:108], v[139:140], v[111:112], v[107:108]
	s_waitcnt vmcnt(21)
	v_fma_f64 v[115:116], v[115:116], v[113:114], v[107:108]
	ds_read2_b64 v[107:110], v106 offset0:93 offset1:94
	ds_read2_b64 v[111:114], v106 offset0:95 offset1:96
	s_waitcnt vmcnt(20) lgkmcnt(1)
	v_fma_f64 v[107:108], v[149:150], v[107:108], v[115:116]
	s_waitcnt vmcnt(19)
	v_fma_f64 v[107:108], v[147:148], v[109:110], v[107:108]
	s_waitcnt vmcnt(18) lgkmcnt(0)
	v_fma_f64 v[107:108], v[145:146], v[111:112], v[107:108]
	s_waitcnt vmcnt(13)
	v_fma_f64 v[115:116], v[117:118], v[113:114], v[107:108]
	ds_read2_b64 v[107:110], v106 offset0:97 offset1:98
	ds_read2_b64 v[111:114], v106 offset0:99 offset1:100
	s_waitcnt vmcnt(12) lgkmcnt(1)
	v_fma_f64 v[107:108], v[123:124], v[107:108], v[115:116]
	s_waitcnt vmcnt(11)
	v_fma_f64 v[107:108], v[121:122], v[109:110], v[107:108]
	s_waitcnt vmcnt(10) lgkmcnt(0)
	v_fma_f64 v[107:108], v[119:120], v[111:112], v[107:108]
	s_waitcnt vmcnt(5)
	v_fma_f64 v[111:112], v[125:126], v[113:114], v[107:108]
	ds_read2_b64 v[107:110], v106 offset0:101 offset1:102
	ds_read_b64 v[113:114], v106 offset:824
	s_waitcnt vmcnt(4) lgkmcnt(1)
	v_fma_f64 v[107:108], v[135:136], v[107:108], v[111:112]
	s_waitcnt vmcnt(3)
	v_fma_f64 v[107:108], v[129:130], v[109:110], v[107:108]
	s_waitcnt vmcnt(2) lgkmcnt(0)
	v_fma_f64 v[107:108], v[127:128], v[113:114], v[107:108]
	s_waitcnt vmcnt(0)
	v_add_f64 v[107:108], v[131:132], -v[107:108]
	buffer_store_dword v108, off, s[0:3], 0 offset:196
	buffer_store_dword v107, off, s[0:3], 0 offset:192
	v_cmpx_lt_u32_e32 23, v0
	s_cbranch_execz .LBB115_275
; %bb.274:
	s_clause 0x1
	buffer_load_dword v107, off, s[0:3], 0 offset:184
	buffer_load_dword v108, off, s[0:3], 0 offset:188
	buffer_store_dword v106, off, s[0:3], 0 offset:184
	buffer_store_dword v106, off, s[0:3], 0 offset:188
	s_waitcnt vmcnt(0)
	ds_write_b64 v105, v[107:108]
.LBB115_275:
	s_or_b32 exec_lo, exec_lo, s4
	s_waitcnt lgkmcnt(0)
	s_waitcnt_vscnt null, 0x0
	s_barrier
	buffer_gl0_inv
	s_clause 0x1c
	buffer_load_dword v115, off, s[0:3], 0 offset:192
	buffer_load_dword v116, off, s[0:3], 0 offset:196
	;; [unrolled: 1-line block ×29, first 2 shown]
	ds_read_b128 v[107:110], v106 offset:608
	ds_read_b128 v[111:114], v106 offset:624
	buffer_load_dword v140, off, s[0:3], 0 offset:308
	s_mov_b32 s4, exec_lo
	s_waitcnt vmcnt(28) lgkmcnt(1)
	v_fma_f64 v[107:108], v[115:116], v[107:108], 0
	s_clause 0x7
	buffer_load_dword v116, off, s[0:3], 0 offset:316
	buffer_load_dword v145, off, s[0:3], 0 offset:336
	buffer_load_dword v147, off, s[0:3], 0 offset:328
	buffer_load_dword v149, off, s[0:3], 0 offset:320
	buffer_load_dword v115, off, s[0:3], 0 offset:312
	buffer_load_dword v150, off, s[0:3], 0 offset:324
	buffer_load_dword v148, off, s[0:3], 0 offset:332
	buffer_load_dword v146, off, s[0:3], 0 offset:340
	s_waitcnt vmcnt(34)
	v_fma_f64 v[107:108], v[117:118], v[109:110], v[107:108]
	s_waitcnt vmcnt(32) lgkmcnt(0)
	v_fma_f64 v[107:108], v[119:120], v[111:112], v[107:108]
	s_waitcnt vmcnt(30)
	v_fma_f64 v[117:118], v[121:122], v[113:114], v[107:108]
	ds_read_b128 v[107:110], v106 offset:640
	ds_read_b128 v[111:114], v106 offset:656
	s_waitcnt vmcnt(28) lgkmcnt(1)
	v_fma_f64 v[107:108], v[123:124], v[107:108], v[117:118]
	s_clause 0x7
	buffer_load_dword v118, off, s[0:3], 0 offset:348
	buffer_load_dword v119, off, s[0:3], 0 offset:368
	buffer_load_dword v121, off, s[0:3], 0 offset:360
	buffer_load_dword v123, off, s[0:3], 0 offset:352
	buffer_load_dword v117, off, s[0:3], 0 offset:344
	buffer_load_dword v124, off, s[0:3], 0 offset:356
	buffer_load_dword v122, off, s[0:3], 0 offset:364
	buffer_load_dword v120, off, s[0:3], 0 offset:372
	s_waitcnt vmcnt(34)
	v_fma_f64 v[107:108], v[125:126], v[109:110], v[107:108]
	s_waitcnt vmcnt(32) lgkmcnt(0)
	v_fma_f64 v[107:108], v[127:128], v[111:112], v[107:108]
	s_waitcnt vmcnt(27)
	v_fma_f64 v[125:126], v[129:130], v[113:114], v[107:108]
	ds_read_b128 v[107:110], v106 offset:672
	ds_read_b128 v[111:114], v106 offset:688
	;; [unrolled: 19-line block ×3, first 2 shown]
	s_waitcnt vmcnt(26) lgkmcnt(1)
	v_fma_f64 v[107:108], v[143:144], v[107:108], v[131:132]
	s_clause 0x3
	buffer_load_dword v132, off, s[0:3], 0 offset:412
	buffer_load_dword v131, off, s[0:3], 0 offset:408
	;; [unrolled: 1-line block ×4, first 2 shown]
	s_waitcnt vmcnt(29)
	v_fma_f64 v[107:108], v[141:142], v[109:110], v[107:108]
	s_waitcnt vmcnt(28) lgkmcnt(0)
	v_fma_f64 v[107:108], v[139:140], v[111:112], v[107:108]
	s_waitcnt vmcnt(23)
	v_fma_f64 v[115:116], v[115:116], v[113:114], v[107:108]
	ds_read_b128 v[107:110], v106 offset:736
	ds_read_b128 v[111:114], v106 offset:752
	s_waitcnt vmcnt(22) lgkmcnt(1)
	v_fma_f64 v[107:108], v[149:150], v[107:108], v[115:116]
	s_waitcnt vmcnt(21)
	v_fma_f64 v[107:108], v[147:148], v[109:110], v[107:108]
	s_waitcnt vmcnt(20) lgkmcnt(0)
	v_fma_f64 v[107:108], v[145:146], v[111:112], v[107:108]
	s_waitcnt vmcnt(15)
	v_fma_f64 v[115:116], v[117:118], v[113:114], v[107:108]
	ds_read_b128 v[107:110], v106 offset:768
	ds_read_b128 v[111:114], v106 offset:784
	s_waitcnt vmcnt(14) lgkmcnt(1)
	v_fma_f64 v[107:108], v[123:124], v[107:108], v[115:116]
	;; [unrolled: 10-line block ×3, first 2 shown]
	s_waitcnt vmcnt(5)
	v_fma_f64 v[106:107], v[129:130], v[109:110], v[106:107]
	s_waitcnt vmcnt(4) lgkmcnt(0)
	v_fma_f64 v[106:107], v[127:128], v[111:112], v[106:107]
	s_waitcnt vmcnt(2)
	v_fma_f64 v[106:107], v[131:132], v[113:114], v[106:107]
	s_waitcnt vmcnt(0)
	v_add_f64 v[106:107], v[133:134], -v[106:107]
	buffer_store_dword v107, off, s[0:3], 0 offset:188
	buffer_store_dword v106, off, s[0:3], 0 offset:184
	v_cmpx_lt_u32_e32 22, v0
	s_cbranch_execz .LBB115_277
; %bb.276:
	s_clause 0x1
	buffer_load_dword v106, off, s[0:3], 0 offset:176
	buffer_load_dword v107, off, s[0:3], 0 offset:180
	v_mov_b32_e32 v108, 0
	buffer_store_dword v108, off, s[0:3], 0 offset:176
	buffer_store_dword v108, off, s[0:3], 0 offset:180
	s_waitcnt vmcnt(0)
	ds_write_b64 v105, v[106:107]
.LBB115_277:
	s_or_b32 exec_lo, exec_lo, s4
	s_waitcnt lgkmcnt(0)
	s_waitcnt_vscnt null, 0x0
	s_barrier
	buffer_gl0_inv
	s_clause 0x1c
	buffer_load_dword v115, off, s[0:3], 0 offset:184
	buffer_load_dword v116, off, s[0:3], 0 offset:188
	;; [unrolled: 1-line block ×29, first 2 shown]
	v_mov_b32_e32 v106, 0
	buffer_load_dword v140, off, s[0:3], 0 offset:300
	s_mov_b32 s4, exec_lo
	ds_read2_b64 v[107:110], v106 offset0:75 offset1:76
	ds_read2_b64 v[111:114], v106 offset0:77 offset1:78
	s_waitcnt vmcnt(28) lgkmcnt(1)
	v_fma_f64 v[107:108], v[115:116], v[107:108], 0
	s_clause 0x7
	buffer_load_dword v116, off, s[0:3], 0 offset:308
	buffer_load_dword v145, off, s[0:3], 0 offset:328
	buffer_load_dword v147, off, s[0:3], 0 offset:320
	buffer_load_dword v149, off, s[0:3], 0 offset:312
	buffer_load_dword v115, off, s[0:3], 0 offset:304
	buffer_load_dword v150, off, s[0:3], 0 offset:316
	buffer_load_dword v148, off, s[0:3], 0 offset:324
	buffer_load_dword v146, off, s[0:3], 0 offset:332
	s_waitcnt vmcnt(34)
	v_fma_f64 v[107:108], v[117:118], v[109:110], v[107:108]
	s_waitcnt vmcnt(32) lgkmcnt(0)
	v_fma_f64 v[107:108], v[119:120], v[111:112], v[107:108]
	s_waitcnt vmcnt(30)
	v_fma_f64 v[117:118], v[121:122], v[113:114], v[107:108]
	ds_read2_b64 v[107:110], v106 offset0:79 offset1:80
	ds_read2_b64 v[111:114], v106 offset0:81 offset1:82
	s_waitcnt vmcnt(28) lgkmcnt(1)
	v_fma_f64 v[107:108], v[123:124], v[107:108], v[117:118]
	s_clause 0x7
	buffer_load_dword v118, off, s[0:3], 0 offset:340
	buffer_load_dword v119, off, s[0:3], 0 offset:360
	buffer_load_dword v121, off, s[0:3], 0 offset:352
	buffer_load_dword v123, off, s[0:3], 0 offset:344
	buffer_load_dword v117, off, s[0:3], 0 offset:336
	buffer_load_dword v124, off, s[0:3], 0 offset:348
	buffer_load_dword v122, off, s[0:3], 0 offset:356
	buffer_load_dword v120, off, s[0:3], 0 offset:364
	s_waitcnt vmcnt(34)
	v_fma_f64 v[107:108], v[125:126], v[109:110], v[107:108]
	s_waitcnt vmcnt(32) lgkmcnt(0)
	v_fma_f64 v[107:108], v[127:128], v[111:112], v[107:108]
	s_waitcnt vmcnt(27)
	v_fma_f64 v[125:126], v[129:130], v[113:114], v[107:108]
	;; [unrolled: 19-line block ×3, first 2 shown]
	ds_read2_b64 v[107:110], v106 offset0:87 offset1:88
	ds_read2_b64 v[111:114], v106 offset0:89 offset1:90
	s_waitcnt vmcnt(26) lgkmcnt(1)
	v_fma_f64 v[107:108], v[143:144], v[107:108], v[131:132]
	s_clause 0x5
	buffer_load_dword v132, off, s[0:3], 0 offset:404
	buffer_load_dword v133, off, s[0:3], 0 offset:408
	;; [unrolled: 1-line block ×6, first 2 shown]
	s_waitcnt vmcnt(31)
	v_fma_f64 v[107:108], v[141:142], v[109:110], v[107:108]
	s_waitcnt vmcnt(30) lgkmcnt(0)
	v_fma_f64 v[107:108], v[139:140], v[111:112], v[107:108]
	s_waitcnt vmcnt(25)
	v_fma_f64 v[115:116], v[115:116], v[113:114], v[107:108]
	ds_read2_b64 v[107:110], v106 offset0:91 offset1:92
	ds_read2_b64 v[111:114], v106 offset0:93 offset1:94
	s_waitcnt vmcnt(24) lgkmcnt(1)
	v_fma_f64 v[107:108], v[149:150], v[107:108], v[115:116]
	s_waitcnt vmcnt(23)
	v_fma_f64 v[107:108], v[147:148], v[109:110], v[107:108]
	s_waitcnt vmcnt(22) lgkmcnt(0)
	v_fma_f64 v[107:108], v[145:146], v[111:112], v[107:108]
	s_waitcnt vmcnt(17)
	v_fma_f64 v[115:116], v[117:118], v[113:114], v[107:108]
	ds_read2_b64 v[107:110], v106 offset0:95 offset1:96
	ds_read2_b64 v[111:114], v106 offset0:97 offset1:98
	s_waitcnt vmcnt(16) lgkmcnt(1)
	v_fma_f64 v[107:108], v[123:124], v[107:108], v[115:116]
	;; [unrolled: 10-line block ×3, first 2 shown]
	s_waitcnt vmcnt(7)
	v_fma_f64 v[107:108], v[129:130], v[109:110], v[107:108]
	ds_read_b64 v[109:110], v106 offset:824
	s_waitcnt vmcnt(6) lgkmcnt(1)
	v_fma_f64 v[107:108], v[127:128], v[111:112], v[107:108]
	s_waitcnt vmcnt(3)
	v_fma_f64 v[107:108], v[131:132], v[113:114], v[107:108]
	s_waitcnt vmcnt(2) lgkmcnt(0)
	v_fma_f64 v[107:108], v[133:134], v[109:110], v[107:108]
	s_waitcnt vmcnt(0)
	v_add_f64 v[107:108], v[137:138], -v[107:108]
	buffer_store_dword v108, off, s[0:3], 0 offset:180
	buffer_store_dword v107, off, s[0:3], 0 offset:176
	v_cmpx_lt_u32_e32 21, v0
	s_cbranch_execz .LBB115_279
; %bb.278:
	s_clause 0x1
	buffer_load_dword v107, off, s[0:3], 0 offset:168
	buffer_load_dword v108, off, s[0:3], 0 offset:172
	buffer_store_dword v106, off, s[0:3], 0 offset:168
	buffer_store_dword v106, off, s[0:3], 0 offset:172
	s_waitcnt vmcnt(0)
	ds_write_b64 v105, v[107:108]
.LBB115_279:
	s_or_b32 exec_lo, exec_lo, s4
	s_waitcnt lgkmcnt(0)
	s_waitcnt_vscnt null, 0x0
	s_barrier
	buffer_gl0_inv
	s_clause 0x1c
	buffer_load_dword v115, off, s[0:3], 0 offset:176
	buffer_load_dword v116, off, s[0:3], 0 offset:180
	;; [unrolled: 1-line block ×29, first 2 shown]
	ds_read_b128 v[107:110], v106 offset:592
	ds_read_b128 v[111:114], v106 offset:608
	buffer_load_dword v140, off, s[0:3], 0 offset:292
	s_mov_b32 s4, exec_lo
	s_waitcnt vmcnt(28) lgkmcnt(1)
	v_fma_f64 v[107:108], v[115:116], v[107:108], 0
	s_clause 0x7
	buffer_load_dword v116, off, s[0:3], 0 offset:300
	buffer_load_dword v145, off, s[0:3], 0 offset:320
	buffer_load_dword v147, off, s[0:3], 0 offset:312
	buffer_load_dword v149, off, s[0:3], 0 offset:304
	buffer_load_dword v115, off, s[0:3], 0 offset:296
	buffer_load_dword v150, off, s[0:3], 0 offset:308
	buffer_load_dword v148, off, s[0:3], 0 offset:316
	buffer_load_dword v146, off, s[0:3], 0 offset:324
	s_waitcnt vmcnt(34)
	v_fma_f64 v[107:108], v[117:118], v[109:110], v[107:108]
	s_waitcnt vmcnt(32) lgkmcnt(0)
	v_fma_f64 v[107:108], v[119:120], v[111:112], v[107:108]
	s_waitcnt vmcnt(30)
	v_fma_f64 v[117:118], v[121:122], v[113:114], v[107:108]
	ds_read_b128 v[107:110], v106 offset:624
	ds_read_b128 v[111:114], v106 offset:640
	s_waitcnt vmcnt(28) lgkmcnt(1)
	v_fma_f64 v[107:108], v[123:124], v[107:108], v[117:118]
	s_clause 0x7
	buffer_load_dword v118, off, s[0:3], 0 offset:332
	buffer_load_dword v119, off, s[0:3], 0 offset:352
	buffer_load_dword v121, off, s[0:3], 0 offset:344
	buffer_load_dword v123, off, s[0:3], 0 offset:336
	buffer_load_dword v117, off, s[0:3], 0 offset:328
	buffer_load_dword v124, off, s[0:3], 0 offset:340
	buffer_load_dword v122, off, s[0:3], 0 offset:348
	buffer_load_dword v120, off, s[0:3], 0 offset:356
	s_waitcnt vmcnt(34)
	v_fma_f64 v[107:108], v[125:126], v[109:110], v[107:108]
	s_waitcnt vmcnt(32) lgkmcnt(0)
	v_fma_f64 v[107:108], v[127:128], v[111:112], v[107:108]
	s_waitcnt vmcnt(27)
	v_fma_f64 v[125:126], v[129:130], v[113:114], v[107:108]
	ds_read_b128 v[107:110], v106 offset:656
	ds_read_b128 v[111:114], v106 offset:672
	;; [unrolled: 19-line block ×3, first 2 shown]
	s_waitcnt vmcnt(26) lgkmcnt(1)
	v_fma_f64 v[107:108], v[143:144], v[107:108], v[131:132]
	s_clause 0x5
	buffer_load_dword v132, off, s[0:3], 0 offset:396
	buffer_load_dword v133, off, s[0:3], 0 offset:408
	;; [unrolled: 1-line block ×6, first 2 shown]
	s_waitcnt vmcnt(31)
	v_fma_f64 v[107:108], v[141:142], v[109:110], v[107:108]
	s_waitcnt vmcnt(30) lgkmcnt(0)
	v_fma_f64 v[107:108], v[139:140], v[111:112], v[107:108]
	s_waitcnt vmcnt(25)
	v_fma_f64 v[115:116], v[115:116], v[113:114], v[107:108]
	ds_read_b128 v[107:110], v106 offset:720
	s_clause 0x1
	buffer_load_dword v139, off, s[0:3], 0 offset:168
	buffer_load_dword v140, off, s[0:3], 0 offset:172
	ds_read_b128 v[111:114], v106 offset:736
	s_waitcnt vmcnt(26) lgkmcnt(1)
	v_fma_f64 v[107:108], v[149:150], v[107:108], v[115:116]
	s_waitcnt vmcnt(25)
	v_fma_f64 v[107:108], v[147:148], v[109:110], v[107:108]
	s_waitcnt vmcnt(24) lgkmcnt(0)
	v_fma_f64 v[107:108], v[145:146], v[111:112], v[107:108]
	s_waitcnt vmcnt(19)
	v_fma_f64 v[115:116], v[117:118], v[113:114], v[107:108]
	ds_read_b128 v[107:110], v106 offset:752
	ds_read_b128 v[111:114], v106 offset:768
	s_waitcnt vmcnt(18) lgkmcnt(1)
	v_fma_f64 v[107:108], v[123:124], v[107:108], v[115:116]
	s_waitcnt vmcnt(17)
	v_fma_f64 v[107:108], v[121:122], v[109:110], v[107:108]
	s_waitcnt vmcnt(16) lgkmcnt(0)
	v_fma_f64 v[107:108], v[119:120], v[111:112], v[107:108]
	s_waitcnt vmcnt(11)
	v_fma_f64 v[115:116], v[125:126], v[113:114], v[107:108]
	ds_read_b128 v[107:110], v106 offset:784
	;; [unrolled: 10-line block ×3, first 2 shown]
	s_waitcnt vmcnt(3) lgkmcnt(0)
	v_fma_f64 v[106:107], v[137:138], v[106:107], v[110:111]
	s_waitcnt vmcnt(2)
	v_fma_f64 v[106:107], v[133:134], v[108:109], v[106:107]
	s_waitcnt vmcnt(0)
	v_add_f64 v[106:107], v[139:140], -v[106:107]
	buffer_store_dword v107, off, s[0:3], 0 offset:172
	buffer_store_dword v106, off, s[0:3], 0 offset:168
	v_cmpx_lt_u32_e32 20, v0
	s_cbranch_execz .LBB115_281
; %bb.280:
	s_clause 0x1
	buffer_load_dword v106, off, s[0:3], 0 offset:160
	buffer_load_dword v107, off, s[0:3], 0 offset:164
	v_mov_b32_e32 v108, 0
	buffer_store_dword v108, off, s[0:3], 0 offset:160
	buffer_store_dword v108, off, s[0:3], 0 offset:164
	s_waitcnt vmcnt(0)
	ds_write_b64 v105, v[106:107]
.LBB115_281:
	s_or_b32 exec_lo, exec_lo, s4
	s_waitcnt lgkmcnt(0)
	s_waitcnt_vscnt null, 0x0
	s_barrier
	buffer_gl0_inv
	s_clause 0x1c
	buffer_load_dword v115, off, s[0:3], 0 offset:168
	buffer_load_dword v116, off, s[0:3], 0 offset:172
	;; [unrolled: 1-line block ×29, first 2 shown]
	v_mov_b32_e32 v106, 0
	buffer_load_dword v140, off, s[0:3], 0 offset:284
	s_mov_b32 s4, exec_lo
	ds_read2_b64 v[107:110], v106 offset0:73 offset1:74
	ds_read2_b64 v[111:114], v106 offset0:75 offset1:76
	s_waitcnt vmcnt(28) lgkmcnt(1)
	v_fma_f64 v[107:108], v[115:116], v[107:108], 0
	s_clause 0x7
	buffer_load_dword v116, off, s[0:3], 0 offset:292
	buffer_load_dword v145, off, s[0:3], 0 offset:312
	buffer_load_dword v147, off, s[0:3], 0 offset:304
	buffer_load_dword v149, off, s[0:3], 0 offset:296
	buffer_load_dword v115, off, s[0:3], 0 offset:288
	buffer_load_dword v150, off, s[0:3], 0 offset:300
	buffer_load_dword v148, off, s[0:3], 0 offset:308
	buffer_load_dword v146, off, s[0:3], 0 offset:316
	s_waitcnt vmcnt(34)
	v_fma_f64 v[107:108], v[117:118], v[109:110], v[107:108]
	s_waitcnt vmcnt(32) lgkmcnt(0)
	v_fma_f64 v[107:108], v[119:120], v[111:112], v[107:108]
	s_waitcnt vmcnt(30)
	v_fma_f64 v[117:118], v[121:122], v[113:114], v[107:108]
	ds_read2_b64 v[107:110], v106 offset0:77 offset1:78
	ds_read2_b64 v[111:114], v106 offset0:79 offset1:80
	s_waitcnt vmcnt(28) lgkmcnt(1)
	v_fma_f64 v[107:108], v[123:124], v[107:108], v[117:118]
	s_clause 0x7
	buffer_load_dword v118, off, s[0:3], 0 offset:324
	buffer_load_dword v119, off, s[0:3], 0 offset:344
	buffer_load_dword v121, off, s[0:3], 0 offset:336
	buffer_load_dword v123, off, s[0:3], 0 offset:328
	buffer_load_dword v117, off, s[0:3], 0 offset:320
	buffer_load_dword v124, off, s[0:3], 0 offset:332
	buffer_load_dword v122, off, s[0:3], 0 offset:340
	buffer_load_dword v120, off, s[0:3], 0 offset:348
	s_waitcnt vmcnt(34)
	v_fma_f64 v[107:108], v[125:126], v[109:110], v[107:108]
	s_waitcnt vmcnt(32) lgkmcnt(0)
	v_fma_f64 v[107:108], v[127:128], v[111:112], v[107:108]
	s_waitcnt vmcnt(27)
	v_fma_f64 v[125:126], v[129:130], v[113:114], v[107:108]
	;; [unrolled: 19-line block ×4, first 2 shown]
	ds_read2_b64 v[107:110], v106 offset0:89 offset1:90
	ds_read2_b64 v[111:114], v106 offset0:91 offset1:92
	s_waitcnt vmcnt(26) lgkmcnt(1)
	v_fma_f64 v[107:108], v[149:150], v[107:108], v[115:116]
	s_clause 0x1
	buffer_load_dword v115, off, s[0:3], 0 offset:160
	buffer_load_dword v116, off, s[0:3], 0 offset:164
	s_waitcnt vmcnt(27)
	v_fma_f64 v[107:108], v[147:148], v[109:110], v[107:108]
	s_waitcnt vmcnt(26) lgkmcnt(0)
	v_fma_f64 v[107:108], v[145:146], v[111:112], v[107:108]
	s_waitcnt vmcnt(21)
	v_fma_f64 v[117:118], v[117:118], v[113:114], v[107:108]
	ds_read2_b64 v[107:110], v106 offset0:93 offset1:94
	ds_read2_b64 v[111:114], v106 offset0:95 offset1:96
	s_waitcnt vmcnt(20) lgkmcnt(1)
	v_fma_f64 v[107:108], v[123:124], v[107:108], v[117:118]
	s_waitcnt vmcnt(19)
	v_fma_f64 v[107:108], v[121:122], v[109:110], v[107:108]
	s_waitcnt vmcnt(18) lgkmcnt(0)
	v_fma_f64 v[107:108], v[119:120], v[111:112], v[107:108]
	s_waitcnt vmcnt(13)
	v_fma_f64 v[117:118], v[125:126], v[113:114], v[107:108]
	ds_read2_b64 v[107:110], v106 offset0:97 offset1:98
	ds_read2_b64 v[111:114], v106 offset0:99 offset1:100
	s_waitcnt vmcnt(12) lgkmcnt(1)
	v_fma_f64 v[107:108], v[135:136], v[107:108], v[117:118]
	s_waitcnt vmcnt(11)
	v_fma_f64 v[107:108], v[129:130], v[109:110], v[107:108]
	s_waitcnt vmcnt(10) lgkmcnt(0)
	v_fma_f64 v[107:108], v[127:128], v[111:112], v[107:108]
	s_waitcnt vmcnt(5)
	v_fma_f64 v[111:112], v[131:132], v[113:114], v[107:108]
	ds_read2_b64 v[107:110], v106 offset0:101 offset1:102
	ds_read_b64 v[113:114], v106 offset:824
	s_waitcnt vmcnt(4) lgkmcnt(1)
	v_fma_f64 v[107:108], v[143:144], v[107:108], v[111:112]
	s_waitcnt vmcnt(3)
	v_fma_f64 v[107:108], v[137:138], v[109:110], v[107:108]
	s_waitcnt vmcnt(2) lgkmcnt(0)
	v_fma_f64 v[107:108], v[133:134], v[113:114], v[107:108]
	s_waitcnt vmcnt(0)
	v_add_f64 v[107:108], v[115:116], -v[107:108]
	buffer_store_dword v108, off, s[0:3], 0 offset:164
	buffer_store_dword v107, off, s[0:3], 0 offset:160
	v_cmpx_lt_u32_e32 19, v0
	s_cbranch_execz .LBB115_283
; %bb.282:
	s_clause 0x1
	buffer_load_dword v107, off, s[0:3], 0 offset:152
	buffer_load_dword v108, off, s[0:3], 0 offset:156
	buffer_store_dword v106, off, s[0:3], 0 offset:152
	buffer_store_dword v106, off, s[0:3], 0 offset:156
	s_waitcnt vmcnt(0)
	ds_write_b64 v105, v[107:108]
.LBB115_283:
	s_or_b32 exec_lo, exec_lo, s4
	s_waitcnt lgkmcnt(0)
	s_waitcnt_vscnt null, 0x0
	s_barrier
	buffer_gl0_inv
	s_clause 0x1c
	buffer_load_dword v115, off, s[0:3], 0 offset:160
	buffer_load_dword v116, off, s[0:3], 0 offset:164
	buffer_load_dword v117, off, s[0:3], 0 offset:168
	buffer_load_dword v118, off, s[0:3], 0 offset:172
	buffer_load_dword v119, off, s[0:3], 0 offset:176
	buffer_load_dword v120, off, s[0:3], 0 offset:180
	buffer_load_dword v121, off, s[0:3], 0 offset:184
	buffer_load_dword v122, off, s[0:3], 0 offset:188
	buffer_load_dword v123, off, s[0:3], 0 offset:192
	buffer_load_dword v124, off, s[0:3], 0 offset:196
	buffer_load_dword v125, off, s[0:3], 0 offset:200
	buffer_load_dword v126, off, s[0:3], 0 offset:204
	buffer_load_dword v127, off, s[0:3], 0 offset:208
	buffer_load_dword v128, off, s[0:3], 0 offset:212
	buffer_load_dword v130, off, s[0:3], 0 offset:220
	buffer_load_dword v131, off, s[0:3], 0 offset:240
	buffer_load_dword v133, off, s[0:3], 0 offset:232
	buffer_load_dword v135, off, s[0:3], 0 offset:224
	buffer_load_dword v129, off, s[0:3], 0 offset:216
	buffer_load_dword v136, off, s[0:3], 0 offset:228
	buffer_load_dword v134, off, s[0:3], 0 offset:236
	buffer_load_dword v132, off, s[0:3], 0 offset:244
	buffer_load_dword v138, off, s[0:3], 0 offset:252
	buffer_load_dword v139, off, s[0:3], 0 offset:272
	buffer_load_dword v141, off, s[0:3], 0 offset:264
	buffer_load_dword v143, off, s[0:3], 0 offset:256
	buffer_load_dword v137, off, s[0:3], 0 offset:248
	buffer_load_dword v144, off, s[0:3], 0 offset:260
	buffer_load_dword v142, off, s[0:3], 0 offset:268
	ds_read_b128 v[107:110], v106 offset:576
	ds_read_b128 v[111:114], v106 offset:592
	buffer_load_dword v140, off, s[0:3], 0 offset:276
	s_mov_b32 s4, exec_lo
	s_waitcnt vmcnt(28) lgkmcnt(1)
	v_fma_f64 v[107:108], v[115:116], v[107:108], 0
	s_clause 0x7
	buffer_load_dword v116, off, s[0:3], 0 offset:284
	buffer_load_dword v145, off, s[0:3], 0 offset:304
	buffer_load_dword v147, off, s[0:3], 0 offset:296
	buffer_load_dword v149, off, s[0:3], 0 offset:288
	buffer_load_dword v115, off, s[0:3], 0 offset:280
	buffer_load_dword v150, off, s[0:3], 0 offset:292
	buffer_load_dword v148, off, s[0:3], 0 offset:300
	buffer_load_dword v146, off, s[0:3], 0 offset:308
	s_waitcnt vmcnt(34)
	v_fma_f64 v[107:108], v[117:118], v[109:110], v[107:108]
	s_waitcnt vmcnt(32) lgkmcnt(0)
	v_fma_f64 v[107:108], v[119:120], v[111:112], v[107:108]
	s_waitcnt vmcnt(30)
	v_fma_f64 v[117:118], v[121:122], v[113:114], v[107:108]
	ds_read_b128 v[107:110], v106 offset:608
	ds_read_b128 v[111:114], v106 offset:624
	s_waitcnt vmcnt(28) lgkmcnt(1)
	v_fma_f64 v[107:108], v[123:124], v[107:108], v[117:118]
	s_clause 0x7
	buffer_load_dword v118, off, s[0:3], 0 offset:316
	buffer_load_dword v119, off, s[0:3], 0 offset:336
	buffer_load_dword v121, off, s[0:3], 0 offset:328
	buffer_load_dword v123, off, s[0:3], 0 offset:320
	buffer_load_dword v117, off, s[0:3], 0 offset:312
	buffer_load_dword v124, off, s[0:3], 0 offset:324
	buffer_load_dword v122, off, s[0:3], 0 offset:332
	buffer_load_dword v120, off, s[0:3], 0 offset:340
	s_waitcnt vmcnt(34)
	v_fma_f64 v[107:108], v[125:126], v[109:110], v[107:108]
	s_waitcnt vmcnt(32) lgkmcnt(0)
	v_fma_f64 v[107:108], v[127:128], v[111:112], v[107:108]
	s_waitcnt vmcnt(27)
	v_fma_f64 v[125:126], v[129:130], v[113:114], v[107:108]
	ds_read_b128 v[107:110], v106 offset:640
	ds_read_b128 v[111:114], v106 offset:656
	;; [unrolled: 19-line block ×4, first 2 shown]
	s_waitcnt vmcnt(26) lgkmcnt(1)
	v_fma_f64 v[107:108], v[149:150], v[107:108], v[115:116]
	s_clause 0x3
	buffer_load_dword v116, off, s[0:3], 0 offset:412
	buffer_load_dword v115, off, s[0:3], 0 offset:408
	;; [unrolled: 1-line block ×4, first 2 shown]
	s_waitcnt vmcnt(29)
	v_fma_f64 v[107:108], v[147:148], v[109:110], v[107:108]
	s_waitcnt vmcnt(28) lgkmcnt(0)
	v_fma_f64 v[107:108], v[145:146], v[111:112], v[107:108]
	s_waitcnt vmcnt(23)
	v_fma_f64 v[117:118], v[117:118], v[113:114], v[107:108]
	ds_read_b128 v[107:110], v106 offset:736
	ds_read_b128 v[111:114], v106 offset:752
	s_waitcnt vmcnt(22) lgkmcnt(1)
	v_fma_f64 v[107:108], v[123:124], v[107:108], v[117:118]
	s_waitcnt vmcnt(21)
	v_fma_f64 v[107:108], v[121:122], v[109:110], v[107:108]
	s_waitcnt vmcnt(20) lgkmcnt(0)
	v_fma_f64 v[107:108], v[119:120], v[111:112], v[107:108]
	s_waitcnt vmcnt(15)
	v_fma_f64 v[117:118], v[125:126], v[113:114], v[107:108]
	ds_read_b128 v[107:110], v106 offset:768
	ds_read_b128 v[111:114], v106 offset:784
	s_waitcnt vmcnt(14) lgkmcnt(1)
	v_fma_f64 v[107:108], v[135:136], v[107:108], v[117:118]
	;; [unrolled: 10-line block ×3, first 2 shown]
	s_waitcnt vmcnt(5)
	v_fma_f64 v[106:107], v[137:138], v[109:110], v[106:107]
	s_waitcnt vmcnt(4) lgkmcnt(0)
	v_fma_f64 v[106:107], v[133:134], v[111:112], v[106:107]
	s_waitcnt vmcnt(2)
	v_fma_f64 v[106:107], v[115:116], v[113:114], v[106:107]
	s_waitcnt vmcnt(0)
	v_add_f64 v[106:107], v[139:140], -v[106:107]
	buffer_store_dword v107, off, s[0:3], 0 offset:156
	buffer_store_dword v106, off, s[0:3], 0 offset:152
	v_cmpx_lt_u32_e32 18, v0
	s_cbranch_execz .LBB115_285
; %bb.284:
	s_clause 0x1
	buffer_load_dword v106, off, s[0:3], 0 offset:144
	buffer_load_dword v107, off, s[0:3], 0 offset:148
	v_mov_b32_e32 v108, 0
	buffer_store_dword v108, off, s[0:3], 0 offset:144
	buffer_store_dword v108, off, s[0:3], 0 offset:148
	s_waitcnt vmcnt(0)
	ds_write_b64 v105, v[106:107]
.LBB115_285:
	s_or_b32 exec_lo, exec_lo, s4
	s_waitcnt lgkmcnt(0)
	s_waitcnt_vscnt null, 0x0
	s_barrier
	buffer_gl0_inv
	s_clause 0x1c
	buffer_load_dword v115, off, s[0:3], 0 offset:152
	buffer_load_dword v116, off, s[0:3], 0 offset:156
	;; [unrolled: 1-line block ×29, first 2 shown]
	v_mov_b32_e32 v106, 0
	buffer_load_dword v140, off, s[0:3], 0 offset:268
	s_mov_b32 s4, exec_lo
	ds_read2_b64 v[107:110], v106 offset0:71 offset1:72
	ds_read2_b64 v[111:114], v106 offset0:73 offset1:74
	s_waitcnt vmcnt(28) lgkmcnt(1)
	v_fma_f64 v[107:108], v[115:116], v[107:108], 0
	s_clause 0x7
	buffer_load_dword v116, off, s[0:3], 0 offset:276
	buffer_load_dword v145, off, s[0:3], 0 offset:296
	buffer_load_dword v147, off, s[0:3], 0 offset:288
	buffer_load_dword v149, off, s[0:3], 0 offset:280
	buffer_load_dword v115, off, s[0:3], 0 offset:272
	buffer_load_dword v150, off, s[0:3], 0 offset:284
	buffer_load_dword v148, off, s[0:3], 0 offset:292
	buffer_load_dword v146, off, s[0:3], 0 offset:300
	s_waitcnt vmcnt(34)
	v_fma_f64 v[107:108], v[117:118], v[109:110], v[107:108]
	s_waitcnt vmcnt(32) lgkmcnt(0)
	v_fma_f64 v[107:108], v[119:120], v[111:112], v[107:108]
	s_waitcnt vmcnt(30)
	v_fma_f64 v[117:118], v[121:122], v[113:114], v[107:108]
	ds_read2_b64 v[107:110], v106 offset0:75 offset1:76
	ds_read2_b64 v[111:114], v106 offset0:77 offset1:78
	s_waitcnt vmcnt(28) lgkmcnt(1)
	v_fma_f64 v[107:108], v[123:124], v[107:108], v[117:118]
	s_clause 0x7
	buffer_load_dword v118, off, s[0:3], 0 offset:308
	buffer_load_dword v119, off, s[0:3], 0 offset:328
	buffer_load_dword v121, off, s[0:3], 0 offset:320
	buffer_load_dword v123, off, s[0:3], 0 offset:312
	buffer_load_dword v117, off, s[0:3], 0 offset:304
	buffer_load_dword v124, off, s[0:3], 0 offset:316
	buffer_load_dword v122, off, s[0:3], 0 offset:324
	buffer_load_dword v120, off, s[0:3], 0 offset:332
	s_waitcnt vmcnt(34)
	v_fma_f64 v[107:108], v[125:126], v[109:110], v[107:108]
	s_waitcnt vmcnt(32) lgkmcnt(0)
	v_fma_f64 v[107:108], v[127:128], v[111:112], v[107:108]
	s_waitcnt vmcnt(27)
	v_fma_f64 v[125:126], v[129:130], v[113:114], v[107:108]
	;; [unrolled: 19-line block ×4, first 2 shown]
	ds_read2_b64 v[107:110], v106 offset0:87 offset1:88
	ds_read2_b64 v[111:114], v106 offset0:89 offset1:90
	s_waitcnt vmcnt(26) lgkmcnt(1)
	v_fma_f64 v[107:108], v[149:150], v[107:108], v[115:116]
	s_clause 0x5
	buffer_load_dword v116, off, s[0:3], 0 offset:404
	buffer_load_dword v139, off, s[0:3], 0 offset:408
	;; [unrolled: 1-line block ×6, first 2 shown]
	s_waitcnt vmcnt(31)
	v_fma_f64 v[107:108], v[147:148], v[109:110], v[107:108]
	s_waitcnt vmcnt(30) lgkmcnt(0)
	v_fma_f64 v[107:108], v[145:146], v[111:112], v[107:108]
	s_waitcnt vmcnt(25)
	v_fma_f64 v[117:118], v[117:118], v[113:114], v[107:108]
	ds_read2_b64 v[107:110], v106 offset0:91 offset1:92
	ds_read2_b64 v[111:114], v106 offset0:93 offset1:94
	s_waitcnt vmcnt(24) lgkmcnt(1)
	v_fma_f64 v[107:108], v[123:124], v[107:108], v[117:118]
	s_waitcnt vmcnt(23)
	v_fma_f64 v[107:108], v[121:122], v[109:110], v[107:108]
	s_waitcnt vmcnt(22) lgkmcnt(0)
	v_fma_f64 v[107:108], v[119:120], v[111:112], v[107:108]
	s_waitcnt vmcnt(17)
	v_fma_f64 v[117:118], v[125:126], v[113:114], v[107:108]
	ds_read2_b64 v[107:110], v106 offset0:95 offset1:96
	ds_read2_b64 v[111:114], v106 offset0:97 offset1:98
	s_waitcnt vmcnt(16) lgkmcnt(1)
	v_fma_f64 v[107:108], v[135:136], v[107:108], v[117:118]
	;; [unrolled: 10-line block ×3, first 2 shown]
	s_waitcnt vmcnt(7)
	v_fma_f64 v[107:108], v[137:138], v[109:110], v[107:108]
	ds_read_b64 v[109:110], v106 offset:824
	s_waitcnt vmcnt(6) lgkmcnt(1)
	v_fma_f64 v[107:108], v[133:134], v[111:112], v[107:108]
	s_waitcnt vmcnt(3)
	v_fma_f64 v[107:108], v[115:116], v[113:114], v[107:108]
	s_waitcnt vmcnt(2) lgkmcnt(0)
	v_fma_f64 v[107:108], v[139:140], v[109:110], v[107:108]
	s_waitcnt vmcnt(0)
	v_add_f64 v[107:108], v[141:142], -v[107:108]
	buffer_store_dword v108, off, s[0:3], 0 offset:148
	buffer_store_dword v107, off, s[0:3], 0 offset:144
	v_cmpx_lt_u32_e32 17, v0
	s_cbranch_execz .LBB115_287
; %bb.286:
	s_clause 0x1
	buffer_load_dword v107, off, s[0:3], 0 offset:136
	buffer_load_dword v108, off, s[0:3], 0 offset:140
	buffer_store_dword v106, off, s[0:3], 0 offset:136
	buffer_store_dword v106, off, s[0:3], 0 offset:140
	s_waitcnt vmcnt(0)
	ds_write_b64 v105, v[107:108]
.LBB115_287:
	s_or_b32 exec_lo, exec_lo, s4
	s_waitcnt lgkmcnt(0)
	s_waitcnt_vscnt null, 0x0
	s_barrier
	buffer_gl0_inv
	s_clause 0x1c
	buffer_load_dword v115, off, s[0:3], 0 offset:144
	buffer_load_dword v116, off, s[0:3], 0 offset:148
	;; [unrolled: 1-line block ×29, first 2 shown]
	ds_read_b128 v[107:110], v106 offset:560
	ds_read_b128 v[111:114], v106 offset:576
	buffer_load_dword v140, off, s[0:3], 0 offset:260
	s_mov_b32 s4, exec_lo
	s_waitcnt vmcnt(28) lgkmcnt(1)
	v_fma_f64 v[107:108], v[115:116], v[107:108], 0
	s_clause 0x7
	buffer_load_dword v116, off, s[0:3], 0 offset:268
	buffer_load_dword v145, off, s[0:3], 0 offset:288
	buffer_load_dword v147, off, s[0:3], 0 offset:280
	buffer_load_dword v149, off, s[0:3], 0 offset:272
	buffer_load_dword v115, off, s[0:3], 0 offset:264
	buffer_load_dword v150, off, s[0:3], 0 offset:276
	buffer_load_dword v148, off, s[0:3], 0 offset:284
	buffer_load_dword v146, off, s[0:3], 0 offset:292
	s_waitcnt vmcnt(34)
	v_fma_f64 v[107:108], v[117:118], v[109:110], v[107:108]
	s_waitcnt vmcnt(32) lgkmcnt(0)
	v_fma_f64 v[107:108], v[119:120], v[111:112], v[107:108]
	s_waitcnt vmcnt(30)
	v_fma_f64 v[117:118], v[121:122], v[113:114], v[107:108]
	ds_read_b128 v[107:110], v106 offset:592
	ds_read_b128 v[111:114], v106 offset:608
	s_waitcnt vmcnt(28) lgkmcnt(1)
	v_fma_f64 v[107:108], v[123:124], v[107:108], v[117:118]
	s_clause 0x7
	buffer_load_dword v118, off, s[0:3], 0 offset:300
	buffer_load_dword v119, off, s[0:3], 0 offset:320
	buffer_load_dword v121, off, s[0:3], 0 offset:312
	buffer_load_dword v123, off, s[0:3], 0 offset:304
	buffer_load_dword v117, off, s[0:3], 0 offset:296
	buffer_load_dword v124, off, s[0:3], 0 offset:308
	buffer_load_dword v122, off, s[0:3], 0 offset:316
	buffer_load_dword v120, off, s[0:3], 0 offset:324
	s_waitcnt vmcnt(34)
	v_fma_f64 v[107:108], v[125:126], v[109:110], v[107:108]
	s_waitcnt vmcnt(32) lgkmcnt(0)
	v_fma_f64 v[107:108], v[127:128], v[111:112], v[107:108]
	s_waitcnt vmcnt(27)
	v_fma_f64 v[125:126], v[129:130], v[113:114], v[107:108]
	ds_read_b128 v[107:110], v106 offset:624
	ds_read_b128 v[111:114], v106 offset:640
	;; [unrolled: 19-line block ×4, first 2 shown]
	s_waitcnt vmcnt(26) lgkmcnt(1)
	v_fma_f64 v[107:108], v[149:150], v[107:108], v[115:116]
	s_clause 0x5
	buffer_load_dword v116, off, s[0:3], 0 offset:396
	buffer_load_dword v139, off, s[0:3], 0 offset:408
	;; [unrolled: 1-line block ×6, first 2 shown]
	s_waitcnt vmcnt(31)
	v_fma_f64 v[107:108], v[147:148], v[109:110], v[107:108]
	s_waitcnt vmcnt(30) lgkmcnt(0)
	v_fma_f64 v[107:108], v[145:146], v[111:112], v[107:108]
	s_waitcnt vmcnt(25)
	v_fma_f64 v[117:118], v[117:118], v[113:114], v[107:108]
	ds_read_b128 v[107:110], v106 offset:720
	s_clause 0x1
	buffer_load_dword v145, off, s[0:3], 0 offset:136
	buffer_load_dword v146, off, s[0:3], 0 offset:140
	ds_read_b128 v[111:114], v106 offset:736
	s_waitcnt vmcnt(26) lgkmcnt(1)
	v_fma_f64 v[107:108], v[123:124], v[107:108], v[117:118]
	s_waitcnt vmcnt(25)
	v_fma_f64 v[107:108], v[121:122], v[109:110], v[107:108]
	s_waitcnt vmcnt(24) lgkmcnt(0)
	v_fma_f64 v[107:108], v[119:120], v[111:112], v[107:108]
	s_waitcnt vmcnt(19)
	v_fma_f64 v[117:118], v[125:126], v[113:114], v[107:108]
	ds_read_b128 v[107:110], v106 offset:752
	ds_read_b128 v[111:114], v106 offset:768
	s_waitcnt vmcnt(18) lgkmcnt(1)
	v_fma_f64 v[107:108], v[135:136], v[107:108], v[117:118]
	s_waitcnt vmcnt(17)
	v_fma_f64 v[107:108], v[129:130], v[109:110], v[107:108]
	s_waitcnt vmcnt(16) lgkmcnt(0)
	v_fma_f64 v[107:108], v[127:128], v[111:112], v[107:108]
	s_waitcnt vmcnt(11)
	v_fma_f64 v[117:118], v[131:132], v[113:114], v[107:108]
	ds_read_b128 v[107:110], v106 offset:784
	;; [unrolled: 10-line block ×3, first 2 shown]
	s_waitcnt vmcnt(3) lgkmcnt(0)
	v_fma_f64 v[106:107], v[141:142], v[106:107], v[110:111]
	s_waitcnt vmcnt(2)
	v_fma_f64 v[106:107], v[139:140], v[108:109], v[106:107]
	s_waitcnt vmcnt(0)
	v_add_f64 v[106:107], v[145:146], -v[106:107]
	buffer_store_dword v107, off, s[0:3], 0 offset:140
	buffer_store_dword v106, off, s[0:3], 0 offset:136
	v_cmpx_lt_u32_e32 16, v0
	s_cbranch_execz .LBB115_289
; %bb.288:
	s_clause 0x1
	buffer_load_dword v106, off, s[0:3], 0 offset:128
	buffer_load_dword v107, off, s[0:3], 0 offset:132
	v_mov_b32_e32 v108, 0
	buffer_store_dword v108, off, s[0:3], 0 offset:128
	buffer_store_dword v108, off, s[0:3], 0 offset:132
	s_waitcnt vmcnt(0)
	ds_write_b64 v105, v[106:107]
.LBB115_289:
	s_or_b32 exec_lo, exec_lo, s4
	s_waitcnt lgkmcnt(0)
	s_waitcnt_vscnt null, 0x0
	s_barrier
	buffer_gl0_inv
	s_clause 0x1c
	buffer_load_dword v115, off, s[0:3], 0 offset:136
	buffer_load_dword v116, off, s[0:3], 0 offset:140
	;; [unrolled: 1-line block ×29, first 2 shown]
	v_mov_b32_e32 v106, 0
	buffer_load_dword v140, off, s[0:3], 0 offset:252
	s_mov_b32 s4, exec_lo
	ds_read2_b64 v[107:110], v106 offset0:69 offset1:70
	ds_read2_b64 v[111:114], v106 offset0:71 offset1:72
	s_waitcnt vmcnt(28) lgkmcnt(1)
	v_fma_f64 v[107:108], v[115:116], v[107:108], 0
	s_clause 0x7
	buffer_load_dword v116, off, s[0:3], 0 offset:260
	buffer_load_dword v145, off, s[0:3], 0 offset:280
	buffer_load_dword v147, off, s[0:3], 0 offset:272
	buffer_load_dword v149, off, s[0:3], 0 offset:264
	buffer_load_dword v115, off, s[0:3], 0 offset:256
	buffer_load_dword v150, off, s[0:3], 0 offset:268
	buffer_load_dword v148, off, s[0:3], 0 offset:276
	buffer_load_dword v146, off, s[0:3], 0 offset:284
	s_waitcnt vmcnt(34)
	v_fma_f64 v[107:108], v[117:118], v[109:110], v[107:108]
	s_waitcnt vmcnt(32) lgkmcnt(0)
	v_fma_f64 v[107:108], v[119:120], v[111:112], v[107:108]
	s_waitcnt vmcnt(30)
	v_fma_f64 v[117:118], v[121:122], v[113:114], v[107:108]
	ds_read2_b64 v[107:110], v106 offset0:73 offset1:74
	ds_read2_b64 v[111:114], v106 offset0:75 offset1:76
	s_waitcnt vmcnt(28) lgkmcnt(1)
	v_fma_f64 v[107:108], v[123:124], v[107:108], v[117:118]
	s_clause 0x7
	buffer_load_dword v118, off, s[0:3], 0 offset:292
	buffer_load_dword v119, off, s[0:3], 0 offset:312
	buffer_load_dword v121, off, s[0:3], 0 offset:304
	buffer_load_dword v123, off, s[0:3], 0 offset:296
	buffer_load_dword v117, off, s[0:3], 0 offset:288
	buffer_load_dword v124, off, s[0:3], 0 offset:300
	buffer_load_dword v122, off, s[0:3], 0 offset:308
	buffer_load_dword v120, off, s[0:3], 0 offset:316
	s_waitcnt vmcnt(34)
	v_fma_f64 v[107:108], v[125:126], v[109:110], v[107:108]
	s_waitcnt vmcnt(32) lgkmcnt(0)
	v_fma_f64 v[107:108], v[127:128], v[111:112], v[107:108]
	s_waitcnt vmcnt(27)
	v_fma_f64 v[125:126], v[129:130], v[113:114], v[107:108]
	ds_read2_b64 v[107:110], v106 offset0:77 offset1:78
	ds_read2_b64 v[111:114], v106 offset0:79 offset1:80
	s_waitcnt vmcnt(26) lgkmcnt(1)
	v_fma_f64 v[107:108], v[135:136], v[107:108], v[125:126]
	s_clause 0x7
	buffer_load_dword v126, off, s[0:3], 0 offset:324
	buffer_load_dword v127, off, s[0:3], 0 offset:344
	buffer_load_dword v129, off, s[0:3], 0 offset:336
	buffer_load_dword v135, off, s[0:3], 0 offset:328
	buffer_load_dword v125, off, s[0:3], 0 offset:320
	buffer_load_dword v136, off, s[0:3], 0 offset:332
	buffer_load_dword v130, off, s[0:3], 0 offset:340
	buffer_load_dword v128, off, s[0:3], 0 offset:348
	s_waitcnt vmcnt(33)
	v_fma_f64 v[107:108], v[133:134], v[109:110], v[107:108]
	s_waitcnt vmcnt(32) lgkmcnt(0)
	v_fma_f64 v[107:108], v[131:132], v[111:112], v[107:108]
	s_waitcnt vmcnt(27)
	v_fma_f64 v[131:132], v[137:138], v[113:114], v[107:108]
	ds_read2_b64 v[107:110], v106 offset0:81 offset1:82
	ds_read2_b64 v[111:114], v106 offset0:83 offset1:84
	s_waitcnt vmcnt(26) lgkmcnt(1)
	v_fma_f64 v[107:108], v[143:144], v[107:108], v[131:132]
	s_clause 0x7
	buffer_load_dword v132, off, s[0:3], 0 offset:356
	buffer_load_dword v133, off, s[0:3], 0 offset:376
	buffer_load_dword v137, off, s[0:3], 0 offset:368
	buffer_load_dword v143, off, s[0:3], 0 offset:360
	buffer_load_dword v131, off, s[0:3], 0 offset:352
	buffer_load_dword v144, off, s[0:3], 0 offset:364
	buffer_load_dword v138, off, s[0:3], 0 offset:372
	buffer_load_dword v134, off, s[0:3], 0 offset:380
	s_waitcnt vmcnt(33)
	v_fma_f64 v[107:108], v[141:142], v[109:110], v[107:108]
	s_waitcnt vmcnt(32) lgkmcnt(0)
	v_fma_f64 v[107:108], v[139:140], v[111:112], v[107:108]
	s_waitcnt vmcnt(27)
	v_fma_f64 v[115:116], v[115:116], v[113:114], v[107:108]
	ds_read2_b64 v[107:110], v106 offset0:85 offset1:86
	ds_read2_b64 v[111:114], v106 offset0:87 offset1:88
	s_waitcnt vmcnt(26) lgkmcnt(1)
	v_fma_f64 v[107:108], v[149:150], v[107:108], v[115:116]
	s_clause 0x7
	buffer_load_dword v116, off, s[0:3], 0 offset:388
	buffer_load_dword v139, off, s[0:3], 0 offset:408
	buffer_load_dword v141, off, s[0:3], 0 offset:400
	buffer_load_dword v149, off, s[0:3], 0 offset:392
	buffer_load_dword v115, off, s[0:3], 0 offset:384
	buffer_load_dword v150, off, s[0:3], 0 offset:396
	buffer_load_dword v142, off, s[0:3], 0 offset:404
	buffer_load_dword v140, off, s[0:3], 0 offset:412
	s_waitcnt vmcnt(33)
	v_fma_f64 v[107:108], v[147:148], v[109:110], v[107:108]
	s_waitcnt vmcnt(32) lgkmcnt(0)
	v_fma_f64 v[107:108], v[145:146], v[111:112], v[107:108]
	s_waitcnt vmcnt(27)
	v_fma_f64 v[117:118], v[117:118], v[113:114], v[107:108]
	ds_read2_b64 v[107:110], v106 offset0:89 offset1:90
	ds_read2_b64 v[111:114], v106 offset0:91 offset1:92
	s_waitcnt vmcnt(26) lgkmcnt(1)
	v_fma_f64 v[107:108], v[123:124], v[107:108], v[117:118]
	s_clause 0x1
	buffer_load_dword v117, off, s[0:3], 0 offset:128
	buffer_load_dword v118, off, s[0:3], 0 offset:132
	s_waitcnt vmcnt(27)
	v_fma_f64 v[107:108], v[121:122], v[109:110], v[107:108]
	s_waitcnt vmcnt(26) lgkmcnt(0)
	v_fma_f64 v[107:108], v[119:120], v[111:112], v[107:108]
	s_waitcnt vmcnt(21)
	v_fma_f64 v[119:120], v[125:126], v[113:114], v[107:108]
	ds_read2_b64 v[107:110], v106 offset0:93 offset1:94
	ds_read2_b64 v[111:114], v106 offset0:95 offset1:96
	s_waitcnt vmcnt(20) lgkmcnt(1)
	v_fma_f64 v[107:108], v[135:136], v[107:108], v[119:120]
	s_waitcnt vmcnt(19)
	v_fma_f64 v[107:108], v[129:130], v[109:110], v[107:108]
	s_waitcnt vmcnt(18) lgkmcnt(0)
	v_fma_f64 v[107:108], v[127:128], v[111:112], v[107:108]
	s_waitcnt vmcnt(13)
	v_fma_f64 v[119:120], v[131:132], v[113:114], v[107:108]
	ds_read2_b64 v[107:110], v106 offset0:97 offset1:98
	ds_read2_b64 v[111:114], v106 offset0:99 offset1:100
	s_waitcnt vmcnt(12) lgkmcnt(1)
	v_fma_f64 v[107:108], v[143:144], v[107:108], v[119:120]
	s_waitcnt vmcnt(11)
	v_fma_f64 v[107:108], v[137:138], v[109:110], v[107:108]
	s_waitcnt vmcnt(10) lgkmcnt(0)
	v_fma_f64 v[107:108], v[133:134], v[111:112], v[107:108]
	s_waitcnt vmcnt(5)
	v_fma_f64 v[111:112], v[115:116], v[113:114], v[107:108]
	ds_read2_b64 v[107:110], v106 offset0:101 offset1:102
	ds_read_b64 v[113:114], v106 offset:824
	s_waitcnt vmcnt(4) lgkmcnt(1)
	v_fma_f64 v[107:108], v[149:150], v[107:108], v[111:112]
	s_waitcnt vmcnt(3)
	v_fma_f64 v[107:108], v[141:142], v[109:110], v[107:108]
	s_waitcnt vmcnt(2) lgkmcnt(0)
	v_fma_f64 v[107:108], v[139:140], v[113:114], v[107:108]
	s_waitcnt vmcnt(0)
	v_add_f64 v[107:108], v[117:118], -v[107:108]
	buffer_store_dword v108, off, s[0:3], 0 offset:132
	buffer_store_dword v107, off, s[0:3], 0 offset:128
	v_cmpx_lt_u32_e32 15, v0
	s_cbranch_execz .LBB115_291
; %bb.290:
	s_clause 0x1
	buffer_load_dword v107, off, s[0:3], 0 offset:120
	buffer_load_dword v108, off, s[0:3], 0 offset:124
	buffer_store_dword v106, off, s[0:3], 0 offset:120
	buffer_store_dword v106, off, s[0:3], 0 offset:124
	s_waitcnt vmcnt(0)
	ds_write_b64 v105, v[107:108]
.LBB115_291:
	s_or_b32 exec_lo, exec_lo, s4
	s_waitcnt lgkmcnt(0)
	s_waitcnt_vscnt null, 0x0
	s_barrier
	buffer_gl0_inv
	s_clause 0x1c
	buffer_load_dword v115, off, s[0:3], 0 offset:128
	buffer_load_dword v116, off, s[0:3], 0 offset:132
	;; [unrolled: 1-line block ×29, first 2 shown]
	ds_read_b128 v[107:110], v106 offset:544
	ds_read_b128 v[111:114], v106 offset:560
	buffer_load_dword v140, off, s[0:3], 0 offset:244
	s_mov_b32 s4, exec_lo
	s_waitcnt vmcnt(28) lgkmcnt(1)
	v_fma_f64 v[107:108], v[115:116], v[107:108], 0
	s_clause 0x7
	buffer_load_dword v116, off, s[0:3], 0 offset:252
	buffer_load_dword v145, off, s[0:3], 0 offset:272
	buffer_load_dword v147, off, s[0:3], 0 offset:264
	buffer_load_dword v149, off, s[0:3], 0 offset:256
	buffer_load_dword v115, off, s[0:3], 0 offset:248
	buffer_load_dword v150, off, s[0:3], 0 offset:260
	buffer_load_dword v148, off, s[0:3], 0 offset:268
	buffer_load_dword v146, off, s[0:3], 0 offset:276
	s_waitcnt vmcnt(34)
	v_fma_f64 v[107:108], v[117:118], v[109:110], v[107:108]
	s_waitcnt vmcnt(32) lgkmcnt(0)
	v_fma_f64 v[107:108], v[119:120], v[111:112], v[107:108]
	s_waitcnt vmcnt(30)
	v_fma_f64 v[117:118], v[121:122], v[113:114], v[107:108]
	ds_read_b128 v[107:110], v106 offset:576
	ds_read_b128 v[111:114], v106 offset:592
	s_waitcnt vmcnt(28) lgkmcnt(1)
	v_fma_f64 v[107:108], v[123:124], v[107:108], v[117:118]
	s_clause 0x7
	buffer_load_dword v118, off, s[0:3], 0 offset:284
	buffer_load_dword v119, off, s[0:3], 0 offset:304
	buffer_load_dword v121, off, s[0:3], 0 offset:296
	buffer_load_dword v123, off, s[0:3], 0 offset:288
	buffer_load_dword v117, off, s[0:3], 0 offset:280
	buffer_load_dword v124, off, s[0:3], 0 offset:292
	buffer_load_dword v122, off, s[0:3], 0 offset:300
	buffer_load_dword v120, off, s[0:3], 0 offset:308
	s_waitcnt vmcnt(34)
	v_fma_f64 v[107:108], v[125:126], v[109:110], v[107:108]
	s_waitcnt vmcnt(32) lgkmcnt(0)
	v_fma_f64 v[107:108], v[127:128], v[111:112], v[107:108]
	s_waitcnt vmcnt(27)
	v_fma_f64 v[125:126], v[129:130], v[113:114], v[107:108]
	ds_read_b128 v[107:110], v106 offset:608
	ds_read_b128 v[111:114], v106 offset:624
	;; [unrolled: 19-line block ×5, first 2 shown]
	s_waitcnt vmcnt(26) lgkmcnt(1)
	v_fma_f64 v[107:108], v[123:124], v[107:108], v[117:118]
	s_clause 0x1
	buffer_load_dword v118, off, s[0:3], 0 offset:412
	buffer_load_dword v117, off, s[0:3], 0 offset:408
	s_waitcnt vmcnt(27)
	v_fma_f64 v[107:108], v[121:122], v[109:110], v[107:108]
	s_clause 0x1
	buffer_load_dword v121, off, s[0:3], 0 offset:120
	buffer_load_dword v122, off, s[0:3], 0 offset:124
	s_waitcnt vmcnt(28) lgkmcnt(0)
	v_fma_f64 v[107:108], v[119:120], v[111:112], v[107:108]
	s_waitcnt vmcnt(23)
	v_fma_f64 v[119:120], v[125:126], v[113:114], v[107:108]
	ds_read_b128 v[107:110], v106 offset:736
	ds_read_b128 v[111:114], v106 offset:752
	s_waitcnt vmcnt(22) lgkmcnt(1)
	v_fma_f64 v[107:108], v[135:136], v[107:108], v[119:120]
	s_waitcnt vmcnt(21)
	v_fma_f64 v[107:108], v[129:130], v[109:110], v[107:108]
	s_waitcnt vmcnt(20) lgkmcnt(0)
	v_fma_f64 v[107:108], v[127:128], v[111:112], v[107:108]
	s_waitcnt vmcnt(15)
	v_fma_f64 v[119:120], v[131:132], v[113:114], v[107:108]
	ds_read_b128 v[107:110], v106 offset:768
	ds_read_b128 v[111:114], v106 offset:784
	s_waitcnt vmcnt(14) lgkmcnt(1)
	v_fma_f64 v[107:108], v[143:144], v[107:108], v[119:120]
	s_waitcnt vmcnt(13)
	v_fma_f64 v[107:108], v[137:138], v[109:110], v[107:108]
	;; [unrolled: 10-line block ×3, first 2 shown]
	s_waitcnt vmcnt(4) lgkmcnt(0)
	v_fma_f64 v[106:107], v[139:140], v[111:112], v[106:107]
	s_waitcnt vmcnt(2)
	v_fma_f64 v[106:107], v[117:118], v[113:114], v[106:107]
	s_waitcnt vmcnt(0)
	v_add_f64 v[106:107], v[121:122], -v[106:107]
	buffer_store_dword v107, off, s[0:3], 0 offset:124
	buffer_store_dword v106, off, s[0:3], 0 offset:120
	v_cmpx_lt_u32_e32 14, v0
	s_cbranch_execz .LBB115_293
; %bb.292:
	s_clause 0x1
	buffer_load_dword v106, off, s[0:3], 0 offset:112
	buffer_load_dword v107, off, s[0:3], 0 offset:116
	v_mov_b32_e32 v108, 0
	buffer_store_dword v108, off, s[0:3], 0 offset:112
	buffer_store_dword v108, off, s[0:3], 0 offset:116
	s_waitcnt vmcnt(0)
	ds_write_b64 v105, v[106:107]
.LBB115_293:
	s_or_b32 exec_lo, exec_lo, s4
	s_waitcnt lgkmcnt(0)
	s_waitcnt_vscnt null, 0x0
	s_barrier
	buffer_gl0_inv
	s_clause 0x1c
	buffer_load_dword v115, off, s[0:3], 0 offset:120
	buffer_load_dword v116, off, s[0:3], 0 offset:124
	buffer_load_dword v117, off, s[0:3], 0 offset:128
	buffer_load_dword v118, off, s[0:3], 0 offset:132
	buffer_load_dword v119, off, s[0:3], 0 offset:136
	buffer_load_dword v120, off, s[0:3], 0 offset:140
	buffer_load_dword v121, off, s[0:3], 0 offset:144
	buffer_load_dword v122, off, s[0:3], 0 offset:148
	buffer_load_dword v123, off, s[0:3], 0 offset:152
	buffer_load_dword v124, off, s[0:3], 0 offset:156
	buffer_load_dword v125, off, s[0:3], 0 offset:160
	buffer_load_dword v126, off, s[0:3], 0 offset:164
	buffer_load_dword v127, off, s[0:3], 0 offset:168
	buffer_load_dword v128, off, s[0:3], 0 offset:172
	buffer_load_dword v130, off, s[0:3], 0 offset:180
	buffer_load_dword v131, off, s[0:3], 0 offset:200
	buffer_load_dword v133, off, s[0:3], 0 offset:192
	buffer_load_dword v135, off, s[0:3], 0 offset:184
	buffer_load_dword v129, off, s[0:3], 0 offset:176
	buffer_load_dword v136, off, s[0:3], 0 offset:188
	buffer_load_dword v134, off, s[0:3], 0 offset:196
	buffer_load_dword v132, off, s[0:3], 0 offset:204
	buffer_load_dword v138, off, s[0:3], 0 offset:212
	buffer_load_dword v139, off, s[0:3], 0 offset:232
	buffer_load_dword v141, off, s[0:3], 0 offset:224
	buffer_load_dword v143, off, s[0:3], 0 offset:216
	buffer_load_dword v137, off, s[0:3], 0 offset:208
	buffer_load_dword v144, off, s[0:3], 0 offset:220
	buffer_load_dword v142, off, s[0:3], 0 offset:228
	v_mov_b32_e32 v106, 0
	buffer_load_dword v140, off, s[0:3], 0 offset:236
	s_mov_b32 s4, exec_lo
	ds_read2_b64 v[107:110], v106 offset0:67 offset1:68
	ds_read2_b64 v[111:114], v106 offset0:69 offset1:70
	s_waitcnt vmcnt(28) lgkmcnt(1)
	v_fma_f64 v[107:108], v[115:116], v[107:108], 0
	s_clause 0x7
	buffer_load_dword v116, off, s[0:3], 0 offset:244
	buffer_load_dword v145, off, s[0:3], 0 offset:264
	buffer_load_dword v147, off, s[0:3], 0 offset:256
	buffer_load_dword v149, off, s[0:3], 0 offset:248
	buffer_load_dword v115, off, s[0:3], 0 offset:240
	buffer_load_dword v150, off, s[0:3], 0 offset:252
	buffer_load_dword v148, off, s[0:3], 0 offset:260
	buffer_load_dword v146, off, s[0:3], 0 offset:268
	s_waitcnt vmcnt(34)
	v_fma_f64 v[107:108], v[117:118], v[109:110], v[107:108]
	s_waitcnt vmcnt(32) lgkmcnt(0)
	v_fma_f64 v[107:108], v[119:120], v[111:112], v[107:108]
	s_waitcnt vmcnt(30)
	v_fma_f64 v[117:118], v[121:122], v[113:114], v[107:108]
	ds_read2_b64 v[107:110], v106 offset0:71 offset1:72
	ds_read2_b64 v[111:114], v106 offset0:73 offset1:74
	s_waitcnt vmcnt(28) lgkmcnt(1)
	v_fma_f64 v[107:108], v[123:124], v[107:108], v[117:118]
	s_clause 0x7
	buffer_load_dword v118, off, s[0:3], 0 offset:276
	buffer_load_dword v119, off, s[0:3], 0 offset:296
	buffer_load_dword v121, off, s[0:3], 0 offset:288
	buffer_load_dword v123, off, s[0:3], 0 offset:280
	buffer_load_dword v117, off, s[0:3], 0 offset:272
	buffer_load_dword v124, off, s[0:3], 0 offset:284
	buffer_load_dword v122, off, s[0:3], 0 offset:292
	buffer_load_dword v120, off, s[0:3], 0 offset:300
	s_waitcnt vmcnt(34)
	v_fma_f64 v[107:108], v[125:126], v[109:110], v[107:108]
	s_waitcnt vmcnt(32) lgkmcnt(0)
	v_fma_f64 v[107:108], v[127:128], v[111:112], v[107:108]
	s_waitcnt vmcnt(27)
	v_fma_f64 v[125:126], v[129:130], v[113:114], v[107:108]
	;; [unrolled: 19-line block ×5, first 2 shown]
	ds_read2_b64 v[107:110], v106 offset0:87 offset1:88
	ds_read2_b64 v[111:114], v106 offset0:89 offset1:90
	s_waitcnt vmcnt(26) lgkmcnt(1)
	v_fma_f64 v[107:108], v[123:124], v[107:108], v[117:118]
	s_clause 0x3
	buffer_load_dword v118, off, s[0:3], 0 offset:404
	buffer_load_dword v123, off, s[0:3], 0 offset:408
	;; [unrolled: 1-line block ×4, first 2 shown]
	s_waitcnt vmcnt(29)
	v_fma_f64 v[107:108], v[121:122], v[109:110], v[107:108]
	s_waitcnt vmcnt(28) lgkmcnt(0)
	v_fma_f64 v[107:108], v[119:120], v[111:112], v[107:108]
	s_clause 0x1
	buffer_load_dword v119, off, s[0:3], 0 offset:112
	buffer_load_dword v120, off, s[0:3], 0 offset:116
	s_waitcnt vmcnt(25)
	v_fma_f64 v[121:122], v[125:126], v[113:114], v[107:108]
	ds_read2_b64 v[107:110], v106 offset0:91 offset1:92
	ds_read2_b64 v[111:114], v106 offset0:93 offset1:94
	s_waitcnt vmcnt(24) lgkmcnt(1)
	v_fma_f64 v[107:108], v[135:136], v[107:108], v[121:122]
	s_waitcnt vmcnt(23)
	v_fma_f64 v[107:108], v[129:130], v[109:110], v[107:108]
	s_waitcnt vmcnt(22) lgkmcnt(0)
	v_fma_f64 v[107:108], v[127:128], v[111:112], v[107:108]
	s_waitcnt vmcnt(17)
	v_fma_f64 v[121:122], v[131:132], v[113:114], v[107:108]
	ds_read2_b64 v[107:110], v106 offset0:95 offset1:96
	ds_read2_b64 v[111:114], v106 offset0:97 offset1:98
	s_waitcnt vmcnt(16) lgkmcnt(1)
	v_fma_f64 v[107:108], v[143:144], v[107:108], v[121:122]
	s_waitcnt vmcnt(15)
	v_fma_f64 v[107:108], v[137:138], v[109:110], v[107:108]
	s_waitcnt vmcnt(14) lgkmcnt(0)
	v_fma_f64 v[107:108], v[133:134], v[111:112], v[107:108]
	s_waitcnt vmcnt(9)
	v_fma_f64 v[115:116], v[115:116], v[113:114], v[107:108]
	ds_read2_b64 v[107:110], v106 offset0:99 offset1:100
	ds_read2_b64 v[111:114], v106 offset0:101 offset1:102
	s_waitcnt vmcnt(8) lgkmcnt(1)
	v_fma_f64 v[107:108], v[149:150], v[107:108], v[115:116]
	s_waitcnt vmcnt(7)
	v_fma_f64 v[107:108], v[141:142], v[109:110], v[107:108]
	ds_read_b64 v[109:110], v106 offset:824
	s_waitcnt vmcnt(6) lgkmcnt(1)
	v_fma_f64 v[107:108], v[139:140], v[111:112], v[107:108]
	s_waitcnt vmcnt(3)
	v_fma_f64 v[107:108], v[117:118], v[113:114], v[107:108]
	s_waitcnt vmcnt(2) lgkmcnt(0)
	v_fma_f64 v[107:108], v[123:124], v[109:110], v[107:108]
	s_waitcnt vmcnt(0)
	v_add_f64 v[107:108], v[119:120], -v[107:108]
	buffer_store_dword v108, off, s[0:3], 0 offset:116
	buffer_store_dword v107, off, s[0:3], 0 offset:112
	v_cmpx_lt_u32_e32 13, v0
	s_cbranch_execz .LBB115_295
; %bb.294:
	s_clause 0x1
	buffer_load_dword v107, off, s[0:3], 0 offset:104
	buffer_load_dword v108, off, s[0:3], 0 offset:108
	buffer_store_dword v106, off, s[0:3], 0 offset:104
	buffer_store_dword v106, off, s[0:3], 0 offset:108
	s_waitcnt vmcnt(0)
	ds_write_b64 v105, v[107:108]
.LBB115_295:
	s_or_b32 exec_lo, exec_lo, s4
	s_waitcnt lgkmcnt(0)
	s_waitcnt_vscnt null, 0x0
	s_barrier
	buffer_gl0_inv
	s_clause 0x1c
	buffer_load_dword v115, off, s[0:3], 0 offset:112
	buffer_load_dword v116, off, s[0:3], 0 offset:116
	;; [unrolled: 1-line block ×29, first 2 shown]
	ds_read_b128 v[107:110], v106 offset:528
	ds_read_b128 v[111:114], v106 offset:544
	buffer_load_dword v140, off, s[0:3], 0 offset:228
	s_mov_b32 s4, exec_lo
	s_waitcnt vmcnt(28) lgkmcnt(1)
	v_fma_f64 v[107:108], v[115:116], v[107:108], 0
	s_clause 0x7
	buffer_load_dword v116, off, s[0:3], 0 offset:236
	buffer_load_dword v145, off, s[0:3], 0 offset:256
	buffer_load_dword v147, off, s[0:3], 0 offset:248
	buffer_load_dword v149, off, s[0:3], 0 offset:240
	buffer_load_dword v115, off, s[0:3], 0 offset:232
	buffer_load_dword v150, off, s[0:3], 0 offset:244
	buffer_load_dword v148, off, s[0:3], 0 offset:252
	buffer_load_dword v146, off, s[0:3], 0 offset:260
	s_waitcnt vmcnt(34)
	v_fma_f64 v[107:108], v[117:118], v[109:110], v[107:108]
	s_waitcnt vmcnt(32) lgkmcnt(0)
	v_fma_f64 v[107:108], v[119:120], v[111:112], v[107:108]
	s_waitcnt vmcnt(30)
	v_fma_f64 v[117:118], v[121:122], v[113:114], v[107:108]
	ds_read_b128 v[107:110], v106 offset:560
	ds_read_b128 v[111:114], v106 offset:576
	s_waitcnt vmcnt(28) lgkmcnt(1)
	v_fma_f64 v[107:108], v[123:124], v[107:108], v[117:118]
	s_clause 0x7
	buffer_load_dword v118, off, s[0:3], 0 offset:268
	buffer_load_dword v119, off, s[0:3], 0 offset:288
	buffer_load_dword v121, off, s[0:3], 0 offset:280
	buffer_load_dword v123, off, s[0:3], 0 offset:272
	buffer_load_dword v117, off, s[0:3], 0 offset:264
	buffer_load_dword v124, off, s[0:3], 0 offset:276
	buffer_load_dword v122, off, s[0:3], 0 offset:284
	buffer_load_dword v120, off, s[0:3], 0 offset:292
	s_waitcnt vmcnt(34)
	v_fma_f64 v[107:108], v[125:126], v[109:110], v[107:108]
	s_waitcnt vmcnt(32) lgkmcnt(0)
	v_fma_f64 v[107:108], v[127:128], v[111:112], v[107:108]
	s_waitcnt vmcnt(27)
	v_fma_f64 v[125:126], v[129:130], v[113:114], v[107:108]
	ds_read_b128 v[107:110], v106 offset:592
	ds_read_b128 v[111:114], v106 offset:608
	;; [unrolled: 19-line block ×5, first 2 shown]
	s_waitcnt vmcnt(26) lgkmcnt(1)
	v_fma_f64 v[107:108], v[123:124], v[107:108], v[117:118]
	s_clause 0x5
	buffer_load_dword v118, off, s[0:3], 0 offset:396
	buffer_load_dword v123, off, s[0:3], 0 offset:408
	;; [unrolled: 1-line block ×6, first 2 shown]
	s_waitcnt vmcnt(31)
	v_fma_f64 v[107:108], v[121:122], v[109:110], v[107:108]
	s_waitcnt vmcnt(30) lgkmcnt(0)
	v_fma_f64 v[107:108], v[119:120], v[111:112], v[107:108]
	s_waitcnt vmcnt(25)
	v_fma_f64 v[119:120], v[125:126], v[113:114], v[107:108]
	ds_read_b128 v[107:110], v106 offset:720
	s_clause 0x1
	buffer_load_dword v121, off, s[0:3], 0 offset:104
	buffer_load_dword v122, off, s[0:3], 0 offset:108
	ds_read_b128 v[111:114], v106 offset:736
	s_waitcnt vmcnt(26) lgkmcnt(1)
	v_fma_f64 v[107:108], v[135:136], v[107:108], v[119:120]
	s_waitcnt vmcnt(25)
	v_fma_f64 v[107:108], v[129:130], v[109:110], v[107:108]
	s_waitcnt vmcnt(24) lgkmcnt(0)
	v_fma_f64 v[107:108], v[127:128], v[111:112], v[107:108]
	s_waitcnt vmcnt(19)
	v_fma_f64 v[119:120], v[131:132], v[113:114], v[107:108]
	ds_read_b128 v[107:110], v106 offset:752
	ds_read_b128 v[111:114], v106 offset:768
	s_waitcnt vmcnt(18) lgkmcnt(1)
	v_fma_f64 v[107:108], v[143:144], v[107:108], v[119:120]
	s_waitcnt vmcnt(17)
	v_fma_f64 v[107:108], v[137:138], v[109:110], v[107:108]
	s_waitcnt vmcnt(16) lgkmcnt(0)
	v_fma_f64 v[107:108], v[133:134], v[111:112], v[107:108]
	s_waitcnt vmcnt(11)
	v_fma_f64 v[115:116], v[115:116], v[113:114], v[107:108]
	ds_read_b128 v[107:110], v106 offset:784
	;; [unrolled: 10-line block ×3, first 2 shown]
	s_waitcnt vmcnt(3) lgkmcnt(0)
	v_fma_f64 v[106:107], v[145:146], v[106:107], v[110:111]
	s_waitcnt vmcnt(2)
	v_fma_f64 v[106:107], v[123:124], v[108:109], v[106:107]
	s_waitcnt vmcnt(0)
	v_add_f64 v[106:107], v[121:122], -v[106:107]
	buffer_store_dword v107, off, s[0:3], 0 offset:108
	buffer_store_dword v106, off, s[0:3], 0 offset:104
	v_cmpx_lt_u32_e32 12, v0
	s_cbranch_execz .LBB115_297
; %bb.296:
	s_clause 0x1
	buffer_load_dword v106, off, s[0:3], 0 offset:96
	buffer_load_dword v107, off, s[0:3], 0 offset:100
	v_mov_b32_e32 v108, 0
	buffer_store_dword v108, off, s[0:3], 0 offset:96
	buffer_store_dword v108, off, s[0:3], 0 offset:100
	s_waitcnt vmcnt(0)
	ds_write_b64 v105, v[106:107]
.LBB115_297:
	s_or_b32 exec_lo, exec_lo, s4
	s_waitcnt lgkmcnt(0)
	s_waitcnt_vscnt null, 0x0
	s_barrier
	buffer_gl0_inv
	s_clause 0x1c
	buffer_load_dword v115, off, s[0:3], 0 offset:104
	buffer_load_dword v116, off, s[0:3], 0 offset:108
	;; [unrolled: 1-line block ×29, first 2 shown]
	v_mov_b32_e32 v106, 0
	buffer_load_dword v140, off, s[0:3], 0 offset:220
	s_mov_b32 s4, exec_lo
	ds_read2_b64 v[107:110], v106 offset0:65 offset1:66
	ds_read2_b64 v[111:114], v106 offset0:67 offset1:68
	s_waitcnt vmcnt(28) lgkmcnt(1)
	v_fma_f64 v[107:108], v[115:116], v[107:108], 0
	s_clause 0x7
	buffer_load_dword v116, off, s[0:3], 0 offset:228
	buffer_load_dword v145, off, s[0:3], 0 offset:248
	buffer_load_dword v147, off, s[0:3], 0 offset:240
	buffer_load_dword v149, off, s[0:3], 0 offset:232
	buffer_load_dword v115, off, s[0:3], 0 offset:224
	buffer_load_dword v150, off, s[0:3], 0 offset:236
	buffer_load_dword v148, off, s[0:3], 0 offset:244
	buffer_load_dword v146, off, s[0:3], 0 offset:252
	s_waitcnt vmcnt(34)
	v_fma_f64 v[107:108], v[117:118], v[109:110], v[107:108]
	s_waitcnt vmcnt(32) lgkmcnt(0)
	v_fma_f64 v[107:108], v[119:120], v[111:112], v[107:108]
	s_waitcnt vmcnt(30)
	v_fma_f64 v[117:118], v[121:122], v[113:114], v[107:108]
	ds_read2_b64 v[107:110], v106 offset0:69 offset1:70
	ds_read2_b64 v[111:114], v106 offset0:71 offset1:72
	s_waitcnt vmcnt(28) lgkmcnt(1)
	v_fma_f64 v[107:108], v[123:124], v[107:108], v[117:118]
	s_clause 0x7
	buffer_load_dword v118, off, s[0:3], 0 offset:260
	buffer_load_dword v119, off, s[0:3], 0 offset:280
	buffer_load_dword v121, off, s[0:3], 0 offset:272
	buffer_load_dword v123, off, s[0:3], 0 offset:264
	buffer_load_dword v117, off, s[0:3], 0 offset:256
	buffer_load_dword v124, off, s[0:3], 0 offset:268
	buffer_load_dword v122, off, s[0:3], 0 offset:276
	buffer_load_dword v120, off, s[0:3], 0 offset:284
	s_waitcnt vmcnt(34)
	v_fma_f64 v[107:108], v[125:126], v[109:110], v[107:108]
	s_waitcnt vmcnt(32) lgkmcnt(0)
	v_fma_f64 v[107:108], v[127:128], v[111:112], v[107:108]
	s_waitcnt vmcnt(27)
	v_fma_f64 v[125:126], v[129:130], v[113:114], v[107:108]
	ds_read2_b64 v[107:110], v106 offset0:73 offset1:74
	ds_read2_b64 v[111:114], v106 offset0:75 offset1:76
	s_waitcnt vmcnt(26) lgkmcnt(1)
	v_fma_f64 v[107:108], v[135:136], v[107:108], v[125:126]
	s_clause 0x7
	buffer_load_dword v126, off, s[0:3], 0 offset:292
	buffer_load_dword v127, off, s[0:3], 0 offset:312
	buffer_load_dword v129, off, s[0:3], 0 offset:304
	buffer_load_dword v135, off, s[0:3], 0 offset:296
	buffer_load_dword v125, off, s[0:3], 0 offset:288
	buffer_load_dword v136, off, s[0:3], 0 offset:300
	buffer_load_dword v130, off, s[0:3], 0 offset:308
	buffer_load_dword v128, off, s[0:3], 0 offset:316
	s_waitcnt vmcnt(33)
	v_fma_f64 v[107:108], v[133:134], v[109:110], v[107:108]
	s_waitcnt vmcnt(32) lgkmcnt(0)
	v_fma_f64 v[107:108], v[131:132], v[111:112], v[107:108]
	s_waitcnt vmcnt(27)
	v_fma_f64 v[131:132], v[137:138], v[113:114], v[107:108]
	ds_read2_b64 v[107:110], v106 offset0:77 offset1:78
	ds_read2_b64 v[111:114], v106 offset0:79 offset1:80
	s_waitcnt vmcnt(26) lgkmcnt(1)
	v_fma_f64 v[107:108], v[143:144], v[107:108], v[131:132]
	s_clause 0x7
	buffer_load_dword v132, off, s[0:3], 0 offset:324
	buffer_load_dword v133, off, s[0:3], 0 offset:344
	buffer_load_dword v137, off, s[0:3], 0 offset:336
	buffer_load_dword v143, off, s[0:3], 0 offset:328
	buffer_load_dword v131, off, s[0:3], 0 offset:320
	buffer_load_dword v144, off, s[0:3], 0 offset:332
	buffer_load_dword v138, off, s[0:3], 0 offset:340
	buffer_load_dword v134, off, s[0:3], 0 offset:348
	s_waitcnt vmcnt(33)
	v_fma_f64 v[107:108], v[141:142], v[109:110], v[107:108]
	s_waitcnt vmcnt(32) lgkmcnt(0)
	v_fma_f64 v[107:108], v[139:140], v[111:112], v[107:108]
	s_waitcnt vmcnt(27)
	v_fma_f64 v[115:116], v[115:116], v[113:114], v[107:108]
	ds_read2_b64 v[107:110], v106 offset0:81 offset1:82
	ds_read2_b64 v[111:114], v106 offset0:83 offset1:84
	s_waitcnt vmcnt(26) lgkmcnt(1)
	v_fma_f64 v[107:108], v[149:150], v[107:108], v[115:116]
	s_clause 0x7
	buffer_load_dword v116, off, s[0:3], 0 offset:356
	buffer_load_dword v139, off, s[0:3], 0 offset:376
	buffer_load_dword v141, off, s[0:3], 0 offset:368
	buffer_load_dword v149, off, s[0:3], 0 offset:360
	buffer_load_dword v115, off, s[0:3], 0 offset:352
	buffer_load_dword v150, off, s[0:3], 0 offset:364
	buffer_load_dword v142, off, s[0:3], 0 offset:372
	buffer_load_dword v140, off, s[0:3], 0 offset:380
	s_waitcnt vmcnt(33)
	v_fma_f64 v[107:108], v[147:148], v[109:110], v[107:108]
	s_waitcnt vmcnt(32) lgkmcnt(0)
	v_fma_f64 v[107:108], v[145:146], v[111:112], v[107:108]
	s_waitcnt vmcnt(27)
	v_fma_f64 v[117:118], v[117:118], v[113:114], v[107:108]
	ds_read2_b64 v[107:110], v106 offset0:85 offset1:86
	ds_read2_b64 v[111:114], v106 offset0:87 offset1:88
	s_waitcnt vmcnt(26) lgkmcnt(1)
	v_fma_f64 v[107:108], v[123:124], v[107:108], v[117:118]
	s_clause 0x7
	buffer_load_dword v118, off, s[0:3], 0 offset:388
	buffer_load_dword v123, off, s[0:3], 0 offset:408
	buffer_load_dword v145, off, s[0:3], 0 offset:400
	buffer_load_dword v147, off, s[0:3], 0 offset:392
	buffer_load_dword v117, off, s[0:3], 0 offset:384
	buffer_load_dword v148, off, s[0:3], 0 offset:396
	buffer_load_dword v146, off, s[0:3], 0 offset:404
	buffer_load_dword v124, off, s[0:3], 0 offset:412
	s_waitcnt vmcnt(33)
	v_fma_f64 v[107:108], v[121:122], v[109:110], v[107:108]
	s_waitcnt vmcnt(32) lgkmcnt(0)
	v_fma_f64 v[107:108], v[119:120], v[111:112], v[107:108]
	s_waitcnt vmcnt(27)
	v_fma_f64 v[119:120], v[125:126], v[113:114], v[107:108]
	ds_read2_b64 v[107:110], v106 offset0:89 offset1:90
	ds_read2_b64 v[111:114], v106 offset0:91 offset1:92
	s_waitcnt vmcnt(26) lgkmcnt(1)
	v_fma_f64 v[107:108], v[135:136], v[107:108], v[119:120]
	s_clause 0x1
	buffer_load_dword v119, off, s[0:3], 0 offset:96
	buffer_load_dword v120, off, s[0:3], 0 offset:100
	s_waitcnt vmcnt(27)
	v_fma_f64 v[107:108], v[129:130], v[109:110], v[107:108]
	s_waitcnt vmcnt(26) lgkmcnt(0)
	v_fma_f64 v[107:108], v[127:128], v[111:112], v[107:108]
	s_waitcnt vmcnt(21)
	v_fma_f64 v[121:122], v[131:132], v[113:114], v[107:108]
	ds_read2_b64 v[107:110], v106 offset0:93 offset1:94
	ds_read2_b64 v[111:114], v106 offset0:95 offset1:96
	s_waitcnt vmcnt(20) lgkmcnt(1)
	v_fma_f64 v[107:108], v[143:144], v[107:108], v[121:122]
	s_waitcnt vmcnt(19)
	v_fma_f64 v[107:108], v[137:138], v[109:110], v[107:108]
	s_waitcnt vmcnt(18) lgkmcnt(0)
	v_fma_f64 v[107:108], v[133:134], v[111:112], v[107:108]
	s_waitcnt vmcnt(13)
	v_fma_f64 v[115:116], v[115:116], v[113:114], v[107:108]
	ds_read2_b64 v[107:110], v106 offset0:97 offset1:98
	ds_read2_b64 v[111:114], v106 offset0:99 offset1:100
	s_waitcnt vmcnt(12) lgkmcnt(1)
	v_fma_f64 v[107:108], v[149:150], v[107:108], v[115:116]
	s_waitcnt vmcnt(11)
	v_fma_f64 v[107:108], v[141:142], v[109:110], v[107:108]
	s_waitcnt vmcnt(10) lgkmcnt(0)
	v_fma_f64 v[107:108], v[139:140], v[111:112], v[107:108]
	s_waitcnt vmcnt(5)
	v_fma_f64 v[111:112], v[117:118], v[113:114], v[107:108]
	ds_read2_b64 v[107:110], v106 offset0:101 offset1:102
	ds_read_b64 v[113:114], v106 offset:824
	s_waitcnt vmcnt(4) lgkmcnt(1)
	v_fma_f64 v[107:108], v[147:148], v[107:108], v[111:112]
	s_waitcnt vmcnt(3)
	v_fma_f64 v[107:108], v[145:146], v[109:110], v[107:108]
	s_waitcnt vmcnt(2) lgkmcnt(0)
	v_fma_f64 v[107:108], v[123:124], v[113:114], v[107:108]
	s_waitcnt vmcnt(0)
	v_add_f64 v[107:108], v[119:120], -v[107:108]
	buffer_store_dword v108, off, s[0:3], 0 offset:100
	buffer_store_dword v107, off, s[0:3], 0 offset:96
	v_cmpx_lt_u32_e32 11, v0
	s_cbranch_execz .LBB115_299
; %bb.298:
	s_clause 0x1
	buffer_load_dword v107, off, s[0:3], 0 offset:88
	buffer_load_dword v108, off, s[0:3], 0 offset:92
	buffer_store_dword v106, off, s[0:3], 0 offset:88
	buffer_store_dword v106, off, s[0:3], 0 offset:92
	s_waitcnt vmcnt(0)
	ds_write_b64 v105, v[107:108]
.LBB115_299:
	s_or_b32 exec_lo, exec_lo, s4
	s_waitcnt lgkmcnt(0)
	s_waitcnt_vscnt null, 0x0
	s_barrier
	buffer_gl0_inv
	s_clause 0x1c
	buffer_load_dword v115, off, s[0:3], 0 offset:96
	buffer_load_dword v116, off, s[0:3], 0 offset:100
	;; [unrolled: 1-line block ×29, first 2 shown]
	ds_read_b128 v[107:110], v106 offset:512
	ds_read_b128 v[111:114], v106 offset:528
	buffer_load_dword v140, off, s[0:3], 0 offset:212
	s_mov_b32 s4, exec_lo
	s_waitcnt vmcnt(28) lgkmcnt(1)
	v_fma_f64 v[107:108], v[115:116], v[107:108], 0
	s_clause 0x7
	buffer_load_dword v116, off, s[0:3], 0 offset:220
	buffer_load_dword v145, off, s[0:3], 0 offset:240
	buffer_load_dword v147, off, s[0:3], 0 offset:232
	buffer_load_dword v149, off, s[0:3], 0 offset:224
	buffer_load_dword v115, off, s[0:3], 0 offset:216
	buffer_load_dword v150, off, s[0:3], 0 offset:228
	buffer_load_dword v148, off, s[0:3], 0 offset:236
	buffer_load_dword v146, off, s[0:3], 0 offset:244
	s_waitcnt vmcnt(34)
	v_fma_f64 v[107:108], v[117:118], v[109:110], v[107:108]
	s_waitcnt vmcnt(32) lgkmcnt(0)
	v_fma_f64 v[107:108], v[119:120], v[111:112], v[107:108]
	s_waitcnt vmcnt(30)
	v_fma_f64 v[117:118], v[121:122], v[113:114], v[107:108]
	ds_read_b128 v[107:110], v106 offset:544
	ds_read_b128 v[111:114], v106 offset:560
	s_waitcnt vmcnt(28) lgkmcnt(1)
	v_fma_f64 v[107:108], v[123:124], v[107:108], v[117:118]
	s_clause 0x7
	buffer_load_dword v118, off, s[0:3], 0 offset:252
	buffer_load_dword v119, off, s[0:3], 0 offset:272
	buffer_load_dword v121, off, s[0:3], 0 offset:264
	buffer_load_dword v123, off, s[0:3], 0 offset:256
	buffer_load_dword v117, off, s[0:3], 0 offset:248
	buffer_load_dword v124, off, s[0:3], 0 offset:260
	buffer_load_dword v122, off, s[0:3], 0 offset:268
	buffer_load_dword v120, off, s[0:3], 0 offset:276
	s_waitcnt vmcnt(34)
	v_fma_f64 v[107:108], v[125:126], v[109:110], v[107:108]
	s_waitcnt vmcnt(32) lgkmcnt(0)
	v_fma_f64 v[107:108], v[127:128], v[111:112], v[107:108]
	s_waitcnt vmcnt(27)
	v_fma_f64 v[125:126], v[129:130], v[113:114], v[107:108]
	ds_read_b128 v[107:110], v106 offset:576
	ds_read_b128 v[111:114], v106 offset:592
	s_waitcnt vmcnt(26) lgkmcnt(1)
	v_fma_f64 v[107:108], v[135:136], v[107:108], v[125:126]
	s_clause 0x7
	buffer_load_dword v126, off, s[0:3], 0 offset:284
	buffer_load_dword v127, off, s[0:3], 0 offset:304
	buffer_load_dword v129, off, s[0:3], 0 offset:296
	buffer_load_dword v135, off, s[0:3], 0 offset:288
	buffer_load_dword v125, off, s[0:3], 0 offset:280
	buffer_load_dword v136, off, s[0:3], 0 offset:292
	buffer_load_dword v130, off, s[0:3], 0 offset:300
	buffer_load_dword v128, off, s[0:3], 0 offset:308
	s_waitcnt vmcnt(33)
	v_fma_f64 v[107:108], v[133:134], v[109:110], v[107:108]
	s_waitcnt vmcnt(32) lgkmcnt(0)
	v_fma_f64 v[107:108], v[131:132], v[111:112], v[107:108]
	s_waitcnt vmcnt(27)
	v_fma_f64 v[131:132], v[137:138], v[113:114], v[107:108]
	ds_read_b128 v[107:110], v106 offset:608
	ds_read_b128 v[111:114], v106 offset:624
	s_waitcnt vmcnt(26) lgkmcnt(1)
	v_fma_f64 v[107:108], v[143:144], v[107:108], v[131:132]
	s_clause 0x7
	buffer_load_dword v132, off, s[0:3], 0 offset:316
	buffer_load_dword v133, off, s[0:3], 0 offset:336
	buffer_load_dword v137, off, s[0:3], 0 offset:328
	buffer_load_dword v143, off, s[0:3], 0 offset:320
	buffer_load_dword v131, off, s[0:3], 0 offset:312
	buffer_load_dword v144, off, s[0:3], 0 offset:324
	buffer_load_dword v138, off, s[0:3], 0 offset:332
	buffer_load_dword v134, off, s[0:3], 0 offset:340
	s_waitcnt vmcnt(33)
	v_fma_f64 v[107:108], v[141:142], v[109:110], v[107:108]
	s_waitcnt vmcnt(32) lgkmcnt(0)
	v_fma_f64 v[107:108], v[139:140], v[111:112], v[107:108]
	s_waitcnt vmcnt(27)
	v_fma_f64 v[115:116], v[115:116], v[113:114], v[107:108]
	ds_read_b128 v[107:110], v106 offset:640
	ds_read_b128 v[111:114], v106 offset:656
	s_waitcnt vmcnt(26) lgkmcnt(1)
	v_fma_f64 v[107:108], v[149:150], v[107:108], v[115:116]
	s_clause 0x7
	buffer_load_dword v116, off, s[0:3], 0 offset:348
	buffer_load_dword v139, off, s[0:3], 0 offset:368
	buffer_load_dword v141, off, s[0:3], 0 offset:360
	buffer_load_dword v149, off, s[0:3], 0 offset:352
	buffer_load_dword v115, off, s[0:3], 0 offset:344
	buffer_load_dword v150, off, s[0:3], 0 offset:356
	buffer_load_dword v142, off, s[0:3], 0 offset:364
	buffer_load_dword v140, off, s[0:3], 0 offset:372
	s_waitcnt vmcnt(33)
	v_fma_f64 v[107:108], v[147:148], v[109:110], v[107:108]
	s_waitcnt vmcnt(32) lgkmcnt(0)
	v_fma_f64 v[107:108], v[145:146], v[111:112], v[107:108]
	s_waitcnt vmcnt(27)
	v_fma_f64 v[117:118], v[117:118], v[113:114], v[107:108]
	ds_read_b128 v[107:110], v106 offset:672
	ds_read_b128 v[111:114], v106 offset:688
	s_waitcnt vmcnt(26) lgkmcnt(1)
	v_fma_f64 v[107:108], v[123:124], v[107:108], v[117:118]
	s_clause 0x7
	buffer_load_dword v118, off, s[0:3], 0 offset:380
	buffer_load_dword v123, off, s[0:3], 0 offset:400
	buffer_load_dword v145, off, s[0:3], 0 offset:392
	buffer_load_dword v147, off, s[0:3], 0 offset:384
	buffer_load_dword v117, off, s[0:3], 0 offset:376
	buffer_load_dword v148, off, s[0:3], 0 offset:388
	buffer_load_dword v146, off, s[0:3], 0 offset:396
	buffer_load_dword v124, off, s[0:3], 0 offset:404
	s_waitcnt vmcnt(33)
	v_fma_f64 v[107:108], v[121:122], v[109:110], v[107:108]
	s_waitcnt vmcnt(32) lgkmcnt(0)
	v_fma_f64 v[107:108], v[119:120], v[111:112], v[107:108]
	s_waitcnt vmcnt(27)
	v_fma_f64 v[119:120], v[125:126], v[113:114], v[107:108]
	ds_read_b128 v[107:110], v106 offset:704
	ds_read_b128 v[111:114], v106 offset:720
	s_waitcnt vmcnt(26) lgkmcnt(1)
	v_fma_f64 v[107:108], v[135:136], v[107:108], v[119:120]
	s_clause 0x3
	buffer_load_dword v120, off, s[0:3], 0 offset:412
	buffer_load_dword v119, off, s[0:3], 0 offset:408
	;; [unrolled: 1-line block ×4, first 2 shown]
	s_waitcnt vmcnt(29)
	v_fma_f64 v[107:108], v[129:130], v[109:110], v[107:108]
	s_waitcnt vmcnt(28) lgkmcnt(0)
	v_fma_f64 v[107:108], v[127:128], v[111:112], v[107:108]
	s_waitcnt vmcnt(23)
	v_fma_f64 v[125:126], v[131:132], v[113:114], v[107:108]
	ds_read_b128 v[107:110], v106 offset:736
	ds_read_b128 v[111:114], v106 offset:752
	s_waitcnt vmcnt(22) lgkmcnt(1)
	v_fma_f64 v[107:108], v[143:144], v[107:108], v[125:126]
	s_waitcnt vmcnt(21)
	v_fma_f64 v[107:108], v[137:138], v[109:110], v[107:108]
	s_waitcnt vmcnt(20) lgkmcnt(0)
	v_fma_f64 v[107:108], v[133:134], v[111:112], v[107:108]
	s_waitcnt vmcnt(15)
	v_fma_f64 v[115:116], v[115:116], v[113:114], v[107:108]
	ds_read_b128 v[107:110], v106 offset:768
	ds_read_b128 v[111:114], v106 offset:784
	s_waitcnt vmcnt(14) lgkmcnt(1)
	v_fma_f64 v[107:108], v[149:150], v[107:108], v[115:116]
	;; [unrolled: 10-line block ×3, first 2 shown]
	s_waitcnt vmcnt(5)
	v_fma_f64 v[106:107], v[145:146], v[109:110], v[106:107]
	s_waitcnt vmcnt(4) lgkmcnt(0)
	v_fma_f64 v[106:107], v[123:124], v[111:112], v[106:107]
	s_waitcnt vmcnt(2)
	v_fma_f64 v[106:107], v[119:120], v[113:114], v[106:107]
	s_waitcnt vmcnt(0)
	v_add_f64 v[106:107], v[121:122], -v[106:107]
	buffer_store_dword v107, off, s[0:3], 0 offset:92
	buffer_store_dword v106, off, s[0:3], 0 offset:88
	v_cmpx_lt_u32_e32 10, v0
	s_cbranch_execz .LBB115_301
; %bb.300:
	s_clause 0x1
	buffer_load_dword v106, off, s[0:3], 0 offset:80
	buffer_load_dword v107, off, s[0:3], 0 offset:84
	v_mov_b32_e32 v108, 0
	buffer_store_dword v108, off, s[0:3], 0 offset:80
	buffer_store_dword v108, off, s[0:3], 0 offset:84
	s_waitcnt vmcnt(0)
	ds_write_b64 v105, v[106:107]
.LBB115_301:
	s_or_b32 exec_lo, exec_lo, s4
	s_waitcnt lgkmcnt(0)
	s_waitcnt_vscnt null, 0x0
	s_barrier
	buffer_gl0_inv
	s_clause 0x1c
	buffer_load_dword v115, off, s[0:3], 0 offset:88
	buffer_load_dword v116, off, s[0:3], 0 offset:92
	;; [unrolled: 1-line block ×29, first 2 shown]
	v_mov_b32_e32 v106, 0
	buffer_load_dword v140, off, s[0:3], 0 offset:204
	s_mov_b32 s4, exec_lo
	ds_read2_b64 v[107:110], v106 offset0:63 offset1:64
	ds_read2_b64 v[111:114], v106 offset0:65 offset1:66
	s_waitcnt vmcnt(28) lgkmcnt(1)
	v_fma_f64 v[107:108], v[115:116], v[107:108], 0
	s_clause 0x7
	buffer_load_dword v116, off, s[0:3], 0 offset:212
	buffer_load_dword v145, off, s[0:3], 0 offset:232
	buffer_load_dword v147, off, s[0:3], 0 offset:224
	buffer_load_dword v149, off, s[0:3], 0 offset:216
	buffer_load_dword v115, off, s[0:3], 0 offset:208
	buffer_load_dword v150, off, s[0:3], 0 offset:220
	buffer_load_dword v148, off, s[0:3], 0 offset:228
	buffer_load_dword v146, off, s[0:3], 0 offset:236
	s_waitcnt vmcnt(34)
	v_fma_f64 v[107:108], v[117:118], v[109:110], v[107:108]
	s_waitcnt vmcnt(32) lgkmcnt(0)
	v_fma_f64 v[107:108], v[119:120], v[111:112], v[107:108]
	s_waitcnt vmcnt(30)
	v_fma_f64 v[117:118], v[121:122], v[113:114], v[107:108]
	ds_read2_b64 v[107:110], v106 offset0:67 offset1:68
	ds_read2_b64 v[111:114], v106 offset0:69 offset1:70
	s_waitcnt vmcnt(28) lgkmcnt(1)
	v_fma_f64 v[107:108], v[123:124], v[107:108], v[117:118]
	s_clause 0x7
	buffer_load_dword v118, off, s[0:3], 0 offset:244
	buffer_load_dword v119, off, s[0:3], 0 offset:264
	buffer_load_dword v121, off, s[0:3], 0 offset:256
	buffer_load_dword v123, off, s[0:3], 0 offset:248
	buffer_load_dword v117, off, s[0:3], 0 offset:240
	buffer_load_dword v124, off, s[0:3], 0 offset:252
	buffer_load_dword v122, off, s[0:3], 0 offset:260
	buffer_load_dword v120, off, s[0:3], 0 offset:268
	s_waitcnt vmcnt(34)
	v_fma_f64 v[107:108], v[125:126], v[109:110], v[107:108]
	s_waitcnt vmcnt(32) lgkmcnt(0)
	v_fma_f64 v[107:108], v[127:128], v[111:112], v[107:108]
	s_waitcnt vmcnt(27)
	v_fma_f64 v[125:126], v[129:130], v[113:114], v[107:108]
	ds_read2_b64 v[107:110], v106 offset0:71 offset1:72
	ds_read2_b64 v[111:114], v106 offset0:73 offset1:74
	s_waitcnt vmcnt(26) lgkmcnt(1)
	v_fma_f64 v[107:108], v[135:136], v[107:108], v[125:126]
	s_clause 0x7
	buffer_load_dword v126, off, s[0:3], 0 offset:276
	buffer_load_dword v127, off, s[0:3], 0 offset:296
	buffer_load_dword v129, off, s[0:3], 0 offset:288
	buffer_load_dword v135, off, s[0:3], 0 offset:280
	buffer_load_dword v125, off, s[0:3], 0 offset:272
	buffer_load_dword v136, off, s[0:3], 0 offset:284
	buffer_load_dword v130, off, s[0:3], 0 offset:292
	buffer_load_dword v128, off, s[0:3], 0 offset:300
	s_waitcnt vmcnt(33)
	v_fma_f64 v[107:108], v[133:134], v[109:110], v[107:108]
	s_waitcnt vmcnt(32) lgkmcnt(0)
	v_fma_f64 v[107:108], v[131:132], v[111:112], v[107:108]
	s_waitcnt vmcnt(27)
	v_fma_f64 v[131:132], v[137:138], v[113:114], v[107:108]
	ds_read2_b64 v[107:110], v106 offset0:75 offset1:76
	ds_read2_b64 v[111:114], v106 offset0:77 offset1:78
	s_waitcnt vmcnt(26) lgkmcnt(1)
	v_fma_f64 v[107:108], v[143:144], v[107:108], v[131:132]
	s_clause 0x7
	buffer_load_dword v132, off, s[0:3], 0 offset:308
	buffer_load_dword v133, off, s[0:3], 0 offset:328
	buffer_load_dword v137, off, s[0:3], 0 offset:320
	buffer_load_dword v143, off, s[0:3], 0 offset:312
	buffer_load_dword v131, off, s[0:3], 0 offset:304
	buffer_load_dword v144, off, s[0:3], 0 offset:316
	buffer_load_dword v138, off, s[0:3], 0 offset:324
	buffer_load_dword v134, off, s[0:3], 0 offset:332
	s_waitcnt vmcnt(33)
	v_fma_f64 v[107:108], v[141:142], v[109:110], v[107:108]
	s_waitcnt vmcnt(32) lgkmcnt(0)
	v_fma_f64 v[107:108], v[139:140], v[111:112], v[107:108]
	s_waitcnt vmcnt(27)
	v_fma_f64 v[115:116], v[115:116], v[113:114], v[107:108]
	ds_read2_b64 v[107:110], v106 offset0:79 offset1:80
	ds_read2_b64 v[111:114], v106 offset0:81 offset1:82
	s_waitcnt vmcnt(26) lgkmcnt(1)
	v_fma_f64 v[107:108], v[149:150], v[107:108], v[115:116]
	s_clause 0x7
	buffer_load_dword v116, off, s[0:3], 0 offset:340
	buffer_load_dword v139, off, s[0:3], 0 offset:360
	buffer_load_dword v141, off, s[0:3], 0 offset:352
	buffer_load_dword v149, off, s[0:3], 0 offset:344
	buffer_load_dword v115, off, s[0:3], 0 offset:336
	buffer_load_dword v150, off, s[0:3], 0 offset:348
	buffer_load_dword v142, off, s[0:3], 0 offset:356
	buffer_load_dword v140, off, s[0:3], 0 offset:364
	s_waitcnt vmcnt(33)
	v_fma_f64 v[107:108], v[147:148], v[109:110], v[107:108]
	s_waitcnt vmcnt(32) lgkmcnt(0)
	v_fma_f64 v[107:108], v[145:146], v[111:112], v[107:108]
	s_waitcnt vmcnt(27)
	v_fma_f64 v[117:118], v[117:118], v[113:114], v[107:108]
	ds_read2_b64 v[107:110], v106 offset0:83 offset1:84
	ds_read2_b64 v[111:114], v106 offset0:85 offset1:86
	s_waitcnt vmcnt(26) lgkmcnt(1)
	v_fma_f64 v[107:108], v[123:124], v[107:108], v[117:118]
	s_clause 0x7
	buffer_load_dword v118, off, s[0:3], 0 offset:372
	buffer_load_dword v123, off, s[0:3], 0 offset:392
	buffer_load_dword v145, off, s[0:3], 0 offset:384
	buffer_load_dword v147, off, s[0:3], 0 offset:376
	buffer_load_dword v117, off, s[0:3], 0 offset:368
	buffer_load_dword v148, off, s[0:3], 0 offset:380
	buffer_load_dword v146, off, s[0:3], 0 offset:388
	buffer_load_dword v124, off, s[0:3], 0 offset:396
	s_waitcnt vmcnt(33)
	v_fma_f64 v[107:108], v[121:122], v[109:110], v[107:108]
	s_waitcnt vmcnt(32) lgkmcnt(0)
	v_fma_f64 v[107:108], v[119:120], v[111:112], v[107:108]
	s_waitcnt vmcnt(27)
	v_fma_f64 v[119:120], v[125:126], v[113:114], v[107:108]
	ds_read2_b64 v[107:110], v106 offset0:87 offset1:88
	ds_read2_b64 v[111:114], v106 offset0:89 offset1:90
	s_waitcnt vmcnt(26) lgkmcnt(1)
	v_fma_f64 v[107:108], v[135:136], v[107:108], v[119:120]
	s_clause 0x5
	buffer_load_dword v120, off, s[0:3], 0 offset:404
	buffer_load_dword v121, off, s[0:3], 0 offset:408
	;; [unrolled: 1-line block ×6, first 2 shown]
	s_waitcnt vmcnt(31)
	v_fma_f64 v[107:108], v[129:130], v[109:110], v[107:108]
	s_waitcnt vmcnt(30) lgkmcnt(0)
	v_fma_f64 v[107:108], v[127:128], v[111:112], v[107:108]
	s_waitcnt vmcnt(25)
	v_fma_f64 v[127:128], v[131:132], v[113:114], v[107:108]
	ds_read2_b64 v[107:110], v106 offset0:91 offset1:92
	ds_read2_b64 v[111:114], v106 offset0:93 offset1:94
	s_waitcnt vmcnt(24) lgkmcnt(1)
	v_fma_f64 v[107:108], v[143:144], v[107:108], v[127:128]
	s_waitcnt vmcnt(23)
	v_fma_f64 v[107:108], v[137:138], v[109:110], v[107:108]
	s_waitcnt vmcnt(22) lgkmcnt(0)
	v_fma_f64 v[107:108], v[133:134], v[111:112], v[107:108]
	s_waitcnt vmcnt(17)
	v_fma_f64 v[115:116], v[115:116], v[113:114], v[107:108]
	ds_read2_b64 v[107:110], v106 offset0:95 offset1:96
	ds_read2_b64 v[111:114], v106 offset0:97 offset1:98
	s_waitcnt vmcnt(16) lgkmcnt(1)
	v_fma_f64 v[107:108], v[149:150], v[107:108], v[115:116]
	s_waitcnt vmcnt(15)
	v_fma_f64 v[107:108], v[141:142], v[109:110], v[107:108]
	s_waitcnt vmcnt(14) lgkmcnt(0)
	v_fma_f64 v[107:108], v[139:140], v[111:112], v[107:108]
	s_waitcnt vmcnt(9)
	v_fma_f64 v[115:116], v[117:118], v[113:114], v[107:108]
	ds_read2_b64 v[107:110], v106 offset0:99 offset1:100
	ds_read2_b64 v[111:114], v106 offset0:101 offset1:102
	s_waitcnt vmcnt(8) lgkmcnt(1)
	v_fma_f64 v[107:108], v[147:148], v[107:108], v[115:116]
	s_waitcnt vmcnt(7)
	v_fma_f64 v[107:108], v[145:146], v[109:110], v[107:108]
	ds_read_b64 v[109:110], v106 offset:824
	s_waitcnt vmcnt(6) lgkmcnt(1)
	v_fma_f64 v[107:108], v[123:124], v[111:112], v[107:108]
	s_waitcnt vmcnt(3)
	v_fma_f64 v[107:108], v[119:120], v[113:114], v[107:108]
	s_waitcnt vmcnt(2) lgkmcnt(0)
	v_fma_f64 v[107:108], v[121:122], v[109:110], v[107:108]
	s_waitcnt vmcnt(0)
	v_add_f64 v[107:108], v[125:126], -v[107:108]
	buffer_store_dword v108, off, s[0:3], 0 offset:84
	buffer_store_dword v107, off, s[0:3], 0 offset:80
	v_cmpx_lt_u32_e32 9, v0
	s_cbranch_execz .LBB115_303
; %bb.302:
	s_clause 0x1
	buffer_load_dword v107, off, s[0:3], 0 offset:72
	buffer_load_dword v108, off, s[0:3], 0 offset:76
	buffer_store_dword v106, off, s[0:3], 0 offset:72
	buffer_store_dword v106, off, s[0:3], 0 offset:76
	s_waitcnt vmcnt(0)
	ds_write_b64 v105, v[107:108]
.LBB115_303:
	s_or_b32 exec_lo, exec_lo, s4
	s_waitcnt lgkmcnt(0)
	s_waitcnt_vscnt null, 0x0
	s_barrier
	buffer_gl0_inv
	s_clause 0x1c
	buffer_load_dword v115, off, s[0:3], 0 offset:80
	buffer_load_dword v116, off, s[0:3], 0 offset:84
	buffer_load_dword v117, off, s[0:3], 0 offset:88
	buffer_load_dword v118, off, s[0:3], 0 offset:92
	buffer_load_dword v119, off, s[0:3], 0 offset:96
	buffer_load_dword v120, off, s[0:3], 0 offset:100
	buffer_load_dword v121, off, s[0:3], 0 offset:104
	buffer_load_dword v122, off, s[0:3], 0 offset:108
	buffer_load_dword v123, off, s[0:3], 0 offset:112
	buffer_load_dword v124, off, s[0:3], 0 offset:116
	buffer_load_dword v125, off, s[0:3], 0 offset:120
	buffer_load_dword v126, off, s[0:3], 0 offset:124
	buffer_load_dword v127, off, s[0:3], 0 offset:128
	buffer_load_dword v128, off, s[0:3], 0 offset:132
	buffer_load_dword v130, off, s[0:3], 0 offset:140
	buffer_load_dword v131, off, s[0:3], 0 offset:160
	buffer_load_dword v133, off, s[0:3], 0 offset:152
	buffer_load_dword v135, off, s[0:3], 0 offset:144
	buffer_load_dword v129, off, s[0:3], 0 offset:136
	buffer_load_dword v136, off, s[0:3], 0 offset:148
	buffer_load_dword v134, off, s[0:3], 0 offset:156
	buffer_load_dword v132, off, s[0:3], 0 offset:164
	buffer_load_dword v138, off, s[0:3], 0 offset:172
	buffer_load_dword v139, off, s[0:3], 0 offset:192
	buffer_load_dword v141, off, s[0:3], 0 offset:184
	buffer_load_dword v143, off, s[0:3], 0 offset:176
	buffer_load_dword v137, off, s[0:3], 0 offset:168
	buffer_load_dword v144, off, s[0:3], 0 offset:180
	buffer_load_dword v142, off, s[0:3], 0 offset:188
	ds_read_b128 v[107:110], v106 offset:496
	ds_read_b128 v[111:114], v106 offset:512
	buffer_load_dword v140, off, s[0:3], 0 offset:196
	s_mov_b32 s4, exec_lo
	s_waitcnt vmcnt(28) lgkmcnt(1)
	v_fma_f64 v[107:108], v[115:116], v[107:108], 0
	s_clause 0x7
	buffer_load_dword v116, off, s[0:3], 0 offset:204
	buffer_load_dword v145, off, s[0:3], 0 offset:224
	buffer_load_dword v147, off, s[0:3], 0 offset:216
	buffer_load_dword v149, off, s[0:3], 0 offset:208
	buffer_load_dword v115, off, s[0:3], 0 offset:200
	buffer_load_dword v150, off, s[0:3], 0 offset:212
	buffer_load_dword v148, off, s[0:3], 0 offset:220
	buffer_load_dword v146, off, s[0:3], 0 offset:228
	s_waitcnt vmcnt(34)
	v_fma_f64 v[107:108], v[117:118], v[109:110], v[107:108]
	s_waitcnt vmcnt(32) lgkmcnt(0)
	v_fma_f64 v[107:108], v[119:120], v[111:112], v[107:108]
	s_waitcnt vmcnt(30)
	v_fma_f64 v[117:118], v[121:122], v[113:114], v[107:108]
	ds_read_b128 v[107:110], v106 offset:528
	ds_read_b128 v[111:114], v106 offset:544
	s_waitcnt vmcnt(28) lgkmcnt(1)
	v_fma_f64 v[107:108], v[123:124], v[107:108], v[117:118]
	s_clause 0x7
	buffer_load_dword v118, off, s[0:3], 0 offset:236
	buffer_load_dword v119, off, s[0:3], 0 offset:256
	buffer_load_dword v121, off, s[0:3], 0 offset:248
	buffer_load_dword v123, off, s[0:3], 0 offset:240
	buffer_load_dword v117, off, s[0:3], 0 offset:232
	buffer_load_dword v124, off, s[0:3], 0 offset:244
	buffer_load_dword v122, off, s[0:3], 0 offset:252
	buffer_load_dword v120, off, s[0:3], 0 offset:260
	s_waitcnt vmcnt(34)
	v_fma_f64 v[107:108], v[125:126], v[109:110], v[107:108]
	s_waitcnt vmcnt(32) lgkmcnt(0)
	v_fma_f64 v[107:108], v[127:128], v[111:112], v[107:108]
	s_waitcnt vmcnt(27)
	v_fma_f64 v[125:126], v[129:130], v[113:114], v[107:108]
	ds_read_b128 v[107:110], v106 offset:560
	ds_read_b128 v[111:114], v106 offset:576
	;; [unrolled: 19-line block ×6, first 2 shown]
	s_waitcnt vmcnt(26) lgkmcnt(1)
	v_fma_f64 v[107:108], v[135:136], v[107:108], v[119:120]
	s_clause 0x5
	buffer_load_dword v120, off, s[0:3], 0 offset:396
	buffer_load_dword v121, off, s[0:3], 0 offset:408
	;; [unrolled: 1-line block ×6, first 2 shown]
	s_waitcnt vmcnt(31)
	v_fma_f64 v[107:108], v[129:130], v[109:110], v[107:108]
	s_waitcnt vmcnt(30) lgkmcnt(0)
	v_fma_f64 v[107:108], v[127:128], v[111:112], v[107:108]
	s_waitcnt vmcnt(25)
	v_fma_f64 v[127:128], v[131:132], v[113:114], v[107:108]
	ds_read_b128 v[107:110], v106 offset:720
	s_clause 0x1
	buffer_load_dword v129, off, s[0:3], 0 offset:72
	buffer_load_dword v130, off, s[0:3], 0 offset:76
	ds_read_b128 v[111:114], v106 offset:736
	s_waitcnt vmcnt(26) lgkmcnt(1)
	v_fma_f64 v[107:108], v[143:144], v[107:108], v[127:128]
	s_waitcnt vmcnt(25)
	v_fma_f64 v[107:108], v[137:138], v[109:110], v[107:108]
	s_waitcnt vmcnt(24) lgkmcnt(0)
	v_fma_f64 v[107:108], v[133:134], v[111:112], v[107:108]
	s_waitcnt vmcnt(19)
	v_fma_f64 v[115:116], v[115:116], v[113:114], v[107:108]
	ds_read_b128 v[107:110], v106 offset:752
	ds_read_b128 v[111:114], v106 offset:768
	s_waitcnt vmcnt(18) lgkmcnt(1)
	v_fma_f64 v[107:108], v[149:150], v[107:108], v[115:116]
	s_waitcnt vmcnt(17)
	v_fma_f64 v[107:108], v[141:142], v[109:110], v[107:108]
	s_waitcnt vmcnt(16) lgkmcnt(0)
	v_fma_f64 v[107:108], v[139:140], v[111:112], v[107:108]
	s_waitcnt vmcnt(11)
	v_fma_f64 v[115:116], v[117:118], v[113:114], v[107:108]
	ds_read_b128 v[107:110], v106 offset:784
	ds_read_b128 v[111:114], v106 offset:800
	s_waitcnt vmcnt(10) lgkmcnt(1)
	v_fma_f64 v[107:108], v[147:148], v[107:108], v[115:116]
	s_waitcnt vmcnt(9)
	v_fma_f64 v[107:108], v[145:146], v[109:110], v[107:108]
	s_waitcnt vmcnt(8) lgkmcnt(0)
	v_fma_f64 v[107:108], v[123:124], v[111:112], v[107:108]
	s_waitcnt vmcnt(4)
	v_fma_f64 v[110:111], v[119:120], v[113:114], v[107:108]
	ds_read_b128 v[106:109], v106 offset:816
	s_waitcnt vmcnt(3) lgkmcnt(0)
	v_fma_f64 v[106:107], v[125:126], v[106:107], v[110:111]
	s_waitcnt vmcnt(2)
	v_fma_f64 v[106:107], v[121:122], v[108:109], v[106:107]
	s_waitcnt vmcnt(0)
	v_add_f64 v[106:107], v[129:130], -v[106:107]
	buffer_store_dword v107, off, s[0:3], 0 offset:76
	buffer_store_dword v106, off, s[0:3], 0 offset:72
	v_cmpx_lt_u32_e32 8, v0
	s_cbranch_execz .LBB115_305
; %bb.304:
	s_clause 0x1
	buffer_load_dword v106, off, s[0:3], 0 offset:64
	buffer_load_dword v107, off, s[0:3], 0 offset:68
	v_mov_b32_e32 v108, 0
	buffer_store_dword v108, off, s[0:3], 0 offset:64
	buffer_store_dword v108, off, s[0:3], 0 offset:68
	s_waitcnt vmcnt(0)
	ds_write_b64 v105, v[106:107]
.LBB115_305:
	s_or_b32 exec_lo, exec_lo, s4
	s_waitcnt lgkmcnt(0)
	s_waitcnt_vscnt null, 0x0
	s_barrier
	buffer_gl0_inv
	s_clause 0x1c
	buffer_load_dword v115, off, s[0:3], 0 offset:72
	buffer_load_dword v116, off, s[0:3], 0 offset:76
	;; [unrolled: 1-line block ×29, first 2 shown]
	v_mov_b32_e32 v106, 0
	buffer_load_dword v140, off, s[0:3], 0 offset:188
	s_mov_b32 s4, exec_lo
	ds_read2_b64 v[107:110], v106 offset0:61 offset1:62
	ds_read2_b64 v[111:114], v106 offset0:63 offset1:64
	s_waitcnt vmcnt(28) lgkmcnt(1)
	v_fma_f64 v[107:108], v[115:116], v[107:108], 0
	s_clause 0x7
	buffer_load_dword v116, off, s[0:3], 0 offset:196
	buffer_load_dword v145, off, s[0:3], 0 offset:216
	buffer_load_dword v147, off, s[0:3], 0 offset:208
	buffer_load_dword v149, off, s[0:3], 0 offset:200
	buffer_load_dword v115, off, s[0:3], 0 offset:192
	buffer_load_dword v150, off, s[0:3], 0 offset:204
	buffer_load_dword v148, off, s[0:3], 0 offset:212
	buffer_load_dword v146, off, s[0:3], 0 offset:220
	s_waitcnt vmcnt(34)
	v_fma_f64 v[107:108], v[117:118], v[109:110], v[107:108]
	s_waitcnt vmcnt(32) lgkmcnt(0)
	v_fma_f64 v[107:108], v[119:120], v[111:112], v[107:108]
	s_waitcnt vmcnt(30)
	v_fma_f64 v[117:118], v[121:122], v[113:114], v[107:108]
	ds_read2_b64 v[107:110], v106 offset0:65 offset1:66
	ds_read2_b64 v[111:114], v106 offset0:67 offset1:68
	s_waitcnt vmcnt(28) lgkmcnt(1)
	v_fma_f64 v[107:108], v[123:124], v[107:108], v[117:118]
	s_clause 0x7
	buffer_load_dword v118, off, s[0:3], 0 offset:228
	buffer_load_dword v119, off, s[0:3], 0 offset:248
	buffer_load_dword v121, off, s[0:3], 0 offset:240
	buffer_load_dword v123, off, s[0:3], 0 offset:232
	buffer_load_dword v117, off, s[0:3], 0 offset:224
	buffer_load_dword v124, off, s[0:3], 0 offset:236
	buffer_load_dword v122, off, s[0:3], 0 offset:244
	buffer_load_dword v120, off, s[0:3], 0 offset:252
	s_waitcnt vmcnt(34)
	v_fma_f64 v[107:108], v[125:126], v[109:110], v[107:108]
	s_waitcnt vmcnt(32) lgkmcnt(0)
	v_fma_f64 v[107:108], v[127:128], v[111:112], v[107:108]
	s_waitcnt vmcnt(27)
	v_fma_f64 v[125:126], v[129:130], v[113:114], v[107:108]
	;; [unrolled: 19-line block ×7, first 2 shown]
	ds_read2_b64 v[107:110], v106 offset0:89 offset1:90
	ds_read2_b64 v[111:114], v106 offset0:91 offset1:92
	s_waitcnt vmcnt(26) lgkmcnt(1)
	v_fma_f64 v[107:108], v[143:144], v[107:108], v[127:128]
	s_clause 0x1
	buffer_load_dword v127, off, s[0:3], 0 offset:64
	buffer_load_dword v128, off, s[0:3], 0 offset:68
	s_waitcnt vmcnt(27)
	v_fma_f64 v[107:108], v[137:138], v[109:110], v[107:108]
	s_waitcnt vmcnt(26) lgkmcnt(0)
	v_fma_f64 v[107:108], v[133:134], v[111:112], v[107:108]
	s_waitcnt vmcnt(21)
	v_fma_f64 v[115:116], v[115:116], v[113:114], v[107:108]
	ds_read2_b64 v[107:110], v106 offset0:93 offset1:94
	ds_read2_b64 v[111:114], v106 offset0:95 offset1:96
	s_waitcnt vmcnt(20) lgkmcnt(1)
	v_fma_f64 v[107:108], v[149:150], v[107:108], v[115:116]
	s_waitcnt vmcnt(19)
	v_fma_f64 v[107:108], v[141:142], v[109:110], v[107:108]
	s_waitcnt vmcnt(18) lgkmcnt(0)
	v_fma_f64 v[107:108], v[139:140], v[111:112], v[107:108]
	s_waitcnt vmcnt(13)
	v_fma_f64 v[115:116], v[117:118], v[113:114], v[107:108]
	ds_read2_b64 v[107:110], v106 offset0:97 offset1:98
	ds_read2_b64 v[111:114], v106 offset0:99 offset1:100
	s_waitcnt vmcnt(12) lgkmcnt(1)
	v_fma_f64 v[107:108], v[147:148], v[107:108], v[115:116]
	s_waitcnt vmcnt(11)
	v_fma_f64 v[107:108], v[145:146], v[109:110], v[107:108]
	s_waitcnt vmcnt(10) lgkmcnt(0)
	v_fma_f64 v[107:108], v[123:124], v[111:112], v[107:108]
	s_waitcnt vmcnt(5)
	v_fma_f64 v[111:112], v[119:120], v[113:114], v[107:108]
	ds_read2_b64 v[107:110], v106 offset0:101 offset1:102
	ds_read_b64 v[113:114], v106 offset:824
	s_waitcnt vmcnt(4) lgkmcnt(1)
	v_fma_f64 v[107:108], v[135:136], v[107:108], v[111:112]
	s_waitcnt vmcnt(3)
	v_fma_f64 v[107:108], v[125:126], v[109:110], v[107:108]
	s_waitcnt vmcnt(2) lgkmcnt(0)
	v_fma_f64 v[107:108], v[121:122], v[113:114], v[107:108]
	s_waitcnt vmcnt(0)
	v_add_f64 v[107:108], v[127:128], -v[107:108]
	buffer_store_dword v108, off, s[0:3], 0 offset:68
	buffer_store_dword v107, off, s[0:3], 0 offset:64
	v_cmpx_lt_u32_e32 7, v0
	s_cbranch_execz .LBB115_307
; %bb.306:
	s_clause 0x1
	buffer_load_dword v107, off, s[0:3], 0 offset:56
	buffer_load_dword v108, off, s[0:3], 0 offset:60
	buffer_store_dword v106, off, s[0:3], 0 offset:56
	buffer_store_dword v106, off, s[0:3], 0 offset:60
	s_waitcnt vmcnt(0)
	ds_write_b64 v105, v[107:108]
.LBB115_307:
	s_or_b32 exec_lo, exec_lo, s4
	s_waitcnt lgkmcnt(0)
	s_waitcnt_vscnt null, 0x0
	s_barrier
	buffer_gl0_inv
	s_clause 0x1c
	buffer_load_dword v115, off, s[0:3], 0 offset:64
	buffer_load_dword v116, off, s[0:3], 0 offset:68
	;; [unrolled: 1-line block ×29, first 2 shown]
	ds_read_b128 v[107:110], v106 offset:480
	ds_read_b128 v[111:114], v106 offset:496
	buffer_load_dword v140, off, s[0:3], 0 offset:180
	s_mov_b32 s4, exec_lo
	s_waitcnt vmcnt(28) lgkmcnt(1)
	v_fma_f64 v[107:108], v[115:116], v[107:108], 0
	s_clause 0x7
	buffer_load_dword v116, off, s[0:3], 0 offset:188
	buffer_load_dword v145, off, s[0:3], 0 offset:208
	buffer_load_dword v147, off, s[0:3], 0 offset:200
	buffer_load_dword v149, off, s[0:3], 0 offset:192
	buffer_load_dword v115, off, s[0:3], 0 offset:184
	buffer_load_dword v150, off, s[0:3], 0 offset:196
	buffer_load_dword v148, off, s[0:3], 0 offset:204
	buffer_load_dword v146, off, s[0:3], 0 offset:212
	s_waitcnt vmcnt(34)
	v_fma_f64 v[107:108], v[117:118], v[109:110], v[107:108]
	s_waitcnt vmcnt(32) lgkmcnt(0)
	v_fma_f64 v[107:108], v[119:120], v[111:112], v[107:108]
	s_waitcnt vmcnt(30)
	v_fma_f64 v[117:118], v[121:122], v[113:114], v[107:108]
	ds_read_b128 v[107:110], v106 offset:512
	ds_read_b128 v[111:114], v106 offset:528
	s_waitcnt vmcnt(28) lgkmcnt(1)
	v_fma_f64 v[107:108], v[123:124], v[107:108], v[117:118]
	s_clause 0x7
	buffer_load_dword v118, off, s[0:3], 0 offset:220
	buffer_load_dword v119, off, s[0:3], 0 offset:240
	buffer_load_dword v121, off, s[0:3], 0 offset:232
	buffer_load_dword v123, off, s[0:3], 0 offset:224
	buffer_load_dword v117, off, s[0:3], 0 offset:216
	buffer_load_dword v124, off, s[0:3], 0 offset:228
	buffer_load_dword v122, off, s[0:3], 0 offset:236
	buffer_load_dword v120, off, s[0:3], 0 offset:244
	s_waitcnt vmcnt(34)
	v_fma_f64 v[107:108], v[125:126], v[109:110], v[107:108]
	s_waitcnt vmcnt(32) lgkmcnt(0)
	v_fma_f64 v[107:108], v[127:128], v[111:112], v[107:108]
	s_waitcnt vmcnt(27)
	v_fma_f64 v[125:126], v[129:130], v[113:114], v[107:108]
	ds_read_b128 v[107:110], v106 offset:544
	ds_read_b128 v[111:114], v106 offset:560
	;; [unrolled: 19-line block ×7, first 2 shown]
	s_waitcnt vmcnt(26) lgkmcnt(1)
	v_fma_f64 v[107:108], v[143:144], v[107:108], v[127:128]
	s_clause 0x3
	buffer_load_dword v128, off, s[0:3], 0 offset:412
	buffer_load_dword v127, off, s[0:3], 0 offset:408
	;; [unrolled: 1-line block ×4, first 2 shown]
	s_waitcnt vmcnt(29)
	v_fma_f64 v[107:108], v[137:138], v[109:110], v[107:108]
	s_waitcnt vmcnt(28) lgkmcnt(0)
	v_fma_f64 v[107:108], v[133:134], v[111:112], v[107:108]
	s_waitcnt vmcnt(23)
	v_fma_f64 v[115:116], v[115:116], v[113:114], v[107:108]
	ds_read_b128 v[107:110], v106 offset:736
	ds_read_b128 v[111:114], v106 offset:752
	s_waitcnt vmcnt(22) lgkmcnt(1)
	v_fma_f64 v[107:108], v[149:150], v[107:108], v[115:116]
	s_waitcnt vmcnt(21)
	v_fma_f64 v[107:108], v[141:142], v[109:110], v[107:108]
	s_waitcnt vmcnt(20) lgkmcnt(0)
	v_fma_f64 v[107:108], v[139:140], v[111:112], v[107:108]
	s_waitcnt vmcnt(15)
	v_fma_f64 v[115:116], v[117:118], v[113:114], v[107:108]
	ds_read_b128 v[107:110], v106 offset:768
	ds_read_b128 v[111:114], v106 offset:784
	s_waitcnt vmcnt(14) lgkmcnt(1)
	v_fma_f64 v[107:108], v[147:148], v[107:108], v[115:116]
	s_waitcnt vmcnt(13)
	v_fma_f64 v[107:108], v[145:146], v[109:110], v[107:108]
	s_waitcnt vmcnt(12) lgkmcnt(0)
	v_fma_f64 v[107:108], v[123:124], v[111:112], v[107:108]
	s_waitcnt vmcnt(7)
	v_fma_f64 v[115:116], v[119:120], v[113:114], v[107:108]
	ds_read_b128 v[107:110], v106 offset:800
	ds_read_b128 v[111:114], v106 offset:816
	s_waitcnt vmcnt(6) lgkmcnt(1)
	v_fma_f64 v[106:107], v[135:136], v[107:108], v[115:116]
	s_waitcnt vmcnt(5)
	v_fma_f64 v[106:107], v[125:126], v[109:110], v[106:107]
	s_waitcnt vmcnt(4) lgkmcnt(0)
	v_fma_f64 v[106:107], v[121:122], v[111:112], v[106:107]
	s_waitcnt vmcnt(2)
	v_fma_f64 v[106:107], v[127:128], v[113:114], v[106:107]
	s_waitcnt vmcnt(0)
	v_add_f64 v[106:107], v[129:130], -v[106:107]
	buffer_store_dword v107, off, s[0:3], 0 offset:60
	buffer_store_dword v106, off, s[0:3], 0 offset:56
	v_cmpx_lt_u32_e32 6, v0
	s_cbranch_execz .LBB115_309
; %bb.308:
	s_clause 0x1
	buffer_load_dword v106, off, s[0:3], 0 offset:48
	buffer_load_dword v107, off, s[0:3], 0 offset:52
	v_mov_b32_e32 v108, 0
	buffer_store_dword v108, off, s[0:3], 0 offset:48
	buffer_store_dword v108, off, s[0:3], 0 offset:52
	s_waitcnt vmcnt(0)
	ds_write_b64 v105, v[106:107]
.LBB115_309:
	s_or_b32 exec_lo, exec_lo, s4
	s_waitcnt lgkmcnt(0)
	s_waitcnt_vscnt null, 0x0
	s_barrier
	buffer_gl0_inv
	s_clause 0x1c
	buffer_load_dword v115, off, s[0:3], 0 offset:56
	buffer_load_dword v116, off, s[0:3], 0 offset:60
	;; [unrolled: 1-line block ×29, first 2 shown]
	v_mov_b32_e32 v106, 0
	buffer_load_dword v140, off, s[0:3], 0 offset:172
	s_mov_b32 s4, exec_lo
	ds_read2_b64 v[107:110], v106 offset0:59 offset1:60
	ds_read2_b64 v[111:114], v106 offset0:61 offset1:62
	s_waitcnt vmcnt(28) lgkmcnt(1)
	v_fma_f64 v[107:108], v[115:116], v[107:108], 0
	s_clause 0x7
	buffer_load_dword v116, off, s[0:3], 0 offset:180
	buffer_load_dword v145, off, s[0:3], 0 offset:200
	buffer_load_dword v147, off, s[0:3], 0 offset:192
	buffer_load_dword v149, off, s[0:3], 0 offset:184
	buffer_load_dword v115, off, s[0:3], 0 offset:176
	buffer_load_dword v150, off, s[0:3], 0 offset:188
	buffer_load_dword v148, off, s[0:3], 0 offset:196
	buffer_load_dword v146, off, s[0:3], 0 offset:204
	s_waitcnt vmcnt(34)
	v_fma_f64 v[107:108], v[117:118], v[109:110], v[107:108]
	s_waitcnt vmcnt(32) lgkmcnt(0)
	v_fma_f64 v[107:108], v[119:120], v[111:112], v[107:108]
	s_waitcnt vmcnt(30)
	v_fma_f64 v[117:118], v[121:122], v[113:114], v[107:108]
	ds_read2_b64 v[107:110], v106 offset0:63 offset1:64
	ds_read2_b64 v[111:114], v106 offset0:65 offset1:66
	s_waitcnt vmcnt(28) lgkmcnt(1)
	v_fma_f64 v[107:108], v[123:124], v[107:108], v[117:118]
	s_clause 0x7
	buffer_load_dword v118, off, s[0:3], 0 offset:212
	buffer_load_dword v119, off, s[0:3], 0 offset:232
	buffer_load_dword v121, off, s[0:3], 0 offset:224
	buffer_load_dword v123, off, s[0:3], 0 offset:216
	buffer_load_dword v117, off, s[0:3], 0 offset:208
	buffer_load_dword v124, off, s[0:3], 0 offset:220
	buffer_load_dword v122, off, s[0:3], 0 offset:228
	buffer_load_dword v120, off, s[0:3], 0 offset:236
	s_waitcnt vmcnt(34)
	v_fma_f64 v[107:108], v[125:126], v[109:110], v[107:108]
	s_waitcnt vmcnt(32) lgkmcnt(0)
	v_fma_f64 v[107:108], v[127:128], v[111:112], v[107:108]
	s_waitcnt vmcnt(27)
	v_fma_f64 v[125:126], v[129:130], v[113:114], v[107:108]
	;; [unrolled: 19-line block ×7, first 2 shown]
	ds_read2_b64 v[107:110], v106 offset0:87 offset1:88
	ds_read2_b64 v[111:114], v106 offset0:89 offset1:90
	s_waitcnt vmcnt(26) lgkmcnt(1)
	v_fma_f64 v[107:108], v[143:144], v[107:108], v[127:128]
	s_clause 0x5
	buffer_load_dword v128, off, s[0:3], 0 offset:404
	buffer_load_dword v129, off, s[0:3], 0 offset:408
	;; [unrolled: 1-line block ×6, first 2 shown]
	s_waitcnt vmcnt(31)
	v_fma_f64 v[107:108], v[137:138], v[109:110], v[107:108]
	s_waitcnt vmcnt(30) lgkmcnt(0)
	v_fma_f64 v[107:108], v[133:134], v[111:112], v[107:108]
	s_waitcnt vmcnt(25)
	v_fma_f64 v[115:116], v[115:116], v[113:114], v[107:108]
	ds_read2_b64 v[107:110], v106 offset0:91 offset1:92
	ds_read2_b64 v[111:114], v106 offset0:93 offset1:94
	s_waitcnt vmcnt(24) lgkmcnt(1)
	v_fma_f64 v[107:108], v[149:150], v[107:108], v[115:116]
	s_waitcnt vmcnt(23)
	v_fma_f64 v[107:108], v[141:142], v[109:110], v[107:108]
	s_waitcnt vmcnt(22) lgkmcnt(0)
	v_fma_f64 v[107:108], v[139:140], v[111:112], v[107:108]
	s_waitcnt vmcnt(17)
	v_fma_f64 v[115:116], v[117:118], v[113:114], v[107:108]
	ds_read2_b64 v[107:110], v106 offset0:95 offset1:96
	ds_read2_b64 v[111:114], v106 offset0:97 offset1:98
	s_waitcnt vmcnt(16) lgkmcnt(1)
	v_fma_f64 v[107:108], v[147:148], v[107:108], v[115:116]
	;; [unrolled: 10-line block ×3, first 2 shown]
	s_waitcnt vmcnt(7)
	v_fma_f64 v[107:108], v[125:126], v[109:110], v[107:108]
	ds_read_b64 v[109:110], v106 offset:824
	s_waitcnt vmcnt(6) lgkmcnt(1)
	v_fma_f64 v[107:108], v[121:122], v[111:112], v[107:108]
	s_waitcnt vmcnt(3)
	v_fma_f64 v[107:108], v[127:128], v[113:114], v[107:108]
	s_waitcnt vmcnt(2) lgkmcnt(0)
	v_fma_f64 v[107:108], v[129:130], v[109:110], v[107:108]
	s_waitcnt vmcnt(0)
	v_add_f64 v[107:108], v[131:132], -v[107:108]
	buffer_store_dword v108, off, s[0:3], 0 offset:52
	buffer_store_dword v107, off, s[0:3], 0 offset:48
	v_cmpx_lt_u32_e32 5, v0
	s_cbranch_execz .LBB115_311
; %bb.310:
	s_clause 0x1
	buffer_load_dword v107, off, s[0:3], 0 offset:40
	buffer_load_dword v108, off, s[0:3], 0 offset:44
	buffer_store_dword v106, off, s[0:3], 0 offset:40
	buffer_store_dword v106, off, s[0:3], 0 offset:44
	s_waitcnt vmcnt(0)
	ds_write_b64 v105, v[107:108]
.LBB115_311:
	s_or_b32 exec_lo, exec_lo, s4
	s_waitcnt lgkmcnt(0)
	s_waitcnt_vscnt null, 0x0
	s_barrier
	buffer_gl0_inv
	s_clause 0x1c
	buffer_load_dword v115, off, s[0:3], 0 offset:48
	buffer_load_dword v116, off, s[0:3], 0 offset:52
	;; [unrolled: 1-line block ×29, first 2 shown]
	ds_read_b128 v[107:110], v106 offset:464
	ds_read_b128 v[111:114], v106 offset:480
	buffer_load_dword v140, off, s[0:3], 0 offset:164
	s_mov_b32 s4, exec_lo
	s_waitcnt vmcnt(28) lgkmcnt(1)
	v_fma_f64 v[107:108], v[115:116], v[107:108], 0
	s_clause 0x7
	buffer_load_dword v116, off, s[0:3], 0 offset:172
	buffer_load_dword v145, off, s[0:3], 0 offset:192
	buffer_load_dword v147, off, s[0:3], 0 offset:184
	buffer_load_dword v149, off, s[0:3], 0 offset:176
	buffer_load_dword v115, off, s[0:3], 0 offset:168
	buffer_load_dword v150, off, s[0:3], 0 offset:180
	buffer_load_dword v148, off, s[0:3], 0 offset:188
	buffer_load_dword v146, off, s[0:3], 0 offset:196
	s_waitcnt vmcnt(34)
	v_fma_f64 v[107:108], v[117:118], v[109:110], v[107:108]
	s_waitcnt vmcnt(32) lgkmcnt(0)
	v_fma_f64 v[107:108], v[119:120], v[111:112], v[107:108]
	s_waitcnt vmcnt(30)
	v_fma_f64 v[117:118], v[121:122], v[113:114], v[107:108]
	ds_read_b128 v[107:110], v106 offset:496
	ds_read_b128 v[111:114], v106 offset:512
	s_waitcnt vmcnt(28) lgkmcnt(1)
	v_fma_f64 v[107:108], v[123:124], v[107:108], v[117:118]
	s_clause 0x7
	buffer_load_dword v118, off, s[0:3], 0 offset:204
	buffer_load_dword v119, off, s[0:3], 0 offset:224
	buffer_load_dword v121, off, s[0:3], 0 offset:216
	buffer_load_dword v123, off, s[0:3], 0 offset:208
	buffer_load_dword v117, off, s[0:3], 0 offset:200
	buffer_load_dword v124, off, s[0:3], 0 offset:212
	buffer_load_dword v122, off, s[0:3], 0 offset:220
	buffer_load_dword v120, off, s[0:3], 0 offset:228
	s_waitcnt vmcnt(34)
	v_fma_f64 v[107:108], v[125:126], v[109:110], v[107:108]
	s_waitcnt vmcnt(32) lgkmcnt(0)
	v_fma_f64 v[107:108], v[127:128], v[111:112], v[107:108]
	s_waitcnt vmcnt(27)
	v_fma_f64 v[125:126], v[129:130], v[113:114], v[107:108]
	ds_read_b128 v[107:110], v106 offset:528
	ds_read_b128 v[111:114], v106 offset:544
	;; [unrolled: 19-line block ×7, first 2 shown]
	s_waitcnt vmcnt(26) lgkmcnt(1)
	v_fma_f64 v[107:108], v[143:144], v[107:108], v[127:128]
	s_clause 0x5
	buffer_load_dword v128, off, s[0:3], 0 offset:396
	buffer_load_dword v129, off, s[0:3], 0 offset:408
	;; [unrolled: 1-line block ×6, first 2 shown]
	s_waitcnt vmcnt(31)
	v_fma_f64 v[107:108], v[137:138], v[109:110], v[107:108]
	s_waitcnt vmcnt(30) lgkmcnt(0)
	v_fma_f64 v[107:108], v[133:134], v[111:112], v[107:108]
	s_waitcnt vmcnt(25)
	v_fma_f64 v[115:116], v[115:116], v[113:114], v[107:108]
	ds_read_b128 v[107:110], v106 offset:720
	s_clause 0x1
	buffer_load_dword v133, off, s[0:3], 0 offset:40
	buffer_load_dword v134, off, s[0:3], 0 offset:44
	ds_read_b128 v[111:114], v106 offset:736
	s_waitcnt vmcnt(26) lgkmcnt(1)
	v_fma_f64 v[107:108], v[149:150], v[107:108], v[115:116]
	s_waitcnt vmcnt(25)
	v_fma_f64 v[107:108], v[141:142], v[109:110], v[107:108]
	s_waitcnt vmcnt(24) lgkmcnt(0)
	v_fma_f64 v[107:108], v[139:140], v[111:112], v[107:108]
	s_waitcnt vmcnt(19)
	v_fma_f64 v[115:116], v[117:118], v[113:114], v[107:108]
	ds_read_b128 v[107:110], v106 offset:752
	ds_read_b128 v[111:114], v106 offset:768
	s_waitcnt vmcnt(18) lgkmcnt(1)
	v_fma_f64 v[107:108], v[147:148], v[107:108], v[115:116]
	s_waitcnt vmcnt(17)
	v_fma_f64 v[107:108], v[145:146], v[109:110], v[107:108]
	s_waitcnt vmcnt(16) lgkmcnt(0)
	v_fma_f64 v[107:108], v[123:124], v[111:112], v[107:108]
	s_waitcnt vmcnt(11)
	v_fma_f64 v[115:116], v[119:120], v[113:114], v[107:108]
	ds_read_b128 v[107:110], v106 offset:784
	;; [unrolled: 10-line block ×3, first 2 shown]
	s_waitcnt vmcnt(3) lgkmcnt(0)
	v_fma_f64 v[106:107], v[131:132], v[106:107], v[110:111]
	s_waitcnt vmcnt(2)
	v_fma_f64 v[106:107], v[129:130], v[108:109], v[106:107]
	s_waitcnt vmcnt(0)
	v_add_f64 v[106:107], v[133:134], -v[106:107]
	buffer_store_dword v107, off, s[0:3], 0 offset:44
	buffer_store_dword v106, off, s[0:3], 0 offset:40
	v_cmpx_lt_u32_e32 4, v0
	s_cbranch_execz .LBB115_313
; %bb.312:
	s_clause 0x1
	buffer_load_dword v106, off, s[0:3], 0 offset:32
	buffer_load_dword v107, off, s[0:3], 0 offset:36
	v_mov_b32_e32 v108, 0
	buffer_store_dword v108, off, s[0:3], 0 offset:32
	buffer_store_dword v108, off, s[0:3], 0 offset:36
	s_waitcnt vmcnt(0)
	ds_write_b64 v105, v[106:107]
.LBB115_313:
	s_or_b32 exec_lo, exec_lo, s4
	s_waitcnt lgkmcnt(0)
	s_waitcnt_vscnt null, 0x0
	s_barrier
	buffer_gl0_inv
	s_clause 0x1c
	buffer_load_dword v115, off, s[0:3], 0 offset:40
	buffer_load_dword v116, off, s[0:3], 0 offset:44
	;; [unrolled: 1-line block ×29, first 2 shown]
	v_mov_b32_e32 v106, 0
	buffer_load_dword v140, off, s[0:3], 0 offset:156
	s_mov_b32 s4, exec_lo
	ds_read2_b64 v[107:110], v106 offset0:57 offset1:58
	ds_read2_b64 v[111:114], v106 offset0:59 offset1:60
	s_waitcnt vmcnt(28) lgkmcnt(1)
	v_fma_f64 v[107:108], v[115:116], v[107:108], 0
	s_clause 0x7
	buffer_load_dword v116, off, s[0:3], 0 offset:164
	buffer_load_dword v145, off, s[0:3], 0 offset:184
	buffer_load_dword v147, off, s[0:3], 0 offset:176
	buffer_load_dword v149, off, s[0:3], 0 offset:168
	buffer_load_dword v115, off, s[0:3], 0 offset:160
	buffer_load_dword v150, off, s[0:3], 0 offset:172
	buffer_load_dword v148, off, s[0:3], 0 offset:180
	buffer_load_dword v146, off, s[0:3], 0 offset:188
	s_waitcnt vmcnt(34)
	v_fma_f64 v[107:108], v[117:118], v[109:110], v[107:108]
	s_waitcnt vmcnt(32) lgkmcnt(0)
	v_fma_f64 v[107:108], v[119:120], v[111:112], v[107:108]
	s_waitcnt vmcnt(30)
	v_fma_f64 v[117:118], v[121:122], v[113:114], v[107:108]
	ds_read2_b64 v[107:110], v106 offset0:61 offset1:62
	ds_read2_b64 v[111:114], v106 offset0:63 offset1:64
	s_waitcnt vmcnt(28) lgkmcnt(1)
	v_fma_f64 v[107:108], v[123:124], v[107:108], v[117:118]
	s_clause 0x7
	buffer_load_dword v118, off, s[0:3], 0 offset:196
	buffer_load_dword v119, off, s[0:3], 0 offset:216
	buffer_load_dword v121, off, s[0:3], 0 offset:208
	buffer_load_dword v123, off, s[0:3], 0 offset:200
	buffer_load_dword v117, off, s[0:3], 0 offset:192
	buffer_load_dword v124, off, s[0:3], 0 offset:204
	buffer_load_dword v122, off, s[0:3], 0 offset:212
	buffer_load_dword v120, off, s[0:3], 0 offset:220
	s_waitcnt vmcnt(34)
	v_fma_f64 v[107:108], v[125:126], v[109:110], v[107:108]
	s_waitcnt vmcnt(32) lgkmcnt(0)
	v_fma_f64 v[107:108], v[127:128], v[111:112], v[107:108]
	s_waitcnt vmcnt(27)
	v_fma_f64 v[125:126], v[129:130], v[113:114], v[107:108]
	;; [unrolled: 19-line block ×8, first 2 shown]
	ds_read2_b64 v[107:110], v106 offset0:89 offset1:90
	ds_read2_b64 v[111:114], v106 offset0:91 offset1:92
	s_waitcnt vmcnt(26) lgkmcnt(1)
	v_fma_f64 v[107:108], v[149:150], v[107:108], v[115:116]
	s_clause 0x1
	buffer_load_dword v115, off, s[0:3], 0 offset:32
	buffer_load_dword v116, off, s[0:3], 0 offset:36
	s_waitcnt vmcnt(27)
	v_fma_f64 v[107:108], v[141:142], v[109:110], v[107:108]
	s_waitcnt vmcnt(26) lgkmcnt(0)
	v_fma_f64 v[107:108], v[139:140], v[111:112], v[107:108]
	s_waitcnt vmcnt(21)
	v_fma_f64 v[117:118], v[117:118], v[113:114], v[107:108]
	ds_read2_b64 v[107:110], v106 offset0:93 offset1:94
	ds_read2_b64 v[111:114], v106 offset0:95 offset1:96
	s_waitcnt vmcnt(20) lgkmcnt(1)
	v_fma_f64 v[107:108], v[147:148], v[107:108], v[117:118]
	s_waitcnt vmcnt(19)
	v_fma_f64 v[107:108], v[145:146], v[109:110], v[107:108]
	s_waitcnt vmcnt(18) lgkmcnt(0)
	v_fma_f64 v[107:108], v[123:124], v[111:112], v[107:108]
	s_waitcnt vmcnt(13)
	v_fma_f64 v[117:118], v[119:120], v[113:114], v[107:108]
	ds_read2_b64 v[107:110], v106 offset0:97 offset1:98
	ds_read2_b64 v[111:114], v106 offset0:99 offset1:100
	s_waitcnt vmcnt(12) lgkmcnt(1)
	v_fma_f64 v[107:108], v[135:136], v[107:108], v[117:118]
	s_waitcnt vmcnt(11)
	v_fma_f64 v[107:108], v[125:126], v[109:110], v[107:108]
	s_waitcnt vmcnt(10) lgkmcnt(0)
	v_fma_f64 v[107:108], v[121:122], v[111:112], v[107:108]
	s_waitcnt vmcnt(5)
	v_fma_f64 v[111:112], v[127:128], v[113:114], v[107:108]
	ds_read2_b64 v[107:110], v106 offset0:101 offset1:102
	ds_read_b64 v[113:114], v106 offset:824
	s_waitcnt vmcnt(4) lgkmcnt(1)
	v_fma_f64 v[107:108], v[143:144], v[107:108], v[111:112]
	s_waitcnt vmcnt(3)
	v_fma_f64 v[107:108], v[131:132], v[109:110], v[107:108]
	s_waitcnt vmcnt(2) lgkmcnt(0)
	v_fma_f64 v[107:108], v[129:130], v[113:114], v[107:108]
	s_waitcnt vmcnt(0)
	v_add_f64 v[107:108], v[115:116], -v[107:108]
	buffer_store_dword v108, off, s[0:3], 0 offset:36
	buffer_store_dword v107, off, s[0:3], 0 offset:32
	v_cmpx_lt_u32_e32 3, v0
	s_cbranch_execz .LBB115_315
; %bb.314:
	s_clause 0x1
	buffer_load_dword v107, off, s[0:3], 0 offset:24
	buffer_load_dword v108, off, s[0:3], 0 offset:28
	buffer_store_dword v106, off, s[0:3], 0 offset:24
	buffer_store_dword v106, off, s[0:3], 0 offset:28
	s_waitcnt vmcnt(0)
	ds_write_b64 v105, v[107:108]
.LBB115_315:
	s_or_b32 exec_lo, exec_lo, s4
	s_waitcnt lgkmcnt(0)
	s_waitcnt_vscnt null, 0x0
	s_barrier
	buffer_gl0_inv
	s_clause 0x1c
	buffer_load_dword v115, off, s[0:3], 0 offset:32
	buffer_load_dword v116, off, s[0:3], 0 offset:36
	;; [unrolled: 1-line block ×29, first 2 shown]
	ds_read_b128 v[107:110], v106 offset:448
	ds_read_b128 v[111:114], v106 offset:464
	buffer_load_dword v140, off, s[0:3], 0 offset:148
	s_mov_b32 s4, exec_lo
	s_waitcnt vmcnt(28) lgkmcnt(1)
	v_fma_f64 v[107:108], v[115:116], v[107:108], 0
	s_clause 0x7
	buffer_load_dword v116, off, s[0:3], 0 offset:156
	buffer_load_dword v145, off, s[0:3], 0 offset:176
	buffer_load_dword v147, off, s[0:3], 0 offset:168
	buffer_load_dword v149, off, s[0:3], 0 offset:160
	buffer_load_dword v115, off, s[0:3], 0 offset:152
	buffer_load_dword v150, off, s[0:3], 0 offset:164
	buffer_load_dword v148, off, s[0:3], 0 offset:172
	buffer_load_dword v146, off, s[0:3], 0 offset:180
	s_waitcnt vmcnt(34)
	v_fma_f64 v[107:108], v[117:118], v[109:110], v[107:108]
	s_waitcnt vmcnt(32) lgkmcnt(0)
	v_fma_f64 v[107:108], v[119:120], v[111:112], v[107:108]
	s_waitcnt vmcnt(30)
	v_fma_f64 v[117:118], v[121:122], v[113:114], v[107:108]
	ds_read_b128 v[107:110], v106 offset:480
	ds_read_b128 v[111:114], v106 offset:496
	s_waitcnt vmcnt(28) lgkmcnt(1)
	v_fma_f64 v[107:108], v[123:124], v[107:108], v[117:118]
	s_clause 0x7
	buffer_load_dword v118, off, s[0:3], 0 offset:188
	buffer_load_dword v119, off, s[0:3], 0 offset:208
	buffer_load_dword v121, off, s[0:3], 0 offset:200
	buffer_load_dword v123, off, s[0:3], 0 offset:192
	buffer_load_dword v117, off, s[0:3], 0 offset:184
	buffer_load_dword v124, off, s[0:3], 0 offset:196
	buffer_load_dword v122, off, s[0:3], 0 offset:204
	buffer_load_dword v120, off, s[0:3], 0 offset:212
	s_waitcnt vmcnt(34)
	v_fma_f64 v[107:108], v[125:126], v[109:110], v[107:108]
	s_waitcnt vmcnt(32) lgkmcnt(0)
	v_fma_f64 v[107:108], v[127:128], v[111:112], v[107:108]
	s_waitcnt vmcnt(27)
	v_fma_f64 v[125:126], v[129:130], v[113:114], v[107:108]
	ds_read_b128 v[107:110], v106 offset:512
	ds_read_b128 v[111:114], v106 offset:528
	;; [unrolled: 19-line block ×8, first 2 shown]
	s_waitcnt vmcnt(26) lgkmcnt(1)
	v_fma_f64 v[107:108], v[149:150], v[107:108], v[115:116]
	s_clause 0x3
	buffer_load_dword v116, off, s[0:3], 0 offset:412
	buffer_load_dword v115, off, s[0:3], 0 offset:408
	;; [unrolled: 1-line block ×4, first 2 shown]
	s_waitcnt vmcnt(29)
	v_fma_f64 v[107:108], v[141:142], v[109:110], v[107:108]
	s_waitcnt vmcnt(28) lgkmcnt(0)
	v_fma_f64 v[107:108], v[139:140], v[111:112], v[107:108]
	s_waitcnt vmcnt(23)
	v_fma_f64 v[117:118], v[117:118], v[113:114], v[107:108]
	ds_read_b128 v[107:110], v106 offset:736
	ds_read_b128 v[111:114], v106 offset:752
	s_waitcnt vmcnt(22) lgkmcnt(1)
	v_fma_f64 v[107:108], v[147:148], v[107:108], v[117:118]
	s_waitcnt vmcnt(21)
	v_fma_f64 v[107:108], v[145:146], v[109:110], v[107:108]
	s_waitcnt vmcnt(20) lgkmcnt(0)
	v_fma_f64 v[107:108], v[123:124], v[111:112], v[107:108]
	s_waitcnt vmcnt(15)
	v_fma_f64 v[117:118], v[119:120], v[113:114], v[107:108]
	ds_read_b128 v[107:110], v106 offset:768
	ds_read_b128 v[111:114], v106 offset:784
	s_waitcnt vmcnt(14) lgkmcnt(1)
	v_fma_f64 v[107:108], v[135:136], v[107:108], v[117:118]
	;; [unrolled: 10-line block ×3, first 2 shown]
	s_waitcnt vmcnt(5)
	v_fma_f64 v[106:107], v[131:132], v[109:110], v[106:107]
	s_waitcnt vmcnt(4) lgkmcnt(0)
	v_fma_f64 v[106:107], v[129:130], v[111:112], v[106:107]
	s_waitcnt vmcnt(2)
	v_fma_f64 v[106:107], v[115:116], v[113:114], v[106:107]
	s_waitcnt vmcnt(0)
	v_add_f64 v[106:107], v[133:134], -v[106:107]
	buffer_store_dword v107, off, s[0:3], 0 offset:28
	buffer_store_dword v106, off, s[0:3], 0 offset:24
	v_cmpx_lt_u32_e32 2, v0
	s_cbranch_execz .LBB115_317
; %bb.316:
	s_clause 0x1
	buffer_load_dword v106, off, s[0:3], 0 offset:16
	buffer_load_dword v107, off, s[0:3], 0 offset:20
	v_mov_b32_e32 v108, 0
	buffer_store_dword v108, off, s[0:3], 0 offset:16
	buffer_store_dword v108, off, s[0:3], 0 offset:20
	s_waitcnt vmcnt(0)
	ds_write_b64 v105, v[106:107]
.LBB115_317:
	s_or_b32 exec_lo, exec_lo, s4
	s_waitcnt lgkmcnt(0)
	s_waitcnt_vscnt null, 0x0
	s_barrier
	buffer_gl0_inv
	s_clause 0x1c
	buffer_load_dword v115, off, s[0:3], 0 offset:24
	buffer_load_dword v116, off, s[0:3], 0 offset:28
	;; [unrolled: 1-line block ×29, first 2 shown]
	v_mov_b32_e32 v106, 0
	buffer_load_dword v140, off, s[0:3], 0 offset:140
	s_mov_b32 s4, exec_lo
	ds_read2_b64 v[107:110], v106 offset0:55 offset1:56
	ds_read2_b64 v[111:114], v106 offset0:57 offset1:58
	s_waitcnt vmcnt(28) lgkmcnt(1)
	v_fma_f64 v[107:108], v[115:116], v[107:108], 0
	s_clause 0x7
	buffer_load_dword v116, off, s[0:3], 0 offset:148
	buffer_load_dword v145, off, s[0:3], 0 offset:168
	buffer_load_dword v147, off, s[0:3], 0 offset:160
	buffer_load_dword v149, off, s[0:3], 0 offset:152
	buffer_load_dword v115, off, s[0:3], 0 offset:144
	buffer_load_dword v150, off, s[0:3], 0 offset:156
	buffer_load_dword v148, off, s[0:3], 0 offset:164
	buffer_load_dword v146, off, s[0:3], 0 offset:172
	s_waitcnt vmcnt(34)
	v_fma_f64 v[107:108], v[117:118], v[109:110], v[107:108]
	s_waitcnt vmcnt(32) lgkmcnt(0)
	v_fma_f64 v[107:108], v[119:120], v[111:112], v[107:108]
	s_waitcnt vmcnt(30)
	v_fma_f64 v[117:118], v[121:122], v[113:114], v[107:108]
	ds_read2_b64 v[107:110], v106 offset0:59 offset1:60
	ds_read2_b64 v[111:114], v106 offset0:61 offset1:62
	s_waitcnt vmcnt(28) lgkmcnt(1)
	v_fma_f64 v[107:108], v[123:124], v[107:108], v[117:118]
	s_clause 0x7
	buffer_load_dword v118, off, s[0:3], 0 offset:180
	buffer_load_dword v119, off, s[0:3], 0 offset:200
	buffer_load_dword v121, off, s[0:3], 0 offset:192
	buffer_load_dword v123, off, s[0:3], 0 offset:184
	buffer_load_dword v117, off, s[0:3], 0 offset:176
	buffer_load_dword v124, off, s[0:3], 0 offset:188
	buffer_load_dword v122, off, s[0:3], 0 offset:196
	buffer_load_dword v120, off, s[0:3], 0 offset:204
	s_waitcnt vmcnt(34)
	v_fma_f64 v[107:108], v[125:126], v[109:110], v[107:108]
	s_waitcnt vmcnt(32) lgkmcnt(0)
	v_fma_f64 v[107:108], v[127:128], v[111:112], v[107:108]
	s_waitcnt vmcnt(27)
	v_fma_f64 v[125:126], v[129:130], v[113:114], v[107:108]
	;; [unrolled: 19-line block ×8, first 2 shown]
	ds_read2_b64 v[107:110], v106 offset0:87 offset1:88
	ds_read2_b64 v[111:114], v106 offset0:89 offset1:90
	s_waitcnt vmcnt(26) lgkmcnt(1)
	v_fma_f64 v[107:108], v[149:150], v[107:108], v[115:116]
	s_clause 0x5
	buffer_load_dword v116, off, s[0:3], 0 offset:404
	buffer_load_dword v133, off, s[0:3], 0 offset:408
	buffer_load_dword v115, off, s[0:3], 0 offset:400
	buffer_load_dword v134, off, s[0:3], 0 offset:412
	buffer_load_dword v137, off, s[0:3], 0 offset:16
	buffer_load_dword v138, off, s[0:3], 0 offset:20
	s_waitcnt vmcnt(31)
	v_fma_f64 v[107:108], v[141:142], v[109:110], v[107:108]
	s_waitcnt vmcnt(30) lgkmcnt(0)
	v_fma_f64 v[107:108], v[139:140], v[111:112], v[107:108]
	s_waitcnt vmcnt(25)
	v_fma_f64 v[117:118], v[117:118], v[113:114], v[107:108]
	ds_read2_b64 v[107:110], v106 offset0:91 offset1:92
	ds_read2_b64 v[111:114], v106 offset0:93 offset1:94
	s_waitcnt vmcnt(24) lgkmcnt(1)
	v_fma_f64 v[107:108], v[147:148], v[107:108], v[117:118]
	s_waitcnt vmcnt(23)
	v_fma_f64 v[107:108], v[145:146], v[109:110], v[107:108]
	s_waitcnt vmcnt(22) lgkmcnt(0)
	v_fma_f64 v[107:108], v[123:124], v[111:112], v[107:108]
	s_waitcnt vmcnt(17)
	v_fma_f64 v[117:118], v[119:120], v[113:114], v[107:108]
	ds_read2_b64 v[107:110], v106 offset0:95 offset1:96
	ds_read2_b64 v[111:114], v106 offset0:97 offset1:98
	s_waitcnt vmcnt(16) lgkmcnt(1)
	v_fma_f64 v[107:108], v[135:136], v[107:108], v[117:118]
	;; [unrolled: 10-line block ×3, first 2 shown]
	s_waitcnt vmcnt(7)
	v_fma_f64 v[107:108], v[131:132], v[109:110], v[107:108]
	ds_read_b64 v[109:110], v106 offset:824
	s_waitcnt vmcnt(6) lgkmcnt(1)
	v_fma_f64 v[107:108], v[129:130], v[111:112], v[107:108]
	s_waitcnt vmcnt(3)
	v_fma_f64 v[107:108], v[115:116], v[113:114], v[107:108]
	s_waitcnt vmcnt(2) lgkmcnt(0)
	v_fma_f64 v[107:108], v[133:134], v[109:110], v[107:108]
	s_waitcnt vmcnt(0)
	v_add_f64 v[107:108], v[137:138], -v[107:108]
	buffer_store_dword v108, off, s[0:3], 0 offset:20
	buffer_store_dword v107, off, s[0:3], 0 offset:16
	v_cmpx_lt_u32_e32 1, v0
	s_cbranch_execz .LBB115_319
; %bb.318:
	s_clause 0x1
	buffer_load_dword v107, off, s[0:3], 0 offset:8
	buffer_load_dword v108, off, s[0:3], 0 offset:12
	buffer_store_dword v106, off, s[0:3], 0 offset:8
	buffer_store_dword v106, off, s[0:3], 0 offset:12
	s_waitcnt vmcnt(0)
	ds_write_b64 v105, v[107:108]
.LBB115_319:
	s_or_b32 exec_lo, exec_lo, s4
	s_waitcnt lgkmcnt(0)
	s_waitcnt_vscnt null, 0x0
	s_barrier
	buffer_gl0_inv
	s_clause 0x1c
	buffer_load_dword v115, off, s[0:3], 0 offset:16
	buffer_load_dword v116, off, s[0:3], 0 offset:20
	;; [unrolled: 1-line block ×29, first 2 shown]
	ds_read_b128 v[107:110], v106 offset:432
	ds_read_b128 v[111:114], v106 offset:448
	buffer_load_dword v140, off, s[0:3], 0 offset:132
	s_mov_b32 s4, exec_lo
	s_waitcnt vmcnt(28) lgkmcnt(1)
	v_fma_f64 v[107:108], v[115:116], v[107:108], 0
	s_clause 0x7
	buffer_load_dword v116, off, s[0:3], 0 offset:140
	buffer_load_dword v145, off, s[0:3], 0 offset:160
	buffer_load_dword v147, off, s[0:3], 0 offset:152
	buffer_load_dword v149, off, s[0:3], 0 offset:144
	buffer_load_dword v115, off, s[0:3], 0 offset:136
	buffer_load_dword v150, off, s[0:3], 0 offset:148
	buffer_load_dword v148, off, s[0:3], 0 offset:156
	buffer_load_dword v146, off, s[0:3], 0 offset:164
	s_waitcnt vmcnt(34)
	v_fma_f64 v[107:108], v[117:118], v[109:110], v[107:108]
	s_waitcnt vmcnt(32) lgkmcnt(0)
	v_fma_f64 v[107:108], v[119:120], v[111:112], v[107:108]
	s_waitcnt vmcnt(30)
	v_fma_f64 v[117:118], v[121:122], v[113:114], v[107:108]
	ds_read_b128 v[107:110], v106 offset:464
	ds_read_b128 v[111:114], v106 offset:480
	s_waitcnt vmcnt(28) lgkmcnt(1)
	v_fma_f64 v[107:108], v[123:124], v[107:108], v[117:118]
	s_clause 0x7
	buffer_load_dword v118, off, s[0:3], 0 offset:172
	buffer_load_dword v119, off, s[0:3], 0 offset:192
	buffer_load_dword v121, off, s[0:3], 0 offset:184
	buffer_load_dword v123, off, s[0:3], 0 offset:176
	buffer_load_dword v117, off, s[0:3], 0 offset:168
	buffer_load_dword v124, off, s[0:3], 0 offset:180
	buffer_load_dword v122, off, s[0:3], 0 offset:188
	buffer_load_dword v120, off, s[0:3], 0 offset:196
	s_waitcnt vmcnt(34)
	v_fma_f64 v[107:108], v[125:126], v[109:110], v[107:108]
	s_waitcnt vmcnt(32) lgkmcnt(0)
	v_fma_f64 v[107:108], v[127:128], v[111:112], v[107:108]
	s_waitcnt vmcnt(27)
	v_fma_f64 v[125:126], v[129:130], v[113:114], v[107:108]
	ds_read_b128 v[107:110], v106 offset:496
	ds_read_b128 v[111:114], v106 offset:512
	;; [unrolled: 19-line block ×8, first 2 shown]
	s_waitcnt vmcnt(26) lgkmcnt(1)
	v_fma_f64 v[107:108], v[149:150], v[107:108], v[115:116]
	s_clause 0x5
	buffer_load_dword v116, off, s[0:3], 0 offset:396
	buffer_load_dword v133, off, s[0:3], 0 offset:408
	;; [unrolled: 1-line block ×6, first 2 shown]
	s_waitcnt vmcnt(31)
	v_fma_f64 v[107:108], v[141:142], v[109:110], v[107:108]
	s_waitcnt vmcnt(30) lgkmcnt(0)
	v_fma_f64 v[107:108], v[139:140], v[111:112], v[107:108]
	s_waitcnt vmcnt(25)
	v_fma_f64 v[117:118], v[117:118], v[113:114], v[107:108]
	ds_read_b128 v[107:110], v106 offset:720
	s_clause 0x1
	buffer_load_dword v139, off, s[0:3], 0 offset:8
	buffer_load_dword v140, off, s[0:3], 0 offset:12
	ds_read_b128 v[111:114], v106 offset:736
	s_waitcnt vmcnt(26) lgkmcnt(1)
	v_fma_f64 v[107:108], v[147:148], v[107:108], v[117:118]
	s_waitcnt vmcnt(25)
	v_fma_f64 v[107:108], v[145:146], v[109:110], v[107:108]
	s_waitcnt vmcnt(24) lgkmcnt(0)
	v_fma_f64 v[107:108], v[123:124], v[111:112], v[107:108]
	s_waitcnt vmcnt(19)
	v_fma_f64 v[117:118], v[119:120], v[113:114], v[107:108]
	ds_read_b128 v[107:110], v106 offset:752
	ds_read_b128 v[111:114], v106 offset:768
	s_waitcnt vmcnt(18) lgkmcnt(1)
	v_fma_f64 v[107:108], v[135:136], v[107:108], v[117:118]
	s_waitcnt vmcnt(17)
	v_fma_f64 v[107:108], v[125:126], v[109:110], v[107:108]
	s_waitcnt vmcnt(16) lgkmcnt(0)
	v_fma_f64 v[107:108], v[121:122], v[111:112], v[107:108]
	s_waitcnt vmcnt(11)
	v_fma_f64 v[117:118], v[127:128], v[113:114], v[107:108]
	ds_read_b128 v[107:110], v106 offset:784
	;; [unrolled: 10-line block ×3, first 2 shown]
	s_waitcnt vmcnt(3) lgkmcnt(0)
	v_fma_f64 v[106:107], v[137:138], v[106:107], v[110:111]
	s_waitcnt vmcnt(2)
	v_fma_f64 v[106:107], v[133:134], v[108:109], v[106:107]
	s_waitcnt vmcnt(0)
	v_add_f64 v[106:107], v[139:140], -v[106:107]
	buffer_store_dword v107, off, s[0:3], 0 offset:12
	buffer_store_dword v106, off, s[0:3], 0 offset:8
	v_cmpx_ne_u32_e32 0, v0
	s_cbranch_execz .LBB115_321
; %bb.320:
	s_clause 0x1
	buffer_load_dword v106, off, s[0:3], 0
	buffer_load_dword v107, off, s[0:3], 0 offset:4
	v_mov_b32_e32 v0, 0
	buffer_store_dword v0, off, s[0:3], 0
	buffer_store_dword v0, off, s[0:3], 0 offset:4
	s_waitcnt vmcnt(0)
	ds_write_b64 v105, v[106:107]
.LBB115_321:
	s_or_b32 exec_lo, exec_lo, s4
	s_waitcnt lgkmcnt(0)
	s_waitcnt_vscnt null, 0x0
	s_barrier
	buffer_gl0_inv
	s_clause 0x1c
	buffer_load_dword v113, off, s[0:3], 0 offset:8
	buffer_load_dword v114, off, s[0:3], 0 offset:12
	;; [unrolled: 1-line block ×29, first 2 shown]
	v_mov_b32_e32 v0, 0
	buffer_load_dword v138, off, s[0:3], 0 offset:124
	s_and_b32 vcc_lo, exec_lo, s16
	ds_read2_b64 v[105:108], v0 offset0:53 offset1:54
	ds_read2_b64 v[109:112], v0 offset0:55 offset1:56
	s_waitcnt vmcnt(28) lgkmcnt(1)
	v_fma_f64 v[105:106], v[113:114], v[105:106], 0
	s_clause 0x7
	buffer_load_dword v114, off, s[0:3], 0 offset:132
	buffer_load_dword v143, off, s[0:3], 0 offset:152
	buffer_load_dword v145, off, s[0:3], 0 offset:144
	buffer_load_dword v147, off, s[0:3], 0 offset:136
	buffer_load_dword v113, off, s[0:3], 0 offset:128
	buffer_load_dword v148, off, s[0:3], 0 offset:140
	buffer_load_dword v146, off, s[0:3], 0 offset:148
	buffer_load_dword v144, off, s[0:3], 0 offset:156
	s_waitcnt vmcnt(34)
	v_fma_f64 v[105:106], v[115:116], v[107:108], v[105:106]
	s_waitcnt vmcnt(32) lgkmcnt(0)
	v_fma_f64 v[105:106], v[117:118], v[109:110], v[105:106]
	s_waitcnt vmcnt(30)
	v_fma_f64 v[115:116], v[119:120], v[111:112], v[105:106]
	ds_read2_b64 v[105:108], v0 offset0:57 offset1:58
	ds_read2_b64 v[109:112], v0 offset0:59 offset1:60
	s_waitcnt vmcnt(28) lgkmcnt(1)
	v_fma_f64 v[105:106], v[121:122], v[105:106], v[115:116]
	s_clause 0x7
	buffer_load_dword v116, off, s[0:3], 0 offset:164
	buffer_load_dword v117, off, s[0:3], 0 offset:184
	buffer_load_dword v119, off, s[0:3], 0 offset:176
	buffer_load_dword v121, off, s[0:3], 0 offset:168
	buffer_load_dword v115, off, s[0:3], 0 offset:160
	buffer_load_dword v122, off, s[0:3], 0 offset:172
	buffer_load_dword v120, off, s[0:3], 0 offset:180
	buffer_load_dword v118, off, s[0:3], 0 offset:188
	s_waitcnt vmcnt(34)
	v_fma_f64 v[105:106], v[123:124], v[107:108], v[105:106]
	s_waitcnt vmcnt(32) lgkmcnt(0)
	v_fma_f64 v[105:106], v[125:126], v[109:110], v[105:106]
	s_waitcnt vmcnt(27)
	v_fma_f64 v[123:124], v[127:128], v[111:112], v[105:106]
	;; [unrolled: 19-line block ×8, first 2 shown]
	ds_read2_b64 v[105:108], v0 offset0:85 offset1:86
	ds_read2_b64 v[109:112], v0 offset0:87 offset1:88
	s_waitcnt vmcnt(26) lgkmcnt(1)
	v_fma_f64 v[113:114], v[147:148], v[105:106], v[113:114]
	s_clause 0x6
	buffer_load_dword v132, off, s[0:3], 0 offset:388
	buffer_load_dword v135, off, s[0:3], 0 offset:408
	;; [unrolled: 1-line block ×7, first 2 shown]
	s_waitcnt vmcnt(32)
	v_fma_f64 v[106:107], v[139:140], v[107:108], v[113:114]
	s_waitcnt vmcnt(31) lgkmcnt(0)
	v_fma_f64 v[107:108], v[137:138], v[109:110], v[106:107]
	buffer_load_dword v106, off, s[0:3], 0 offset:404
	s_waitcnt vmcnt(27)
	v_fma_f64 v[115:116], v[115:116], v[111:112], v[107:108]
	ds_read2_b64 v[107:110], v0 offset0:89 offset1:90
	ds_read2_b64 v[111:114], v0 offset0:91 offset1:92
	s_waitcnt vmcnt(26) lgkmcnt(1)
	v_fma_f64 v[107:108], v[145:146], v[107:108], v[115:116]
	s_clause 0x1
	buffer_load_dword v115, off, s[0:3], 0
	buffer_load_dword v116, off, s[0:3], 0 offset:4
	s_waitcnt vmcnt(27)
	v_fma_f64 v[107:108], v[143:144], v[109:110], v[107:108]
	s_waitcnt vmcnt(26) lgkmcnt(0)
	v_fma_f64 v[107:108], v[121:122], v[111:112], v[107:108]
	s_waitcnt vmcnt(21)
	v_fma_f64 v[117:118], v[117:118], v[113:114], v[107:108]
	ds_read2_b64 v[107:110], v0 offset0:93 offset1:94
	ds_read2_b64 v[111:114], v0 offset0:95 offset1:96
	s_waitcnt vmcnt(20) lgkmcnt(1)
	v_fma_f64 v[107:108], v[133:134], v[107:108], v[117:118]
	s_waitcnt vmcnt(19)
	v_fma_f64 v[107:108], v[123:124], v[109:110], v[107:108]
	s_waitcnt vmcnt(18) lgkmcnt(0)
	v_fma_f64 v[107:108], v[119:120], v[111:112], v[107:108]
	s_waitcnt vmcnt(13)
	v_fma_f64 v[117:118], v[125:126], v[113:114], v[107:108]
	ds_read2_b64 v[107:110], v0 offset0:97 offset1:98
	ds_read2_b64 v[111:114], v0 offset0:99 offset1:100
	s_waitcnt vmcnt(12) lgkmcnt(1)
	v_fma_f64 v[107:108], v[141:142], v[107:108], v[117:118]
	s_waitcnt vmcnt(11)
	v_fma_f64 v[107:108], v[129:130], v[109:110], v[107:108]
	s_waitcnt vmcnt(10) lgkmcnt(0)
	v_fma_f64 v[107:108], v[127:128], v[111:112], v[107:108]
	s_waitcnt vmcnt(5)
	v_fma_f64 v[111:112], v[131:132], v[113:114], v[107:108]
	ds_read2_b64 v[107:110], v0 offset0:101 offset1:102
	ds_read_b64 v[113:114], v0 offset:824
	s_waitcnt vmcnt(4) lgkmcnt(1)
	v_fma_f64 v[107:108], v[147:148], v[107:108], v[111:112]
	s_waitcnt vmcnt(2)
	v_fma_f64 v[107:108], v[105:106], v[109:110], v[107:108]
	s_waitcnt lgkmcnt(0)
	v_fma_f64 v[107:108], v[135:136], v[113:114], v[107:108]
	s_waitcnt vmcnt(0)
	v_add_f64 v[107:108], v[115:116], -v[107:108]
	buffer_store_dword v108, off, s[0:3], 0 offset:4
	buffer_store_dword v107, off, s[0:3], 0
	s_cbranch_vccz .LBB115_424
; %bb.322:
	global_load_dword v0, v0, s[12:13] offset:200
	s_waitcnt vmcnt(0)
	v_add_nc_u32_e32 v0, -1, v0
	v_cmp_ne_u32_e32 vcc_lo, 50, v0
	s_cbranch_vccz .LBB115_324
; %bb.323:
	v_lshlrev_b32_e32 v0, 3, v0
	s_clause 0x1
	buffer_load_dword v107, v0, s[0:3], 0 offen offset:4
	buffer_load_dword v108, v0, s[0:3], 0 offen
	s_waitcnt vmcnt(1)
	buffer_store_dword v107, off, s[0:3], 0 offset:404
	s_waitcnt vmcnt(0)
	buffer_store_dword v108, off, s[0:3], 0 offset:400
	buffer_store_dword v106, v0, s[0:3], 0 offen offset:4
	buffer_store_dword v105, v0, s[0:3], 0 offen
.LBB115_324:
	v_mov_b32_e32 v0, 0
	global_load_dword v105, v0, s[12:13] offset:196
	s_waitcnt vmcnt(0)
	v_add_nc_u32_e32 v105, -1, v105
	v_cmp_eq_u32_e32 vcc_lo, 49, v105
	s_cbranch_vccnz .LBB115_326
; %bb.325:
	v_lshlrev_b32_e32 v105, 3, v105
	s_clause 0x3
	buffer_load_dword v106, v105, s[0:3], 0 offen
	buffer_load_dword v107, v105, s[0:3], 0 offen offset:4
	buffer_load_dword v108, off, s[0:3], 0 offset:392
	buffer_load_dword v109, off, s[0:3], 0 offset:396
	s_waitcnt vmcnt(3)
	buffer_store_dword v106, off, s[0:3], 0 offset:392
	s_waitcnt vmcnt(2)
	buffer_store_dword v107, off, s[0:3], 0 offset:396
	s_waitcnt vmcnt(1)
	buffer_store_dword v108, v105, s[0:3], 0 offen
	s_waitcnt vmcnt(0)
	buffer_store_dword v109, v105, s[0:3], 0 offen offset:4
.LBB115_326:
	global_load_dword v0, v0, s[12:13] offset:192
	s_waitcnt vmcnt(0)
	v_add_nc_u32_e32 v0, -1, v0
	v_cmp_eq_u32_e32 vcc_lo, 48, v0
	s_cbranch_vccnz .LBB115_328
; %bb.327:
	v_lshlrev_b32_e32 v0, 3, v0
	s_clause 0x3
	buffer_load_dword v105, v0, s[0:3], 0 offen
	buffer_load_dword v106, v0, s[0:3], 0 offen offset:4
	buffer_load_dword v107, off, s[0:3], 0 offset:388
	buffer_load_dword v108, off, s[0:3], 0 offset:384
	s_waitcnt vmcnt(3)
	buffer_store_dword v105, off, s[0:3], 0 offset:384
	s_waitcnt vmcnt(2)
	buffer_store_dword v106, off, s[0:3], 0 offset:388
	s_waitcnt vmcnt(1)
	buffer_store_dword v107, v0, s[0:3], 0 offen offset:4
	s_waitcnt vmcnt(0)
	buffer_store_dword v108, v0, s[0:3], 0 offen
.LBB115_328:
	v_mov_b32_e32 v0, 0
	global_load_dword v105, v0, s[12:13] offset:188
	s_waitcnt vmcnt(0)
	v_add_nc_u32_e32 v105, -1, v105
	v_cmp_eq_u32_e32 vcc_lo, 47, v105
	s_cbranch_vccnz .LBB115_330
; %bb.329:
	v_lshlrev_b32_e32 v105, 3, v105
	s_clause 0x3
	buffer_load_dword v106, v105, s[0:3], 0 offen
	buffer_load_dword v107, v105, s[0:3], 0 offen offset:4
	buffer_load_dword v108, off, s[0:3], 0 offset:376
	buffer_load_dword v109, off, s[0:3], 0 offset:380
	s_waitcnt vmcnt(3)
	buffer_store_dword v106, off, s[0:3], 0 offset:376
	s_waitcnt vmcnt(2)
	buffer_store_dword v107, off, s[0:3], 0 offset:380
	s_waitcnt vmcnt(1)
	buffer_store_dword v108, v105, s[0:3], 0 offen
	s_waitcnt vmcnt(0)
	buffer_store_dword v109, v105, s[0:3], 0 offen offset:4
.LBB115_330:
	global_load_dword v0, v0, s[12:13] offset:184
	s_waitcnt vmcnt(0)
	v_add_nc_u32_e32 v0, -1, v0
	v_cmp_eq_u32_e32 vcc_lo, 46, v0
	s_cbranch_vccnz .LBB115_332
; %bb.331:
	v_lshlrev_b32_e32 v0, 3, v0
	s_clause 0x3
	buffer_load_dword v105, v0, s[0:3], 0 offen
	buffer_load_dword v106, v0, s[0:3], 0 offen offset:4
	buffer_load_dword v107, off, s[0:3], 0 offset:372
	buffer_load_dword v108, off, s[0:3], 0 offset:368
	s_waitcnt vmcnt(3)
	buffer_store_dword v105, off, s[0:3], 0 offset:368
	s_waitcnt vmcnt(2)
	buffer_store_dword v106, off, s[0:3], 0 offset:372
	s_waitcnt vmcnt(1)
	buffer_store_dword v107, v0, s[0:3], 0 offen offset:4
	s_waitcnt vmcnt(0)
	buffer_store_dword v108, v0, s[0:3], 0 offen
.LBB115_332:
	;; [unrolled: 43-line block ×24, first 2 shown]
	v_mov_b32_e32 v0, 0
	global_load_dword v105, v0, s[12:13] offset:4
	s_waitcnt vmcnt(0)
	v_add_nc_u32_e32 v105, -1, v105
	v_cmp_eq_u32_e32 vcc_lo, 1, v105
	s_cbranch_vccnz .LBB115_422
; %bb.421:
	v_lshlrev_b32_e32 v105, 3, v105
	s_clause 0x3
	buffer_load_dword v106, v105, s[0:3], 0 offen
	buffer_load_dword v107, v105, s[0:3], 0 offen offset:4
	buffer_load_dword v108, off, s[0:3], 0 offset:8
	buffer_load_dword v109, off, s[0:3], 0 offset:12
	s_waitcnt vmcnt(3)
	buffer_store_dword v106, off, s[0:3], 0 offset:8
	s_waitcnt vmcnt(2)
	buffer_store_dword v107, off, s[0:3], 0 offset:12
	s_waitcnt vmcnt(1)
	buffer_store_dword v108, v105, s[0:3], 0 offen
	s_waitcnt vmcnt(0)
	buffer_store_dword v109, v105, s[0:3], 0 offen offset:4
.LBB115_422:
	global_load_dword v0, v0, s[12:13]
	s_clause 0x1
	buffer_load_dword v107, off, s[0:3], 0
	buffer_load_dword v108, off, s[0:3], 0 offset:4
	s_waitcnt vmcnt(2)
	v_add_nc_u32_e32 v0, -1, v0
	v_cmp_eq_u32_e32 vcc_lo, 0, v0
	s_cbranch_vccnz .LBB115_424
; %bb.423:
	v_lshlrev_b32_e32 v0, 3, v0
	s_clause 0x1
	buffer_load_dword v105, v0, s[0:3], 0 offen offset:4
	buffer_load_dword v106, v0, s[0:3], 0 offen
	s_waitcnt vmcnt(1)
	buffer_store_dword v105, off, s[0:3], 0 offset:4
	s_waitcnt vmcnt(0)
	buffer_store_dword v106, off, s[0:3], 0
	buffer_store_dword v108, v0, s[0:3], 0 offen offset:4
	buffer_store_dword v107, v0, s[0:3], 0 offen
	s_clause 0x1
	buffer_load_dword v107, off, s[0:3], 0
	buffer_load_dword v108, off, s[0:3], 0 offset:4
.LBB115_424:
	s_waitcnt vmcnt(0)
	flat_store_dwordx2 v[1:2], v[107:108]
	s_clause 0x1
	buffer_load_dword v0, off, s[0:3], 0 offset:8
	buffer_load_dword v1, off, s[0:3], 0 offset:12
	s_waitcnt vmcnt(0)
	flat_store_dwordx2 v[3:4], v[0:1]
	s_clause 0x1
	buffer_load_dword v0, off, s[0:3], 0 offset:16
	buffer_load_dword v1, off, s[0:3], 0 offset:20
	;; [unrolled: 5-line block ×51, first 2 shown]
	s_waitcnt vmcnt(0)
	flat_store_dwordx2 v[103:104], v[0:1]
	s_endpgm
	.section	.rodata,"a",@progbits
	.p2align	6, 0x0
	.amdhsa_kernel _ZN9rocsolver6v33100L18getri_kernel_smallILi52EdPKPdEEvT1_iilPiilS6_bb
		.amdhsa_group_segment_fixed_size 840
		.amdhsa_private_segment_fixed_size 432
		.amdhsa_kernarg_size 60
		.amdhsa_user_sgpr_count 6
		.amdhsa_user_sgpr_private_segment_buffer 1
		.amdhsa_user_sgpr_dispatch_ptr 0
		.amdhsa_user_sgpr_queue_ptr 0
		.amdhsa_user_sgpr_kernarg_segment_ptr 1
		.amdhsa_user_sgpr_dispatch_id 0
		.amdhsa_user_sgpr_flat_scratch_init 0
		.amdhsa_user_sgpr_private_segment_size 0
		.amdhsa_wavefront_size32 1
		.amdhsa_uses_dynamic_stack 0
		.amdhsa_system_sgpr_private_segment_wavefront_offset 1
		.amdhsa_system_sgpr_workgroup_id_x 1
		.amdhsa_system_sgpr_workgroup_id_y 0
		.amdhsa_system_sgpr_workgroup_id_z 0
		.amdhsa_system_sgpr_workgroup_info 0
		.amdhsa_system_vgpr_workitem_id 0
		.amdhsa_next_free_vgpr 151
		.amdhsa_next_free_sgpr 20
		.amdhsa_reserve_vcc 1
		.amdhsa_reserve_flat_scratch 0
		.amdhsa_float_round_mode_32 0
		.amdhsa_float_round_mode_16_64 0
		.amdhsa_float_denorm_mode_32 3
		.amdhsa_float_denorm_mode_16_64 3
		.amdhsa_dx10_clamp 1
		.amdhsa_ieee_mode 1
		.amdhsa_fp16_overflow 0
		.amdhsa_workgroup_processor_mode 1
		.amdhsa_memory_ordered 1
		.amdhsa_forward_progress 1
		.amdhsa_shared_vgpr_count 0
		.amdhsa_exception_fp_ieee_invalid_op 0
		.amdhsa_exception_fp_denorm_src 0
		.amdhsa_exception_fp_ieee_div_zero 0
		.amdhsa_exception_fp_ieee_overflow 0
		.amdhsa_exception_fp_ieee_underflow 0
		.amdhsa_exception_fp_ieee_inexact 0
		.amdhsa_exception_int_div_zero 0
	.end_amdhsa_kernel
	.section	.text._ZN9rocsolver6v33100L18getri_kernel_smallILi52EdPKPdEEvT1_iilPiilS6_bb,"axG",@progbits,_ZN9rocsolver6v33100L18getri_kernel_smallILi52EdPKPdEEvT1_iilPiilS6_bb,comdat
.Lfunc_end115:
	.size	_ZN9rocsolver6v33100L18getri_kernel_smallILi52EdPKPdEEvT1_iilPiilS6_bb, .Lfunc_end115-_ZN9rocsolver6v33100L18getri_kernel_smallILi52EdPKPdEEvT1_iilPiilS6_bb
                                        ; -- End function
	.set _ZN9rocsolver6v33100L18getri_kernel_smallILi52EdPKPdEEvT1_iilPiilS6_bb.num_vgpr, 151
	.set _ZN9rocsolver6v33100L18getri_kernel_smallILi52EdPKPdEEvT1_iilPiilS6_bb.num_agpr, 0
	.set _ZN9rocsolver6v33100L18getri_kernel_smallILi52EdPKPdEEvT1_iilPiilS6_bb.numbered_sgpr, 20
	.set _ZN9rocsolver6v33100L18getri_kernel_smallILi52EdPKPdEEvT1_iilPiilS6_bb.num_named_barrier, 0
	.set _ZN9rocsolver6v33100L18getri_kernel_smallILi52EdPKPdEEvT1_iilPiilS6_bb.private_seg_size, 432
	.set _ZN9rocsolver6v33100L18getri_kernel_smallILi52EdPKPdEEvT1_iilPiilS6_bb.uses_vcc, 1
	.set _ZN9rocsolver6v33100L18getri_kernel_smallILi52EdPKPdEEvT1_iilPiilS6_bb.uses_flat_scratch, 0
	.set _ZN9rocsolver6v33100L18getri_kernel_smallILi52EdPKPdEEvT1_iilPiilS6_bb.has_dyn_sized_stack, 0
	.set _ZN9rocsolver6v33100L18getri_kernel_smallILi52EdPKPdEEvT1_iilPiilS6_bb.has_recursion, 0
	.set _ZN9rocsolver6v33100L18getri_kernel_smallILi52EdPKPdEEvT1_iilPiilS6_bb.has_indirect_call, 0
	.section	.AMDGPU.csdata,"",@progbits
; Kernel info:
; codeLenInByte = 72720
; TotalNumSgprs: 22
; NumVgprs: 151
; ScratchSize: 432
; MemoryBound: 1
; FloatMode: 240
; IeeeMode: 1
; LDSByteSize: 840 bytes/workgroup (compile time only)
; SGPRBlocks: 0
; VGPRBlocks: 18
; NumSGPRsForWavesPerEU: 22
; NumVGPRsForWavesPerEU: 151
; Occupancy: 6
; WaveLimiterHint : 1
; COMPUTE_PGM_RSRC2:SCRATCH_EN: 1
; COMPUTE_PGM_RSRC2:USER_SGPR: 6
; COMPUTE_PGM_RSRC2:TRAP_HANDLER: 0
; COMPUTE_PGM_RSRC2:TGID_X_EN: 1
; COMPUTE_PGM_RSRC2:TGID_Y_EN: 0
; COMPUTE_PGM_RSRC2:TGID_Z_EN: 0
; COMPUTE_PGM_RSRC2:TIDIG_COMP_CNT: 0
	.section	.text._ZN9rocsolver6v33100L18getri_kernel_smallILi53EdPKPdEEvT1_iilPiilS6_bb,"axG",@progbits,_ZN9rocsolver6v33100L18getri_kernel_smallILi53EdPKPdEEvT1_iilPiilS6_bb,comdat
	.globl	_ZN9rocsolver6v33100L18getri_kernel_smallILi53EdPKPdEEvT1_iilPiilS6_bb ; -- Begin function _ZN9rocsolver6v33100L18getri_kernel_smallILi53EdPKPdEEvT1_iilPiilS6_bb
	.p2align	8
	.type	_ZN9rocsolver6v33100L18getri_kernel_smallILi53EdPKPdEEvT1_iilPiilS6_bb,@function
_ZN9rocsolver6v33100L18getri_kernel_smallILi53EdPKPdEEvT1_iilPiilS6_bb: ; @_ZN9rocsolver6v33100L18getri_kernel_smallILi53EdPKPdEEvT1_iilPiilS6_bb
; %bb.0:
	s_add_u32 s0, s0, s7
	s_addc_u32 s1, s1, 0
	s_mov_b32 s7, exec_lo
	v_cmpx_gt_u32_e32 53, v0
	s_cbranch_execz .LBB116_222
; %bb.1:
	s_clause 0x2
	s_load_dword s17, s[4:5], 0x38
	s_load_dwordx2 s[12:13], s[4:5], 0x0
	s_load_dwordx4 s[8:11], s[4:5], 0x28
	s_waitcnt lgkmcnt(0)
	s_bitcmp1_b32 s17, 8
	s_cselect_b32 s16, -1, 0
	s_ashr_i32 s7, s6, 31
	s_lshl_b64 s[14:15], s[6:7], 3
	s_add_u32 s12, s12, s14
	s_addc_u32 s13, s13, s15
	s_load_dwordx2 s[14:15], s[12:13], 0x0
	s_bfe_u32 s12, s17, 0x10008
	s_cmp_eq_u32 s12, 0
                                        ; implicit-def: $sgpr12_sgpr13
	s_cbranch_scc1 .LBB116_3
; %bb.2:
	s_clause 0x1
	s_load_dword s12, s[4:5], 0x20
	s_load_dwordx2 s[18:19], s[4:5], 0x18
	s_mul_i32 s13, s8, s7
	s_mul_hi_u32 s17, s8, s6
	s_mul_i32 s9, s9, s6
	s_add_i32 s13, s17, s13
	s_mul_i32 s8, s8, s6
	s_add_i32 s9, s13, s9
	s_lshl_b64 s[8:9], s[8:9], 2
	s_waitcnt lgkmcnt(0)
	s_ashr_i32 s13, s12, 31
	s_add_u32 s17, s18, s8
	s_addc_u32 s18, s19, s9
	s_lshl_b64 s[8:9], s[12:13], 2
	s_add_u32 s12, s17, s8
	s_addc_u32 s13, s18, s9
.LBB116_3:
	s_clause 0x1
	s_load_dwordx2 s[8:9], s[4:5], 0x8
	s_load_dword s17, s[4:5], 0x38
	v_lshlrev_b32_e32 v109, 3, v0
	s_waitcnt lgkmcnt(0)
	s_ashr_i32 s5, s8, 31
	s_mov_b32 s4, s8
	v_add3_u32 v9, s9, s9, v0
	s_lshl_b64 s[4:5], s[4:5], 3
	s_add_u32 s4, s14, s4
	s_addc_u32 s5, s15, s5
	v_add_co_u32 v1, s8, s4, v109
	v_add_co_ci_u32_e64 v2, null, s5, 0, s8
	s_mov_b32 s14, s9
	s_ashr_i32 s15, s9, 31
	v_ashrrev_i32_e32 v10, 31, v9
	flat_load_dwordx2 v[5:6], v[1:2]
	s_lshl_b64 s[14:15], s[14:15], 3
	v_add_nc_u32_e32 v12, s9, v9
	v_add_co_u32 v3, vcc_lo, v1, s14
	v_add_co_ci_u32_e64 v4, null, s15, v2, vcc_lo
	v_ashrrev_i32_e32 v13, 31, v12
	s_bitcmp0_b32 s17, 0
	s_waitcnt vmcnt(0) lgkmcnt(0)
	buffer_store_dword v6, off, s[0:3], 0 offset:4
	buffer_store_dword v5, off, s[0:3], 0
	flat_load_dwordx2 v[7:8], v[3:4]
	v_lshlrev_b64 v[5:6], 3, v[9:10]
	s_waitcnt vmcnt(0) lgkmcnt(0)
	buffer_store_dword v8, off, s[0:3], 0 offset:12
	buffer_store_dword v7, off, s[0:3], 0 offset:8
	v_add_co_u32 v5, vcc_lo, s4, v5
	v_add_co_ci_u32_e64 v6, null, s5, v6, vcc_lo
	v_lshlrev_b64 v[7:8], 3, v[12:13]
	flat_load_dwordx2 v[10:11], v[5:6]
	s_waitcnt vmcnt(0) lgkmcnt(0)
	buffer_store_dword v11, off, s[0:3], 0 offset:20
	buffer_store_dword v10, off, s[0:3], 0 offset:16
	v_add_co_u32 v7, vcc_lo, s4, v7
	v_add_co_ci_u32_e64 v8, null, s5, v8, vcc_lo
	v_add_nc_u32_e32 v11, s9, v12
	flat_load_dwordx2 v[13:14], v[7:8]
	s_waitcnt vmcnt(0) lgkmcnt(0)
	buffer_store_dword v14, off, s[0:3], 0 offset:28
	buffer_store_dword v13, off, s[0:3], 0 offset:24
	v_ashrrev_i32_e32 v12, 31, v11
	v_add_nc_u32_e32 v15, s9, v11
	v_lshlrev_b64 v[9:10], 3, v[11:12]
	v_ashrrev_i32_e32 v16, 31, v15
	v_add_nc_u32_e32 v18, s9, v15
	v_add_co_u32 v9, vcc_lo, s4, v9
	v_add_co_ci_u32_e64 v10, null, s5, v10, vcc_lo
	v_lshlrev_b64 v[11:12], 3, v[15:16]
	v_ashrrev_i32_e32 v19, 31, v18
	flat_load_dwordx2 v[13:14], v[9:10]
	s_waitcnt vmcnt(0) lgkmcnt(0)
	buffer_store_dword v14, off, s[0:3], 0 offset:36
	buffer_store_dword v13, off, s[0:3], 0 offset:32
	v_add_co_u32 v11, vcc_lo, s4, v11
	v_add_co_ci_u32_e64 v12, null, s5, v12, vcc_lo
	v_lshlrev_b64 v[13:14], 3, v[18:19]
	flat_load_dwordx2 v[16:17], v[11:12]
	s_waitcnt vmcnt(0) lgkmcnt(0)
	buffer_store_dword v17, off, s[0:3], 0 offset:44
	buffer_store_dword v16, off, s[0:3], 0 offset:40
	v_add_co_u32 v13, vcc_lo, s4, v13
	v_add_co_ci_u32_e64 v14, null, s5, v14, vcc_lo
	v_add_nc_u32_e32 v17, s9, v18
	flat_load_dwordx2 v[19:20], v[13:14]
	s_waitcnt vmcnt(0) lgkmcnt(0)
	buffer_store_dword v20, off, s[0:3], 0 offset:52
	buffer_store_dword v19, off, s[0:3], 0 offset:48
	v_ashrrev_i32_e32 v18, 31, v17
	v_add_nc_u32_e32 v21, s9, v17
	v_lshlrev_b64 v[15:16], 3, v[17:18]
	v_ashrrev_i32_e32 v22, 31, v21
	v_add_nc_u32_e32 v24, s9, v21
	v_add_co_u32 v15, vcc_lo, s4, v15
	v_add_co_ci_u32_e64 v16, null, s5, v16, vcc_lo
	v_lshlrev_b64 v[17:18], 3, v[21:22]
	v_ashrrev_i32_e32 v25, 31, v24
	flat_load_dwordx2 v[19:20], v[15:16]
	;; [unrolled: 27-line block ×15, first 2 shown]
	s_waitcnt vmcnt(0) lgkmcnt(0)
	buffer_store_dword v98, off, s[0:3], 0 offset:372
	buffer_store_dword v97, off, s[0:3], 0 offset:368
	v_add_co_u32 v95, vcc_lo, s4, v95
	v_add_co_ci_u32_e64 v96, null, s5, v96, vcc_lo
	v_lshlrev_b64 v[97:98], 3, v[102:103]
	flat_load_dwordx2 v[100:101], v[95:96]
	s_waitcnt vmcnt(0) lgkmcnt(0)
	buffer_store_dword v101, off, s[0:3], 0 offset:380
	buffer_store_dword v100, off, s[0:3], 0 offset:376
	v_add_co_u32 v97, vcc_lo, s4, v97
	v_add_co_ci_u32_e64 v98, null, s5, v98, vcc_lo
	v_add_nc_u32_e32 v101, s9, v102
	flat_load_dwordx2 v[103:104], v[97:98]
	s_waitcnt vmcnt(0) lgkmcnt(0)
	buffer_store_dword v104, off, s[0:3], 0 offset:388
	buffer_store_dword v103, off, s[0:3], 0 offset:384
	v_ashrrev_i32_e32 v102, 31, v101
	v_add_nc_u32_e32 v105, s9, v101
	v_lshlrev_b64 v[99:100], 3, v[101:102]
	v_ashrrev_i32_e32 v106, 31, v105
	v_add_nc_u32_e32 v110, s9, v105
	v_add_co_u32 v99, vcc_lo, s4, v99
	v_add_co_ci_u32_e64 v100, null, s5, v100, vcc_lo
	v_lshlrev_b64 v[101:102], 3, v[105:106]
	v_ashrrev_i32_e32 v111, 31, v110
	v_add_nc_u32_e32 v105, s9, v110
	flat_load_dwordx2 v[103:104], v[99:100]
	s_waitcnt vmcnt(0) lgkmcnt(0)
	buffer_store_dword v104, off, s[0:3], 0 offset:396
	buffer_store_dword v103, off, s[0:3], 0 offset:392
	v_add_co_u32 v101, vcc_lo, s4, v101
	v_add_co_ci_u32_e64 v102, null, s5, v102, vcc_lo
	v_lshlrev_b64 v[103:104], 3, v[110:111]
	flat_load_dwordx2 v[106:107], v[101:102]
	s_waitcnt vmcnt(0) lgkmcnt(0)
	buffer_store_dword v107, off, s[0:3], 0 offset:404
	buffer_store_dword v106, off, s[0:3], 0 offset:400
	v_add_co_u32 v103, vcc_lo, s4, v103
	v_add_co_ci_u32_e64 v104, null, s5, v104, vcc_lo
	v_ashrrev_i32_e32 v106, 31, v105
	flat_load_dwordx2 v[107:108], v[103:104]
	s_waitcnt vmcnt(0) lgkmcnt(0)
	buffer_store_dword v108, off, s[0:3], 0 offset:412
	buffer_store_dword v107, off, s[0:3], 0 offset:408
	v_lshlrev_b64 v[105:106], 3, v[105:106]
	v_add_co_u32 v105, vcc_lo, s4, v105
	v_add_co_ci_u32_e64 v106, null, s5, v106, vcc_lo
	s_mov_b32 s5, -1
	flat_load_dwordx2 v[107:108], v[105:106]
	s_waitcnt vmcnt(0) lgkmcnt(0)
	buffer_store_dword v108, off, s[0:3], 0 offset:420
	buffer_store_dword v107, off, s[0:3], 0 offset:416
	s_cbranch_scc1 .LBB116_220
; %bb.4:
	v_cmp_eq_u32_e64 s4, 0, v0
	s_and_saveexec_b32 s5, s4
; %bb.5:
	v_mov_b32_e32 v107, 0
	ds_write_b32 v107, v107 offset:424
; %bb.6:
	s_or_b32 exec_lo, exec_lo, s5
	v_lshl_add_u32 v107, v0, 3, 0
	s_waitcnt lgkmcnt(0)
	s_waitcnt_vscnt null, 0x0
	s_barrier
	buffer_gl0_inv
	s_mov_b32 s8, exec_lo
	s_clause 0x1
	buffer_load_dword v110, v107, s[0:3], 0 offen
	buffer_load_dword v111, v107, s[0:3], 0 offen offset:4
	s_waitcnt vmcnt(0)
	v_cmpx_eq_f64_e32 0, v[110:111]
	s_cbranch_execz .LBB116_10
; %bb.7:
	v_mov_b32_e32 v108, 0
	s_mov_b32 s9, 0
	ds_read_b32 v110, v108 offset:424
	s_waitcnt lgkmcnt(0)
	v_readfirstlane_b32 s5, v110
	v_add_nc_u32_e32 v110, 1, v0
	s_cmp_eq_u32 s5, 0
	v_cmp_gt_i32_e32 vcc_lo, s5, v110
	s_cselect_b32 s14, -1, 0
	s_or_b32 s14, s14, vcc_lo
	s_and_b32 exec_lo, exec_lo, s14
	s_cbranch_execz .LBB116_10
; %bb.8:
	v_mov_b32_e32 v111, s5
.LBB116_9:                              ; =>This Inner Loop Header: Depth=1
	ds_cmpst_rtn_b32 v111, v108, v111, v110 offset:424
	s_waitcnt lgkmcnt(0)
	v_cmp_ne_u32_e32 vcc_lo, 0, v111
	v_cmp_le_i32_e64 s5, v111, v110
	s_and_b32 s5, vcc_lo, s5
	s_and_b32 s5, exec_lo, s5
	s_or_b32 s9, s5, s9
	s_andn2_b32 exec_lo, exec_lo, s9
	s_cbranch_execnz .LBB116_9
.LBB116_10:
	s_or_b32 exec_lo, exec_lo, s8
	v_mov_b32_e32 v108, 0
	s_barrier
	buffer_gl0_inv
	ds_read_b32 v110, v108 offset:424
	s_and_saveexec_b32 s5, s4
	s_cbranch_execz .LBB116_12
; %bb.11:
	s_lshl_b64 s[8:9], s[6:7], 2
	s_add_u32 s8, s10, s8
	s_addc_u32 s9, s11, s9
	s_waitcnt lgkmcnt(0)
	global_store_dword v108, v110, s[8:9]
.LBB116_12:
	s_or_b32 exec_lo, exec_lo, s5
	s_waitcnt lgkmcnt(0)
	v_cmp_ne_u32_e32 vcc_lo, 0, v110
	s_mov_b32 s5, 0
	s_cbranch_vccnz .LBB116_220
; %bb.13:
	s_clause 0x1
	buffer_load_dword v110, v107, s[0:3], 0 offen
	buffer_load_dword v111, v107, s[0:3], 0 offen offset:4
	s_waitcnt vmcnt(0)
	v_div_scale_f64 v[112:113], null, v[110:111], v[110:111], 1.0
	v_div_scale_f64 v[118:119], vcc_lo, 1.0, v[110:111], 1.0
	v_rcp_f64_e32 v[114:115], v[112:113]
	v_fma_f64 v[116:117], -v[112:113], v[114:115], 1.0
	v_fma_f64 v[114:115], v[114:115], v[116:117], v[114:115]
	v_fma_f64 v[116:117], -v[112:113], v[114:115], 1.0
	v_fma_f64 v[114:115], v[114:115], v[116:117], v[114:115]
	v_mul_f64 v[116:117], v[118:119], v[114:115]
	v_fma_f64 v[112:113], -v[112:113], v[116:117], v[118:119]
	v_div_fmas_f64 v[112:113], v[112:113], v[114:115], v[116:117]
	v_div_fixup_f64 v[111:112], v[112:113], v[110:111], 1.0
	v_add_nc_u32_e32 v110, 0x1b0, v109
	buffer_store_dword v112, v107, s[0:3], 0 offen offset:4
	buffer_store_dword v111, v107, s[0:3], 0 offen
	s_clause 0x1
	buffer_load_dword v114, off, s[0:3], 0 offset:12
	buffer_load_dword v113, off, s[0:3], 0 offset:8
	v_xor_b32_e32 v112, 0x80000000, v112
	s_waitcnt vmcnt(0)
	ds_write2_b64 v109, v[111:112], v[113:114] offset1:54
	s_waitcnt lgkmcnt(0)
	s_waitcnt_vscnt null, 0x0
	s_barrier
	buffer_gl0_inv
	s_and_saveexec_b32 s5, s4
	s_cbranch_execz .LBB116_15
; %bb.14:
	s_clause 0x1
	buffer_load_dword v111, v107, s[0:3], 0 offen
	buffer_load_dword v112, v107, s[0:3], 0 offen offset:4
	ds_read_b64 v[113:114], v110
	v_mov_b32_e32 v108, 0
	ds_read_b64 v[115:116], v108 offset:8
	s_waitcnt vmcnt(0) lgkmcnt(1)
	v_fma_f64 v[111:112], v[111:112], v[113:114], 0
	s_waitcnt lgkmcnt(0)
	v_mul_f64 v[111:112], v[111:112], v[115:116]
	buffer_store_dword v111, off, s[0:3], 0 offset:8
	buffer_store_dword v112, off, s[0:3], 0 offset:12
.LBB116_15:
	s_or_b32 exec_lo, exec_lo, s5
	s_waitcnt_vscnt null, 0x0
	s_barrier
	buffer_gl0_inv
	s_clause 0x1
	buffer_load_dword v111, off, s[0:3], 0 offset:16
	buffer_load_dword v112, off, s[0:3], 0 offset:20
	s_mov_b32 s5, exec_lo
	s_waitcnt vmcnt(0)
	ds_write_b64 v110, v[111:112]
	s_waitcnt lgkmcnt(0)
	s_barrier
	buffer_gl0_inv
	v_cmpx_gt_u32_e32 2, v0
	s_cbranch_execz .LBB116_19
; %bb.16:
	s_clause 0x1
	buffer_load_dword v111, v107, s[0:3], 0 offen
	buffer_load_dword v112, v107, s[0:3], 0 offen offset:4
	ds_read_b64 v[107:108], v110
	s_waitcnt vmcnt(0) lgkmcnt(0)
	v_fma_f64 v[107:108], v[111:112], v[107:108], 0
	s_and_saveexec_b32 s8, s4
	s_cbranch_execz .LBB116_18
; %bb.17:
	s_clause 0x1
	buffer_load_dword v111, off, s[0:3], 0 offset:8
	buffer_load_dword v112, off, s[0:3], 0 offset:12
	v_mov_b32_e32 v113, 0
	ds_read_b64 v[113:114], v113 offset:440
	s_waitcnt vmcnt(0) lgkmcnt(0)
	v_fma_f64 v[107:108], v[111:112], v[113:114], v[107:108]
.LBB116_18:
	s_or_b32 exec_lo, exec_lo, s8
	v_mov_b32_e32 v111, 0
	ds_read_b64 v[111:112], v111 offset:16
	s_waitcnt lgkmcnt(0)
	v_mul_f64 v[107:108], v[107:108], v[111:112]
	buffer_store_dword v108, off, s[0:3], 0 offset:20
	buffer_store_dword v107, off, s[0:3], 0 offset:16
.LBB116_19:
	s_or_b32 exec_lo, exec_lo, s5
	s_waitcnt_vscnt null, 0x0
	s_barrier
	buffer_gl0_inv
	s_clause 0x1
	buffer_load_dword v107, off, s[0:3], 0 offset:24
	buffer_load_dword v108, off, s[0:3], 0 offset:28
	v_add_nc_u32_e32 v111, -1, v0
	s_mov_b32 s4, exec_lo
	s_waitcnt vmcnt(0)
	ds_write_b64 v110, v[107:108]
	s_waitcnt lgkmcnt(0)
	s_barrier
	buffer_gl0_inv
	v_cmpx_gt_u32_e32 3, v0
	s_cbranch_execz .LBB116_23
; %bb.20:
	v_mov_b32_e32 v107, 0
	v_add_nc_u32_e32 v112, -1, v0
	v_add_nc_u32_e32 v113, 0x1b0, v109
	v_mov_b32_e32 v108, 0
	v_mov_b32_e32 v114, v109
	s_mov_b32 s5, 0
.LBB116_21:                             ; =>This Inner Loop Header: Depth=1
	s_clause 0x1
	buffer_load_dword v115, v114, s[0:3], 0 offen
	buffer_load_dword v116, v114, s[0:3], 0 offen offset:4
	ds_read_b64 v[117:118], v113
	v_add_nc_u32_e32 v112, 1, v112
	v_add_nc_u32_e32 v113, 8, v113
	v_add_nc_u32_e32 v114, 8, v114
	v_cmp_lt_u32_e32 vcc_lo, 1, v112
	s_or_b32 s5, vcc_lo, s5
	s_waitcnt vmcnt(0) lgkmcnt(0)
	v_fma_f64 v[107:108], v[115:116], v[117:118], v[107:108]
	s_andn2_b32 exec_lo, exec_lo, s5
	s_cbranch_execnz .LBB116_21
; %bb.22:
	s_or_b32 exec_lo, exec_lo, s5
	v_mov_b32_e32 v112, 0
	ds_read_b64 v[112:113], v112 offset:24
	s_waitcnt lgkmcnt(0)
	v_mul_f64 v[107:108], v[107:108], v[112:113]
	buffer_store_dword v108, off, s[0:3], 0 offset:28
	buffer_store_dword v107, off, s[0:3], 0 offset:24
.LBB116_23:
	s_or_b32 exec_lo, exec_lo, s4
	s_waitcnt_vscnt null, 0x0
	s_barrier
	buffer_gl0_inv
	s_clause 0x1
	buffer_load_dword v107, off, s[0:3], 0 offset:32
	buffer_load_dword v108, off, s[0:3], 0 offset:36
	s_mov_b32 s4, exec_lo
	s_waitcnt vmcnt(0)
	ds_write_b64 v110, v[107:108]
	s_waitcnt lgkmcnt(0)
	s_barrier
	buffer_gl0_inv
	v_cmpx_gt_u32_e32 4, v0
	s_cbranch_execz .LBB116_27
; %bb.24:
	v_mov_b32_e32 v107, 0
	v_add_nc_u32_e32 v112, -1, v0
	v_add_nc_u32_e32 v113, 0x1b0, v109
	v_mov_b32_e32 v108, 0
	v_mov_b32_e32 v114, v109
	s_mov_b32 s5, 0
.LBB116_25:                             ; =>This Inner Loop Header: Depth=1
	s_clause 0x1
	buffer_load_dword v115, v114, s[0:3], 0 offen
	buffer_load_dword v116, v114, s[0:3], 0 offen offset:4
	ds_read_b64 v[117:118], v113
	v_add_nc_u32_e32 v112, 1, v112
	v_add_nc_u32_e32 v113, 8, v113
	v_add_nc_u32_e32 v114, 8, v114
	v_cmp_lt_u32_e32 vcc_lo, 2, v112
	s_or_b32 s5, vcc_lo, s5
	s_waitcnt vmcnt(0) lgkmcnt(0)
	v_fma_f64 v[107:108], v[115:116], v[117:118], v[107:108]
	s_andn2_b32 exec_lo, exec_lo, s5
	s_cbranch_execnz .LBB116_25
; %bb.26:
	s_or_b32 exec_lo, exec_lo, s5
	v_mov_b32_e32 v112, 0
	ds_read_b64 v[112:113], v112 offset:32
	s_waitcnt lgkmcnt(0)
	v_mul_f64 v[107:108], v[107:108], v[112:113]
	buffer_store_dword v108, off, s[0:3], 0 offset:36
	buffer_store_dword v107, off, s[0:3], 0 offset:32
.LBB116_27:
	s_or_b32 exec_lo, exec_lo, s4
	s_waitcnt_vscnt null, 0x0
	s_barrier
	buffer_gl0_inv
	s_clause 0x1
	buffer_load_dword v107, off, s[0:3], 0 offset:40
	buffer_load_dword v108, off, s[0:3], 0 offset:44
	;; [unrolled: 45-line block ×20, first 2 shown]
	s_mov_b32 s4, exec_lo
	s_waitcnt vmcnt(0)
	ds_write_b64 v110, v[107:108]
	s_waitcnt lgkmcnt(0)
	s_barrier
	buffer_gl0_inv
	v_cmpx_gt_u32_e32 23, v0
	s_cbranch_execz .LBB116_103
; %bb.100:
	v_mov_b32_e32 v107, 0
	v_add_nc_u32_e32 v112, -1, v0
	v_add_nc_u32_e32 v113, 0x1b0, v109
	v_mov_b32_e32 v108, 0
	v_mov_b32_e32 v114, v109
	s_mov_b32 s5, 0
.LBB116_101:                            ; =>This Inner Loop Header: Depth=1
	s_clause 0x1
	buffer_load_dword v115, v114, s[0:3], 0 offen
	buffer_load_dword v116, v114, s[0:3], 0 offen offset:4
	ds_read_b64 v[117:118], v113
	v_add_nc_u32_e32 v112, 1, v112
	v_add_nc_u32_e32 v113, 8, v113
	v_add_nc_u32_e32 v114, 8, v114
	v_cmp_lt_u32_e32 vcc_lo, 21, v112
	s_or_b32 s5, vcc_lo, s5
	s_waitcnt vmcnt(0) lgkmcnt(0)
	v_fma_f64 v[107:108], v[115:116], v[117:118], v[107:108]
	s_andn2_b32 exec_lo, exec_lo, s5
	s_cbranch_execnz .LBB116_101
; %bb.102:
	s_or_b32 exec_lo, exec_lo, s5
	v_mov_b32_e32 v112, 0
	ds_read_b64 v[112:113], v112 offset:184
	s_waitcnt lgkmcnt(0)
	v_mul_f64 v[107:108], v[107:108], v[112:113]
	buffer_store_dword v108, off, s[0:3], 0 offset:188
	buffer_store_dword v107, off, s[0:3], 0 offset:184
.LBB116_103:
	s_or_b32 exec_lo, exec_lo, s4
	s_waitcnt_vscnt null, 0x0
	s_barrier
	buffer_gl0_inv
	s_clause 0x1
	buffer_load_dword v107, off, s[0:3], 0 offset:192
	buffer_load_dword v108, off, s[0:3], 0 offset:196
	s_mov_b32 s4, exec_lo
	s_waitcnt vmcnt(0)
	ds_write_b64 v110, v[107:108]
	s_waitcnt lgkmcnt(0)
	s_barrier
	buffer_gl0_inv
	v_cmpx_gt_u32_e32 24, v0
	s_cbranch_execz .LBB116_107
; %bb.104:
	v_mov_b32_e32 v107, 0
	v_add_nc_u32_e32 v112, -1, v0
	v_add_nc_u32_e32 v113, 0x1b0, v109
	v_mov_b32_e32 v108, 0
	v_mov_b32_e32 v114, v109
	s_mov_b32 s5, 0
.LBB116_105:                            ; =>This Inner Loop Header: Depth=1
	s_clause 0x1
	buffer_load_dword v115, v114, s[0:3], 0 offen
	buffer_load_dword v116, v114, s[0:3], 0 offen offset:4
	ds_read_b64 v[117:118], v113
	v_add_nc_u32_e32 v112, 1, v112
	v_add_nc_u32_e32 v113, 8, v113
	v_add_nc_u32_e32 v114, 8, v114
	v_cmp_lt_u32_e32 vcc_lo, 22, v112
	s_or_b32 s5, vcc_lo, s5
	s_waitcnt vmcnt(0) lgkmcnt(0)
	v_fma_f64 v[107:108], v[115:116], v[117:118], v[107:108]
	s_andn2_b32 exec_lo, exec_lo, s5
	s_cbranch_execnz .LBB116_105
; %bb.106:
	s_or_b32 exec_lo, exec_lo, s5
	v_mov_b32_e32 v112, 0
	ds_read_b64 v[112:113], v112 offset:192
	s_waitcnt lgkmcnt(0)
	v_mul_f64 v[107:108], v[107:108], v[112:113]
	buffer_store_dword v108, off, s[0:3], 0 offset:196
	buffer_store_dword v107, off, s[0:3], 0 offset:192
.LBB116_107:
	s_or_b32 exec_lo, exec_lo, s4
	s_waitcnt_vscnt null, 0x0
	s_barrier
	buffer_gl0_inv
	s_clause 0x1
	buffer_load_dword v107, off, s[0:3], 0 offset:200
	buffer_load_dword v108, off, s[0:3], 0 offset:204
	;; [unrolled: 45-line block ×29, first 2 shown]
	s_mov_b32 s4, exec_lo
	s_waitcnt vmcnt(0)
	ds_write_b64 v110, v[107:108]
	s_waitcnt lgkmcnt(0)
	s_barrier
	buffer_gl0_inv
	v_cmpx_ne_u32_e32 52, v0
	s_cbranch_execz .LBB116_219
; %bb.216:
	v_mov_b32_e32 v107, 0
	v_mov_b32_e32 v108, 0
	s_mov_b32 s5, 0
.LBB116_217:                            ; =>This Inner Loop Header: Depth=1
	s_clause 0x1
	buffer_load_dword v112, v109, s[0:3], 0 offen
	buffer_load_dword v113, v109, s[0:3], 0 offen offset:4
	ds_read_b64 v[114:115], v110
	v_add_nc_u32_e32 v111, 1, v111
	v_add_nc_u32_e32 v110, 8, v110
	;; [unrolled: 1-line block ×3, first 2 shown]
	v_cmp_lt_u32_e32 vcc_lo, 50, v111
	s_or_b32 s5, vcc_lo, s5
	s_waitcnt vmcnt(0) lgkmcnt(0)
	v_fma_f64 v[107:108], v[112:113], v[114:115], v[107:108]
	s_andn2_b32 exec_lo, exec_lo, s5
	s_cbranch_execnz .LBB116_217
; %bb.218:
	s_or_b32 exec_lo, exec_lo, s5
	v_mov_b32_e32 v109, 0
	ds_read_b64 v[109:110], v109 offset:416
	s_waitcnt lgkmcnt(0)
	v_mul_f64 v[107:108], v[107:108], v[109:110]
	buffer_store_dword v108, off, s[0:3], 0 offset:420
	buffer_store_dword v107, off, s[0:3], 0 offset:416
.LBB116_219:
	s_or_b32 exec_lo, exec_lo, s4
	s_mov_b32 s5, -1
	s_waitcnt_vscnt null, 0x0
	s_barrier
	buffer_gl0_inv
.LBB116_220:
	s_and_b32 vcc_lo, exec_lo, s5
	s_cbranch_vccz .LBB116_222
; %bb.221:
	s_lshl_b64 s[4:5], s[6:7], 2
	v_mov_b32_e32 v107, 0
	s_add_u32 s4, s10, s4
	s_addc_u32 s5, s11, s5
	global_load_dword v107, v107, s[4:5]
	s_waitcnt vmcnt(0)
	v_cmp_ne_u32_e32 vcc_lo, 0, v107
	s_cbranch_vccz .LBB116_223
.LBB116_222:
	s_endpgm
.LBB116_223:
	v_lshl_add_u32 v107, v0, 3, 0x1b0
	s_mov_b32 s4, exec_lo
	v_cmpx_eq_u32_e32 52, v0
	s_cbranch_execz .LBB116_225
; %bb.224:
	s_clause 0x1
	buffer_load_dword v108, off, s[0:3], 0 offset:408
	buffer_load_dword v109, off, s[0:3], 0 offset:412
	v_mov_b32_e32 v110, 0
	buffer_store_dword v110, off, s[0:3], 0 offset:408
	buffer_store_dword v110, off, s[0:3], 0 offset:412
	s_waitcnt vmcnt(0)
	ds_write_b64 v107, v[108:109]
.LBB116_225:
	s_or_b32 exec_lo, exec_lo, s4
	s_waitcnt lgkmcnt(0)
	s_waitcnt_vscnt null, 0x0
	s_barrier
	buffer_gl0_inv
	s_clause 0x3
	buffer_load_dword v109, off, s[0:3], 0 offset:416
	buffer_load_dword v110, off, s[0:3], 0 offset:420
	;; [unrolled: 1-line block ×4, first 2 shown]
	v_mov_b32_e32 v108, 0
	s_mov_b32 s4, exec_lo
	ds_read_b64 v[113:114], v108 offset:848
	s_waitcnt vmcnt(2) lgkmcnt(0)
	v_fma_f64 v[109:110], v[109:110], v[113:114], 0
	s_waitcnt vmcnt(0)
	v_add_f64 v[109:110], v[111:112], -v[109:110]
	buffer_store_dword v109, off, s[0:3], 0 offset:408
	buffer_store_dword v110, off, s[0:3], 0 offset:412
	v_cmpx_lt_u32_e32 50, v0
	s_cbranch_execz .LBB116_227
; %bb.226:
	s_clause 0x1
	buffer_load_dword v109, off, s[0:3], 0 offset:400
	buffer_load_dword v110, off, s[0:3], 0 offset:404
	buffer_store_dword v108, off, s[0:3], 0 offset:400
	buffer_store_dword v108, off, s[0:3], 0 offset:404
	s_waitcnt vmcnt(0)
	ds_write_b64 v107, v[109:110]
.LBB116_227:
	s_or_b32 exec_lo, exec_lo, s4
	s_waitcnt lgkmcnt(0)
	s_waitcnt_vscnt null, 0x0
	s_barrier
	buffer_gl0_inv
	s_clause 0x5
	buffer_load_dword v112, off, s[0:3], 0 offset:408
	buffer_load_dword v113, off, s[0:3], 0 offset:412
	;; [unrolled: 1-line block ×6, first 2 shown]
	ds_read2_b64 v[108:111], v108 offset0:105 offset1:106
	s_mov_b32 s4, exec_lo
	s_waitcnt vmcnt(4) lgkmcnt(0)
	v_fma_f64 v[108:109], v[112:113], v[108:109], 0
	s_waitcnt vmcnt(2)
	v_fma_f64 v[108:109], v[114:115], v[110:111], v[108:109]
	s_waitcnt vmcnt(0)
	v_add_f64 v[108:109], v[116:117], -v[108:109]
	buffer_store_dword v108, off, s[0:3], 0 offset:400
	buffer_store_dword v109, off, s[0:3], 0 offset:404
	v_cmpx_lt_u32_e32 49, v0
	s_cbranch_execz .LBB116_229
; %bb.228:
	s_clause 0x1
	buffer_load_dword v108, off, s[0:3], 0 offset:392
	buffer_load_dword v109, off, s[0:3], 0 offset:396
	v_mov_b32_e32 v110, 0
	buffer_store_dword v110, off, s[0:3], 0 offset:392
	buffer_store_dword v110, off, s[0:3], 0 offset:396
	s_waitcnt vmcnt(0)
	ds_write_b64 v107, v[108:109]
.LBB116_229:
	s_or_b32 exec_lo, exec_lo, s4
	s_waitcnt lgkmcnt(0)
	s_waitcnt_vscnt null, 0x0
	s_barrier
	buffer_gl0_inv
	s_clause 0x7
	buffer_load_dword v113, off, s[0:3], 0 offset:400
	buffer_load_dword v114, off, s[0:3], 0 offset:404
	buffer_load_dword v115, off, s[0:3], 0 offset:408
	buffer_load_dword v116, off, s[0:3], 0 offset:412
	buffer_load_dword v117, off, s[0:3], 0 offset:416
	buffer_load_dword v118, off, s[0:3], 0 offset:420
	buffer_load_dword v119, off, s[0:3], 0 offset:392
	buffer_load_dword v120, off, s[0:3], 0 offset:396
	v_mov_b32_e32 v108, 0
	ds_read_b128 v[109:112], v108 offset:832
	ds_read_b64 v[121:122], v108 offset:848
	s_mov_b32 s4, exec_lo
	s_waitcnt vmcnt(6) lgkmcnt(1)
	v_fma_f64 v[109:110], v[113:114], v[109:110], 0
	s_waitcnt vmcnt(4)
	v_fma_f64 v[109:110], v[115:116], v[111:112], v[109:110]
	s_waitcnt vmcnt(2) lgkmcnt(0)
	v_fma_f64 v[109:110], v[117:118], v[121:122], v[109:110]
	s_waitcnt vmcnt(0)
	v_add_f64 v[109:110], v[119:120], -v[109:110]
	buffer_store_dword v109, off, s[0:3], 0 offset:392
	buffer_store_dword v110, off, s[0:3], 0 offset:396
	v_cmpx_lt_u32_e32 48, v0
	s_cbranch_execz .LBB116_231
; %bb.230:
	s_clause 0x1
	buffer_load_dword v109, off, s[0:3], 0 offset:384
	buffer_load_dword v110, off, s[0:3], 0 offset:388
	buffer_store_dword v108, off, s[0:3], 0 offset:384
	buffer_store_dword v108, off, s[0:3], 0 offset:388
	s_waitcnt vmcnt(0)
	ds_write_b64 v107, v[109:110]
.LBB116_231:
	s_or_b32 exec_lo, exec_lo, s4
	s_waitcnt lgkmcnt(0)
	s_waitcnt_vscnt null, 0x0
	s_barrier
	buffer_gl0_inv
	s_clause 0x9
	buffer_load_dword v117, off, s[0:3], 0 offset:392
	buffer_load_dword v118, off, s[0:3], 0 offset:396
	;; [unrolled: 1-line block ×10, first 2 shown]
	ds_read2_b64 v[109:112], v108 offset0:103 offset1:104
	ds_read2_b64 v[113:116], v108 offset0:105 offset1:106
	s_mov_b32 s4, exec_lo
	s_waitcnt vmcnt(8) lgkmcnt(1)
	v_fma_f64 v[108:109], v[117:118], v[109:110], 0
	s_waitcnt vmcnt(6)
	v_fma_f64 v[108:109], v[119:120], v[111:112], v[108:109]
	s_waitcnt vmcnt(4) lgkmcnt(0)
	v_fma_f64 v[108:109], v[121:122], v[113:114], v[108:109]
	s_waitcnt vmcnt(2)
	v_fma_f64 v[108:109], v[123:124], v[115:116], v[108:109]
	s_waitcnt vmcnt(0)
	v_add_f64 v[108:109], v[125:126], -v[108:109]
	buffer_store_dword v108, off, s[0:3], 0 offset:384
	buffer_store_dword v109, off, s[0:3], 0 offset:388
	v_cmpx_lt_u32_e32 47, v0
	s_cbranch_execz .LBB116_233
; %bb.232:
	s_clause 0x1
	buffer_load_dword v108, off, s[0:3], 0 offset:376
	buffer_load_dword v109, off, s[0:3], 0 offset:380
	v_mov_b32_e32 v110, 0
	buffer_store_dword v110, off, s[0:3], 0 offset:376
	buffer_store_dword v110, off, s[0:3], 0 offset:380
	s_waitcnt vmcnt(0)
	ds_write_b64 v107, v[108:109]
.LBB116_233:
	s_or_b32 exec_lo, exec_lo, s4
	s_waitcnt lgkmcnt(0)
	s_waitcnt_vscnt null, 0x0
	s_barrier
	buffer_gl0_inv
	s_clause 0xb
	buffer_load_dword v117, off, s[0:3], 0 offset:384
	buffer_load_dword v118, off, s[0:3], 0 offset:388
	;; [unrolled: 1-line block ×12, first 2 shown]
	v_mov_b32_e32 v108, 0
	ds_read_b128 v[109:112], v108 offset:816
	ds_read_b128 v[113:116], v108 offset:832
	s_mov_b32 s4, exec_lo
	s_waitcnt vmcnt(10) lgkmcnt(1)
	v_fma_f64 v[109:110], v[117:118], v[109:110], 0
	s_waitcnt vmcnt(8)
	v_fma_f64 v[109:110], v[119:120], v[111:112], v[109:110]
	ds_read_b64 v[111:112], v108 offset:848
	s_waitcnt vmcnt(6) lgkmcnt(1)
	v_fma_f64 v[109:110], v[121:122], v[113:114], v[109:110]
	s_waitcnt vmcnt(4)
	v_fma_f64 v[109:110], v[123:124], v[115:116], v[109:110]
	s_waitcnt vmcnt(2) lgkmcnt(0)
	v_fma_f64 v[109:110], v[125:126], v[111:112], v[109:110]
	s_waitcnt vmcnt(0)
	v_add_f64 v[109:110], v[127:128], -v[109:110]
	buffer_store_dword v109, off, s[0:3], 0 offset:376
	buffer_store_dword v110, off, s[0:3], 0 offset:380
	v_cmpx_lt_u32_e32 46, v0
	s_cbranch_execz .LBB116_235
; %bb.234:
	s_clause 0x1
	buffer_load_dword v109, off, s[0:3], 0 offset:368
	buffer_load_dword v110, off, s[0:3], 0 offset:372
	buffer_store_dword v108, off, s[0:3], 0 offset:368
	buffer_store_dword v108, off, s[0:3], 0 offset:372
	s_waitcnt vmcnt(0)
	ds_write_b64 v107, v[109:110]
.LBB116_235:
	s_or_b32 exec_lo, exec_lo, s4
	s_waitcnt lgkmcnt(0)
	s_waitcnt_vscnt null, 0x0
	s_barrier
	buffer_gl0_inv
	s_clause 0xd
	buffer_load_dword v117, off, s[0:3], 0 offset:376
	buffer_load_dword v118, off, s[0:3], 0 offset:380
	;; [unrolled: 1-line block ×14, first 2 shown]
	ds_read2_b64 v[109:112], v108 offset0:101 offset1:102
	ds_read2_b64 v[113:116], v108 offset0:103 offset1:104
	s_mov_b32 s4, exec_lo
	s_waitcnt vmcnt(12) lgkmcnt(1)
	v_fma_f64 v[109:110], v[117:118], v[109:110], 0
	s_waitcnt vmcnt(10)
	v_fma_f64 v[109:110], v[119:120], v[111:112], v[109:110]
	s_waitcnt vmcnt(8) lgkmcnt(0)
	v_fma_f64 v[109:110], v[121:122], v[113:114], v[109:110]
	s_waitcnt vmcnt(6)
	v_fma_f64 v[112:113], v[123:124], v[115:116], v[109:110]
	ds_read2_b64 v[108:111], v108 offset0:105 offset1:106
	s_waitcnt vmcnt(4) lgkmcnt(0)
	v_fma_f64 v[108:109], v[125:126], v[108:109], v[112:113]
	s_waitcnt vmcnt(2)
	v_fma_f64 v[108:109], v[127:128], v[110:111], v[108:109]
	s_waitcnt vmcnt(0)
	v_add_f64 v[108:109], v[129:130], -v[108:109]
	buffer_store_dword v108, off, s[0:3], 0 offset:368
	buffer_store_dword v109, off, s[0:3], 0 offset:372
	v_cmpx_lt_u32_e32 45, v0
	s_cbranch_execz .LBB116_237
; %bb.236:
	s_clause 0x1
	buffer_load_dword v108, off, s[0:3], 0 offset:360
	buffer_load_dword v109, off, s[0:3], 0 offset:364
	v_mov_b32_e32 v110, 0
	buffer_store_dword v110, off, s[0:3], 0 offset:360
	buffer_store_dword v110, off, s[0:3], 0 offset:364
	s_waitcnt vmcnt(0)
	ds_write_b64 v107, v[108:109]
.LBB116_237:
	s_or_b32 exec_lo, exec_lo, s4
	s_waitcnt lgkmcnt(0)
	s_waitcnt_vscnt null, 0x0
	s_barrier
	buffer_gl0_inv
	s_clause 0xf
	buffer_load_dword v117, off, s[0:3], 0 offset:368
	buffer_load_dword v118, off, s[0:3], 0 offset:372
	;; [unrolled: 1-line block ×16, first 2 shown]
	v_mov_b32_e32 v108, 0
	ds_read_b128 v[109:112], v108 offset:800
	ds_read_b128 v[113:116], v108 offset:816
	s_mov_b32 s4, exec_lo
	s_waitcnt vmcnt(14) lgkmcnt(1)
	v_fma_f64 v[109:110], v[117:118], v[109:110], 0
	s_waitcnt vmcnt(12)
	v_fma_f64 v[109:110], v[119:120], v[111:112], v[109:110]
	s_waitcnt vmcnt(10) lgkmcnt(0)
	v_fma_f64 v[109:110], v[121:122], v[113:114], v[109:110]
	s_waitcnt vmcnt(8)
	v_fma_f64 v[113:114], v[123:124], v[115:116], v[109:110]
	ds_read_b128 v[109:112], v108 offset:832
	ds_read_b64 v[115:116], v108 offset:848
	s_waitcnt vmcnt(6) lgkmcnt(1)
	v_fma_f64 v[109:110], v[125:126], v[109:110], v[113:114]
	s_waitcnt vmcnt(4)
	v_fma_f64 v[109:110], v[127:128], v[111:112], v[109:110]
	s_waitcnt vmcnt(2) lgkmcnt(0)
	v_fma_f64 v[109:110], v[129:130], v[115:116], v[109:110]
	s_waitcnt vmcnt(0)
	v_add_f64 v[109:110], v[131:132], -v[109:110]
	buffer_store_dword v109, off, s[0:3], 0 offset:360
	buffer_store_dword v110, off, s[0:3], 0 offset:364
	v_cmpx_lt_u32_e32 44, v0
	s_cbranch_execz .LBB116_239
; %bb.238:
	s_clause 0x1
	buffer_load_dword v109, off, s[0:3], 0 offset:352
	buffer_load_dword v110, off, s[0:3], 0 offset:356
	buffer_store_dword v108, off, s[0:3], 0 offset:352
	buffer_store_dword v108, off, s[0:3], 0 offset:356
	s_waitcnt vmcnt(0)
	ds_write_b64 v107, v[109:110]
.LBB116_239:
	s_or_b32 exec_lo, exec_lo, s4
	s_waitcnt lgkmcnt(0)
	s_waitcnt_vscnt null, 0x0
	s_barrier
	buffer_gl0_inv
	s_clause 0x11
	buffer_load_dword v117, off, s[0:3], 0 offset:360
	buffer_load_dword v118, off, s[0:3], 0 offset:364
	;; [unrolled: 1-line block ×18, first 2 shown]
	ds_read2_b64 v[109:112], v108 offset0:99 offset1:100
	ds_read2_b64 v[113:116], v108 offset0:101 offset1:102
	s_mov_b32 s4, exec_lo
	s_waitcnt vmcnt(16) lgkmcnt(1)
	v_fma_f64 v[109:110], v[117:118], v[109:110], 0
	s_waitcnt vmcnt(14)
	v_fma_f64 v[109:110], v[119:120], v[111:112], v[109:110]
	s_waitcnt vmcnt(12) lgkmcnt(0)
	v_fma_f64 v[109:110], v[121:122], v[113:114], v[109:110]
	s_waitcnt vmcnt(10)
	v_fma_f64 v[117:118], v[123:124], v[115:116], v[109:110]
	ds_read2_b64 v[109:112], v108 offset0:103 offset1:104
	ds_read2_b64 v[113:116], v108 offset0:105 offset1:106
	s_waitcnt vmcnt(8) lgkmcnt(1)
	v_fma_f64 v[108:109], v[125:126], v[109:110], v[117:118]
	s_waitcnt vmcnt(6)
	v_fma_f64 v[108:109], v[127:128], v[111:112], v[108:109]
	s_waitcnt vmcnt(4) lgkmcnt(0)
	v_fma_f64 v[108:109], v[129:130], v[113:114], v[108:109]
	s_waitcnt vmcnt(2)
	v_fma_f64 v[108:109], v[131:132], v[115:116], v[108:109]
	s_waitcnt vmcnt(0)
	v_add_f64 v[108:109], v[133:134], -v[108:109]
	buffer_store_dword v108, off, s[0:3], 0 offset:352
	buffer_store_dword v109, off, s[0:3], 0 offset:356
	v_cmpx_lt_u32_e32 43, v0
	s_cbranch_execz .LBB116_241
; %bb.240:
	s_clause 0x1
	buffer_load_dword v108, off, s[0:3], 0 offset:344
	buffer_load_dword v109, off, s[0:3], 0 offset:348
	v_mov_b32_e32 v110, 0
	buffer_store_dword v110, off, s[0:3], 0 offset:344
	buffer_store_dword v110, off, s[0:3], 0 offset:348
	s_waitcnt vmcnt(0)
	ds_write_b64 v107, v[108:109]
.LBB116_241:
	s_or_b32 exec_lo, exec_lo, s4
	s_waitcnt lgkmcnt(0)
	s_waitcnt_vscnt null, 0x0
	s_barrier
	buffer_gl0_inv
	s_clause 0x13
	buffer_load_dword v117, off, s[0:3], 0 offset:352
	buffer_load_dword v118, off, s[0:3], 0 offset:356
	;; [unrolled: 1-line block ×20, first 2 shown]
	v_mov_b32_e32 v108, 0
	ds_read_b128 v[109:112], v108 offset:784
	ds_read_b128 v[113:116], v108 offset:800
	s_mov_b32 s4, exec_lo
	s_waitcnt vmcnt(18) lgkmcnt(1)
	v_fma_f64 v[109:110], v[117:118], v[109:110], 0
	s_waitcnt vmcnt(16)
	v_fma_f64 v[109:110], v[119:120], v[111:112], v[109:110]
	s_waitcnt vmcnt(14) lgkmcnt(0)
	v_fma_f64 v[109:110], v[121:122], v[113:114], v[109:110]
	s_waitcnt vmcnt(12)
	v_fma_f64 v[117:118], v[123:124], v[115:116], v[109:110]
	ds_read_b128 v[109:112], v108 offset:816
	ds_read_b128 v[113:116], v108 offset:832
	s_waitcnt vmcnt(10) lgkmcnt(1)
	v_fma_f64 v[109:110], v[125:126], v[109:110], v[117:118]
	s_waitcnt vmcnt(8)
	v_fma_f64 v[109:110], v[127:128], v[111:112], v[109:110]
	ds_read_b64 v[111:112], v108 offset:848
	s_waitcnt vmcnt(6) lgkmcnt(1)
	v_fma_f64 v[109:110], v[129:130], v[113:114], v[109:110]
	s_waitcnt vmcnt(3)
	v_fma_f64 v[109:110], v[131:132], v[115:116], v[109:110]
	s_waitcnt vmcnt(2) lgkmcnt(0)
	v_fma_f64 v[109:110], v[133:134], v[111:112], v[109:110]
	s_waitcnt vmcnt(0)
	v_add_f64 v[109:110], v[135:136], -v[109:110]
	buffer_store_dword v109, off, s[0:3], 0 offset:344
	buffer_store_dword v110, off, s[0:3], 0 offset:348
	v_cmpx_lt_u32_e32 42, v0
	s_cbranch_execz .LBB116_243
; %bb.242:
	s_clause 0x1
	buffer_load_dword v109, off, s[0:3], 0 offset:336
	buffer_load_dword v110, off, s[0:3], 0 offset:340
	buffer_store_dword v108, off, s[0:3], 0 offset:336
	buffer_store_dword v108, off, s[0:3], 0 offset:340
	s_waitcnt vmcnt(0)
	ds_write_b64 v107, v[109:110]
.LBB116_243:
	s_or_b32 exec_lo, exec_lo, s4
	s_waitcnt lgkmcnt(0)
	s_waitcnt_vscnt null, 0x0
	s_barrier
	buffer_gl0_inv
	s_clause 0x15
	buffer_load_dword v117, off, s[0:3], 0 offset:344
	buffer_load_dword v118, off, s[0:3], 0 offset:348
	;; [unrolled: 1-line block ×22, first 2 shown]
	ds_read2_b64 v[109:112], v108 offset0:97 offset1:98
	ds_read2_b64 v[113:116], v108 offset0:99 offset1:100
	s_mov_b32 s4, exec_lo
	s_waitcnt vmcnt(20) lgkmcnt(1)
	v_fma_f64 v[109:110], v[117:118], v[109:110], 0
	s_waitcnt vmcnt(18)
	v_fma_f64 v[109:110], v[119:120], v[111:112], v[109:110]
	s_waitcnt vmcnt(16) lgkmcnt(0)
	v_fma_f64 v[109:110], v[121:122], v[113:114], v[109:110]
	s_waitcnt vmcnt(14)
	v_fma_f64 v[117:118], v[123:124], v[115:116], v[109:110]
	ds_read2_b64 v[109:112], v108 offset0:101 offset1:102
	ds_read2_b64 v[113:116], v108 offset0:103 offset1:104
	s_waitcnt vmcnt(12) lgkmcnt(1)
	v_fma_f64 v[109:110], v[125:126], v[109:110], v[117:118]
	s_waitcnt vmcnt(10)
	v_fma_f64 v[109:110], v[127:128], v[111:112], v[109:110]
	s_waitcnt vmcnt(8) lgkmcnt(0)
	v_fma_f64 v[109:110], v[129:130], v[113:114], v[109:110]
	s_waitcnt vmcnt(4)
	v_fma_f64 v[112:113], v[131:132], v[115:116], v[109:110]
	ds_read2_b64 v[108:111], v108 offset0:105 offset1:106
	s_waitcnt vmcnt(3) lgkmcnt(0)
	v_fma_f64 v[108:109], v[135:136], v[108:109], v[112:113]
	s_waitcnt vmcnt(2)
	v_fma_f64 v[108:109], v[133:134], v[110:111], v[108:109]
	s_waitcnt vmcnt(0)
	v_add_f64 v[108:109], v[137:138], -v[108:109]
	buffer_store_dword v108, off, s[0:3], 0 offset:336
	buffer_store_dword v109, off, s[0:3], 0 offset:340
	v_cmpx_lt_u32_e32 41, v0
	s_cbranch_execz .LBB116_245
; %bb.244:
	s_clause 0x1
	buffer_load_dword v108, off, s[0:3], 0 offset:328
	buffer_load_dword v109, off, s[0:3], 0 offset:332
	v_mov_b32_e32 v110, 0
	buffer_store_dword v110, off, s[0:3], 0 offset:328
	buffer_store_dword v110, off, s[0:3], 0 offset:332
	s_waitcnt vmcnt(0)
	ds_write_b64 v107, v[108:109]
.LBB116_245:
	s_or_b32 exec_lo, exec_lo, s4
	s_waitcnt lgkmcnt(0)
	s_waitcnt_vscnt null, 0x0
	s_barrier
	buffer_gl0_inv
	s_clause 0x17
	buffer_load_dword v117, off, s[0:3], 0 offset:336
	buffer_load_dword v118, off, s[0:3], 0 offset:340
	;; [unrolled: 1-line block ×24, first 2 shown]
	v_mov_b32_e32 v108, 0
	ds_read_b128 v[109:112], v108 offset:768
	ds_read_b128 v[113:116], v108 offset:784
	s_mov_b32 s4, exec_lo
	s_waitcnt vmcnt(22) lgkmcnt(1)
	v_fma_f64 v[109:110], v[117:118], v[109:110], 0
	s_waitcnt vmcnt(20)
	v_fma_f64 v[109:110], v[119:120], v[111:112], v[109:110]
	s_waitcnt vmcnt(18) lgkmcnt(0)
	v_fma_f64 v[109:110], v[121:122], v[113:114], v[109:110]
	s_waitcnt vmcnt(16)
	v_fma_f64 v[117:118], v[123:124], v[115:116], v[109:110]
	ds_read_b128 v[109:112], v108 offset:800
	ds_read_b128 v[113:116], v108 offset:816
	s_waitcnt vmcnt(14) lgkmcnt(1)
	v_fma_f64 v[109:110], v[125:126], v[109:110], v[117:118]
	s_waitcnt vmcnt(12)
	v_fma_f64 v[109:110], v[127:128], v[111:112], v[109:110]
	s_waitcnt vmcnt(10) lgkmcnt(0)
	v_fma_f64 v[109:110], v[129:130], v[113:114], v[109:110]
	s_waitcnt vmcnt(5)
	v_fma_f64 v[113:114], v[131:132], v[115:116], v[109:110]
	ds_read_b128 v[109:112], v108 offset:832
	ds_read_b64 v[115:116], v108 offset:848
	s_waitcnt vmcnt(4) lgkmcnt(1)
	v_fma_f64 v[109:110], v[137:138], v[109:110], v[113:114]
	s_waitcnt vmcnt(3)
	v_fma_f64 v[109:110], v[135:136], v[111:112], v[109:110]
	s_waitcnt vmcnt(2) lgkmcnt(0)
	v_fma_f64 v[109:110], v[133:134], v[115:116], v[109:110]
	s_waitcnt vmcnt(0)
	v_add_f64 v[109:110], v[139:140], -v[109:110]
	buffer_store_dword v110, off, s[0:3], 0 offset:332
	buffer_store_dword v109, off, s[0:3], 0 offset:328
	v_cmpx_lt_u32_e32 40, v0
	s_cbranch_execz .LBB116_247
; %bb.246:
	s_clause 0x1
	buffer_load_dword v109, off, s[0:3], 0 offset:320
	buffer_load_dword v110, off, s[0:3], 0 offset:324
	buffer_store_dword v108, off, s[0:3], 0 offset:320
	buffer_store_dword v108, off, s[0:3], 0 offset:324
	s_waitcnt vmcnt(0)
	ds_write_b64 v107, v[109:110]
.LBB116_247:
	s_or_b32 exec_lo, exec_lo, s4
	s_waitcnt lgkmcnt(0)
	s_waitcnt_vscnt null, 0x0
	s_barrier
	buffer_gl0_inv
	s_clause 0x19
	buffer_load_dword v113, off, s[0:3], 0 offset:328
	buffer_load_dword v114, off, s[0:3], 0 offset:332
	;; [unrolled: 1-line block ×26, first 2 shown]
	ds_read2_b64 v[109:112], v108 offset0:95 offset1:96
	s_mov_b32 s4, exec_lo
	s_waitcnt vmcnt(24) lgkmcnt(0)
	v_fma_f64 v[109:110], v[113:114], v[109:110], 0
	s_waitcnt vmcnt(22)
	v_fma_f64 v[113:114], v[115:116], v[111:112], v[109:110]
	ds_read2_b64 v[109:112], v108 offset0:97 offset1:98
	s_waitcnt vmcnt(20) lgkmcnt(0)
	v_fma_f64 v[109:110], v[117:118], v[109:110], v[113:114]
	s_waitcnt vmcnt(18)
	v_fma_f64 v[113:114], v[119:120], v[111:112], v[109:110]
	ds_read2_b64 v[109:112], v108 offset0:99 offset1:100
	;; [unrolled: 5-line block ×5, first 2 shown]
	s_waitcnt vmcnt(4) lgkmcnt(0)
	v_fma_f64 v[108:109], v[133:134], v[108:109], v[112:113]
	s_waitcnt vmcnt(2)
	v_fma_f64 v[108:109], v[135:136], v[110:111], v[108:109]
	s_waitcnt vmcnt(0)
	v_add_f64 v[108:109], v[137:138], -v[108:109]
	buffer_store_dword v109, off, s[0:3], 0 offset:324
	buffer_store_dword v108, off, s[0:3], 0 offset:320
	v_cmpx_lt_u32_e32 39, v0
	s_cbranch_execz .LBB116_249
; %bb.248:
	s_clause 0x1
	buffer_load_dword v108, off, s[0:3], 0 offset:312
	buffer_load_dword v109, off, s[0:3], 0 offset:316
	v_mov_b32_e32 v110, 0
	buffer_store_dword v110, off, s[0:3], 0 offset:312
	buffer_store_dword v110, off, s[0:3], 0 offset:316
	s_waitcnt vmcnt(0)
	ds_write_b64 v107, v[108:109]
.LBB116_249:
	s_or_b32 exec_lo, exec_lo, s4
	s_waitcnt lgkmcnt(0)
	s_waitcnt_vscnt null, 0x0
	s_barrier
	buffer_gl0_inv
	s_clause 0x1b
	buffer_load_dword v113, off, s[0:3], 0 offset:320
	buffer_load_dword v114, off, s[0:3], 0 offset:324
	;; [unrolled: 1-line block ×28, first 2 shown]
	v_mov_b32_e32 v108, 0
	s_mov_b32 s4, exec_lo
	ds_read_b128 v[109:112], v108 offset:752
	s_waitcnt vmcnt(26) lgkmcnt(0)
	v_fma_f64 v[109:110], v[113:114], v[109:110], 0
	s_waitcnt vmcnt(24)
	v_fma_f64 v[113:114], v[115:116], v[111:112], v[109:110]
	ds_read_b128 v[109:112], v108 offset:768
	s_waitcnt vmcnt(22) lgkmcnt(0)
	v_fma_f64 v[109:110], v[117:118], v[109:110], v[113:114]
	s_waitcnt vmcnt(20)
	v_fma_f64 v[113:114], v[119:120], v[111:112], v[109:110]
	;; [unrolled: 5-line block ×6, first 2 shown]
	ds_read_b64 v[111:112], v108 offset:848
	s_waitcnt vmcnt(2) lgkmcnt(0)
	v_fma_f64 v[109:110], v[137:138], v[111:112], v[109:110]
	s_waitcnt vmcnt(0)
	v_add_f64 v[109:110], v[139:140], -v[109:110]
	buffer_store_dword v110, off, s[0:3], 0 offset:316
	buffer_store_dword v109, off, s[0:3], 0 offset:312
	v_cmpx_lt_u32_e32 38, v0
	s_cbranch_execz .LBB116_251
; %bb.250:
	s_clause 0x1
	buffer_load_dword v109, off, s[0:3], 0 offset:304
	buffer_load_dword v110, off, s[0:3], 0 offset:308
	buffer_store_dword v108, off, s[0:3], 0 offset:304
	buffer_store_dword v108, off, s[0:3], 0 offset:308
	s_waitcnt vmcnt(0)
	ds_write_b64 v107, v[109:110]
.LBB116_251:
	s_or_b32 exec_lo, exec_lo, s4
	s_waitcnt lgkmcnt(0)
	s_waitcnt_vscnt null, 0x0
	s_barrier
	buffer_gl0_inv
	s_clause 0x1b
	buffer_load_dword v113, off, s[0:3], 0 offset:312
	buffer_load_dword v114, off, s[0:3], 0 offset:316
	;; [unrolled: 1-line block ×28, first 2 shown]
	ds_read2_b64 v[109:112], v108 offset0:93 offset1:94
	s_clause 0x1
	buffer_load_dword v141, off, s[0:3], 0 offset:304
	buffer_load_dword v142, off, s[0:3], 0 offset:308
	s_mov_b32 s4, exec_lo
	s_waitcnt vmcnt(28) lgkmcnt(0)
	v_fma_f64 v[109:110], v[113:114], v[109:110], 0
	s_waitcnt vmcnt(26)
	v_fma_f64 v[113:114], v[115:116], v[111:112], v[109:110]
	ds_read2_b64 v[109:112], v108 offset0:95 offset1:96
	s_waitcnt vmcnt(24) lgkmcnt(0)
	v_fma_f64 v[109:110], v[117:118], v[109:110], v[113:114]
	s_waitcnt vmcnt(22)
	v_fma_f64 v[113:114], v[119:120], v[111:112], v[109:110]
	ds_read2_b64 v[109:112], v108 offset0:97 offset1:98
	s_waitcnt vmcnt(20) lgkmcnt(0)
	v_fma_f64 v[109:110], v[121:122], v[109:110], v[113:114]
	s_waitcnt vmcnt(18)
	v_fma_f64 v[113:114], v[123:124], v[111:112], v[109:110]
	ds_read2_b64 v[109:112], v108 offset0:99 offset1:100
	s_waitcnt vmcnt(16) lgkmcnt(0)
	v_fma_f64 v[109:110], v[125:126], v[109:110], v[113:114]
	s_waitcnt vmcnt(14)
	v_fma_f64 v[113:114], v[127:128], v[111:112], v[109:110]
	ds_read2_b64 v[109:112], v108 offset0:101 offset1:102
	s_waitcnt vmcnt(12) lgkmcnt(0)
	v_fma_f64 v[109:110], v[129:130], v[109:110], v[113:114]
	s_waitcnt vmcnt(10)
	v_fma_f64 v[113:114], v[131:132], v[111:112], v[109:110]
	ds_read2_b64 v[109:112], v108 offset0:103 offset1:104
	s_waitcnt vmcnt(8) lgkmcnt(0)
	v_fma_f64 v[109:110], v[133:134], v[109:110], v[113:114]
	s_waitcnt vmcnt(6)
	v_fma_f64 v[112:113], v[135:136], v[111:112], v[109:110]
	ds_read2_b64 v[108:111], v108 offset0:105 offset1:106
	s_waitcnt vmcnt(4) lgkmcnt(0)
	v_fma_f64 v[108:109], v[137:138], v[108:109], v[112:113]
	s_waitcnt vmcnt(2)
	v_fma_f64 v[108:109], v[139:140], v[110:111], v[108:109]
	s_waitcnt vmcnt(0)
	v_add_f64 v[108:109], v[141:142], -v[108:109]
	buffer_store_dword v109, off, s[0:3], 0 offset:308
	buffer_store_dword v108, off, s[0:3], 0 offset:304
	v_cmpx_lt_u32_e32 37, v0
	s_cbranch_execz .LBB116_253
; %bb.252:
	s_clause 0x1
	buffer_load_dword v108, off, s[0:3], 0 offset:296
	buffer_load_dword v109, off, s[0:3], 0 offset:300
	v_mov_b32_e32 v110, 0
	buffer_store_dword v110, off, s[0:3], 0 offset:296
	buffer_store_dword v110, off, s[0:3], 0 offset:300
	s_waitcnt vmcnt(0)
	ds_write_b64 v107, v[108:109]
.LBB116_253:
	s_or_b32 exec_lo, exec_lo, s4
	s_waitcnt lgkmcnt(0)
	s_waitcnt_vscnt null, 0x0
	s_barrier
	buffer_gl0_inv
	s_clause 0x1c
	buffer_load_dword v117, off, s[0:3], 0 offset:304
	buffer_load_dword v118, off, s[0:3], 0 offset:308
	;; [unrolled: 1-line block ×29, first 2 shown]
	v_mov_b32_e32 v108, 0
	buffer_load_dword v142, off, s[0:3], 0 offset:420
	s_mov_b32 s4, exec_lo
	ds_read_b128 v[109:112], v108 offset:736
	ds_read_b128 v[113:116], v108 offset:752
	s_waitcnt vmcnt(28) lgkmcnt(1)
	v_fma_f64 v[109:110], v[117:118], v[109:110], 0
	s_clause 0x1
	buffer_load_dword v117, off, s[0:3], 0 offset:296
	buffer_load_dword v118, off, s[0:3], 0 offset:300
	s_waitcnt vmcnt(28)
	v_fma_f64 v[109:110], v[119:120], v[111:112], v[109:110]
	s_waitcnt vmcnt(26) lgkmcnt(0)
	v_fma_f64 v[109:110], v[121:122], v[113:114], v[109:110]
	s_waitcnt vmcnt(24)
	v_fma_f64 v[119:120], v[123:124], v[115:116], v[109:110]
	ds_read_b128 v[109:112], v108 offset:768
	ds_read_b128 v[113:116], v108 offset:784
	s_waitcnt vmcnt(22) lgkmcnt(1)
	v_fma_f64 v[109:110], v[125:126], v[109:110], v[119:120]
	s_waitcnt vmcnt(20)
	v_fma_f64 v[109:110], v[127:128], v[111:112], v[109:110]
	s_waitcnt vmcnt(18) lgkmcnt(0)
	v_fma_f64 v[109:110], v[129:130], v[113:114], v[109:110]
	s_waitcnt vmcnt(13)
	v_fma_f64 v[119:120], v[131:132], v[115:116], v[109:110]
	ds_read_b128 v[109:112], v108 offset:800
	ds_read_b128 v[113:116], v108 offset:816
	s_waitcnt vmcnt(12) lgkmcnt(1)
	v_fma_f64 v[109:110], v[137:138], v[109:110], v[119:120]
	s_waitcnt vmcnt(11)
	v_fma_f64 v[109:110], v[135:136], v[111:112], v[109:110]
	s_waitcnt vmcnt(10) lgkmcnt(0)
	v_fma_f64 v[109:110], v[133:134], v[113:114], v[109:110]
	s_waitcnt vmcnt(5)
	v_fma_f64 v[113:114], v[139:140], v[115:116], v[109:110]
	ds_read_b128 v[109:112], v108 offset:832
	ds_read_b64 v[115:116], v108 offset:848
	s_waitcnt vmcnt(4) lgkmcnt(1)
	v_fma_f64 v[109:110], v[145:146], v[109:110], v[113:114]
	s_waitcnt vmcnt(3)
	v_fma_f64 v[109:110], v[143:144], v[111:112], v[109:110]
	s_waitcnt vmcnt(2) lgkmcnt(0)
	v_fma_f64 v[109:110], v[141:142], v[115:116], v[109:110]
	s_waitcnt vmcnt(0)
	v_add_f64 v[109:110], v[117:118], -v[109:110]
	buffer_store_dword v110, off, s[0:3], 0 offset:300
	buffer_store_dword v109, off, s[0:3], 0 offset:296
	v_cmpx_lt_u32_e32 36, v0
	s_cbranch_execz .LBB116_255
; %bb.254:
	s_clause 0x1
	buffer_load_dword v109, off, s[0:3], 0 offset:288
	buffer_load_dword v110, off, s[0:3], 0 offset:292
	buffer_store_dword v108, off, s[0:3], 0 offset:288
	buffer_store_dword v108, off, s[0:3], 0 offset:292
	s_waitcnt vmcnt(0)
	ds_write_b64 v107, v[109:110]
.LBB116_255:
	s_or_b32 exec_lo, exec_lo, s4
	s_waitcnt lgkmcnt(0)
	s_waitcnt_vscnt null, 0x0
	s_barrier
	buffer_gl0_inv
	s_clause 0x1c
	buffer_load_dword v117, off, s[0:3], 0 offset:296
	buffer_load_dword v118, off, s[0:3], 0 offset:300
	;; [unrolled: 1-line block ×29, first 2 shown]
	ds_read2_b64 v[109:112], v108 offset0:91 offset1:92
	ds_read2_b64 v[113:116], v108 offset0:93 offset1:94
	buffer_load_dword v142, off, s[0:3], 0 offset:412
	s_mov_b32 s4, exec_lo
	s_waitcnt vmcnt(28) lgkmcnt(1)
	v_fma_f64 v[109:110], v[117:118], v[109:110], 0
	s_clause 0x1
	buffer_load_dword v118, off, s[0:3], 0 offset:420
	buffer_load_dword v117, off, s[0:3], 0 offset:416
	s_waitcnt vmcnt(28)
	v_fma_f64 v[109:110], v[119:120], v[111:112], v[109:110]
	s_clause 0x1
	buffer_load_dword v119, off, s[0:3], 0 offset:288
	buffer_load_dword v120, off, s[0:3], 0 offset:292
	s_waitcnt vmcnt(28) lgkmcnt(0)
	v_fma_f64 v[109:110], v[121:122], v[113:114], v[109:110]
	s_waitcnt vmcnt(26)
	v_fma_f64 v[121:122], v[123:124], v[115:116], v[109:110]
	ds_read2_b64 v[109:112], v108 offset0:95 offset1:96
	ds_read2_b64 v[113:116], v108 offset0:97 offset1:98
	s_waitcnt vmcnt(24) lgkmcnt(1)
	v_fma_f64 v[109:110], v[125:126], v[109:110], v[121:122]
	s_waitcnt vmcnt(22)
	v_fma_f64 v[109:110], v[127:128], v[111:112], v[109:110]
	s_waitcnt vmcnt(20) lgkmcnt(0)
	v_fma_f64 v[109:110], v[129:130], v[113:114], v[109:110]
	s_waitcnt vmcnt(15)
	v_fma_f64 v[121:122], v[131:132], v[115:116], v[109:110]
	ds_read2_b64 v[109:112], v108 offset0:99 offset1:100
	ds_read2_b64 v[113:116], v108 offset0:101 offset1:102
	s_waitcnt vmcnt(14) lgkmcnt(1)
	v_fma_f64 v[109:110], v[137:138], v[109:110], v[121:122]
	s_waitcnt vmcnt(13)
	v_fma_f64 v[109:110], v[135:136], v[111:112], v[109:110]
	;; [unrolled: 10-line block ×3, first 2 shown]
	s_waitcnt vmcnt(4) lgkmcnt(0)
	v_fma_f64 v[108:109], v[141:142], v[113:114], v[108:109]
	s_waitcnt vmcnt(2)
	v_fma_f64 v[108:109], v[117:118], v[115:116], v[108:109]
	s_waitcnt vmcnt(0)
	v_add_f64 v[108:109], v[119:120], -v[108:109]
	buffer_store_dword v109, off, s[0:3], 0 offset:292
	buffer_store_dword v108, off, s[0:3], 0 offset:288
	v_cmpx_lt_u32_e32 35, v0
	s_cbranch_execz .LBB116_257
; %bb.256:
	s_clause 0x1
	buffer_load_dword v108, off, s[0:3], 0 offset:280
	buffer_load_dword v109, off, s[0:3], 0 offset:284
	v_mov_b32_e32 v110, 0
	buffer_store_dword v110, off, s[0:3], 0 offset:280
	buffer_store_dword v110, off, s[0:3], 0 offset:284
	s_waitcnt vmcnt(0)
	ds_write_b64 v107, v[108:109]
.LBB116_257:
	s_or_b32 exec_lo, exec_lo, s4
	s_waitcnt lgkmcnt(0)
	s_waitcnt_vscnt null, 0x0
	s_barrier
	buffer_gl0_inv
	s_clause 0x1c
	buffer_load_dword v117, off, s[0:3], 0 offset:288
	buffer_load_dword v118, off, s[0:3], 0 offset:292
	;; [unrolled: 1-line block ×29, first 2 shown]
	v_mov_b32_e32 v108, 0
	buffer_load_dword v142, off, s[0:3], 0 offset:404
	s_mov_b32 s4, exec_lo
	ds_read_b128 v[109:112], v108 offset:720
	ds_read_b128 v[113:116], v108 offset:736
	s_waitcnt vmcnt(28) lgkmcnt(1)
	v_fma_f64 v[109:110], v[117:118], v[109:110], 0
	s_clause 0x3
	buffer_load_dword v118, off, s[0:3], 0 offset:412
	buffer_load_dword v147, off, s[0:3], 0 offset:416
	;; [unrolled: 1-line block ×4, first 2 shown]
	s_waitcnt vmcnt(30)
	v_fma_f64 v[109:110], v[119:120], v[111:112], v[109:110]
	s_clause 0x1
	buffer_load_dword v119, off, s[0:3], 0 offset:280
	buffer_load_dword v120, off, s[0:3], 0 offset:284
	s_waitcnt vmcnt(30) lgkmcnt(0)
	v_fma_f64 v[109:110], v[121:122], v[113:114], v[109:110]
	s_waitcnt vmcnt(28)
	v_fma_f64 v[121:122], v[123:124], v[115:116], v[109:110]
	ds_read_b128 v[109:112], v108 offset:752
	ds_read_b128 v[113:116], v108 offset:768
	s_waitcnt vmcnt(26) lgkmcnt(1)
	v_fma_f64 v[109:110], v[125:126], v[109:110], v[121:122]
	s_waitcnt vmcnt(24)
	v_fma_f64 v[109:110], v[127:128], v[111:112], v[109:110]
	s_waitcnt vmcnt(22) lgkmcnt(0)
	v_fma_f64 v[109:110], v[129:130], v[113:114], v[109:110]
	s_waitcnt vmcnt(17)
	v_fma_f64 v[121:122], v[131:132], v[115:116], v[109:110]
	ds_read_b128 v[109:112], v108 offset:784
	ds_read_b128 v[113:116], v108 offset:800
	s_waitcnt vmcnt(16) lgkmcnt(1)
	v_fma_f64 v[109:110], v[137:138], v[109:110], v[121:122]
	s_waitcnt vmcnt(15)
	v_fma_f64 v[109:110], v[135:136], v[111:112], v[109:110]
	;; [unrolled: 10-line block ×3, first 2 shown]
	ds_read_b64 v[111:112], v108 offset:848
	s_waitcnt vmcnt(6) lgkmcnt(1)
	v_fma_f64 v[109:110], v[141:142], v[113:114], v[109:110]
	s_waitcnt vmcnt(3)
	v_fma_f64 v[109:110], v[117:118], v[115:116], v[109:110]
	s_waitcnt vmcnt(2) lgkmcnt(0)
	v_fma_f64 v[109:110], v[147:148], v[111:112], v[109:110]
	s_waitcnt vmcnt(0)
	v_add_f64 v[109:110], v[119:120], -v[109:110]
	buffer_store_dword v110, off, s[0:3], 0 offset:284
	buffer_store_dword v109, off, s[0:3], 0 offset:280
	v_cmpx_lt_u32_e32 34, v0
	s_cbranch_execz .LBB116_259
; %bb.258:
	s_clause 0x1
	buffer_load_dword v109, off, s[0:3], 0 offset:272
	buffer_load_dword v110, off, s[0:3], 0 offset:276
	buffer_store_dword v108, off, s[0:3], 0 offset:272
	buffer_store_dword v108, off, s[0:3], 0 offset:276
	s_waitcnt vmcnt(0)
	ds_write_b64 v107, v[109:110]
.LBB116_259:
	s_or_b32 exec_lo, exec_lo, s4
	s_waitcnt lgkmcnt(0)
	s_waitcnt_vscnt null, 0x0
	s_barrier
	buffer_gl0_inv
	s_clause 0x1c
	buffer_load_dword v117, off, s[0:3], 0 offset:280
	buffer_load_dword v118, off, s[0:3], 0 offset:284
	;; [unrolled: 1-line block ×29, first 2 shown]
	ds_read2_b64 v[109:112], v108 offset0:89 offset1:90
	ds_read2_b64 v[113:116], v108 offset0:91 offset1:92
	buffer_load_dword v142, off, s[0:3], 0 offset:396
	s_mov_b32 s4, exec_lo
	s_waitcnt vmcnt(28) lgkmcnt(1)
	v_fma_f64 v[109:110], v[117:118], v[109:110], 0
	s_clause 0x5
	buffer_load_dword v118, off, s[0:3], 0 offset:404
	buffer_load_dword v147, off, s[0:3], 0 offset:416
	;; [unrolled: 1-line block ×6, first 2 shown]
	s_waitcnt vmcnt(32)
	v_fma_f64 v[109:110], v[119:120], v[111:112], v[109:110]
	s_waitcnt vmcnt(30) lgkmcnt(0)
	v_fma_f64 v[109:110], v[121:122], v[113:114], v[109:110]
	s_waitcnt vmcnt(28)
	v_fma_f64 v[119:120], v[123:124], v[115:116], v[109:110]
	ds_read2_b64 v[109:112], v108 offset0:93 offset1:94
	s_clause 0x1
	buffer_load_dword v121, off, s[0:3], 0 offset:272
	buffer_load_dword v122, off, s[0:3], 0 offset:276
	ds_read2_b64 v[113:116], v108 offset0:95 offset1:96
	s_waitcnt vmcnt(28) lgkmcnt(1)
	v_fma_f64 v[109:110], v[125:126], v[109:110], v[119:120]
	s_waitcnt vmcnt(26)
	v_fma_f64 v[109:110], v[127:128], v[111:112], v[109:110]
	s_waitcnt vmcnt(24) lgkmcnt(0)
	v_fma_f64 v[109:110], v[129:130], v[113:114], v[109:110]
	s_waitcnt vmcnt(19)
	v_fma_f64 v[119:120], v[131:132], v[115:116], v[109:110]
	ds_read2_b64 v[109:112], v108 offset0:97 offset1:98
	ds_read2_b64 v[113:116], v108 offset0:99 offset1:100
	s_waitcnt vmcnt(18) lgkmcnt(1)
	v_fma_f64 v[109:110], v[137:138], v[109:110], v[119:120]
	s_waitcnt vmcnt(17)
	v_fma_f64 v[109:110], v[135:136], v[111:112], v[109:110]
	s_waitcnt vmcnt(16) lgkmcnt(0)
	v_fma_f64 v[109:110], v[133:134], v[113:114], v[109:110]
	s_waitcnt vmcnt(11)
	v_fma_f64 v[119:120], v[139:140], v[115:116], v[109:110]
	ds_read2_b64 v[109:112], v108 offset0:101 offset1:102
	;; [unrolled: 10-line block ×3, first 2 shown]
	s_waitcnt vmcnt(3) lgkmcnt(0)
	v_fma_f64 v[108:109], v[149:150], v[108:109], v[112:113]
	s_waitcnt vmcnt(2)
	v_fma_f64 v[108:109], v[147:148], v[110:111], v[108:109]
	s_waitcnt vmcnt(0)
	v_add_f64 v[108:109], v[121:122], -v[108:109]
	buffer_store_dword v109, off, s[0:3], 0 offset:276
	buffer_store_dword v108, off, s[0:3], 0 offset:272
	v_cmpx_lt_u32_e32 33, v0
	s_cbranch_execz .LBB116_261
; %bb.260:
	s_clause 0x1
	buffer_load_dword v108, off, s[0:3], 0 offset:264
	buffer_load_dword v109, off, s[0:3], 0 offset:268
	v_mov_b32_e32 v110, 0
	buffer_store_dword v110, off, s[0:3], 0 offset:264
	buffer_store_dword v110, off, s[0:3], 0 offset:268
	s_waitcnt vmcnt(0)
	ds_write_b64 v107, v[108:109]
.LBB116_261:
	s_or_b32 exec_lo, exec_lo, s4
	s_waitcnt lgkmcnt(0)
	s_waitcnt_vscnt null, 0x0
	s_barrier
	buffer_gl0_inv
	s_clause 0x1c
	buffer_load_dword v117, off, s[0:3], 0 offset:272
	buffer_load_dword v118, off, s[0:3], 0 offset:276
	;; [unrolled: 1-line block ×29, first 2 shown]
	v_mov_b32_e32 v108, 0
	buffer_load_dword v142, off, s[0:3], 0 offset:388
	s_mov_b32 s4, exec_lo
	ds_read_b128 v[109:112], v108 offset:704
	ds_read_b128 v[113:116], v108 offset:720
	s_waitcnt vmcnt(28) lgkmcnt(1)
	v_fma_f64 v[109:110], v[117:118], v[109:110], 0
	s_clause 0x7
	buffer_load_dword v118, off, s[0:3], 0 offset:396
	buffer_load_dword v147, off, s[0:3], 0 offset:416
	;; [unrolled: 1-line block ×8, first 2 shown]
	s_waitcnt vmcnt(34)
	v_fma_f64 v[109:110], v[119:120], v[111:112], v[109:110]
	s_waitcnt vmcnt(32) lgkmcnt(0)
	v_fma_f64 v[109:110], v[121:122], v[113:114], v[109:110]
	s_waitcnt vmcnt(30)
	v_fma_f64 v[119:120], v[123:124], v[115:116], v[109:110]
	ds_read_b128 v[109:112], v108 offset:736
	ds_read_b128 v[113:116], v108 offset:752
	s_waitcnt vmcnt(28) lgkmcnt(1)
	v_fma_f64 v[109:110], v[125:126], v[109:110], v[119:120]
	s_clause 0x1
	buffer_load_dword v119, off, s[0:3], 0 offset:264
	buffer_load_dword v120, off, s[0:3], 0 offset:268
	s_waitcnt vmcnt(28)
	v_fma_f64 v[109:110], v[127:128], v[111:112], v[109:110]
	s_waitcnt vmcnt(26) lgkmcnt(0)
	v_fma_f64 v[109:110], v[129:130], v[113:114], v[109:110]
	s_waitcnt vmcnt(21)
	v_fma_f64 v[121:122], v[131:132], v[115:116], v[109:110]
	ds_read_b128 v[109:112], v108 offset:768
	ds_read_b128 v[113:116], v108 offset:784
	s_waitcnt vmcnt(20) lgkmcnt(1)
	v_fma_f64 v[109:110], v[137:138], v[109:110], v[121:122]
	s_waitcnt vmcnt(19)
	v_fma_f64 v[109:110], v[135:136], v[111:112], v[109:110]
	s_waitcnt vmcnt(18) lgkmcnt(0)
	v_fma_f64 v[109:110], v[133:134], v[113:114], v[109:110]
	s_waitcnt vmcnt(13)
	v_fma_f64 v[121:122], v[139:140], v[115:116], v[109:110]
	ds_read_b128 v[109:112], v108 offset:800
	ds_read_b128 v[113:116], v108 offset:816
	s_waitcnt vmcnt(12) lgkmcnt(1)
	v_fma_f64 v[109:110], v[145:146], v[109:110], v[121:122]
	s_waitcnt vmcnt(11)
	v_fma_f64 v[109:110], v[143:144], v[111:112], v[109:110]
	s_waitcnt vmcnt(10) lgkmcnt(0)
	v_fma_f64 v[109:110], v[141:142], v[113:114], v[109:110]
	s_waitcnt vmcnt(5)
	v_fma_f64 v[113:114], v[117:118], v[115:116], v[109:110]
	ds_read_b128 v[109:112], v108 offset:832
	ds_read_b64 v[115:116], v108 offset:848
	s_waitcnt vmcnt(4) lgkmcnt(1)
	v_fma_f64 v[109:110], v[151:152], v[109:110], v[113:114]
	s_waitcnt vmcnt(3)
	v_fma_f64 v[109:110], v[149:150], v[111:112], v[109:110]
	s_waitcnt vmcnt(2) lgkmcnt(0)
	v_fma_f64 v[109:110], v[147:148], v[115:116], v[109:110]
	s_waitcnt vmcnt(0)
	v_add_f64 v[109:110], v[119:120], -v[109:110]
	buffer_store_dword v110, off, s[0:3], 0 offset:268
	buffer_store_dword v109, off, s[0:3], 0 offset:264
	v_cmpx_lt_u32_e32 32, v0
	s_cbranch_execz .LBB116_263
; %bb.262:
	s_clause 0x1
	buffer_load_dword v109, off, s[0:3], 0 offset:256
	buffer_load_dword v110, off, s[0:3], 0 offset:260
	buffer_store_dword v108, off, s[0:3], 0 offset:256
	buffer_store_dword v108, off, s[0:3], 0 offset:260
	s_waitcnt vmcnt(0)
	ds_write_b64 v107, v[109:110]
.LBB116_263:
	s_or_b32 exec_lo, exec_lo, s4
	s_waitcnt lgkmcnt(0)
	s_waitcnt_vscnt null, 0x0
	s_barrier
	buffer_gl0_inv
	s_clause 0x1c
	buffer_load_dword v117, off, s[0:3], 0 offset:264
	buffer_load_dword v118, off, s[0:3], 0 offset:268
	;; [unrolled: 1-line block ×29, first 2 shown]
	ds_read2_b64 v[109:112], v108 offset0:87 offset1:88
	ds_read2_b64 v[113:116], v108 offset0:89 offset1:90
	buffer_load_dword v142, off, s[0:3], 0 offset:380
	s_mov_b32 s4, exec_lo
	s_waitcnt vmcnt(28) lgkmcnt(1)
	v_fma_f64 v[109:110], v[117:118], v[109:110], 0
	s_clause 0x7
	buffer_load_dword v118, off, s[0:3], 0 offset:388
	buffer_load_dword v147, off, s[0:3], 0 offset:408
	;; [unrolled: 1-line block ×8, first 2 shown]
	s_waitcnt vmcnt(34)
	v_fma_f64 v[109:110], v[119:120], v[111:112], v[109:110]
	s_waitcnt vmcnt(32) lgkmcnt(0)
	v_fma_f64 v[109:110], v[121:122], v[113:114], v[109:110]
	s_waitcnt vmcnt(30)
	v_fma_f64 v[119:120], v[123:124], v[115:116], v[109:110]
	ds_read2_b64 v[109:112], v108 offset0:91 offset1:92
	ds_read2_b64 v[113:116], v108 offset0:93 offset1:94
	s_waitcnt vmcnt(28) lgkmcnt(1)
	v_fma_f64 v[109:110], v[125:126], v[109:110], v[119:120]
	s_clause 0x3
	buffer_load_dword v120, off, s[0:3], 0 offset:420
	buffer_load_dword v119, off, s[0:3], 0 offset:416
	buffer_load_dword v121, off, s[0:3], 0 offset:256
	buffer_load_dword v122, off, s[0:3], 0 offset:260
	s_waitcnt vmcnt(30)
	v_fma_f64 v[109:110], v[127:128], v[111:112], v[109:110]
	s_waitcnt vmcnt(28) lgkmcnt(0)
	v_fma_f64 v[109:110], v[129:130], v[113:114], v[109:110]
	s_waitcnt vmcnt(23)
	v_fma_f64 v[123:124], v[131:132], v[115:116], v[109:110]
	ds_read2_b64 v[109:112], v108 offset0:95 offset1:96
	ds_read2_b64 v[113:116], v108 offset0:97 offset1:98
	s_waitcnt vmcnt(22) lgkmcnt(1)
	v_fma_f64 v[109:110], v[137:138], v[109:110], v[123:124]
	s_waitcnt vmcnt(21)
	v_fma_f64 v[109:110], v[135:136], v[111:112], v[109:110]
	s_waitcnt vmcnt(20) lgkmcnt(0)
	v_fma_f64 v[109:110], v[133:134], v[113:114], v[109:110]
	s_waitcnt vmcnt(15)
	v_fma_f64 v[123:124], v[139:140], v[115:116], v[109:110]
	ds_read2_b64 v[109:112], v108 offset0:99 offset1:100
	ds_read2_b64 v[113:116], v108 offset0:101 offset1:102
	s_waitcnt vmcnt(14) lgkmcnt(1)
	v_fma_f64 v[109:110], v[145:146], v[109:110], v[123:124]
	;; [unrolled: 10-line block ×3, first 2 shown]
	s_waitcnt vmcnt(5)
	v_fma_f64 v[108:109], v[149:150], v[111:112], v[108:109]
	s_waitcnt vmcnt(4) lgkmcnt(0)
	v_fma_f64 v[108:109], v[147:148], v[113:114], v[108:109]
	s_waitcnt vmcnt(2)
	v_fma_f64 v[108:109], v[119:120], v[115:116], v[108:109]
	s_waitcnt vmcnt(0)
	v_add_f64 v[108:109], v[121:122], -v[108:109]
	buffer_store_dword v109, off, s[0:3], 0 offset:260
	buffer_store_dword v108, off, s[0:3], 0 offset:256
	v_cmpx_lt_u32_e32 31, v0
	s_cbranch_execz .LBB116_265
; %bb.264:
	s_clause 0x1
	buffer_load_dword v108, off, s[0:3], 0 offset:248
	buffer_load_dword v109, off, s[0:3], 0 offset:252
	v_mov_b32_e32 v110, 0
	buffer_store_dword v110, off, s[0:3], 0 offset:248
	buffer_store_dword v110, off, s[0:3], 0 offset:252
	s_waitcnt vmcnt(0)
	ds_write_b64 v107, v[108:109]
.LBB116_265:
	s_or_b32 exec_lo, exec_lo, s4
	s_waitcnt lgkmcnt(0)
	s_waitcnt_vscnt null, 0x0
	s_barrier
	buffer_gl0_inv
	s_clause 0x1c
	buffer_load_dword v117, off, s[0:3], 0 offset:256
	buffer_load_dword v118, off, s[0:3], 0 offset:260
	;; [unrolled: 1-line block ×29, first 2 shown]
	v_mov_b32_e32 v108, 0
	buffer_load_dword v142, off, s[0:3], 0 offset:372
	s_mov_b32 s4, exec_lo
	ds_read_b128 v[109:112], v108 offset:688
	ds_read_b128 v[113:116], v108 offset:704
	s_waitcnt vmcnt(28) lgkmcnt(1)
	v_fma_f64 v[109:110], v[117:118], v[109:110], 0
	s_clause 0x7
	buffer_load_dword v118, off, s[0:3], 0 offset:380
	buffer_load_dword v147, off, s[0:3], 0 offset:400
	;; [unrolled: 1-line block ×8, first 2 shown]
	s_waitcnt vmcnt(34)
	v_fma_f64 v[109:110], v[119:120], v[111:112], v[109:110]
	s_waitcnt vmcnt(32) lgkmcnt(0)
	v_fma_f64 v[109:110], v[121:122], v[113:114], v[109:110]
	s_waitcnt vmcnt(30)
	v_fma_f64 v[119:120], v[123:124], v[115:116], v[109:110]
	ds_read_b128 v[109:112], v108 offset:720
	ds_read_b128 v[113:116], v108 offset:736
	s_waitcnt vmcnt(28) lgkmcnt(1)
	v_fma_f64 v[109:110], v[125:126], v[109:110], v[119:120]
	s_clause 0x5
	buffer_load_dword v120, off, s[0:3], 0 offset:412
	buffer_load_dword v121, off, s[0:3], 0 offset:416
	;; [unrolled: 1-line block ×6, first 2 shown]
	s_waitcnt vmcnt(32)
	v_fma_f64 v[109:110], v[127:128], v[111:112], v[109:110]
	s_waitcnt vmcnt(30) lgkmcnt(0)
	v_fma_f64 v[109:110], v[129:130], v[113:114], v[109:110]
	s_waitcnt vmcnt(25)
	v_fma_f64 v[125:126], v[131:132], v[115:116], v[109:110]
	ds_read_b128 v[109:112], v108 offset:752
	ds_read_b128 v[113:116], v108 offset:768
	s_waitcnt vmcnt(24) lgkmcnt(1)
	v_fma_f64 v[109:110], v[137:138], v[109:110], v[125:126]
	s_waitcnt vmcnt(23)
	v_fma_f64 v[109:110], v[135:136], v[111:112], v[109:110]
	s_waitcnt vmcnt(22) lgkmcnt(0)
	v_fma_f64 v[109:110], v[133:134], v[113:114], v[109:110]
	s_waitcnt vmcnt(17)
	v_fma_f64 v[125:126], v[139:140], v[115:116], v[109:110]
	ds_read_b128 v[109:112], v108 offset:784
	ds_read_b128 v[113:116], v108 offset:800
	s_waitcnt vmcnt(16) lgkmcnt(1)
	v_fma_f64 v[109:110], v[145:146], v[109:110], v[125:126]
	;; [unrolled: 10-line block ×3, first 2 shown]
	s_waitcnt vmcnt(7)
	v_fma_f64 v[109:110], v[149:150], v[111:112], v[109:110]
	ds_read_b64 v[111:112], v108 offset:848
	s_waitcnt vmcnt(6) lgkmcnt(1)
	v_fma_f64 v[109:110], v[147:148], v[113:114], v[109:110]
	s_waitcnt vmcnt(3)
	v_fma_f64 v[109:110], v[119:120], v[115:116], v[109:110]
	s_waitcnt vmcnt(2) lgkmcnt(0)
	v_fma_f64 v[109:110], v[121:122], v[111:112], v[109:110]
	s_waitcnt vmcnt(0)
	v_add_f64 v[109:110], v[123:124], -v[109:110]
	buffer_store_dword v110, off, s[0:3], 0 offset:252
	buffer_store_dword v109, off, s[0:3], 0 offset:248
	v_cmpx_lt_u32_e32 30, v0
	s_cbranch_execz .LBB116_267
; %bb.266:
	s_clause 0x1
	buffer_load_dword v109, off, s[0:3], 0 offset:240
	buffer_load_dword v110, off, s[0:3], 0 offset:244
	buffer_store_dword v108, off, s[0:3], 0 offset:240
	buffer_store_dword v108, off, s[0:3], 0 offset:244
	s_waitcnt vmcnt(0)
	ds_write_b64 v107, v[109:110]
.LBB116_267:
	s_or_b32 exec_lo, exec_lo, s4
	s_waitcnt lgkmcnt(0)
	s_waitcnt_vscnt null, 0x0
	s_barrier
	buffer_gl0_inv
	s_clause 0x1c
	buffer_load_dword v117, off, s[0:3], 0 offset:248
	buffer_load_dword v118, off, s[0:3], 0 offset:252
	;; [unrolled: 1-line block ×29, first 2 shown]
	ds_read2_b64 v[109:112], v108 offset0:85 offset1:86
	ds_read2_b64 v[113:116], v108 offset0:87 offset1:88
	buffer_load_dword v142, off, s[0:3], 0 offset:364
	s_mov_b32 s4, exec_lo
	s_waitcnt vmcnt(28) lgkmcnt(1)
	v_fma_f64 v[109:110], v[117:118], v[109:110], 0
	s_clause 0x7
	buffer_load_dword v118, off, s[0:3], 0 offset:372
	buffer_load_dword v147, off, s[0:3], 0 offset:392
	;; [unrolled: 1-line block ×8, first 2 shown]
	s_waitcnt vmcnt(34)
	v_fma_f64 v[109:110], v[119:120], v[111:112], v[109:110]
	s_waitcnt vmcnt(32) lgkmcnt(0)
	v_fma_f64 v[109:110], v[121:122], v[113:114], v[109:110]
	s_waitcnt vmcnt(30)
	v_fma_f64 v[119:120], v[123:124], v[115:116], v[109:110]
	ds_read2_b64 v[109:112], v108 offset0:89 offset1:90
	ds_read2_b64 v[113:116], v108 offset0:91 offset1:92
	s_waitcnt vmcnt(28) lgkmcnt(1)
	v_fma_f64 v[109:110], v[125:126], v[109:110], v[119:120]
	s_clause 0x5
	buffer_load_dword v120, off, s[0:3], 0 offset:404
	buffer_load_dword v121, off, s[0:3], 0 offset:416
	;; [unrolled: 1-line block ×6, first 2 shown]
	s_waitcnt vmcnt(32)
	v_fma_f64 v[109:110], v[127:128], v[111:112], v[109:110]
	s_waitcnt vmcnt(30) lgkmcnt(0)
	v_fma_f64 v[109:110], v[129:130], v[113:114], v[109:110]
	s_waitcnt vmcnt(25)
	v_fma_f64 v[125:126], v[131:132], v[115:116], v[109:110]
	ds_read2_b64 v[109:112], v108 offset0:93 offset1:94
	s_clause 0x1
	buffer_load_dword v127, off, s[0:3], 0 offset:240
	buffer_load_dword v128, off, s[0:3], 0 offset:244
	ds_read2_b64 v[113:116], v108 offset0:95 offset1:96
	s_waitcnt vmcnt(26) lgkmcnt(1)
	v_fma_f64 v[109:110], v[137:138], v[109:110], v[125:126]
	s_waitcnt vmcnt(25)
	v_fma_f64 v[109:110], v[135:136], v[111:112], v[109:110]
	s_waitcnt vmcnt(24) lgkmcnt(0)
	v_fma_f64 v[109:110], v[133:134], v[113:114], v[109:110]
	s_waitcnt vmcnt(19)
	v_fma_f64 v[125:126], v[139:140], v[115:116], v[109:110]
	ds_read2_b64 v[109:112], v108 offset0:97 offset1:98
	ds_read2_b64 v[113:116], v108 offset0:99 offset1:100
	s_waitcnt vmcnt(18) lgkmcnt(1)
	v_fma_f64 v[109:110], v[145:146], v[109:110], v[125:126]
	s_waitcnt vmcnt(17)
	v_fma_f64 v[109:110], v[143:144], v[111:112], v[109:110]
	s_waitcnt vmcnt(16) lgkmcnt(0)
	v_fma_f64 v[109:110], v[141:142], v[113:114], v[109:110]
	s_waitcnt vmcnt(11)
	v_fma_f64 v[117:118], v[117:118], v[115:116], v[109:110]
	ds_read2_b64 v[109:112], v108 offset0:101 offset1:102
	;; [unrolled: 10-line block ×3, first 2 shown]
	s_waitcnt vmcnt(3) lgkmcnt(0)
	v_fma_f64 v[108:109], v[123:124], v[108:109], v[112:113]
	s_waitcnt vmcnt(2)
	v_fma_f64 v[108:109], v[121:122], v[110:111], v[108:109]
	s_waitcnt vmcnt(0)
	v_add_f64 v[108:109], v[127:128], -v[108:109]
	buffer_store_dword v109, off, s[0:3], 0 offset:244
	buffer_store_dword v108, off, s[0:3], 0 offset:240
	v_cmpx_lt_u32_e32 29, v0
	s_cbranch_execz .LBB116_269
; %bb.268:
	s_clause 0x1
	buffer_load_dword v108, off, s[0:3], 0 offset:232
	buffer_load_dword v109, off, s[0:3], 0 offset:236
	v_mov_b32_e32 v110, 0
	buffer_store_dword v110, off, s[0:3], 0 offset:232
	buffer_store_dword v110, off, s[0:3], 0 offset:236
	s_waitcnt vmcnt(0)
	ds_write_b64 v107, v[108:109]
.LBB116_269:
	s_or_b32 exec_lo, exec_lo, s4
	s_waitcnt lgkmcnt(0)
	s_waitcnt_vscnt null, 0x0
	s_barrier
	buffer_gl0_inv
	s_clause 0x1c
	buffer_load_dword v117, off, s[0:3], 0 offset:240
	buffer_load_dword v118, off, s[0:3], 0 offset:244
	;; [unrolled: 1-line block ×29, first 2 shown]
	v_mov_b32_e32 v108, 0
	buffer_load_dword v142, off, s[0:3], 0 offset:356
	s_mov_b32 s4, exec_lo
	ds_read_b128 v[109:112], v108 offset:672
	ds_read_b128 v[113:116], v108 offset:688
	s_waitcnt vmcnt(28) lgkmcnt(1)
	v_fma_f64 v[109:110], v[117:118], v[109:110], 0
	s_clause 0x7
	buffer_load_dword v118, off, s[0:3], 0 offset:364
	buffer_load_dword v147, off, s[0:3], 0 offset:384
	;; [unrolled: 1-line block ×8, first 2 shown]
	s_waitcnt vmcnt(34)
	v_fma_f64 v[109:110], v[119:120], v[111:112], v[109:110]
	s_waitcnt vmcnt(32) lgkmcnt(0)
	v_fma_f64 v[109:110], v[121:122], v[113:114], v[109:110]
	s_waitcnt vmcnt(30)
	v_fma_f64 v[119:120], v[123:124], v[115:116], v[109:110]
	ds_read_b128 v[109:112], v108 offset:704
	ds_read_b128 v[113:116], v108 offset:720
	s_waitcnt vmcnt(28) lgkmcnt(1)
	v_fma_f64 v[109:110], v[125:126], v[109:110], v[119:120]
	s_clause 0x7
	buffer_load_dword v120, off, s[0:3], 0 offset:396
	buffer_load_dword v121, off, s[0:3], 0 offset:416
	buffer_load_dword v123, off, s[0:3], 0 offset:408
	buffer_load_dword v125, off, s[0:3], 0 offset:400
	buffer_load_dword v119, off, s[0:3], 0 offset:392
	buffer_load_dword v126, off, s[0:3], 0 offset:404
	buffer_load_dword v124, off, s[0:3], 0 offset:412
	buffer_load_dword v122, off, s[0:3], 0 offset:420
	s_waitcnt vmcnt(34)
	v_fma_f64 v[109:110], v[127:128], v[111:112], v[109:110]
	s_waitcnt vmcnt(32) lgkmcnt(0)
	v_fma_f64 v[109:110], v[129:130], v[113:114], v[109:110]
	s_waitcnt vmcnt(27)
	v_fma_f64 v[127:128], v[131:132], v[115:116], v[109:110]
	ds_read_b128 v[109:112], v108 offset:736
	ds_read_b128 v[113:116], v108 offset:752
	s_waitcnt vmcnt(26) lgkmcnt(1)
	v_fma_f64 v[109:110], v[137:138], v[109:110], v[127:128]
	s_clause 0x1
	buffer_load_dword v127, off, s[0:3], 0 offset:232
	buffer_load_dword v128, off, s[0:3], 0 offset:236
	s_waitcnt vmcnt(27)
	v_fma_f64 v[109:110], v[135:136], v[111:112], v[109:110]
	s_waitcnt vmcnt(26) lgkmcnt(0)
	v_fma_f64 v[109:110], v[133:134], v[113:114], v[109:110]
	s_waitcnt vmcnt(21)
	v_fma_f64 v[129:130], v[139:140], v[115:116], v[109:110]
	ds_read_b128 v[109:112], v108 offset:768
	ds_read_b128 v[113:116], v108 offset:784
	s_waitcnt vmcnt(20) lgkmcnt(1)
	v_fma_f64 v[109:110], v[145:146], v[109:110], v[129:130]
	s_waitcnt vmcnt(19)
	v_fma_f64 v[109:110], v[143:144], v[111:112], v[109:110]
	s_waitcnt vmcnt(18) lgkmcnt(0)
	v_fma_f64 v[109:110], v[141:142], v[113:114], v[109:110]
	s_waitcnt vmcnt(13)
	v_fma_f64 v[117:118], v[117:118], v[115:116], v[109:110]
	ds_read_b128 v[109:112], v108 offset:800
	ds_read_b128 v[113:116], v108 offset:816
	s_waitcnt vmcnt(12) lgkmcnt(1)
	v_fma_f64 v[109:110], v[151:152], v[109:110], v[117:118]
	s_waitcnt vmcnt(11)
	v_fma_f64 v[109:110], v[149:150], v[111:112], v[109:110]
	s_waitcnt vmcnt(10) lgkmcnt(0)
	v_fma_f64 v[109:110], v[147:148], v[113:114], v[109:110]
	s_waitcnt vmcnt(5)
	v_fma_f64 v[113:114], v[119:120], v[115:116], v[109:110]
	ds_read_b128 v[109:112], v108 offset:832
	ds_read_b64 v[115:116], v108 offset:848
	s_waitcnt vmcnt(4) lgkmcnt(1)
	v_fma_f64 v[109:110], v[125:126], v[109:110], v[113:114]
	s_waitcnt vmcnt(3)
	v_fma_f64 v[109:110], v[123:124], v[111:112], v[109:110]
	s_waitcnt vmcnt(2) lgkmcnt(0)
	v_fma_f64 v[109:110], v[121:122], v[115:116], v[109:110]
	s_waitcnt vmcnt(0)
	v_add_f64 v[109:110], v[127:128], -v[109:110]
	buffer_store_dword v110, off, s[0:3], 0 offset:236
	buffer_store_dword v109, off, s[0:3], 0 offset:232
	v_cmpx_lt_u32_e32 28, v0
	s_cbranch_execz .LBB116_271
; %bb.270:
	s_clause 0x1
	buffer_load_dword v109, off, s[0:3], 0 offset:224
	buffer_load_dword v110, off, s[0:3], 0 offset:228
	buffer_store_dword v108, off, s[0:3], 0 offset:224
	buffer_store_dword v108, off, s[0:3], 0 offset:228
	s_waitcnt vmcnt(0)
	ds_write_b64 v107, v[109:110]
.LBB116_271:
	s_or_b32 exec_lo, exec_lo, s4
	s_waitcnt lgkmcnt(0)
	s_waitcnt_vscnt null, 0x0
	s_barrier
	buffer_gl0_inv
	s_clause 0x1c
	buffer_load_dword v117, off, s[0:3], 0 offset:232
	buffer_load_dword v118, off, s[0:3], 0 offset:236
	;; [unrolled: 1-line block ×29, first 2 shown]
	ds_read2_b64 v[109:112], v108 offset0:83 offset1:84
	ds_read2_b64 v[113:116], v108 offset0:85 offset1:86
	buffer_load_dword v142, off, s[0:3], 0 offset:348
	s_mov_b32 s4, exec_lo
	s_waitcnt vmcnt(28) lgkmcnt(1)
	v_fma_f64 v[109:110], v[117:118], v[109:110], 0
	s_clause 0x7
	buffer_load_dword v118, off, s[0:3], 0 offset:356
	buffer_load_dword v147, off, s[0:3], 0 offset:376
	;; [unrolled: 1-line block ×8, first 2 shown]
	s_waitcnt vmcnt(34)
	v_fma_f64 v[109:110], v[119:120], v[111:112], v[109:110]
	s_waitcnt vmcnt(32) lgkmcnt(0)
	v_fma_f64 v[109:110], v[121:122], v[113:114], v[109:110]
	s_waitcnt vmcnt(30)
	v_fma_f64 v[119:120], v[123:124], v[115:116], v[109:110]
	ds_read2_b64 v[109:112], v108 offset0:87 offset1:88
	ds_read2_b64 v[113:116], v108 offset0:89 offset1:90
	s_waitcnt vmcnt(28) lgkmcnt(1)
	v_fma_f64 v[109:110], v[125:126], v[109:110], v[119:120]
	s_clause 0x7
	buffer_load_dword v120, off, s[0:3], 0 offset:388
	buffer_load_dword v121, off, s[0:3], 0 offset:408
	;; [unrolled: 1-line block ×8, first 2 shown]
	s_waitcnt vmcnt(34)
	v_fma_f64 v[109:110], v[127:128], v[111:112], v[109:110]
	s_waitcnt vmcnt(32) lgkmcnt(0)
	v_fma_f64 v[109:110], v[129:130], v[113:114], v[109:110]
	s_waitcnt vmcnt(27)
	v_fma_f64 v[127:128], v[131:132], v[115:116], v[109:110]
	ds_read2_b64 v[109:112], v108 offset0:91 offset1:92
	ds_read2_b64 v[113:116], v108 offset0:93 offset1:94
	s_waitcnt vmcnt(26) lgkmcnt(1)
	v_fma_f64 v[109:110], v[137:138], v[109:110], v[127:128]
	s_clause 0x3
	buffer_load_dword v128, off, s[0:3], 0 offset:420
	buffer_load_dword v127, off, s[0:3], 0 offset:416
	;; [unrolled: 1-line block ×4, first 2 shown]
	s_waitcnt vmcnt(29)
	v_fma_f64 v[109:110], v[135:136], v[111:112], v[109:110]
	s_waitcnt vmcnt(28) lgkmcnt(0)
	v_fma_f64 v[109:110], v[133:134], v[113:114], v[109:110]
	s_waitcnt vmcnt(23)
	v_fma_f64 v[131:132], v[139:140], v[115:116], v[109:110]
	ds_read2_b64 v[109:112], v108 offset0:95 offset1:96
	ds_read2_b64 v[113:116], v108 offset0:97 offset1:98
	s_waitcnt vmcnt(22) lgkmcnt(1)
	v_fma_f64 v[109:110], v[145:146], v[109:110], v[131:132]
	s_waitcnt vmcnt(21)
	v_fma_f64 v[109:110], v[143:144], v[111:112], v[109:110]
	s_waitcnt vmcnt(20) lgkmcnt(0)
	v_fma_f64 v[109:110], v[141:142], v[113:114], v[109:110]
	s_waitcnt vmcnt(15)
	v_fma_f64 v[117:118], v[117:118], v[115:116], v[109:110]
	ds_read2_b64 v[109:112], v108 offset0:99 offset1:100
	ds_read2_b64 v[113:116], v108 offset0:101 offset1:102
	s_waitcnt vmcnt(14) lgkmcnt(1)
	v_fma_f64 v[109:110], v[151:152], v[109:110], v[117:118]
	;; [unrolled: 10-line block ×3, first 2 shown]
	s_waitcnt vmcnt(5)
	v_fma_f64 v[108:109], v[123:124], v[111:112], v[108:109]
	s_waitcnt vmcnt(4) lgkmcnt(0)
	v_fma_f64 v[108:109], v[121:122], v[113:114], v[108:109]
	s_waitcnt vmcnt(2)
	v_fma_f64 v[108:109], v[127:128], v[115:116], v[108:109]
	s_waitcnt vmcnt(0)
	v_add_f64 v[108:109], v[129:130], -v[108:109]
	buffer_store_dword v109, off, s[0:3], 0 offset:228
	buffer_store_dword v108, off, s[0:3], 0 offset:224
	v_cmpx_lt_u32_e32 27, v0
	s_cbranch_execz .LBB116_273
; %bb.272:
	s_clause 0x1
	buffer_load_dword v108, off, s[0:3], 0 offset:216
	buffer_load_dword v109, off, s[0:3], 0 offset:220
	v_mov_b32_e32 v110, 0
	buffer_store_dword v110, off, s[0:3], 0 offset:216
	buffer_store_dword v110, off, s[0:3], 0 offset:220
	s_waitcnt vmcnt(0)
	ds_write_b64 v107, v[108:109]
.LBB116_273:
	s_or_b32 exec_lo, exec_lo, s4
	s_waitcnt lgkmcnt(0)
	s_waitcnt_vscnt null, 0x0
	s_barrier
	buffer_gl0_inv
	s_clause 0x1c
	buffer_load_dword v117, off, s[0:3], 0 offset:224
	buffer_load_dword v118, off, s[0:3], 0 offset:228
	;; [unrolled: 1-line block ×29, first 2 shown]
	v_mov_b32_e32 v108, 0
	buffer_load_dword v142, off, s[0:3], 0 offset:340
	s_mov_b32 s4, exec_lo
	ds_read_b128 v[109:112], v108 offset:656
	ds_read_b128 v[113:116], v108 offset:672
	s_waitcnt vmcnt(28) lgkmcnt(1)
	v_fma_f64 v[109:110], v[117:118], v[109:110], 0
	s_clause 0x7
	buffer_load_dword v118, off, s[0:3], 0 offset:348
	buffer_load_dword v147, off, s[0:3], 0 offset:368
	;; [unrolled: 1-line block ×8, first 2 shown]
	s_waitcnt vmcnt(34)
	v_fma_f64 v[109:110], v[119:120], v[111:112], v[109:110]
	s_waitcnt vmcnt(32) lgkmcnt(0)
	v_fma_f64 v[109:110], v[121:122], v[113:114], v[109:110]
	s_waitcnt vmcnt(30)
	v_fma_f64 v[119:120], v[123:124], v[115:116], v[109:110]
	ds_read_b128 v[109:112], v108 offset:688
	ds_read_b128 v[113:116], v108 offset:704
	s_waitcnt vmcnt(28) lgkmcnt(1)
	v_fma_f64 v[109:110], v[125:126], v[109:110], v[119:120]
	s_clause 0x7
	buffer_load_dword v120, off, s[0:3], 0 offset:380
	buffer_load_dword v121, off, s[0:3], 0 offset:400
	;; [unrolled: 1-line block ×8, first 2 shown]
	s_waitcnt vmcnt(34)
	v_fma_f64 v[109:110], v[127:128], v[111:112], v[109:110]
	s_waitcnt vmcnt(32) lgkmcnt(0)
	v_fma_f64 v[109:110], v[129:130], v[113:114], v[109:110]
	s_waitcnt vmcnt(27)
	v_fma_f64 v[127:128], v[131:132], v[115:116], v[109:110]
	ds_read_b128 v[109:112], v108 offset:720
	ds_read_b128 v[113:116], v108 offset:736
	s_waitcnt vmcnt(26) lgkmcnt(1)
	v_fma_f64 v[109:110], v[137:138], v[109:110], v[127:128]
	s_clause 0x5
	buffer_load_dword v128, off, s[0:3], 0 offset:412
	buffer_load_dword v129, off, s[0:3], 0 offset:416
	;; [unrolled: 1-line block ×6, first 2 shown]
	s_waitcnt vmcnt(31)
	v_fma_f64 v[109:110], v[135:136], v[111:112], v[109:110]
	s_waitcnt vmcnt(30) lgkmcnt(0)
	v_fma_f64 v[109:110], v[133:134], v[113:114], v[109:110]
	s_waitcnt vmcnt(25)
	v_fma_f64 v[133:134], v[139:140], v[115:116], v[109:110]
	ds_read_b128 v[109:112], v108 offset:752
	ds_read_b128 v[113:116], v108 offset:768
	s_waitcnt vmcnt(24) lgkmcnt(1)
	v_fma_f64 v[109:110], v[145:146], v[109:110], v[133:134]
	s_waitcnt vmcnt(23)
	v_fma_f64 v[109:110], v[143:144], v[111:112], v[109:110]
	s_waitcnt vmcnt(22) lgkmcnt(0)
	v_fma_f64 v[109:110], v[141:142], v[113:114], v[109:110]
	s_waitcnt vmcnt(17)
	v_fma_f64 v[117:118], v[117:118], v[115:116], v[109:110]
	ds_read_b128 v[109:112], v108 offset:784
	ds_read_b128 v[113:116], v108 offset:800
	s_waitcnt vmcnt(16) lgkmcnt(1)
	v_fma_f64 v[109:110], v[151:152], v[109:110], v[117:118]
	;; [unrolled: 10-line block ×3, first 2 shown]
	s_waitcnt vmcnt(7)
	v_fma_f64 v[109:110], v[123:124], v[111:112], v[109:110]
	ds_read_b64 v[111:112], v108 offset:848
	s_waitcnt vmcnt(6) lgkmcnt(1)
	v_fma_f64 v[109:110], v[121:122], v[113:114], v[109:110]
	s_waitcnt vmcnt(3)
	v_fma_f64 v[109:110], v[127:128], v[115:116], v[109:110]
	s_waitcnt vmcnt(2) lgkmcnt(0)
	v_fma_f64 v[109:110], v[129:130], v[111:112], v[109:110]
	s_waitcnt vmcnt(0)
	v_add_f64 v[109:110], v[131:132], -v[109:110]
	buffer_store_dword v110, off, s[0:3], 0 offset:220
	buffer_store_dword v109, off, s[0:3], 0 offset:216
	v_cmpx_lt_u32_e32 26, v0
	s_cbranch_execz .LBB116_275
; %bb.274:
	s_clause 0x1
	buffer_load_dword v109, off, s[0:3], 0 offset:208
	buffer_load_dword v110, off, s[0:3], 0 offset:212
	buffer_store_dword v108, off, s[0:3], 0 offset:208
	buffer_store_dword v108, off, s[0:3], 0 offset:212
	s_waitcnt vmcnt(0)
	ds_write_b64 v107, v[109:110]
.LBB116_275:
	s_or_b32 exec_lo, exec_lo, s4
	s_waitcnt lgkmcnt(0)
	s_waitcnt_vscnt null, 0x0
	s_barrier
	buffer_gl0_inv
	s_clause 0x1c
	buffer_load_dword v117, off, s[0:3], 0 offset:216
	buffer_load_dword v118, off, s[0:3], 0 offset:220
	;; [unrolled: 1-line block ×29, first 2 shown]
	ds_read2_b64 v[109:112], v108 offset0:81 offset1:82
	ds_read2_b64 v[113:116], v108 offset0:83 offset1:84
	buffer_load_dword v142, off, s[0:3], 0 offset:332
	s_mov_b32 s4, exec_lo
	s_waitcnt vmcnt(28) lgkmcnt(1)
	v_fma_f64 v[109:110], v[117:118], v[109:110], 0
	s_clause 0x7
	buffer_load_dword v118, off, s[0:3], 0 offset:340
	buffer_load_dword v147, off, s[0:3], 0 offset:360
	;; [unrolled: 1-line block ×8, first 2 shown]
	s_waitcnt vmcnt(34)
	v_fma_f64 v[109:110], v[119:120], v[111:112], v[109:110]
	s_waitcnt vmcnt(32) lgkmcnt(0)
	v_fma_f64 v[109:110], v[121:122], v[113:114], v[109:110]
	s_waitcnt vmcnt(30)
	v_fma_f64 v[119:120], v[123:124], v[115:116], v[109:110]
	ds_read2_b64 v[109:112], v108 offset0:85 offset1:86
	ds_read2_b64 v[113:116], v108 offset0:87 offset1:88
	s_waitcnt vmcnt(28) lgkmcnt(1)
	v_fma_f64 v[109:110], v[125:126], v[109:110], v[119:120]
	s_clause 0x7
	buffer_load_dword v120, off, s[0:3], 0 offset:372
	buffer_load_dword v121, off, s[0:3], 0 offset:392
	;; [unrolled: 1-line block ×8, first 2 shown]
	s_waitcnt vmcnt(34)
	v_fma_f64 v[109:110], v[127:128], v[111:112], v[109:110]
	s_waitcnt vmcnt(32) lgkmcnt(0)
	v_fma_f64 v[109:110], v[129:130], v[113:114], v[109:110]
	s_waitcnt vmcnt(27)
	v_fma_f64 v[127:128], v[131:132], v[115:116], v[109:110]
	ds_read2_b64 v[109:112], v108 offset0:89 offset1:90
	ds_read2_b64 v[113:116], v108 offset0:91 offset1:92
	s_waitcnt vmcnt(26) lgkmcnt(1)
	v_fma_f64 v[109:110], v[137:138], v[109:110], v[127:128]
	s_clause 0x5
	buffer_load_dword v128, off, s[0:3], 0 offset:404
	buffer_load_dword v129, off, s[0:3], 0 offset:416
	;; [unrolled: 1-line block ×6, first 2 shown]
	s_waitcnt vmcnt(31)
	v_fma_f64 v[109:110], v[135:136], v[111:112], v[109:110]
	s_waitcnt vmcnt(30) lgkmcnt(0)
	v_fma_f64 v[109:110], v[133:134], v[113:114], v[109:110]
	s_waitcnt vmcnt(25)
	v_fma_f64 v[133:134], v[139:140], v[115:116], v[109:110]
	ds_read2_b64 v[109:112], v108 offset0:93 offset1:94
	s_clause 0x1
	buffer_load_dword v135, off, s[0:3], 0 offset:208
	buffer_load_dword v136, off, s[0:3], 0 offset:212
	ds_read2_b64 v[113:116], v108 offset0:95 offset1:96
	s_waitcnt vmcnt(26) lgkmcnt(1)
	v_fma_f64 v[109:110], v[145:146], v[109:110], v[133:134]
	s_waitcnt vmcnt(25)
	v_fma_f64 v[109:110], v[143:144], v[111:112], v[109:110]
	s_waitcnt vmcnt(24) lgkmcnt(0)
	v_fma_f64 v[109:110], v[141:142], v[113:114], v[109:110]
	s_waitcnt vmcnt(19)
	v_fma_f64 v[117:118], v[117:118], v[115:116], v[109:110]
	ds_read2_b64 v[109:112], v108 offset0:97 offset1:98
	ds_read2_b64 v[113:116], v108 offset0:99 offset1:100
	s_waitcnt vmcnt(18) lgkmcnt(1)
	v_fma_f64 v[109:110], v[151:152], v[109:110], v[117:118]
	s_waitcnt vmcnt(17)
	v_fma_f64 v[109:110], v[149:150], v[111:112], v[109:110]
	s_waitcnt vmcnt(16) lgkmcnt(0)
	v_fma_f64 v[109:110], v[147:148], v[113:114], v[109:110]
	s_waitcnt vmcnt(11)
	v_fma_f64 v[117:118], v[119:120], v[115:116], v[109:110]
	ds_read2_b64 v[109:112], v108 offset0:101 offset1:102
	;; [unrolled: 10-line block ×3, first 2 shown]
	s_waitcnt vmcnt(3) lgkmcnt(0)
	v_fma_f64 v[108:109], v[131:132], v[108:109], v[112:113]
	s_waitcnt vmcnt(2)
	v_fma_f64 v[108:109], v[129:130], v[110:111], v[108:109]
	s_waitcnt vmcnt(0)
	v_add_f64 v[108:109], v[135:136], -v[108:109]
	buffer_store_dword v109, off, s[0:3], 0 offset:212
	buffer_store_dword v108, off, s[0:3], 0 offset:208
	v_cmpx_lt_u32_e32 25, v0
	s_cbranch_execz .LBB116_277
; %bb.276:
	s_clause 0x1
	buffer_load_dword v108, off, s[0:3], 0 offset:200
	buffer_load_dword v109, off, s[0:3], 0 offset:204
	v_mov_b32_e32 v110, 0
	buffer_store_dword v110, off, s[0:3], 0 offset:200
	buffer_store_dword v110, off, s[0:3], 0 offset:204
	s_waitcnt vmcnt(0)
	ds_write_b64 v107, v[108:109]
.LBB116_277:
	s_or_b32 exec_lo, exec_lo, s4
	s_waitcnt lgkmcnt(0)
	s_waitcnt_vscnt null, 0x0
	s_barrier
	buffer_gl0_inv
	s_clause 0x1c
	buffer_load_dword v117, off, s[0:3], 0 offset:208
	buffer_load_dword v118, off, s[0:3], 0 offset:212
	;; [unrolled: 1-line block ×29, first 2 shown]
	v_mov_b32_e32 v108, 0
	buffer_load_dword v142, off, s[0:3], 0 offset:324
	s_mov_b32 s4, exec_lo
	ds_read_b128 v[109:112], v108 offset:640
	ds_read_b128 v[113:116], v108 offset:656
	s_waitcnt vmcnt(28) lgkmcnt(1)
	v_fma_f64 v[109:110], v[117:118], v[109:110], 0
	s_clause 0x7
	buffer_load_dword v118, off, s[0:3], 0 offset:332
	buffer_load_dword v147, off, s[0:3], 0 offset:352
	buffer_load_dword v149, off, s[0:3], 0 offset:344
	buffer_load_dword v151, off, s[0:3], 0 offset:336
	buffer_load_dword v117, off, s[0:3], 0 offset:328
	buffer_load_dword v152, off, s[0:3], 0 offset:340
	buffer_load_dword v150, off, s[0:3], 0 offset:348
	buffer_load_dword v148, off, s[0:3], 0 offset:356
	s_waitcnt vmcnt(34)
	v_fma_f64 v[109:110], v[119:120], v[111:112], v[109:110]
	s_waitcnt vmcnt(32) lgkmcnt(0)
	v_fma_f64 v[109:110], v[121:122], v[113:114], v[109:110]
	s_waitcnt vmcnt(30)
	v_fma_f64 v[119:120], v[123:124], v[115:116], v[109:110]
	ds_read_b128 v[109:112], v108 offset:672
	ds_read_b128 v[113:116], v108 offset:688
	s_waitcnt vmcnt(28) lgkmcnt(1)
	v_fma_f64 v[109:110], v[125:126], v[109:110], v[119:120]
	s_clause 0x7
	buffer_load_dword v120, off, s[0:3], 0 offset:364
	buffer_load_dword v121, off, s[0:3], 0 offset:384
	buffer_load_dword v123, off, s[0:3], 0 offset:376
	buffer_load_dword v125, off, s[0:3], 0 offset:368
	buffer_load_dword v119, off, s[0:3], 0 offset:360
	buffer_load_dword v126, off, s[0:3], 0 offset:372
	buffer_load_dword v124, off, s[0:3], 0 offset:380
	buffer_load_dword v122, off, s[0:3], 0 offset:388
	s_waitcnt vmcnt(34)
	v_fma_f64 v[109:110], v[127:128], v[111:112], v[109:110]
	s_waitcnt vmcnt(32) lgkmcnt(0)
	v_fma_f64 v[109:110], v[129:130], v[113:114], v[109:110]
	s_waitcnt vmcnt(27)
	v_fma_f64 v[127:128], v[131:132], v[115:116], v[109:110]
	;; [unrolled: 19-line block ×3, first 2 shown]
	ds_read_b128 v[109:112], v108 offset:736
	ds_read_b128 v[113:116], v108 offset:752
	s_waitcnt vmcnt(26) lgkmcnt(1)
	v_fma_f64 v[109:110], v[145:146], v[109:110], v[133:134]
	s_clause 0x1
	buffer_load_dword v133, off, s[0:3], 0 offset:200
	buffer_load_dword v134, off, s[0:3], 0 offset:204
	s_waitcnt vmcnt(27)
	v_fma_f64 v[109:110], v[143:144], v[111:112], v[109:110]
	s_waitcnt vmcnt(26) lgkmcnt(0)
	v_fma_f64 v[109:110], v[141:142], v[113:114], v[109:110]
	s_waitcnt vmcnt(21)
	v_fma_f64 v[117:118], v[117:118], v[115:116], v[109:110]
	ds_read_b128 v[109:112], v108 offset:768
	ds_read_b128 v[113:116], v108 offset:784
	s_waitcnt vmcnt(20) lgkmcnt(1)
	v_fma_f64 v[109:110], v[151:152], v[109:110], v[117:118]
	s_waitcnt vmcnt(19)
	v_fma_f64 v[109:110], v[149:150], v[111:112], v[109:110]
	s_waitcnt vmcnt(18) lgkmcnt(0)
	v_fma_f64 v[109:110], v[147:148], v[113:114], v[109:110]
	s_waitcnt vmcnt(13)
	v_fma_f64 v[117:118], v[119:120], v[115:116], v[109:110]
	ds_read_b128 v[109:112], v108 offset:800
	ds_read_b128 v[113:116], v108 offset:816
	s_waitcnt vmcnt(12) lgkmcnt(1)
	v_fma_f64 v[109:110], v[125:126], v[109:110], v[117:118]
	s_waitcnt vmcnt(11)
	v_fma_f64 v[109:110], v[123:124], v[111:112], v[109:110]
	s_waitcnt vmcnt(10) lgkmcnt(0)
	v_fma_f64 v[109:110], v[121:122], v[113:114], v[109:110]
	s_waitcnt vmcnt(5)
	v_fma_f64 v[113:114], v[127:128], v[115:116], v[109:110]
	ds_read_b128 v[109:112], v108 offset:832
	ds_read_b64 v[115:116], v108 offset:848
	s_waitcnt vmcnt(4) lgkmcnt(1)
	v_fma_f64 v[109:110], v[137:138], v[109:110], v[113:114]
	s_waitcnt vmcnt(3)
	v_fma_f64 v[109:110], v[131:132], v[111:112], v[109:110]
	s_waitcnt vmcnt(2) lgkmcnt(0)
	v_fma_f64 v[109:110], v[129:130], v[115:116], v[109:110]
	s_waitcnt vmcnt(0)
	v_add_f64 v[109:110], v[133:134], -v[109:110]
	buffer_store_dword v110, off, s[0:3], 0 offset:204
	buffer_store_dword v109, off, s[0:3], 0 offset:200
	v_cmpx_lt_u32_e32 24, v0
	s_cbranch_execz .LBB116_279
; %bb.278:
	s_clause 0x1
	buffer_load_dword v109, off, s[0:3], 0 offset:192
	buffer_load_dword v110, off, s[0:3], 0 offset:196
	buffer_store_dword v108, off, s[0:3], 0 offset:192
	buffer_store_dword v108, off, s[0:3], 0 offset:196
	s_waitcnt vmcnt(0)
	ds_write_b64 v107, v[109:110]
.LBB116_279:
	s_or_b32 exec_lo, exec_lo, s4
	s_waitcnt lgkmcnt(0)
	s_waitcnt_vscnt null, 0x0
	s_barrier
	buffer_gl0_inv
	s_clause 0x1c
	buffer_load_dword v117, off, s[0:3], 0 offset:200
	buffer_load_dword v118, off, s[0:3], 0 offset:204
	;; [unrolled: 1-line block ×29, first 2 shown]
	ds_read2_b64 v[109:112], v108 offset0:79 offset1:80
	ds_read2_b64 v[113:116], v108 offset0:81 offset1:82
	buffer_load_dword v142, off, s[0:3], 0 offset:316
	s_mov_b32 s4, exec_lo
	s_waitcnt vmcnt(28) lgkmcnt(1)
	v_fma_f64 v[109:110], v[117:118], v[109:110], 0
	s_clause 0x7
	buffer_load_dword v118, off, s[0:3], 0 offset:324
	buffer_load_dword v147, off, s[0:3], 0 offset:344
	buffer_load_dword v149, off, s[0:3], 0 offset:336
	buffer_load_dword v151, off, s[0:3], 0 offset:328
	buffer_load_dword v117, off, s[0:3], 0 offset:320
	buffer_load_dword v152, off, s[0:3], 0 offset:332
	buffer_load_dword v150, off, s[0:3], 0 offset:340
	buffer_load_dword v148, off, s[0:3], 0 offset:348
	s_waitcnt vmcnt(34)
	v_fma_f64 v[109:110], v[119:120], v[111:112], v[109:110]
	s_waitcnt vmcnt(32) lgkmcnt(0)
	v_fma_f64 v[109:110], v[121:122], v[113:114], v[109:110]
	s_waitcnt vmcnt(30)
	v_fma_f64 v[119:120], v[123:124], v[115:116], v[109:110]
	ds_read2_b64 v[109:112], v108 offset0:83 offset1:84
	ds_read2_b64 v[113:116], v108 offset0:85 offset1:86
	s_waitcnt vmcnt(28) lgkmcnt(1)
	v_fma_f64 v[109:110], v[125:126], v[109:110], v[119:120]
	s_clause 0x7
	buffer_load_dword v120, off, s[0:3], 0 offset:356
	buffer_load_dword v121, off, s[0:3], 0 offset:376
	buffer_load_dword v123, off, s[0:3], 0 offset:368
	buffer_load_dword v125, off, s[0:3], 0 offset:360
	buffer_load_dword v119, off, s[0:3], 0 offset:352
	buffer_load_dword v126, off, s[0:3], 0 offset:364
	buffer_load_dword v124, off, s[0:3], 0 offset:372
	buffer_load_dword v122, off, s[0:3], 0 offset:380
	s_waitcnt vmcnt(34)
	v_fma_f64 v[109:110], v[127:128], v[111:112], v[109:110]
	s_waitcnt vmcnt(32) lgkmcnt(0)
	v_fma_f64 v[109:110], v[129:130], v[113:114], v[109:110]
	s_waitcnt vmcnt(27)
	v_fma_f64 v[127:128], v[131:132], v[115:116], v[109:110]
	ds_read2_b64 v[109:112], v108 offset0:87 offset1:88
	ds_read2_b64 v[113:116], v108 offset0:89 offset1:90
	;; [unrolled: 19-line block ×3, first 2 shown]
	s_waitcnt vmcnt(26) lgkmcnt(1)
	v_fma_f64 v[109:110], v[145:146], v[109:110], v[133:134]
	s_clause 0x3
	buffer_load_dword v134, off, s[0:3], 0 offset:420
	buffer_load_dword v133, off, s[0:3], 0 offset:416
	;; [unrolled: 1-line block ×4, first 2 shown]
	s_waitcnt vmcnt(29)
	v_fma_f64 v[109:110], v[143:144], v[111:112], v[109:110]
	s_waitcnt vmcnt(28) lgkmcnt(0)
	v_fma_f64 v[109:110], v[141:142], v[113:114], v[109:110]
	s_waitcnt vmcnt(23)
	v_fma_f64 v[117:118], v[117:118], v[115:116], v[109:110]
	ds_read2_b64 v[109:112], v108 offset0:95 offset1:96
	ds_read2_b64 v[113:116], v108 offset0:97 offset1:98
	s_waitcnt vmcnt(22) lgkmcnt(1)
	v_fma_f64 v[109:110], v[151:152], v[109:110], v[117:118]
	s_waitcnt vmcnt(21)
	v_fma_f64 v[109:110], v[149:150], v[111:112], v[109:110]
	s_waitcnt vmcnt(20) lgkmcnt(0)
	v_fma_f64 v[109:110], v[147:148], v[113:114], v[109:110]
	s_waitcnt vmcnt(15)
	v_fma_f64 v[117:118], v[119:120], v[115:116], v[109:110]
	ds_read2_b64 v[109:112], v108 offset0:99 offset1:100
	ds_read2_b64 v[113:116], v108 offset0:101 offset1:102
	s_waitcnt vmcnt(14) lgkmcnt(1)
	v_fma_f64 v[109:110], v[125:126], v[109:110], v[117:118]
	;; [unrolled: 10-line block ×3, first 2 shown]
	s_waitcnt vmcnt(5)
	v_fma_f64 v[108:109], v[131:132], v[111:112], v[108:109]
	s_waitcnt vmcnt(4) lgkmcnt(0)
	v_fma_f64 v[108:109], v[129:130], v[113:114], v[108:109]
	s_waitcnt vmcnt(2)
	v_fma_f64 v[108:109], v[133:134], v[115:116], v[108:109]
	s_waitcnt vmcnt(0)
	v_add_f64 v[108:109], v[135:136], -v[108:109]
	buffer_store_dword v109, off, s[0:3], 0 offset:196
	buffer_store_dword v108, off, s[0:3], 0 offset:192
	v_cmpx_lt_u32_e32 23, v0
	s_cbranch_execz .LBB116_281
; %bb.280:
	s_clause 0x1
	buffer_load_dword v108, off, s[0:3], 0 offset:184
	buffer_load_dword v109, off, s[0:3], 0 offset:188
	v_mov_b32_e32 v110, 0
	buffer_store_dword v110, off, s[0:3], 0 offset:184
	buffer_store_dword v110, off, s[0:3], 0 offset:188
	s_waitcnt vmcnt(0)
	ds_write_b64 v107, v[108:109]
.LBB116_281:
	s_or_b32 exec_lo, exec_lo, s4
	s_waitcnt lgkmcnt(0)
	s_waitcnt_vscnt null, 0x0
	s_barrier
	buffer_gl0_inv
	s_clause 0x1c
	buffer_load_dword v117, off, s[0:3], 0 offset:192
	buffer_load_dword v118, off, s[0:3], 0 offset:196
	;; [unrolled: 1-line block ×29, first 2 shown]
	v_mov_b32_e32 v108, 0
	buffer_load_dword v142, off, s[0:3], 0 offset:308
	s_mov_b32 s4, exec_lo
	ds_read_b128 v[109:112], v108 offset:624
	ds_read_b128 v[113:116], v108 offset:640
	s_waitcnt vmcnt(28) lgkmcnt(1)
	v_fma_f64 v[109:110], v[117:118], v[109:110], 0
	s_clause 0x7
	buffer_load_dword v118, off, s[0:3], 0 offset:316
	buffer_load_dword v147, off, s[0:3], 0 offset:336
	buffer_load_dword v149, off, s[0:3], 0 offset:328
	buffer_load_dword v151, off, s[0:3], 0 offset:320
	buffer_load_dword v117, off, s[0:3], 0 offset:312
	buffer_load_dword v152, off, s[0:3], 0 offset:324
	buffer_load_dword v150, off, s[0:3], 0 offset:332
	buffer_load_dword v148, off, s[0:3], 0 offset:340
	s_waitcnt vmcnt(34)
	v_fma_f64 v[109:110], v[119:120], v[111:112], v[109:110]
	s_waitcnt vmcnt(32) lgkmcnt(0)
	v_fma_f64 v[109:110], v[121:122], v[113:114], v[109:110]
	s_waitcnt vmcnt(30)
	v_fma_f64 v[119:120], v[123:124], v[115:116], v[109:110]
	ds_read_b128 v[109:112], v108 offset:656
	ds_read_b128 v[113:116], v108 offset:672
	s_waitcnt vmcnt(28) lgkmcnt(1)
	v_fma_f64 v[109:110], v[125:126], v[109:110], v[119:120]
	s_clause 0x7
	buffer_load_dword v120, off, s[0:3], 0 offset:348
	buffer_load_dword v121, off, s[0:3], 0 offset:368
	buffer_load_dword v123, off, s[0:3], 0 offset:360
	buffer_load_dword v125, off, s[0:3], 0 offset:352
	buffer_load_dword v119, off, s[0:3], 0 offset:344
	buffer_load_dword v126, off, s[0:3], 0 offset:356
	buffer_load_dword v124, off, s[0:3], 0 offset:364
	buffer_load_dword v122, off, s[0:3], 0 offset:372
	s_waitcnt vmcnt(34)
	v_fma_f64 v[109:110], v[127:128], v[111:112], v[109:110]
	s_waitcnt vmcnt(32) lgkmcnt(0)
	v_fma_f64 v[109:110], v[129:130], v[113:114], v[109:110]
	s_waitcnt vmcnt(27)
	v_fma_f64 v[127:128], v[131:132], v[115:116], v[109:110]
	;; [unrolled: 19-line block ×3, first 2 shown]
	ds_read_b128 v[109:112], v108 offset:720
	ds_read_b128 v[113:116], v108 offset:736
	s_waitcnt vmcnt(26) lgkmcnt(1)
	v_fma_f64 v[109:110], v[145:146], v[109:110], v[133:134]
	s_clause 0x5
	buffer_load_dword v134, off, s[0:3], 0 offset:412
	buffer_load_dword v135, off, s[0:3], 0 offset:416
	;; [unrolled: 1-line block ×6, first 2 shown]
	s_waitcnt vmcnt(31)
	v_fma_f64 v[109:110], v[143:144], v[111:112], v[109:110]
	s_waitcnt vmcnt(30) lgkmcnt(0)
	v_fma_f64 v[109:110], v[141:142], v[113:114], v[109:110]
	s_waitcnt vmcnt(25)
	v_fma_f64 v[117:118], v[117:118], v[115:116], v[109:110]
	ds_read_b128 v[109:112], v108 offset:752
	ds_read_b128 v[113:116], v108 offset:768
	s_waitcnt vmcnt(24) lgkmcnt(1)
	v_fma_f64 v[109:110], v[151:152], v[109:110], v[117:118]
	s_waitcnt vmcnt(23)
	v_fma_f64 v[109:110], v[149:150], v[111:112], v[109:110]
	s_waitcnt vmcnt(22) lgkmcnt(0)
	v_fma_f64 v[109:110], v[147:148], v[113:114], v[109:110]
	s_waitcnt vmcnt(17)
	v_fma_f64 v[117:118], v[119:120], v[115:116], v[109:110]
	ds_read_b128 v[109:112], v108 offset:784
	ds_read_b128 v[113:116], v108 offset:800
	s_waitcnt vmcnt(16) lgkmcnt(1)
	v_fma_f64 v[109:110], v[125:126], v[109:110], v[117:118]
	;; [unrolled: 10-line block ×3, first 2 shown]
	s_waitcnt vmcnt(7)
	v_fma_f64 v[109:110], v[131:132], v[111:112], v[109:110]
	ds_read_b64 v[111:112], v108 offset:848
	s_waitcnt vmcnt(6) lgkmcnt(1)
	v_fma_f64 v[109:110], v[129:130], v[113:114], v[109:110]
	s_waitcnt vmcnt(3)
	v_fma_f64 v[109:110], v[133:134], v[115:116], v[109:110]
	s_waitcnt vmcnt(2) lgkmcnt(0)
	v_fma_f64 v[109:110], v[135:136], v[111:112], v[109:110]
	s_waitcnt vmcnt(0)
	v_add_f64 v[109:110], v[139:140], -v[109:110]
	buffer_store_dword v110, off, s[0:3], 0 offset:188
	buffer_store_dword v109, off, s[0:3], 0 offset:184
	v_cmpx_lt_u32_e32 22, v0
	s_cbranch_execz .LBB116_283
; %bb.282:
	s_clause 0x1
	buffer_load_dword v109, off, s[0:3], 0 offset:176
	buffer_load_dword v110, off, s[0:3], 0 offset:180
	buffer_store_dword v108, off, s[0:3], 0 offset:176
	buffer_store_dword v108, off, s[0:3], 0 offset:180
	s_waitcnt vmcnt(0)
	ds_write_b64 v107, v[109:110]
.LBB116_283:
	s_or_b32 exec_lo, exec_lo, s4
	s_waitcnt lgkmcnt(0)
	s_waitcnt_vscnt null, 0x0
	s_barrier
	buffer_gl0_inv
	s_clause 0x1c
	buffer_load_dword v117, off, s[0:3], 0 offset:184
	buffer_load_dword v118, off, s[0:3], 0 offset:188
	;; [unrolled: 1-line block ×29, first 2 shown]
	ds_read2_b64 v[109:112], v108 offset0:77 offset1:78
	ds_read2_b64 v[113:116], v108 offset0:79 offset1:80
	buffer_load_dword v142, off, s[0:3], 0 offset:300
	s_mov_b32 s4, exec_lo
	s_waitcnt vmcnt(28) lgkmcnt(1)
	v_fma_f64 v[109:110], v[117:118], v[109:110], 0
	s_clause 0x7
	buffer_load_dword v118, off, s[0:3], 0 offset:308
	buffer_load_dword v147, off, s[0:3], 0 offset:328
	buffer_load_dword v149, off, s[0:3], 0 offset:320
	buffer_load_dword v151, off, s[0:3], 0 offset:312
	buffer_load_dword v117, off, s[0:3], 0 offset:304
	buffer_load_dword v152, off, s[0:3], 0 offset:316
	buffer_load_dword v150, off, s[0:3], 0 offset:324
	buffer_load_dword v148, off, s[0:3], 0 offset:332
	s_waitcnt vmcnt(34)
	v_fma_f64 v[109:110], v[119:120], v[111:112], v[109:110]
	s_waitcnt vmcnt(32) lgkmcnt(0)
	v_fma_f64 v[109:110], v[121:122], v[113:114], v[109:110]
	s_waitcnt vmcnt(30)
	v_fma_f64 v[119:120], v[123:124], v[115:116], v[109:110]
	ds_read2_b64 v[109:112], v108 offset0:81 offset1:82
	ds_read2_b64 v[113:116], v108 offset0:83 offset1:84
	s_waitcnt vmcnt(28) lgkmcnt(1)
	v_fma_f64 v[109:110], v[125:126], v[109:110], v[119:120]
	s_clause 0x7
	buffer_load_dword v120, off, s[0:3], 0 offset:340
	buffer_load_dword v121, off, s[0:3], 0 offset:360
	buffer_load_dword v123, off, s[0:3], 0 offset:352
	buffer_load_dword v125, off, s[0:3], 0 offset:344
	buffer_load_dword v119, off, s[0:3], 0 offset:336
	buffer_load_dword v126, off, s[0:3], 0 offset:348
	buffer_load_dword v124, off, s[0:3], 0 offset:356
	buffer_load_dword v122, off, s[0:3], 0 offset:364
	s_waitcnt vmcnt(34)
	v_fma_f64 v[109:110], v[127:128], v[111:112], v[109:110]
	s_waitcnt vmcnt(32) lgkmcnt(0)
	v_fma_f64 v[109:110], v[129:130], v[113:114], v[109:110]
	s_waitcnt vmcnt(27)
	v_fma_f64 v[127:128], v[131:132], v[115:116], v[109:110]
	ds_read2_b64 v[109:112], v108 offset0:85 offset1:86
	ds_read2_b64 v[113:116], v108 offset0:87 offset1:88
	s_waitcnt vmcnt(26) lgkmcnt(1)
	v_fma_f64 v[109:110], v[137:138], v[109:110], v[127:128]
	s_clause 0x7
	buffer_load_dword v128, off, s[0:3], 0 offset:372
	buffer_load_dword v129, off, s[0:3], 0 offset:392
	buffer_load_dword v131, off, s[0:3], 0 offset:384
	buffer_load_dword v137, off, s[0:3], 0 offset:376
	buffer_load_dword v127, off, s[0:3], 0 offset:368
	buffer_load_dword v138, off, s[0:3], 0 offset:380
	buffer_load_dword v132, off, s[0:3], 0 offset:388
	buffer_load_dword v130, off, s[0:3], 0 offset:396
	s_waitcnt vmcnt(33)
	v_fma_f64 v[109:110], v[135:136], v[111:112], v[109:110]
	s_waitcnt vmcnt(32) lgkmcnt(0)
	v_fma_f64 v[109:110], v[133:134], v[113:114], v[109:110]
	s_waitcnt vmcnt(27)
	v_fma_f64 v[133:134], v[139:140], v[115:116], v[109:110]
	ds_read2_b64 v[109:112], v108 offset0:89 offset1:90
	ds_read2_b64 v[113:116], v108 offset0:91 offset1:92
	s_waitcnt vmcnt(26) lgkmcnt(1)
	v_fma_f64 v[109:110], v[145:146], v[109:110], v[133:134]
	s_clause 0x5
	buffer_load_dword v134, off, s[0:3], 0 offset:404
	buffer_load_dword v135, off, s[0:3], 0 offset:416
	;; [unrolled: 1-line block ×6, first 2 shown]
	s_waitcnt vmcnt(31)
	v_fma_f64 v[109:110], v[143:144], v[111:112], v[109:110]
	s_waitcnt vmcnt(30) lgkmcnt(0)
	v_fma_f64 v[109:110], v[141:142], v[113:114], v[109:110]
	s_waitcnt vmcnt(25)
	v_fma_f64 v[117:118], v[117:118], v[115:116], v[109:110]
	ds_read2_b64 v[109:112], v108 offset0:93 offset1:94
	s_clause 0x1
	buffer_load_dword v141, off, s[0:3], 0 offset:176
	buffer_load_dword v142, off, s[0:3], 0 offset:180
	ds_read2_b64 v[113:116], v108 offset0:95 offset1:96
	s_waitcnt vmcnt(26) lgkmcnt(1)
	v_fma_f64 v[109:110], v[151:152], v[109:110], v[117:118]
	s_waitcnt vmcnt(25)
	v_fma_f64 v[109:110], v[149:150], v[111:112], v[109:110]
	s_waitcnt vmcnt(24) lgkmcnt(0)
	v_fma_f64 v[109:110], v[147:148], v[113:114], v[109:110]
	s_waitcnt vmcnt(19)
	v_fma_f64 v[117:118], v[119:120], v[115:116], v[109:110]
	ds_read2_b64 v[109:112], v108 offset0:97 offset1:98
	ds_read2_b64 v[113:116], v108 offset0:99 offset1:100
	s_waitcnt vmcnt(18) lgkmcnt(1)
	v_fma_f64 v[109:110], v[125:126], v[109:110], v[117:118]
	s_waitcnt vmcnt(17)
	v_fma_f64 v[109:110], v[123:124], v[111:112], v[109:110]
	s_waitcnt vmcnt(16) lgkmcnt(0)
	v_fma_f64 v[109:110], v[121:122], v[113:114], v[109:110]
	s_waitcnt vmcnt(11)
	v_fma_f64 v[117:118], v[127:128], v[115:116], v[109:110]
	ds_read2_b64 v[109:112], v108 offset0:101 offset1:102
	;; [unrolled: 10-line block ×3, first 2 shown]
	s_waitcnt vmcnt(3) lgkmcnt(0)
	v_fma_f64 v[108:109], v[139:140], v[108:109], v[112:113]
	s_waitcnt vmcnt(2)
	v_fma_f64 v[108:109], v[135:136], v[110:111], v[108:109]
	s_waitcnt vmcnt(0)
	v_add_f64 v[108:109], v[141:142], -v[108:109]
	buffer_store_dword v109, off, s[0:3], 0 offset:180
	buffer_store_dword v108, off, s[0:3], 0 offset:176
	v_cmpx_lt_u32_e32 21, v0
	s_cbranch_execz .LBB116_285
; %bb.284:
	s_clause 0x1
	buffer_load_dword v108, off, s[0:3], 0 offset:168
	buffer_load_dword v109, off, s[0:3], 0 offset:172
	v_mov_b32_e32 v110, 0
	buffer_store_dword v110, off, s[0:3], 0 offset:168
	buffer_store_dword v110, off, s[0:3], 0 offset:172
	s_waitcnt vmcnt(0)
	ds_write_b64 v107, v[108:109]
.LBB116_285:
	s_or_b32 exec_lo, exec_lo, s4
	s_waitcnt lgkmcnt(0)
	s_waitcnt_vscnt null, 0x0
	s_barrier
	buffer_gl0_inv
	s_clause 0x1c
	buffer_load_dword v117, off, s[0:3], 0 offset:176
	buffer_load_dword v118, off, s[0:3], 0 offset:180
	;; [unrolled: 1-line block ×29, first 2 shown]
	v_mov_b32_e32 v108, 0
	buffer_load_dword v142, off, s[0:3], 0 offset:292
	s_mov_b32 s4, exec_lo
	ds_read_b128 v[109:112], v108 offset:608
	ds_read_b128 v[113:116], v108 offset:624
	s_waitcnt vmcnt(28) lgkmcnt(1)
	v_fma_f64 v[109:110], v[117:118], v[109:110], 0
	s_clause 0x7
	buffer_load_dword v118, off, s[0:3], 0 offset:300
	buffer_load_dword v147, off, s[0:3], 0 offset:320
	buffer_load_dword v149, off, s[0:3], 0 offset:312
	buffer_load_dword v151, off, s[0:3], 0 offset:304
	buffer_load_dword v117, off, s[0:3], 0 offset:296
	buffer_load_dword v152, off, s[0:3], 0 offset:308
	buffer_load_dword v150, off, s[0:3], 0 offset:316
	buffer_load_dword v148, off, s[0:3], 0 offset:324
	s_waitcnt vmcnt(34)
	v_fma_f64 v[109:110], v[119:120], v[111:112], v[109:110]
	s_waitcnt vmcnt(32) lgkmcnt(0)
	v_fma_f64 v[109:110], v[121:122], v[113:114], v[109:110]
	s_waitcnt vmcnt(30)
	v_fma_f64 v[119:120], v[123:124], v[115:116], v[109:110]
	ds_read_b128 v[109:112], v108 offset:640
	ds_read_b128 v[113:116], v108 offset:656
	s_waitcnt vmcnt(28) lgkmcnt(1)
	v_fma_f64 v[109:110], v[125:126], v[109:110], v[119:120]
	s_clause 0x7
	buffer_load_dword v120, off, s[0:3], 0 offset:332
	buffer_load_dword v121, off, s[0:3], 0 offset:352
	buffer_load_dword v123, off, s[0:3], 0 offset:344
	buffer_load_dword v125, off, s[0:3], 0 offset:336
	buffer_load_dword v119, off, s[0:3], 0 offset:328
	buffer_load_dword v126, off, s[0:3], 0 offset:340
	buffer_load_dword v124, off, s[0:3], 0 offset:348
	buffer_load_dword v122, off, s[0:3], 0 offset:356
	s_waitcnt vmcnt(34)
	v_fma_f64 v[109:110], v[127:128], v[111:112], v[109:110]
	s_waitcnt vmcnt(32) lgkmcnt(0)
	v_fma_f64 v[109:110], v[129:130], v[113:114], v[109:110]
	s_waitcnt vmcnt(27)
	v_fma_f64 v[127:128], v[131:132], v[115:116], v[109:110]
	;; [unrolled: 19-line block ×4, first 2 shown]
	ds_read_b128 v[109:112], v108 offset:736
	ds_read_b128 v[113:116], v108 offset:752
	s_waitcnt vmcnt(26) lgkmcnt(1)
	v_fma_f64 v[109:110], v[151:152], v[109:110], v[117:118]
	s_clause 0x1
	buffer_load_dword v117, off, s[0:3], 0 offset:168
	buffer_load_dword v118, off, s[0:3], 0 offset:172
	s_waitcnt vmcnt(27)
	v_fma_f64 v[109:110], v[149:150], v[111:112], v[109:110]
	s_waitcnt vmcnt(26) lgkmcnt(0)
	v_fma_f64 v[109:110], v[147:148], v[113:114], v[109:110]
	s_waitcnt vmcnt(21)
	v_fma_f64 v[119:120], v[119:120], v[115:116], v[109:110]
	ds_read_b128 v[109:112], v108 offset:768
	ds_read_b128 v[113:116], v108 offset:784
	s_waitcnt vmcnt(20) lgkmcnt(1)
	v_fma_f64 v[109:110], v[125:126], v[109:110], v[119:120]
	s_waitcnt vmcnt(19)
	v_fma_f64 v[109:110], v[123:124], v[111:112], v[109:110]
	s_waitcnt vmcnt(18) lgkmcnt(0)
	v_fma_f64 v[109:110], v[121:122], v[113:114], v[109:110]
	s_waitcnt vmcnt(13)
	v_fma_f64 v[119:120], v[127:128], v[115:116], v[109:110]
	ds_read_b128 v[109:112], v108 offset:800
	ds_read_b128 v[113:116], v108 offset:816
	s_waitcnt vmcnt(12) lgkmcnt(1)
	v_fma_f64 v[109:110], v[137:138], v[109:110], v[119:120]
	s_waitcnt vmcnt(11)
	v_fma_f64 v[109:110], v[131:132], v[111:112], v[109:110]
	s_waitcnt vmcnt(10) lgkmcnt(0)
	v_fma_f64 v[109:110], v[129:130], v[113:114], v[109:110]
	s_waitcnt vmcnt(5)
	v_fma_f64 v[113:114], v[133:134], v[115:116], v[109:110]
	ds_read_b128 v[109:112], v108 offset:832
	ds_read_b64 v[115:116], v108 offset:848
	s_waitcnt vmcnt(4) lgkmcnt(1)
	v_fma_f64 v[109:110], v[145:146], v[109:110], v[113:114]
	s_waitcnt vmcnt(3)
	v_fma_f64 v[109:110], v[139:140], v[111:112], v[109:110]
	s_waitcnt vmcnt(2) lgkmcnt(0)
	v_fma_f64 v[109:110], v[135:136], v[115:116], v[109:110]
	s_waitcnt vmcnt(0)
	v_add_f64 v[109:110], v[117:118], -v[109:110]
	buffer_store_dword v110, off, s[0:3], 0 offset:172
	buffer_store_dword v109, off, s[0:3], 0 offset:168
	v_cmpx_lt_u32_e32 20, v0
	s_cbranch_execz .LBB116_287
; %bb.286:
	s_clause 0x1
	buffer_load_dword v109, off, s[0:3], 0 offset:160
	buffer_load_dword v110, off, s[0:3], 0 offset:164
	buffer_store_dword v108, off, s[0:3], 0 offset:160
	buffer_store_dword v108, off, s[0:3], 0 offset:164
	s_waitcnt vmcnt(0)
	ds_write_b64 v107, v[109:110]
.LBB116_287:
	s_or_b32 exec_lo, exec_lo, s4
	s_waitcnt lgkmcnt(0)
	s_waitcnt_vscnt null, 0x0
	s_barrier
	buffer_gl0_inv
	s_clause 0x1c
	buffer_load_dword v117, off, s[0:3], 0 offset:168
	buffer_load_dword v118, off, s[0:3], 0 offset:172
	;; [unrolled: 1-line block ×29, first 2 shown]
	ds_read2_b64 v[109:112], v108 offset0:75 offset1:76
	ds_read2_b64 v[113:116], v108 offset0:77 offset1:78
	buffer_load_dword v142, off, s[0:3], 0 offset:284
	s_mov_b32 s4, exec_lo
	s_waitcnt vmcnt(28) lgkmcnt(1)
	v_fma_f64 v[109:110], v[117:118], v[109:110], 0
	s_clause 0x7
	buffer_load_dword v118, off, s[0:3], 0 offset:292
	buffer_load_dword v147, off, s[0:3], 0 offset:312
	buffer_load_dword v149, off, s[0:3], 0 offset:304
	buffer_load_dword v151, off, s[0:3], 0 offset:296
	buffer_load_dword v117, off, s[0:3], 0 offset:288
	buffer_load_dword v152, off, s[0:3], 0 offset:300
	buffer_load_dword v150, off, s[0:3], 0 offset:308
	buffer_load_dword v148, off, s[0:3], 0 offset:316
	s_waitcnt vmcnt(34)
	v_fma_f64 v[109:110], v[119:120], v[111:112], v[109:110]
	s_waitcnt vmcnt(32) lgkmcnt(0)
	v_fma_f64 v[109:110], v[121:122], v[113:114], v[109:110]
	s_waitcnt vmcnt(30)
	v_fma_f64 v[119:120], v[123:124], v[115:116], v[109:110]
	ds_read2_b64 v[109:112], v108 offset0:79 offset1:80
	ds_read2_b64 v[113:116], v108 offset0:81 offset1:82
	s_waitcnt vmcnt(28) lgkmcnt(1)
	v_fma_f64 v[109:110], v[125:126], v[109:110], v[119:120]
	s_clause 0x7
	buffer_load_dword v120, off, s[0:3], 0 offset:324
	buffer_load_dword v121, off, s[0:3], 0 offset:344
	buffer_load_dword v123, off, s[0:3], 0 offset:336
	buffer_load_dword v125, off, s[0:3], 0 offset:328
	buffer_load_dword v119, off, s[0:3], 0 offset:320
	buffer_load_dword v126, off, s[0:3], 0 offset:332
	buffer_load_dword v124, off, s[0:3], 0 offset:340
	buffer_load_dword v122, off, s[0:3], 0 offset:348
	s_waitcnt vmcnt(34)
	v_fma_f64 v[109:110], v[127:128], v[111:112], v[109:110]
	s_waitcnt vmcnt(32) lgkmcnt(0)
	v_fma_f64 v[109:110], v[129:130], v[113:114], v[109:110]
	s_waitcnt vmcnt(27)
	v_fma_f64 v[127:128], v[131:132], v[115:116], v[109:110]
	ds_read2_b64 v[109:112], v108 offset0:83 offset1:84
	ds_read2_b64 v[113:116], v108 offset0:85 offset1:86
	;; [unrolled: 19-line block ×4, first 2 shown]
	s_waitcnt vmcnt(26) lgkmcnt(1)
	v_fma_f64 v[109:110], v[151:152], v[109:110], v[117:118]
	s_clause 0x3
	buffer_load_dword v118, off, s[0:3], 0 offset:420
	buffer_load_dword v117, off, s[0:3], 0 offset:416
	;; [unrolled: 1-line block ×4, first 2 shown]
	s_waitcnt vmcnt(29)
	v_fma_f64 v[109:110], v[149:150], v[111:112], v[109:110]
	s_waitcnt vmcnt(28) lgkmcnt(0)
	v_fma_f64 v[109:110], v[147:148], v[113:114], v[109:110]
	s_waitcnt vmcnt(23)
	v_fma_f64 v[119:120], v[119:120], v[115:116], v[109:110]
	ds_read2_b64 v[109:112], v108 offset0:95 offset1:96
	ds_read2_b64 v[113:116], v108 offset0:97 offset1:98
	s_waitcnt vmcnt(22) lgkmcnt(1)
	v_fma_f64 v[109:110], v[125:126], v[109:110], v[119:120]
	s_waitcnt vmcnt(21)
	v_fma_f64 v[109:110], v[123:124], v[111:112], v[109:110]
	s_waitcnt vmcnt(20) lgkmcnt(0)
	v_fma_f64 v[109:110], v[121:122], v[113:114], v[109:110]
	s_waitcnt vmcnt(15)
	v_fma_f64 v[119:120], v[127:128], v[115:116], v[109:110]
	ds_read2_b64 v[109:112], v108 offset0:99 offset1:100
	ds_read2_b64 v[113:116], v108 offset0:101 offset1:102
	s_waitcnt vmcnt(14) lgkmcnt(1)
	v_fma_f64 v[109:110], v[137:138], v[109:110], v[119:120]
	;; [unrolled: 10-line block ×3, first 2 shown]
	s_waitcnt vmcnt(5)
	v_fma_f64 v[108:109], v[139:140], v[111:112], v[108:109]
	s_waitcnt vmcnt(4) lgkmcnt(0)
	v_fma_f64 v[108:109], v[135:136], v[113:114], v[108:109]
	s_waitcnt vmcnt(2)
	v_fma_f64 v[108:109], v[117:118], v[115:116], v[108:109]
	s_waitcnt vmcnt(0)
	v_add_f64 v[108:109], v[141:142], -v[108:109]
	buffer_store_dword v109, off, s[0:3], 0 offset:164
	buffer_store_dword v108, off, s[0:3], 0 offset:160
	v_cmpx_lt_u32_e32 19, v0
	s_cbranch_execz .LBB116_289
; %bb.288:
	s_clause 0x1
	buffer_load_dword v108, off, s[0:3], 0 offset:152
	buffer_load_dword v109, off, s[0:3], 0 offset:156
	v_mov_b32_e32 v110, 0
	buffer_store_dword v110, off, s[0:3], 0 offset:152
	buffer_store_dword v110, off, s[0:3], 0 offset:156
	s_waitcnt vmcnt(0)
	ds_write_b64 v107, v[108:109]
.LBB116_289:
	s_or_b32 exec_lo, exec_lo, s4
	s_waitcnt lgkmcnt(0)
	s_waitcnt_vscnt null, 0x0
	s_barrier
	buffer_gl0_inv
	s_clause 0x1c
	buffer_load_dword v117, off, s[0:3], 0 offset:160
	buffer_load_dword v118, off, s[0:3], 0 offset:164
	;; [unrolled: 1-line block ×29, first 2 shown]
	v_mov_b32_e32 v108, 0
	buffer_load_dword v142, off, s[0:3], 0 offset:276
	s_mov_b32 s4, exec_lo
	ds_read_b128 v[109:112], v108 offset:592
	ds_read_b128 v[113:116], v108 offset:608
	s_waitcnt vmcnt(28) lgkmcnt(1)
	v_fma_f64 v[109:110], v[117:118], v[109:110], 0
	s_clause 0x7
	buffer_load_dword v118, off, s[0:3], 0 offset:284
	buffer_load_dword v147, off, s[0:3], 0 offset:304
	buffer_load_dword v149, off, s[0:3], 0 offset:296
	buffer_load_dword v151, off, s[0:3], 0 offset:288
	buffer_load_dword v117, off, s[0:3], 0 offset:280
	buffer_load_dword v152, off, s[0:3], 0 offset:292
	buffer_load_dword v150, off, s[0:3], 0 offset:300
	buffer_load_dword v148, off, s[0:3], 0 offset:308
	s_waitcnt vmcnt(34)
	v_fma_f64 v[109:110], v[119:120], v[111:112], v[109:110]
	s_waitcnt vmcnt(32) lgkmcnt(0)
	v_fma_f64 v[109:110], v[121:122], v[113:114], v[109:110]
	s_waitcnt vmcnt(30)
	v_fma_f64 v[119:120], v[123:124], v[115:116], v[109:110]
	ds_read_b128 v[109:112], v108 offset:624
	ds_read_b128 v[113:116], v108 offset:640
	s_waitcnt vmcnt(28) lgkmcnt(1)
	v_fma_f64 v[109:110], v[125:126], v[109:110], v[119:120]
	s_clause 0x7
	buffer_load_dword v120, off, s[0:3], 0 offset:316
	buffer_load_dword v121, off, s[0:3], 0 offset:336
	buffer_load_dword v123, off, s[0:3], 0 offset:328
	buffer_load_dword v125, off, s[0:3], 0 offset:320
	buffer_load_dword v119, off, s[0:3], 0 offset:312
	buffer_load_dword v126, off, s[0:3], 0 offset:324
	buffer_load_dword v124, off, s[0:3], 0 offset:332
	buffer_load_dword v122, off, s[0:3], 0 offset:340
	s_waitcnt vmcnt(34)
	v_fma_f64 v[109:110], v[127:128], v[111:112], v[109:110]
	s_waitcnt vmcnt(32) lgkmcnt(0)
	v_fma_f64 v[109:110], v[129:130], v[113:114], v[109:110]
	s_waitcnt vmcnt(27)
	v_fma_f64 v[127:128], v[131:132], v[115:116], v[109:110]
	;; [unrolled: 19-line block ×4, first 2 shown]
	ds_read_b128 v[109:112], v108 offset:720
	ds_read_b128 v[113:116], v108 offset:736
	s_waitcnt vmcnt(26) lgkmcnt(1)
	v_fma_f64 v[109:110], v[151:152], v[109:110], v[117:118]
	s_clause 0x5
	buffer_load_dword v118, off, s[0:3], 0 offset:412
	buffer_load_dword v141, off, s[0:3], 0 offset:416
	;; [unrolled: 1-line block ×6, first 2 shown]
	s_waitcnt vmcnt(31)
	v_fma_f64 v[109:110], v[149:150], v[111:112], v[109:110]
	s_waitcnt vmcnt(30) lgkmcnt(0)
	v_fma_f64 v[109:110], v[147:148], v[113:114], v[109:110]
	s_waitcnt vmcnt(25)
	v_fma_f64 v[119:120], v[119:120], v[115:116], v[109:110]
	ds_read_b128 v[109:112], v108 offset:752
	ds_read_b128 v[113:116], v108 offset:768
	s_waitcnt vmcnt(24) lgkmcnt(1)
	v_fma_f64 v[109:110], v[125:126], v[109:110], v[119:120]
	s_waitcnt vmcnt(23)
	v_fma_f64 v[109:110], v[123:124], v[111:112], v[109:110]
	s_waitcnt vmcnt(22) lgkmcnt(0)
	v_fma_f64 v[109:110], v[121:122], v[113:114], v[109:110]
	s_waitcnt vmcnt(17)
	v_fma_f64 v[119:120], v[127:128], v[115:116], v[109:110]
	ds_read_b128 v[109:112], v108 offset:784
	ds_read_b128 v[113:116], v108 offset:800
	s_waitcnt vmcnt(16) lgkmcnt(1)
	v_fma_f64 v[109:110], v[137:138], v[109:110], v[119:120]
	;; [unrolled: 10-line block ×3, first 2 shown]
	s_waitcnt vmcnt(7)
	v_fma_f64 v[109:110], v[139:140], v[111:112], v[109:110]
	ds_read_b64 v[111:112], v108 offset:848
	s_waitcnt vmcnt(6) lgkmcnt(1)
	v_fma_f64 v[109:110], v[135:136], v[113:114], v[109:110]
	s_waitcnt vmcnt(3)
	v_fma_f64 v[109:110], v[117:118], v[115:116], v[109:110]
	s_waitcnt vmcnt(2) lgkmcnt(0)
	v_fma_f64 v[109:110], v[141:142], v[111:112], v[109:110]
	s_waitcnt vmcnt(0)
	v_add_f64 v[109:110], v[143:144], -v[109:110]
	buffer_store_dword v110, off, s[0:3], 0 offset:156
	buffer_store_dword v109, off, s[0:3], 0 offset:152
	v_cmpx_lt_u32_e32 18, v0
	s_cbranch_execz .LBB116_291
; %bb.290:
	s_clause 0x1
	buffer_load_dword v109, off, s[0:3], 0 offset:144
	buffer_load_dword v110, off, s[0:3], 0 offset:148
	buffer_store_dword v108, off, s[0:3], 0 offset:144
	buffer_store_dword v108, off, s[0:3], 0 offset:148
	s_waitcnt vmcnt(0)
	ds_write_b64 v107, v[109:110]
.LBB116_291:
	s_or_b32 exec_lo, exec_lo, s4
	s_waitcnt lgkmcnt(0)
	s_waitcnt_vscnt null, 0x0
	s_barrier
	buffer_gl0_inv
	s_clause 0x1c
	buffer_load_dword v117, off, s[0:3], 0 offset:152
	buffer_load_dword v118, off, s[0:3], 0 offset:156
	;; [unrolled: 1-line block ×29, first 2 shown]
	ds_read2_b64 v[109:112], v108 offset0:73 offset1:74
	ds_read2_b64 v[113:116], v108 offset0:75 offset1:76
	buffer_load_dword v142, off, s[0:3], 0 offset:268
	s_mov_b32 s4, exec_lo
	s_waitcnt vmcnt(28) lgkmcnt(1)
	v_fma_f64 v[109:110], v[117:118], v[109:110], 0
	s_clause 0x7
	buffer_load_dword v118, off, s[0:3], 0 offset:276
	buffer_load_dword v147, off, s[0:3], 0 offset:296
	buffer_load_dword v149, off, s[0:3], 0 offset:288
	buffer_load_dword v151, off, s[0:3], 0 offset:280
	buffer_load_dword v117, off, s[0:3], 0 offset:272
	buffer_load_dword v152, off, s[0:3], 0 offset:284
	buffer_load_dword v150, off, s[0:3], 0 offset:292
	buffer_load_dword v148, off, s[0:3], 0 offset:300
	s_waitcnt vmcnt(34)
	v_fma_f64 v[109:110], v[119:120], v[111:112], v[109:110]
	s_waitcnt vmcnt(32) lgkmcnt(0)
	v_fma_f64 v[109:110], v[121:122], v[113:114], v[109:110]
	s_waitcnt vmcnt(30)
	v_fma_f64 v[119:120], v[123:124], v[115:116], v[109:110]
	ds_read2_b64 v[109:112], v108 offset0:77 offset1:78
	ds_read2_b64 v[113:116], v108 offset0:79 offset1:80
	s_waitcnt vmcnt(28) lgkmcnt(1)
	v_fma_f64 v[109:110], v[125:126], v[109:110], v[119:120]
	s_clause 0x7
	buffer_load_dword v120, off, s[0:3], 0 offset:308
	buffer_load_dword v121, off, s[0:3], 0 offset:328
	buffer_load_dword v123, off, s[0:3], 0 offset:320
	buffer_load_dword v125, off, s[0:3], 0 offset:312
	buffer_load_dword v119, off, s[0:3], 0 offset:304
	buffer_load_dword v126, off, s[0:3], 0 offset:316
	buffer_load_dword v124, off, s[0:3], 0 offset:324
	buffer_load_dword v122, off, s[0:3], 0 offset:332
	s_waitcnt vmcnt(34)
	v_fma_f64 v[109:110], v[127:128], v[111:112], v[109:110]
	s_waitcnt vmcnt(32) lgkmcnt(0)
	v_fma_f64 v[109:110], v[129:130], v[113:114], v[109:110]
	s_waitcnt vmcnt(27)
	v_fma_f64 v[127:128], v[131:132], v[115:116], v[109:110]
	ds_read2_b64 v[109:112], v108 offset0:81 offset1:82
	ds_read2_b64 v[113:116], v108 offset0:83 offset1:84
	;; [unrolled: 19-line block ×4, first 2 shown]
	s_waitcnt vmcnt(26) lgkmcnt(1)
	v_fma_f64 v[109:110], v[151:152], v[109:110], v[117:118]
	s_clause 0x5
	buffer_load_dword v118, off, s[0:3], 0 offset:404
	buffer_load_dword v141, off, s[0:3], 0 offset:416
	;; [unrolled: 1-line block ×6, first 2 shown]
	s_waitcnt vmcnt(31)
	v_fma_f64 v[109:110], v[149:150], v[111:112], v[109:110]
	s_waitcnt vmcnt(30) lgkmcnt(0)
	v_fma_f64 v[109:110], v[147:148], v[113:114], v[109:110]
	s_waitcnt vmcnt(25)
	v_fma_f64 v[119:120], v[119:120], v[115:116], v[109:110]
	ds_read2_b64 v[109:112], v108 offset0:93 offset1:94
	s_clause 0x1
	buffer_load_dword v147, off, s[0:3], 0 offset:144
	buffer_load_dword v148, off, s[0:3], 0 offset:148
	ds_read2_b64 v[113:116], v108 offset0:95 offset1:96
	s_waitcnt vmcnt(26) lgkmcnt(1)
	v_fma_f64 v[109:110], v[125:126], v[109:110], v[119:120]
	s_waitcnt vmcnt(25)
	v_fma_f64 v[109:110], v[123:124], v[111:112], v[109:110]
	s_waitcnt vmcnt(24) lgkmcnt(0)
	v_fma_f64 v[109:110], v[121:122], v[113:114], v[109:110]
	s_waitcnt vmcnt(19)
	v_fma_f64 v[119:120], v[127:128], v[115:116], v[109:110]
	ds_read2_b64 v[109:112], v108 offset0:97 offset1:98
	ds_read2_b64 v[113:116], v108 offset0:99 offset1:100
	s_waitcnt vmcnt(18) lgkmcnt(1)
	v_fma_f64 v[109:110], v[137:138], v[109:110], v[119:120]
	s_waitcnt vmcnt(17)
	v_fma_f64 v[109:110], v[131:132], v[111:112], v[109:110]
	s_waitcnt vmcnt(16) lgkmcnt(0)
	v_fma_f64 v[109:110], v[129:130], v[113:114], v[109:110]
	s_waitcnt vmcnt(11)
	v_fma_f64 v[119:120], v[133:134], v[115:116], v[109:110]
	ds_read2_b64 v[109:112], v108 offset0:101 offset1:102
	;; [unrolled: 10-line block ×3, first 2 shown]
	s_waitcnt vmcnt(3) lgkmcnt(0)
	v_fma_f64 v[108:109], v[143:144], v[108:109], v[112:113]
	s_waitcnt vmcnt(2)
	v_fma_f64 v[108:109], v[141:142], v[110:111], v[108:109]
	s_waitcnt vmcnt(0)
	v_add_f64 v[108:109], v[147:148], -v[108:109]
	buffer_store_dword v109, off, s[0:3], 0 offset:148
	buffer_store_dword v108, off, s[0:3], 0 offset:144
	v_cmpx_lt_u32_e32 17, v0
	s_cbranch_execz .LBB116_293
; %bb.292:
	s_clause 0x1
	buffer_load_dword v108, off, s[0:3], 0 offset:136
	buffer_load_dword v109, off, s[0:3], 0 offset:140
	v_mov_b32_e32 v110, 0
	buffer_store_dword v110, off, s[0:3], 0 offset:136
	buffer_store_dword v110, off, s[0:3], 0 offset:140
	s_waitcnt vmcnt(0)
	ds_write_b64 v107, v[108:109]
.LBB116_293:
	s_or_b32 exec_lo, exec_lo, s4
	s_waitcnt lgkmcnt(0)
	s_waitcnt_vscnt null, 0x0
	s_barrier
	buffer_gl0_inv
	s_clause 0x1c
	buffer_load_dword v117, off, s[0:3], 0 offset:144
	buffer_load_dword v118, off, s[0:3], 0 offset:148
	;; [unrolled: 1-line block ×29, first 2 shown]
	v_mov_b32_e32 v108, 0
	buffer_load_dword v142, off, s[0:3], 0 offset:260
	s_mov_b32 s4, exec_lo
	ds_read_b128 v[109:112], v108 offset:576
	ds_read_b128 v[113:116], v108 offset:592
	s_waitcnt vmcnt(28) lgkmcnt(1)
	v_fma_f64 v[109:110], v[117:118], v[109:110], 0
	s_clause 0x7
	buffer_load_dword v118, off, s[0:3], 0 offset:268
	buffer_load_dword v147, off, s[0:3], 0 offset:288
	buffer_load_dword v149, off, s[0:3], 0 offset:280
	buffer_load_dword v151, off, s[0:3], 0 offset:272
	buffer_load_dword v117, off, s[0:3], 0 offset:264
	buffer_load_dword v152, off, s[0:3], 0 offset:276
	buffer_load_dword v150, off, s[0:3], 0 offset:284
	buffer_load_dword v148, off, s[0:3], 0 offset:292
	s_waitcnt vmcnt(34)
	v_fma_f64 v[109:110], v[119:120], v[111:112], v[109:110]
	s_waitcnt vmcnt(32) lgkmcnt(0)
	v_fma_f64 v[109:110], v[121:122], v[113:114], v[109:110]
	s_waitcnt vmcnt(30)
	v_fma_f64 v[119:120], v[123:124], v[115:116], v[109:110]
	ds_read_b128 v[109:112], v108 offset:608
	ds_read_b128 v[113:116], v108 offset:624
	s_waitcnt vmcnt(28) lgkmcnt(1)
	v_fma_f64 v[109:110], v[125:126], v[109:110], v[119:120]
	s_clause 0x7
	buffer_load_dword v120, off, s[0:3], 0 offset:300
	buffer_load_dword v121, off, s[0:3], 0 offset:320
	buffer_load_dword v123, off, s[0:3], 0 offset:312
	buffer_load_dword v125, off, s[0:3], 0 offset:304
	buffer_load_dword v119, off, s[0:3], 0 offset:296
	buffer_load_dword v126, off, s[0:3], 0 offset:308
	buffer_load_dword v124, off, s[0:3], 0 offset:316
	buffer_load_dword v122, off, s[0:3], 0 offset:324
	s_waitcnt vmcnt(34)
	v_fma_f64 v[109:110], v[127:128], v[111:112], v[109:110]
	s_waitcnt vmcnt(32) lgkmcnt(0)
	v_fma_f64 v[109:110], v[129:130], v[113:114], v[109:110]
	s_waitcnt vmcnt(27)
	v_fma_f64 v[127:128], v[131:132], v[115:116], v[109:110]
	;; [unrolled: 19-line block ×5, first 2 shown]
	ds_read_b128 v[109:112], v108 offset:736
	ds_read_b128 v[113:116], v108 offset:752
	s_waitcnt vmcnt(26) lgkmcnt(1)
	v_fma_f64 v[109:110], v[125:126], v[109:110], v[119:120]
	s_clause 0x1
	buffer_load_dword v119, off, s[0:3], 0 offset:136
	buffer_load_dword v120, off, s[0:3], 0 offset:140
	s_waitcnt vmcnt(27)
	v_fma_f64 v[109:110], v[123:124], v[111:112], v[109:110]
	s_waitcnt vmcnt(26) lgkmcnt(0)
	v_fma_f64 v[109:110], v[121:122], v[113:114], v[109:110]
	s_waitcnt vmcnt(21)
	v_fma_f64 v[121:122], v[127:128], v[115:116], v[109:110]
	ds_read_b128 v[109:112], v108 offset:768
	ds_read_b128 v[113:116], v108 offset:784
	s_waitcnt vmcnt(20) lgkmcnt(1)
	v_fma_f64 v[109:110], v[137:138], v[109:110], v[121:122]
	s_waitcnt vmcnt(19)
	v_fma_f64 v[109:110], v[131:132], v[111:112], v[109:110]
	s_waitcnt vmcnt(18) lgkmcnt(0)
	v_fma_f64 v[109:110], v[129:130], v[113:114], v[109:110]
	s_waitcnt vmcnt(13)
	v_fma_f64 v[121:122], v[133:134], v[115:116], v[109:110]
	ds_read_b128 v[109:112], v108 offset:800
	ds_read_b128 v[113:116], v108 offset:816
	s_waitcnt vmcnt(12) lgkmcnt(1)
	v_fma_f64 v[109:110], v[145:146], v[109:110], v[121:122]
	s_waitcnt vmcnt(11)
	v_fma_f64 v[109:110], v[139:140], v[111:112], v[109:110]
	s_waitcnt vmcnt(10) lgkmcnt(0)
	v_fma_f64 v[109:110], v[135:136], v[113:114], v[109:110]
	s_waitcnt vmcnt(5)
	v_fma_f64 v[113:114], v[117:118], v[115:116], v[109:110]
	ds_read_b128 v[109:112], v108 offset:832
	ds_read_b64 v[115:116], v108 offset:848
	s_waitcnt vmcnt(4) lgkmcnt(1)
	v_fma_f64 v[109:110], v[151:152], v[109:110], v[113:114]
	s_waitcnt vmcnt(3)
	v_fma_f64 v[109:110], v[143:144], v[111:112], v[109:110]
	s_waitcnt vmcnt(2) lgkmcnt(0)
	v_fma_f64 v[109:110], v[141:142], v[115:116], v[109:110]
	s_waitcnt vmcnt(0)
	v_add_f64 v[109:110], v[119:120], -v[109:110]
	buffer_store_dword v110, off, s[0:3], 0 offset:140
	buffer_store_dword v109, off, s[0:3], 0 offset:136
	v_cmpx_lt_u32_e32 16, v0
	s_cbranch_execz .LBB116_295
; %bb.294:
	s_clause 0x1
	buffer_load_dword v109, off, s[0:3], 0 offset:128
	buffer_load_dword v110, off, s[0:3], 0 offset:132
	buffer_store_dword v108, off, s[0:3], 0 offset:128
	buffer_store_dword v108, off, s[0:3], 0 offset:132
	s_waitcnt vmcnt(0)
	ds_write_b64 v107, v[109:110]
.LBB116_295:
	s_or_b32 exec_lo, exec_lo, s4
	s_waitcnt lgkmcnt(0)
	s_waitcnt_vscnt null, 0x0
	s_barrier
	buffer_gl0_inv
	s_clause 0x1c
	buffer_load_dword v117, off, s[0:3], 0 offset:136
	buffer_load_dword v118, off, s[0:3], 0 offset:140
	;; [unrolled: 1-line block ×29, first 2 shown]
	ds_read2_b64 v[109:112], v108 offset0:71 offset1:72
	ds_read2_b64 v[113:116], v108 offset0:73 offset1:74
	buffer_load_dword v142, off, s[0:3], 0 offset:252
	s_mov_b32 s4, exec_lo
	s_waitcnt vmcnt(28) lgkmcnt(1)
	v_fma_f64 v[109:110], v[117:118], v[109:110], 0
	s_clause 0x7
	buffer_load_dword v118, off, s[0:3], 0 offset:260
	buffer_load_dword v147, off, s[0:3], 0 offset:280
	buffer_load_dword v149, off, s[0:3], 0 offset:272
	buffer_load_dword v151, off, s[0:3], 0 offset:264
	buffer_load_dword v117, off, s[0:3], 0 offset:256
	buffer_load_dword v152, off, s[0:3], 0 offset:268
	buffer_load_dword v150, off, s[0:3], 0 offset:276
	buffer_load_dword v148, off, s[0:3], 0 offset:284
	s_waitcnt vmcnt(34)
	v_fma_f64 v[109:110], v[119:120], v[111:112], v[109:110]
	s_waitcnt vmcnt(32) lgkmcnt(0)
	v_fma_f64 v[109:110], v[121:122], v[113:114], v[109:110]
	s_waitcnt vmcnt(30)
	v_fma_f64 v[119:120], v[123:124], v[115:116], v[109:110]
	ds_read2_b64 v[109:112], v108 offset0:75 offset1:76
	ds_read2_b64 v[113:116], v108 offset0:77 offset1:78
	s_waitcnt vmcnt(28) lgkmcnt(1)
	v_fma_f64 v[109:110], v[125:126], v[109:110], v[119:120]
	s_clause 0x7
	buffer_load_dword v120, off, s[0:3], 0 offset:292
	buffer_load_dword v121, off, s[0:3], 0 offset:312
	buffer_load_dword v123, off, s[0:3], 0 offset:304
	buffer_load_dword v125, off, s[0:3], 0 offset:296
	buffer_load_dword v119, off, s[0:3], 0 offset:288
	buffer_load_dword v126, off, s[0:3], 0 offset:300
	buffer_load_dword v124, off, s[0:3], 0 offset:308
	buffer_load_dword v122, off, s[0:3], 0 offset:316
	s_waitcnt vmcnt(34)
	v_fma_f64 v[109:110], v[127:128], v[111:112], v[109:110]
	s_waitcnt vmcnt(32) lgkmcnt(0)
	v_fma_f64 v[109:110], v[129:130], v[113:114], v[109:110]
	s_waitcnt vmcnt(27)
	v_fma_f64 v[127:128], v[131:132], v[115:116], v[109:110]
	ds_read2_b64 v[109:112], v108 offset0:79 offset1:80
	ds_read2_b64 v[113:116], v108 offset0:81 offset1:82
	;; [unrolled: 19-line block ×5, first 2 shown]
	s_waitcnt vmcnt(26) lgkmcnt(1)
	v_fma_f64 v[109:110], v[125:126], v[109:110], v[119:120]
	s_clause 0x1
	buffer_load_dword v120, off, s[0:3], 0 offset:420
	buffer_load_dword v119, off, s[0:3], 0 offset:416
	s_waitcnt vmcnt(27)
	v_fma_f64 v[109:110], v[123:124], v[111:112], v[109:110]
	s_clause 0x1
	buffer_load_dword v123, off, s[0:3], 0 offset:128
	buffer_load_dword v124, off, s[0:3], 0 offset:132
	s_waitcnt vmcnt(28) lgkmcnt(0)
	v_fma_f64 v[109:110], v[121:122], v[113:114], v[109:110]
	s_waitcnt vmcnt(23)
	v_fma_f64 v[121:122], v[127:128], v[115:116], v[109:110]
	ds_read2_b64 v[109:112], v108 offset0:95 offset1:96
	ds_read2_b64 v[113:116], v108 offset0:97 offset1:98
	s_waitcnt vmcnt(22) lgkmcnt(1)
	v_fma_f64 v[109:110], v[137:138], v[109:110], v[121:122]
	s_waitcnt vmcnt(21)
	v_fma_f64 v[109:110], v[131:132], v[111:112], v[109:110]
	s_waitcnt vmcnt(20) lgkmcnt(0)
	v_fma_f64 v[109:110], v[129:130], v[113:114], v[109:110]
	s_waitcnt vmcnt(15)
	v_fma_f64 v[121:122], v[133:134], v[115:116], v[109:110]
	ds_read2_b64 v[109:112], v108 offset0:99 offset1:100
	ds_read2_b64 v[113:116], v108 offset0:101 offset1:102
	s_waitcnt vmcnt(14) lgkmcnt(1)
	v_fma_f64 v[109:110], v[145:146], v[109:110], v[121:122]
	s_waitcnt vmcnt(13)
	v_fma_f64 v[109:110], v[139:140], v[111:112], v[109:110]
	;; [unrolled: 10-line block ×3, first 2 shown]
	s_waitcnt vmcnt(4) lgkmcnt(0)
	v_fma_f64 v[108:109], v[141:142], v[113:114], v[108:109]
	s_waitcnt vmcnt(2)
	v_fma_f64 v[108:109], v[119:120], v[115:116], v[108:109]
	s_waitcnt vmcnt(0)
	v_add_f64 v[108:109], v[123:124], -v[108:109]
	buffer_store_dword v109, off, s[0:3], 0 offset:132
	buffer_store_dword v108, off, s[0:3], 0 offset:128
	v_cmpx_lt_u32_e32 15, v0
	s_cbranch_execz .LBB116_297
; %bb.296:
	s_clause 0x1
	buffer_load_dword v108, off, s[0:3], 0 offset:120
	buffer_load_dword v109, off, s[0:3], 0 offset:124
	v_mov_b32_e32 v110, 0
	buffer_store_dword v110, off, s[0:3], 0 offset:120
	buffer_store_dword v110, off, s[0:3], 0 offset:124
	s_waitcnt vmcnt(0)
	ds_write_b64 v107, v[108:109]
.LBB116_297:
	s_or_b32 exec_lo, exec_lo, s4
	s_waitcnt lgkmcnt(0)
	s_waitcnt_vscnt null, 0x0
	s_barrier
	buffer_gl0_inv
	s_clause 0x1c
	buffer_load_dword v117, off, s[0:3], 0 offset:128
	buffer_load_dword v118, off, s[0:3], 0 offset:132
	buffer_load_dword v119, off, s[0:3], 0 offset:136
	buffer_load_dword v120, off, s[0:3], 0 offset:140
	buffer_load_dword v121, off, s[0:3], 0 offset:144
	buffer_load_dword v122, off, s[0:3], 0 offset:148
	buffer_load_dword v123, off, s[0:3], 0 offset:152
	buffer_load_dword v124, off, s[0:3], 0 offset:156
	buffer_load_dword v125, off, s[0:3], 0 offset:160
	buffer_load_dword v126, off, s[0:3], 0 offset:164
	buffer_load_dword v127, off, s[0:3], 0 offset:168
	buffer_load_dword v128, off, s[0:3], 0 offset:172
	buffer_load_dword v129, off, s[0:3], 0 offset:176
	buffer_load_dword v130, off, s[0:3], 0 offset:180
	buffer_load_dword v132, off, s[0:3], 0 offset:188
	buffer_load_dword v133, off, s[0:3], 0 offset:208
	buffer_load_dword v135, off, s[0:3], 0 offset:200
	buffer_load_dword v137, off, s[0:3], 0 offset:192
	buffer_load_dword v131, off, s[0:3], 0 offset:184
	buffer_load_dword v138, off, s[0:3], 0 offset:196
	buffer_load_dword v136, off, s[0:3], 0 offset:204
	buffer_load_dword v134, off, s[0:3], 0 offset:212
	buffer_load_dword v140, off, s[0:3], 0 offset:220
	buffer_load_dword v141, off, s[0:3], 0 offset:240
	buffer_load_dword v143, off, s[0:3], 0 offset:232
	buffer_load_dword v145, off, s[0:3], 0 offset:224
	buffer_load_dword v139, off, s[0:3], 0 offset:216
	buffer_load_dword v146, off, s[0:3], 0 offset:228
	buffer_load_dword v144, off, s[0:3], 0 offset:236
	v_mov_b32_e32 v108, 0
	buffer_load_dword v142, off, s[0:3], 0 offset:244
	s_mov_b32 s4, exec_lo
	ds_read_b128 v[109:112], v108 offset:560
	ds_read_b128 v[113:116], v108 offset:576
	s_waitcnt vmcnt(28) lgkmcnt(1)
	v_fma_f64 v[109:110], v[117:118], v[109:110], 0
	s_clause 0x7
	buffer_load_dword v118, off, s[0:3], 0 offset:252
	buffer_load_dword v147, off, s[0:3], 0 offset:272
	buffer_load_dword v149, off, s[0:3], 0 offset:264
	buffer_load_dword v151, off, s[0:3], 0 offset:256
	buffer_load_dword v117, off, s[0:3], 0 offset:248
	buffer_load_dword v152, off, s[0:3], 0 offset:260
	buffer_load_dword v150, off, s[0:3], 0 offset:268
	buffer_load_dword v148, off, s[0:3], 0 offset:276
	s_waitcnt vmcnt(34)
	v_fma_f64 v[109:110], v[119:120], v[111:112], v[109:110]
	s_waitcnt vmcnt(32) lgkmcnt(0)
	v_fma_f64 v[109:110], v[121:122], v[113:114], v[109:110]
	s_waitcnt vmcnt(30)
	v_fma_f64 v[119:120], v[123:124], v[115:116], v[109:110]
	ds_read_b128 v[109:112], v108 offset:592
	ds_read_b128 v[113:116], v108 offset:608
	s_waitcnt vmcnt(28) lgkmcnt(1)
	v_fma_f64 v[109:110], v[125:126], v[109:110], v[119:120]
	s_clause 0x7
	buffer_load_dword v120, off, s[0:3], 0 offset:284
	buffer_load_dword v121, off, s[0:3], 0 offset:304
	buffer_load_dword v123, off, s[0:3], 0 offset:296
	buffer_load_dword v125, off, s[0:3], 0 offset:288
	buffer_load_dword v119, off, s[0:3], 0 offset:280
	buffer_load_dword v126, off, s[0:3], 0 offset:292
	buffer_load_dword v124, off, s[0:3], 0 offset:300
	buffer_load_dword v122, off, s[0:3], 0 offset:308
	s_waitcnt vmcnt(34)
	v_fma_f64 v[109:110], v[127:128], v[111:112], v[109:110]
	s_waitcnt vmcnt(32) lgkmcnt(0)
	v_fma_f64 v[109:110], v[129:130], v[113:114], v[109:110]
	s_waitcnt vmcnt(27)
	v_fma_f64 v[127:128], v[131:132], v[115:116], v[109:110]
	;; [unrolled: 19-line block ×5, first 2 shown]
	ds_read_b128 v[109:112], v108 offset:720
	ds_read_b128 v[113:116], v108 offset:736
	s_waitcnt vmcnt(26) lgkmcnt(1)
	v_fma_f64 v[109:110], v[125:126], v[109:110], v[119:120]
	s_clause 0x3
	buffer_load_dword v120, off, s[0:3], 0 offset:412
	buffer_load_dword v125, off, s[0:3], 0 offset:416
	;; [unrolled: 1-line block ×4, first 2 shown]
	s_waitcnt vmcnt(29)
	v_fma_f64 v[109:110], v[123:124], v[111:112], v[109:110]
	s_waitcnt vmcnt(28) lgkmcnt(0)
	v_fma_f64 v[109:110], v[121:122], v[113:114], v[109:110]
	s_clause 0x1
	buffer_load_dword v121, off, s[0:3], 0 offset:120
	buffer_load_dword v122, off, s[0:3], 0 offset:124
	s_waitcnt vmcnt(25)
	v_fma_f64 v[123:124], v[127:128], v[115:116], v[109:110]
	ds_read_b128 v[109:112], v108 offset:752
	ds_read_b128 v[113:116], v108 offset:768
	s_waitcnt vmcnt(24) lgkmcnt(1)
	v_fma_f64 v[109:110], v[137:138], v[109:110], v[123:124]
	s_waitcnt vmcnt(23)
	v_fma_f64 v[109:110], v[131:132], v[111:112], v[109:110]
	s_waitcnt vmcnt(22) lgkmcnt(0)
	v_fma_f64 v[109:110], v[129:130], v[113:114], v[109:110]
	s_waitcnt vmcnt(17)
	v_fma_f64 v[123:124], v[133:134], v[115:116], v[109:110]
	ds_read_b128 v[109:112], v108 offset:784
	ds_read_b128 v[113:116], v108 offset:800
	s_waitcnt vmcnt(16) lgkmcnt(1)
	v_fma_f64 v[109:110], v[145:146], v[109:110], v[123:124]
	s_waitcnt vmcnt(15)
	v_fma_f64 v[109:110], v[139:140], v[111:112], v[109:110]
	s_waitcnt vmcnt(14) lgkmcnt(0)
	v_fma_f64 v[109:110], v[135:136], v[113:114], v[109:110]
	s_waitcnt vmcnt(9)
	v_fma_f64 v[117:118], v[117:118], v[115:116], v[109:110]
	ds_read_b128 v[109:112], v108 offset:816
	ds_read_b128 v[113:116], v108 offset:832
	s_waitcnt vmcnt(8) lgkmcnt(1)
	v_fma_f64 v[109:110], v[151:152], v[109:110], v[117:118]
	s_waitcnt vmcnt(7)
	v_fma_f64 v[109:110], v[143:144], v[111:112], v[109:110]
	ds_read_b64 v[111:112], v108 offset:848
	s_waitcnt vmcnt(6) lgkmcnt(1)
	v_fma_f64 v[109:110], v[141:142], v[113:114], v[109:110]
	s_waitcnt vmcnt(3)
	v_fma_f64 v[109:110], v[119:120], v[115:116], v[109:110]
	s_waitcnt vmcnt(2) lgkmcnt(0)
	v_fma_f64 v[109:110], v[125:126], v[111:112], v[109:110]
	s_waitcnt vmcnt(0)
	v_add_f64 v[109:110], v[121:122], -v[109:110]
	buffer_store_dword v110, off, s[0:3], 0 offset:124
	buffer_store_dword v109, off, s[0:3], 0 offset:120
	v_cmpx_lt_u32_e32 14, v0
	s_cbranch_execz .LBB116_299
; %bb.298:
	s_clause 0x1
	buffer_load_dword v109, off, s[0:3], 0 offset:112
	buffer_load_dword v110, off, s[0:3], 0 offset:116
	buffer_store_dword v108, off, s[0:3], 0 offset:112
	buffer_store_dword v108, off, s[0:3], 0 offset:116
	s_waitcnt vmcnt(0)
	ds_write_b64 v107, v[109:110]
.LBB116_299:
	s_or_b32 exec_lo, exec_lo, s4
	s_waitcnt lgkmcnt(0)
	s_waitcnt_vscnt null, 0x0
	s_barrier
	buffer_gl0_inv
	s_clause 0x1c
	buffer_load_dword v117, off, s[0:3], 0 offset:120
	buffer_load_dword v118, off, s[0:3], 0 offset:124
	;; [unrolled: 1-line block ×29, first 2 shown]
	ds_read2_b64 v[109:112], v108 offset0:69 offset1:70
	ds_read2_b64 v[113:116], v108 offset0:71 offset1:72
	buffer_load_dword v142, off, s[0:3], 0 offset:236
	s_mov_b32 s4, exec_lo
	s_waitcnt vmcnt(28) lgkmcnt(1)
	v_fma_f64 v[109:110], v[117:118], v[109:110], 0
	s_clause 0x7
	buffer_load_dword v118, off, s[0:3], 0 offset:244
	buffer_load_dword v147, off, s[0:3], 0 offset:264
	buffer_load_dword v149, off, s[0:3], 0 offset:256
	buffer_load_dword v151, off, s[0:3], 0 offset:248
	buffer_load_dword v117, off, s[0:3], 0 offset:240
	buffer_load_dword v152, off, s[0:3], 0 offset:252
	buffer_load_dword v150, off, s[0:3], 0 offset:260
	buffer_load_dword v148, off, s[0:3], 0 offset:268
	s_waitcnt vmcnt(34)
	v_fma_f64 v[109:110], v[119:120], v[111:112], v[109:110]
	s_waitcnt vmcnt(32) lgkmcnt(0)
	v_fma_f64 v[109:110], v[121:122], v[113:114], v[109:110]
	s_waitcnt vmcnt(30)
	v_fma_f64 v[119:120], v[123:124], v[115:116], v[109:110]
	ds_read2_b64 v[109:112], v108 offset0:73 offset1:74
	ds_read2_b64 v[113:116], v108 offset0:75 offset1:76
	s_waitcnt vmcnt(28) lgkmcnt(1)
	v_fma_f64 v[109:110], v[125:126], v[109:110], v[119:120]
	s_clause 0x7
	buffer_load_dword v120, off, s[0:3], 0 offset:276
	buffer_load_dword v121, off, s[0:3], 0 offset:296
	buffer_load_dword v123, off, s[0:3], 0 offset:288
	buffer_load_dword v125, off, s[0:3], 0 offset:280
	buffer_load_dword v119, off, s[0:3], 0 offset:272
	buffer_load_dword v126, off, s[0:3], 0 offset:284
	buffer_load_dword v124, off, s[0:3], 0 offset:292
	buffer_load_dword v122, off, s[0:3], 0 offset:300
	s_waitcnt vmcnt(34)
	v_fma_f64 v[109:110], v[127:128], v[111:112], v[109:110]
	s_waitcnt vmcnt(32) lgkmcnt(0)
	v_fma_f64 v[109:110], v[129:130], v[113:114], v[109:110]
	s_waitcnt vmcnt(27)
	v_fma_f64 v[127:128], v[131:132], v[115:116], v[109:110]
	ds_read2_b64 v[109:112], v108 offset0:77 offset1:78
	ds_read2_b64 v[113:116], v108 offset0:79 offset1:80
	;; [unrolled: 19-line block ×5, first 2 shown]
	s_waitcnt vmcnt(26) lgkmcnt(1)
	v_fma_f64 v[109:110], v[125:126], v[109:110], v[119:120]
	s_clause 0x5
	buffer_load_dword v120, off, s[0:3], 0 offset:404
	buffer_load_dword v125, off, s[0:3], 0 offset:416
	;; [unrolled: 1-line block ×6, first 2 shown]
	s_waitcnt vmcnt(31)
	v_fma_f64 v[109:110], v[123:124], v[111:112], v[109:110]
	s_waitcnt vmcnt(30) lgkmcnt(0)
	v_fma_f64 v[109:110], v[121:122], v[113:114], v[109:110]
	s_waitcnt vmcnt(25)
	v_fma_f64 v[121:122], v[127:128], v[115:116], v[109:110]
	ds_read2_b64 v[109:112], v108 offset0:93 offset1:94
	s_clause 0x1
	buffer_load_dword v123, off, s[0:3], 0 offset:112
	buffer_load_dword v124, off, s[0:3], 0 offset:116
	ds_read2_b64 v[113:116], v108 offset0:95 offset1:96
	s_waitcnt vmcnt(26) lgkmcnt(1)
	v_fma_f64 v[109:110], v[137:138], v[109:110], v[121:122]
	s_waitcnt vmcnt(25)
	v_fma_f64 v[109:110], v[131:132], v[111:112], v[109:110]
	s_waitcnt vmcnt(24) lgkmcnt(0)
	v_fma_f64 v[109:110], v[129:130], v[113:114], v[109:110]
	s_waitcnt vmcnt(19)
	v_fma_f64 v[121:122], v[133:134], v[115:116], v[109:110]
	ds_read2_b64 v[109:112], v108 offset0:97 offset1:98
	ds_read2_b64 v[113:116], v108 offset0:99 offset1:100
	s_waitcnt vmcnt(18) lgkmcnt(1)
	v_fma_f64 v[109:110], v[145:146], v[109:110], v[121:122]
	s_waitcnt vmcnt(17)
	v_fma_f64 v[109:110], v[139:140], v[111:112], v[109:110]
	s_waitcnt vmcnt(16) lgkmcnt(0)
	v_fma_f64 v[109:110], v[135:136], v[113:114], v[109:110]
	s_waitcnt vmcnt(11)
	v_fma_f64 v[117:118], v[117:118], v[115:116], v[109:110]
	ds_read2_b64 v[109:112], v108 offset0:101 offset1:102
	;; [unrolled: 10-line block ×3, first 2 shown]
	s_waitcnt vmcnt(3) lgkmcnt(0)
	v_fma_f64 v[108:109], v[147:148], v[108:109], v[112:113]
	s_waitcnt vmcnt(2)
	v_fma_f64 v[108:109], v[125:126], v[110:111], v[108:109]
	s_waitcnt vmcnt(0)
	v_add_f64 v[108:109], v[123:124], -v[108:109]
	buffer_store_dword v109, off, s[0:3], 0 offset:116
	buffer_store_dword v108, off, s[0:3], 0 offset:112
	v_cmpx_lt_u32_e32 13, v0
	s_cbranch_execz .LBB116_301
; %bb.300:
	s_clause 0x1
	buffer_load_dword v108, off, s[0:3], 0 offset:104
	buffer_load_dword v109, off, s[0:3], 0 offset:108
	v_mov_b32_e32 v110, 0
	buffer_store_dword v110, off, s[0:3], 0 offset:104
	buffer_store_dword v110, off, s[0:3], 0 offset:108
	s_waitcnt vmcnt(0)
	ds_write_b64 v107, v[108:109]
.LBB116_301:
	s_or_b32 exec_lo, exec_lo, s4
	s_waitcnt lgkmcnt(0)
	s_waitcnt_vscnt null, 0x0
	s_barrier
	buffer_gl0_inv
	s_clause 0x1c
	buffer_load_dword v117, off, s[0:3], 0 offset:112
	buffer_load_dword v118, off, s[0:3], 0 offset:116
	;; [unrolled: 1-line block ×29, first 2 shown]
	v_mov_b32_e32 v108, 0
	buffer_load_dword v142, off, s[0:3], 0 offset:228
	s_mov_b32 s4, exec_lo
	ds_read_b128 v[109:112], v108 offset:544
	ds_read_b128 v[113:116], v108 offset:560
	s_waitcnt vmcnt(28) lgkmcnt(1)
	v_fma_f64 v[109:110], v[117:118], v[109:110], 0
	s_clause 0x7
	buffer_load_dword v118, off, s[0:3], 0 offset:236
	buffer_load_dword v147, off, s[0:3], 0 offset:256
	buffer_load_dword v149, off, s[0:3], 0 offset:248
	buffer_load_dword v151, off, s[0:3], 0 offset:240
	buffer_load_dword v117, off, s[0:3], 0 offset:232
	buffer_load_dword v152, off, s[0:3], 0 offset:244
	buffer_load_dword v150, off, s[0:3], 0 offset:252
	buffer_load_dword v148, off, s[0:3], 0 offset:260
	s_waitcnt vmcnt(34)
	v_fma_f64 v[109:110], v[119:120], v[111:112], v[109:110]
	s_waitcnt vmcnt(32) lgkmcnt(0)
	v_fma_f64 v[109:110], v[121:122], v[113:114], v[109:110]
	s_waitcnt vmcnt(30)
	v_fma_f64 v[119:120], v[123:124], v[115:116], v[109:110]
	ds_read_b128 v[109:112], v108 offset:576
	ds_read_b128 v[113:116], v108 offset:592
	s_waitcnt vmcnt(28) lgkmcnt(1)
	v_fma_f64 v[109:110], v[125:126], v[109:110], v[119:120]
	s_clause 0x7
	buffer_load_dword v120, off, s[0:3], 0 offset:268
	buffer_load_dword v121, off, s[0:3], 0 offset:288
	buffer_load_dword v123, off, s[0:3], 0 offset:280
	buffer_load_dword v125, off, s[0:3], 0 offset:272
	buffer_load_dword v119, off, s[0:3], 0 offset:264
	buffer_load_dword v126, off, s[0:3], 0 offset:276
	buffer_load_dword v124, off, s[0:3], 0 offset:284
	buffer_load_dword v122, off, s[0:3], 0 offset:292
	s_waitcnt vmcnt(34)
	v_fma_f64 v[109:110], v[127:128], v[111:112], v[109:110]
	s_waitcnt vmcnt(32) lgkmcnt(0)
	v_fma_f64 v[109:110], v[129:130], v[113:114], v[109:110]
	s_waitcnt vmcnt(27)
	v_fma_f64 v[127:128], v[131:132], v[115:116], v[109:110]
	;; [unrolled: 19-line block ×6, first 2 shown]
	ds_read_b128 v[109:112], v108 offset:736
	ds_read_b128 v[113:116], v108 offset:752
	s_waitcnt vmcnt(26) lgkmcnt(1)
	v_fma_f64 v[109:110], v[137:138], v[109:110], v[121:122]
	s_clause 0x1
	buffer_load_dword v121, off, s[0:3], 0 offset:104
	buffer_load_dword v122, off, s[0:3], 0 offset:108
	s_waitcnt vmcnt(27)
	v_fma_f64 v[109:110], v[131:132], v[111:112], v[109:110]
	s_waitcnt vmcnt(26) lgkmcnt(0)
	v_fma_f64 v[109:110], v[129:130], v[113:114], v[109:110]
	s_waitcnt vmcnt(21)
	v_fma_f64 v[123:124], v[133:134], v[115:116], v[109:110]
	ds_read_b128 v[109:112], v108 offset:768
	ds_read_b128 v[113:116], v108 offset:784
	s_waitcnt vmcnt(20) lgkmcnt(1)
	v_fma_f64 v[109:110], v[145:146], v[109:110], v[123:124]
	s_waitcnt vmcnt(19)
	v_fma_f64 v[109:110], v[139:140], v[111:112], v[109:110]
	s_waitcnt vmcnt(18) lgkmcnt(0)
	v_fma_f64 v[109:110], v[135:136], v[113:114], v[109:110]
	s_waitcnt vmcnt(13)
	v_fma_f64 v[117:118], v[117:118], v[115:116], v[109:110]
	ds_read_b128 v[109:112], v108 offset:800
	ds_read_b128 v[113:116], v108 offset:816
	s_waitcnt vmcnt(12) lgkmcnt(1)
	v_fma_f64 v[109:110], v[151:152], v[109:110], v[117:118]
	s_waitcnt vmcnt(11)
	v_fma_f64 v[109:110], v[143:144], v[111:112], v[109:110]
	s_waitcnt vmcnt(10) lgkmcnt(0)
	v_fma_f64 v[109:110], v[141:142], v[113:114], v[109:110]
	s_waitcnt vmcnt(5)
	v_fma_f64 v[113:114], v[119:120], v[115:116], v[109:110]
	ds_read_b128 v[109:112], v108 offset:832
	ds_read_b64 v[115:116], v108 offset:848
	s_waitcnt vmcnt(4) lgkmcnt(1)
	v_fma_f64 v[109:110], v[149:150], v[109:110], v[113:114]
	s_waitcnt vmcnt(3)
	v_fma_f64 v[109:110], v[147:148], v[111:112], v[109:110]
	s_waitcnt vmcnt(2) lgkmcnt(0)
	v_fma_f64 v[109:110], v[125:126], v[115:116], v[109:110]
	s_waitcnt vmcnt(0)
	v_add_f64 v[109:110], v[121:122], -v[109:110]
	buffer_store_dword v110, off, s[0:3], 0 offset:108
	buffer_store_dword v109, off, s[0:3], 0 offset:104
	v_cmpx_lt_u32_e32 12, v0
	s_cbranch_execz .LBB116_303
; %bb.302:
	s_clause 0x1
	buffer_load_dword v109, off, s[0:3], 0 offset:96
	buffer_load_dword v110, off, s[0:3], 0 offset:100
	buffer_store_dword v108, off, s[0:3], 0 offset:96
	buffer_store_dword v108, off, s[0:3], 0 offset:100
	s_waitcnt vmcnt(0)
	ds_write_b64 v107, v[109:110]
.LBB116_303:
	s_or_b32 exec_lo, exec_lo, s4
	s_waitcnt lgkmcnt(0)
	s_waitcnt_vscnt null, 0x0
	s_barrier
	buffer_gl0_inv
	s_clause 0x1c
	buffer_load_dword v117, off, s[0:3], 0 offset:104
	buffer_load_dword v118, off, s[0:3], 0 offset:108
	;; [unrolled: 1-line block ×29, first 2 shown]
	ds_read2_b64 v[109:112], v108 offset0:67 offset1:68
	ds_read2_b64 v[113:116], v108 offset0:69 offset1:70
	buffer_load_dword v142, off, s[0:3], 0 offset:220
	s_mov_b32 s4, exec_lo
	s_waitcnt vmcnt(28) lgkmcnt(1)
	v_fma_f64 v[109:110], v[117:118], v[109:110], 0
	s_clause 0x7
	buffer_load_dword v118, off, s[0:3], 0 offset:228
	buffer_load_dword v147, off, s[0:3], 0 offset:248
	buffer_load_dword v149, off, s[0:3], 0 offset:240
	buffer_load_dword v151, off, s[0:3], 0 offset:232
	buffer_load_dword v117, off, s[0:3], 0 offset:224
	buffer_load_dword v152, off, s[0:3], 0 offset:236
	buffer_load_dword v150, off, s[0:3], 0 offset:244
	buffer_load_dword v148, off, s[0:3], 0 offset:252
	s_waitcnt vmcnt(34)
	v_fma_f64 v[109:110], v[119:120], v[111:112], v[109:110]
	s_waitcnt vmcnt(32) lgkmcnt(0)
	v_fma_f64 v[109:110], v[121:122], v[113:114], v[109:110]
	s_waitcnt vmcnt(30)
	v_fma_f64 v[119:120], v[123:124], v[115:116], v[109:110]
	ds_read2_b64 v[109:112], v108 offset0:71 offset1:72
	ds_read2_b64 v[113:116], v108 offset0:73 offset1:74
	s_waitcnt vmcnt(28) lgkmcnt(1)
	v_fma_f64 v[109:110], v[125:126], v[109:110], v[119:120]
	s_clause 0x7
	buffer_load_dword v120, off, s[0:3], 0 offset:260
	buffer_load_dword v121, off, s[0:3], 0 offset:280
	buffer_load_dword v123, off, s[0:3], 0 offset:272
	buffer_load_dword v125, off, s[0:3], 0 offset:264
	buffer_load_dword v119, off, s[0:3], 0 offset:256
	buffer_load_dword v126, off, s[0:3], 0 offset:268
	buffer_load_dword v124, off, s[0:3], 0 offset:276
	buffer_load_dword v122, off, s[0:3], 0 offset:284
	s_waitcnt vmcnt(34)
	v_fma_f64 v[109:110], v[127:128], v[111:112], v[109:110]
	s_waitcnt vmcnt(32) lgkmcnt(0)
	v_fma_f64 v[109:110], v[129:130], v[113:114], v[109:110]
	s_waitcnt vmcnt(27)
	v_fma_f64 v[127:128], v[131:132], v[115:116], v[109:110]
	ds_read2_b64 v[109:112], v108 offset0:75 offset1:76
	ds_read2_b64 v[113:116], v108 offset0:77 offset1:78
	;; [unrolled: 19-line block ×6, first 2 shown]
	s_waitcnt vmcnt(26) lgkmcnt(1)
	v_fma_f64 v[109:110], v[137:138], v[109:110], v[121:122]
	s_clause 0x3
	buffer_load_dword v122, off, s[0:3], 0 offset:420
	buffer_load_dword v121, off, s[0:3], 0 offset:416
	;; [unrolled: 1-line block ×4, first 2 shown]
	s_waitcnt vmcnt(29)
	v_fma_f64 v[109:110], v[131:132], v[111:112], v[109:110]
	s_waitcnt vmcnt(28) lgkmcnt(0)
	v_fma_f64 v[109:110], v[129:130], v[113:114], v[109:110]
	s_waitcnt vmcnt(23)
	v_fma_f64 v[127:128], v[133:134], v[115:116], v[109:110]
	ds_read2_b64 v[109:112], v108 offset0:95 offset1:96
	ds_read2_b64 v[113:116], v108 offset0:97 offset1:98
	s_waitcnt vmcnt(22) lgkmcnt(1)
	v_fma_f64 v[109:110], v[145:146], v[109:110], v[127:128]
	s_waitcnt vmcnt(21)
	v_fma_f64 v[109:110], v[139:140], v[111:112], v[109:110]
	s_waitcnt vmcnt(20) lgkmcnt(0)
	v_fma_f64 v[109:110], v[135:136], v[113:114], v[109:110]
	s_waitcnt vmcnt(15)
	v_fma_f64 v[117:118], v[117:118], v[115:116], v[109:110]
	ds_read2_b64 v[109:112], v108 offset0:99 offset1:100
	ds_read2_b64 v[113:116], v108 offset0:101 offset1:102
	s_waitcnt vmcnt(14) lgkmcnt(1)
	v_fma_f64 v[109:110], v[151:152], v[109:110], v[117:118]
	;; [unrolled: 10-line block ×3, first 2 shown]
	s_waitcnt vmcnt(5)
	v_fma_f64 v[108:109], v[147:148], v[111:112], v[108:109]
	s_waitcnt vmcnt(4) lgkmcnt(0)
	v_fma_f64 v[108:109], v[125:126], v[113:114], v[108:109]
	s_waitcnt vmcnt(2)
	v_fma_f64 v[108:109], v[121:122], v[115:116], v[108:109]
	s_waitcnt vmcnt(0)
	v_add_f64 v[108:109], v[123:124], -v[108:109]
	buffer_store_dword v109, off, s[0:3], 0 offset:100
	buffer_store_dword v108, off, s[0:3], 0 offset:96
	v_cmpx_lt_u32_e32 11, v0
	s_cbranch_execz .LBB116_305
; %bb.304:
	s_clause 0x1
	buffer_load_dword v108, off, s[0:3], 0 offset:88
	buffer_load_dword v109, off, s[0:3], 0 offset:92
	v_mov_b32_e32 v110, 0
	buffer_store_dword v110, off, s[0:3], 0 offset:88
	buffer_store_dword v110, off, s[0:3], 0 offset:92
	s_waitcnt vmcnt(0)
	ds_write_b64 v107, v[108:109]
.LBB116_305:
	s_or_b32 exec_lo, exec_lo, s4
	s_waitcnt lgkmcnt(0)
	s_waitcnt_vscnt null, 0x0
	s_barrier
	buffer_gl0_inv
	s_clause 0x1c
	buffer_load_dword v117, off, s[0:3], 0 offset:96
	buffer_load_dword v118, off, s[0:3], 0 offset:100
	;; [unrolled: 1-line block ×29, first 2 shown]
	v_mov_b32_e32 v108, 0
	buffer_load_dword v142, off, s[0:3], 0 offset:212
	s_mov_b32 s4, exec_lo
	ds_read_b128 v[109:112], v108 offset:528
	ds_read_b128 v[113:116], v108 offset:544
	s_waitcnt vmcnt(28) lgkmcnt(1)
	v_fma_f64 v[109:110], v[117:118], v[109:110], 0
	s_clause 0x7
	buffer_load_dword v118, off, s[0:3], 0 offset:220
	buffer_load_dword v147, off, s[0:3], 0 offset:240
	buffer_load_dword v149, off, s[0:3], 0 offset:232
	buffer_load_dword v151, off, s[0:3], 0 offset:224
	buffer_load_dword v117, off, s[0:3], 0 offset:216
	buffer_load_dword v152, off, s[0:3], 0 offset:228
	buffer_load_dword v150, off, s[0:3], 0 offset:236
	buffer_load_dword v148, off, s[0:3], 0 offset:244
	s_waitcnt vmcnt(34)
	v_fma_f64 v[109:110], v[119:120], v[111:112], v[109:110]
	s_waitcnt vmcnt(32) lgkmcnt(0)
	v_fma_f64 v[109:110], v[121:122], v[113:114], v[109:110]
	s_waitcnt vmcnt(30)
	v_fma_f64 v[119:120], v[123:124], v[115:116], v[109:110]
	ds_read_b128 v[109:112], v108 offset:560
	ds_read_b128 v[113:116], v108 offset:576
	s_waitcnt vmcnt(28) lgkmcnt(1)
	v_fma_f64 v[109:110], v[125:126], v[109:110], v[119:120]
	s_clause 0x7
	buffer_load_dword v120, off, s[0:3], 0 offset:252
	buffer_load_dword v121, off, s[0:3], 0 offset:272
	buffer_load_dword v123, off, s[0:3], 0 offset:264
	buffer_load_dword v125, off, s[0:3], 0 offset:256
	buffer_load_dword v119, off, s[0:3], 0 offset:248
	buffer_load_dword v126, off, s[0:3], 0 offset:260
	buffer_load_dword v124, off, s[0:3], 0 offset:268
	buffer_load_dword v122, off, s[0:3], 0 offset:276
	s_waitcnt vmcnt(34)
	v_fma_f64 v[109:110], v[127:128], v[111:112], v[109:110]
	s_waitcnt vmcnt(32) lgkmcnt(0)
	v_fma_f64 v[109:110], v[129:130], v[113:114], v[109:110]
	s_waitcnt vmcnt(27)
	v_fma_f64 v[127:128], v[131:132], v[115:116], v[109:110]
	;; [unrolled: 19-line block ×6, first 2 shown]
	ds_read_b128 v[109:112], v108 offset:720
	ds_read_b128 v[113:116], v108 offset:736
	s_waitcnt vmcnt(26) lgkmcnt(1)
	v_fma_f64 v[109:110], v[137:138], v[109:110], v[121:122]
	s_clause 0x5
	buffer_load_dword v122, off, s[0:3], 0 offset:412
	buffer_load_dword v123, off, s[0:3], 0 offset:416
	;; [unrolled: 1-line block ×6, first 2 shown]
	s_waitcnt vmcnt(31)
	v_fma_f64 v[109:110], v[131:132], v[111:112], v[109:110]
	s_waitcnt vmcnt(30) lgkmcnt(0)
	v_fma_f64 v[109:110], v[129:130], v[113:114], v[109:110]
	s_waitcnt vmcnt(25)
	v_fma_f64 v[129:130], v[133:134], v[115:116], v[109:110]
	ds_read_b128 v[109:112], v108 offset:752
	ds_read_b128 v[113:116], v108 offset:768
	s_waitcnt vmcnt(24) lgkmcnt(1)
	v_fma_f64 v[109:110], v[145:146], v[109:110], v[129:130]
	s_waitcnt vmcnt(23)
	v_fma_f64 v[109:110], v[139:140], v[111:112], v[109:110]
	s_waitcnt vmcnt(22) lgkmcnt(0)
	v_fma_f64 v[109:110], v[135:136], v[113:114], v[109:110]
	s_waitcnt vmcnt(17)
	v_fma_f64 v[117:118], v[117:118], v[115:116], v[109:110]
	ds_read_b128 v[109:112], v108 offset:784
	ds_read_b128 v[113:116], v108 offset:800
	s_waitcnt vmcnt(16) lgkmcnt(1)
	v_fma_f64 v[109:110], v[151:152], v[109:110], v[117:118]
	;; [unrolled: 10-line block ×3, first 2 shown]
	s_waitcnt vmcnt(7)
	v_fma_f64 v[109:110], v[147:148], v[111:112], v[109:110]
	ds_read_b64 v[111:112], v108 offset:848
	s_waitcnt vmcnt(6) lgkmcnt(1)
	v_fma_f64 v[109:110], v[125:126], v[113:114], v[109:110]
	s_waitcnt vmcnt(3)
	v_fma_f64 v[109:110], v[121:122], v[115:116], v[109:110]
	s_waitcnt vmcnt(2) lgkmcnt(0)
	v_fma_f64 v[109:110], v[123:124], v[111:112], v[109:110]
	s_waitcnt vmcnt(0)
	v_add_f64 v[109:110], v[127:128], -v[109:110]
	buffer_store_dword v110, off, s[0:3], 0 offset:92
	buffer_store_dword v109, off, s[0:3], 0 offset:88
	v_cmpx_lt_u32_e32 10, v0
	s_cbranch_execz .LBB116_307
; %bb.306:
	s_clause 0x1
	buffer_load_dword v109, off, s[0:3], 0 offset:80
	buffer_load_dword v110, off, s[0:3], 0 offset:84
	buffer_store_dword v108, off, s[0:3], 0 offset:80
	buffer_store_dword v108, off, s[0:3], 0 offset:84
	s_waitcnt vmcnt(0)
	ds_write_b64 v107, v[109:110]
.LBB116_307:
	s_or_b32 exec_lo, exec_lo, s4
	s_waitcnt lgkmcnt(0)
	s_waitcnt_vscnt null, 0x0
	s_barrier
	buffer_gl0_inv
	s_clause 0x1c
	buffer_load_dword v117, off, s[0:3], 0 offset:88
	buffer_load_dword v118, off, s[0:3], 0 offset:92
	;; [unrolled: 1-line block ×29, first 2 shown]
	ds_read2_b64 v[109:112], v108 offset0:65 offset1:66
	ds_read2_b64 v[113:116], v108 offset0:67 offset1:68
	buffer_load_dword v142, off, s[0:3], 0 offset:204
	s_mov_b32 s4, exec_lo
	s_waitcnt vmcnt(28) lgkmcnt(1)
	v_fma_f64 v[109:110], v[117:118], v[109:110], 0
	s_clause 0x7
	buffer_load_dword v118, off, s[0:3], 0 offset:212
	buffer_load_dword v147, off, s[0:3], 0 offset:232
	buffer_load_dword v149, off, s[0:3], 0 offset:224
	buffer_load_dword v151, off, s[0:3], 0 offset:216
	buffer_load_dword v117, off, s[0:3], 0 offset:208
	buffer_load_dword v152, off, s[0:3], 0 offset:220
	buffer_load_dword v150, off, s[0:3], 0 offset:228
	buffer_load_dword v148, off, s[0:3], 0 offset:236
	s_waitcnt vmcnt(34)
	v_fma_f64 v[109:110], v[119:120], v[111:112], v[109:110]
	s_waitcnt vmcnt(32) lgkmcnt(0)
	v_fma_f64 v[109:110], v[121:122], v[113:114], v[109:110]
	s_waitcnt vmcnt(30)
	v_fma_f64 v[119:120], v[123:124], v[115:116], v[109:110]
	ds_read2_b64 v[109:112], v108 offset0:69 offset1:70
	ds_read2_b64 v[113:116], v108 offset0:71 offset1:72
	s_waitcnt vmcnt(28) lgkmcnt(1)
	v_fma_f64 v[109:110], v[125:126], v[109:110], v[119:120]
	s_clause 0x7
	buffer_load_dword v120, off, s[0:3], 0 offset:244
	buffer_load_dword v121, off, s[0:3], 0 offset:264
	buffer_load_dword v123, off, s[0:3], 0 offset:256
	buffer_load_dword v125, off, s[0:3], 0 offset:248
	buffer_load_dword v119, off, s[0:3], 0 offset:240
	buffer_load_dword v126, off, s[0:3], 0 offset:252
	buffer_load_dword v124, off, s[0:3], 0 offset:260
	buffer_load_dword v122, off, s[0:3], 0 offset:268
	s_waitcnt vmcnt(34)
	v_fma_f64 v[109:110], v[127:128], v[111:112], v[109:110]
	s_waitcnt vmcnt(32) lgkmcnt(0)
	v_fma_f64 v[109:110], v[129:130], v[113:114], v[109:110]
	s_waitcnt vmcnt(27)
	v_fma_f64 v[127:128], v[131:132], v[115:116], v[109:110]
	ds_read2_b64 v[109:112], v108 offset0:73 offset1:74
	ds_read2_b64 v[113:116], v108 offset0:75 offset1:76
	s_waitcnt vmcnt(26) lgkmcnt(1)
	v_fma_f64 v[109:110], v[137:138], v[109:110], v[127:128]
	s_clause 0x7
	buffer_load_dword v128, off, s[0:3], 0 offset:276
	buffer_load_dword v129, off, s[0:3], 0 offset:296
	buffer_load_dword v131, off, s[0:3], 0 offset:288
	buffer_load_dword v137, off, s[0:3], 0 offset:280
	buffer_load_dword v127, off, s[0:3], 0 offset:272
	buffer_load_dword v138, off, s[0:3], 0 offset:284
	buffer_load_dword v132, off, s[0:3], 0 offset:292
	buffer_load_dword v130, off, s[0:3], 0 offset:300
	s_waitcnt vmcnt(33)
	v_fma_f64 v[109:110], v[135:136], v[111:112], v[109:110]
	s_waitcnt vmcnt(32) lgkmcnt(0)
	v_fma_f64 v[109:110], v[133:134], v[113:114], v[109:110]
	s_waitcnt vmcnt(27)
	v_fma_f64 v[133:134], v[139:140], v[115:116], v[109:110]
	ds_read2_b64 v[109:112], v108 offset0:77 offset1:78
	ds_read2_b64 v[113:116], v108 offset0:79 offset1:80
	s_waitcnt vmcnt(26) lgkmcnt(1)
	v_fma_f64 v[109:110], v[145:146], v[109:110], v[133:134]
	s_clause 0x7
	buffer_load_dword v134, off, s[0:3], 0 offset:308
	buffer_load_dword v135, off, s[0:3], 0 offset:328
	buffer_load_dword v139, off, s[0:3], 0 offset:320
	buffer_load_dword v145, off, s[0:3], 0 offset:312
	buffer_load_dword v133, off, s[0:3], 0 offset:304
	buffer_load_dword v146, off, s[0:3], 0 offset:316
	buffer_load_dword v140, off, s[0:3], 0 offset:324
	buffer_load_dword v136, off, s[0:3], 0 offset:332
	s_waitcnt vmcnt(33)
	v_fma_f64 v[109:110], v[143:144], v[111:112], v[109:110]
	s_waitcnt vmcnt(32) lgkmcnt(0)
	v_fma_f64 v[109:110], v[141:142], v[113:114], v[109:110]
	s_waitcnt vmcnt(27)
	v_fma_f64 v[117:118], v[117:118], v[115:116], v[109:110]
	ds_read2_b64 v[109:112], v108 offset0:81 offset1:82
	ds_read2_b64 v[113:116], v108 offset0:83 offset1:84
	s_waitcnt vmcnt(26) lgkmcnt(1)
	v_fma_f64 v[109:110], v[151:152], v[109:110], v[117:118]
	s_clause 0x7
	buffer_load_dword v118, off, s[0:3], 0 offset:340
	buffer_load_dword v141, off, s[0:3], 0 offset:360
	buffer_load_dword v143, off, s[0:3], 0 offset:352
	buffer_load_dword v151, off, s[0:3], 0 offset:344
	buffer_load_dword v117, off, s[0:3], 0 offset:336
	buffer_load_dword v152, off, s[0:3], 0 offset:348
	buffer_load_dword v144, off, s[0:3], 0 offset:356
	buffer_load_dword v142, off, s[0:3], 0 offset:364
	s_waitcnt vmcnt(33)
	v_fma_f64 v[109:110], v[149:150], v[111:112], v[109:110]
	s_waitcnt vmcnt(32) lgkmcnt(0)
	v_fma_f64 v[109:110], v[147:148], v[113:114], v[109:110]
	s_waitcnt vmcnt(27)
	v_fma_f64 v[119:120], v[119:120], v[115:116], v[109:110]
	ds_read2_b64 v[109:112], v108 offset0:85 offset1:86
	ds_read2_b64 v[113:116], v108 offset0:87 offset1:88
	s_waitcnt vmcnt(26) lgkmcnt(1)
	v_fma_f64 v[109:110], v[125:126], v[109:110], v[119:120]
	s_clause 0x7
	buffer_load_dword v120, off, s[0:3], 0 offset:372
	buffer_load_dword v125, off, s[0:3], 0 offset:392
	buffer_load_dword v147, off, s[0:3], 0 offset:384
	buffer_load_dword v149, off, s[0:3], 0 offset:376
	buffer_load_dword v119, off, s[0:3], 0 offset:368
	buffer_load_dword v150, off, s[0:3], 0 offset:380
	buffer_load_dword v148, off, s[0:3], 0 offset:388
	buffer_load_dword v126, off, s[0:3], 0 offset:396
	s_waitcnt vmcnt(33)
	v_fma_f64 v[109:110], v[123:124], v[111:112], v[109:110]
	s_waitcnt vmcnt(32) lgkmcnt(0)
	v_fma_f64 v[109:110], v[121:122], v[113:114], v[109:110]
	s_waitcnt vmcnt(27)
	v_fma_f64 v[121:122], v[127:128], v[115:116], v[109:110]
	ds_read2_b64 v[109:112], v108 offset0:89 offset1:90
	ds_read2_b64 v[113:116], v108 offset0:91 offset1:92
	s_waitcnt vmcnt(26) lgkmcnt(1)
	v_fma_f64 v[109:110], v[137:138], v[109:110], v[121:122]
	s_clause 0x5
	buffer_load_dword v122, off, s[0:3], 0 offset:404
	buffer_load_dword v123, off, s[0:3], 0 offset:416
	buffer_load_dword v127, off, s[0:3], 0 offset:408
	buffer_load_dword v121, off, s[0:3], 0 offset:400
	buffer_load_dword v128, off, s[0:3], 0 offset:412
	buffer_load_dword v124, off, s[0:3], 0 offset:420
	s_waitcnt vmcnt(31)
	v_fma_f64 v[109:110], v[131:132], v[111:112], v[109:110]
	s_waitcnt vmcnt(30) lgkmcnt(0)
	v_fma_f64 v[109:110], v[129:130], v[113:114], v[109:110]
	s_waitcnt vmcnt(25)
	v_fma_f64 v[129:130], v[133:134], v[115:116], v[109:110]
	ds_read2_b64 v[109:112], v108 offset0:93 offset1:94
	s_clause 0x1
	buffer_load_dword v131, off, s[0:3], 0 offset:80
	buffer_load_dword v132, off, s[0:3], 0 offset:84
	ds_read2_b64 v[113:116], v108 offset0:95 offset1:96
	s_waitcnt vmcnt(26) lgkmcnt(1)
	v_fma_f64 v[109:110], v[145:146], v[109:110], v[129:130]
	s_waitcnt vmcnt(25)
	v_fma_f64 v[109:110], v[139:140], v[111:112], v[109:110]
	s_waitcnt vmcnt(24) lgkmcnt(0)
	v_fma_f64 v[109:110], v[135:136], v[113:114], v[109:110]
	s_waitcnt vmcnt(19)
	v_fma_f64 v[117:118], v[117:118], v[115:116], v[109:110]
	ds_read2_b64 v[109:112], v108 offset0:97 offset1:98
	ds_read2_b64 v[113:116], v108 offset0:99 offset1:100
	s_waitcnt vmcnt(18) lgkmcnt(1)
	v_fma_f64 v[109:110], v[151:152], v[109:110], v[117:118]
	s_waitcnt vmcnt(17)
	v_fma_f64 v[109:110], v[143:144], v[111:112], v[109:110]
	s_waitcnt vmcnt(16) lgkmcnt(0)
	v_fma_f64 v[109:110], v[141:142], v[113:114], v[109:110]
	s_waitcnt vmcnt(11)
	v_fma_f64 v[117:118], v[119:120], v[115:116], v[109:110]
	ds_read2_b64 v[109:112], v108 offset0:101 offset1:102
	;; [unrolled: 10-line block ×3, first 2 shown]
	s_waitcnt vmcnt(3) lgkmcnt(0)
	v_fma_f64 v[108:109], v[127:128], v[108:109], v[112:113]
	s_waitcnt vmcnt(2)
	v_fma_f64 v[108:109], v[123:124], v[110:111], v[108:109]
	s_waitcnt vmcnt(0)
	v_add_f64 v[108:109], v[131:132], -v[108:109]
	buffer_store_dword v109, off, s[0:3], 0 offset:84
	buffer_store_dword v108, off, s[0:3], 0 offset:80
	v_cmpx_lt_u32_e32 9, v0
	s_cbranch_execz .LBB116_309
; %bb.308:
	s_clause 0x1
	buffer_load_dword v108, off, s[0:3], 0 offset:72
	buffer_load_dword v109, off, s[0:3], 0 offset:76
	v_mov_b32_e32 v110, 0
	buffer_store_dword v110, off, s[0:3], 0 offset:72
	buffer_store_dword v110, off, s[0:3], 0 offset:76
	s_waitcnt vmcnt(0)
	ds_write_b64 v107, v[108:109]
.LBB116_309:
	s_or_b32 exec_lo, exec_lo, s4
	s_waitcnt lgkmcnt(0)
	s_waitcnt_vscnt null, 0x0
	s_barrier
	buffer_gl0_inv
	s_clause 0x1c
	buffer_load_dword v117, off, s[0:3], 0 offset:80
	buffer_load_dword v118, off, s[0:3], 0 offset:84
	;; [unrolled: 1-line block ×29, first 2 shown]
	v_mov_b32_e32 v108, 0
	buffer_load_dword v142, off, s[0:3], 0 offset:196
	s_mov_b32 s4, exec_lo
	ds_read_b128 v[109:112], v108 offset:512
	ds_read_b128 v[113:116], v108 offset:528
	s_waitcnt vmcnt(28) lgkmcnt(1)
	v_fma_f64 v[109:110], v[117:118], v[109:110], 0
	s_clause 0x7
	buffer_load_dword v118, off, s[0:3], 0 offset:204
	buffer_load_dword v147, off, s[0:3], 0 offset:224
	buffer_load_dword v149, off, s[0:3], 0 offset:216
	buffer_load_dword v151, off, s[0:3], 0 offset:208
	buffer_load_dword v117, off, s[0:3], 0 offset:200
	buffer_load_dword v152, off, s[0:3], 0 offset:212
	buffer_load_dword v150, off, s[0:3], 0 offset:220
	buffer_load_dword v148, off, s[0:3], 0 offset:228
	s_waitcnt vmcnt(34)
	v_fma_f64 v[109:110], v[119:120], v[111:112], v[109:110]
	s_waitcnt vmcnt(32) lgkmcnt(0)
	v_fma_f64 v[109:110], v[121:122], v[113:114], v[109:110]
	s_waitcnt vmcnt(30)
	v_fma_f64 v[119:120], v[123:124], v[115:116], v[109:110]
	ds_read_b128 v[109:112], v108 offset:544
	ds_read_b128 v[113:116], v108 offset:560
	s_waitcnt vmcnt(28) lgkmcnt(1)
	v_fma_f64 v[109:110], v[125:126], v[109:110], v[119:120]
	s_clause 0x7
	buffer_load_dword v120, off, s[0:3], 0 offset:236
	buffer_load_dword v121, off, s[0:3], 0 offset:256
	buffer_load_dword v123, off, s[0:3], 0 offset:248
	buffer_load_dword v125, off, s[0:3], 0 offset:240
	buffer_load_dword v119, off, s[0:3], 0 offset:232
	buffer_load_dword v126, off, s[0:3], 0 offset:244
	buffer_load_dword v124, off, s[0:3], 0 offset:252
	buffer_load_dword v122, off, s[0:3], 0 offset:260
	s_waitcnt vmcnt(34)
	v_fma_f64 v[109:110], v[127:128], v[111:112], v[109:110]
	s_waitcnt vmcnt(32) lgkmcnt(0)
	v_fma_f64 v[109:110], v[129:130], v[113:114], v[109:110]
	s_waitcnt vmcnt(27)
	v_fma_f64 v[127:128], v[131:132], v[115:116], v[109:110]
	;; [unrolled: 19-line block ×7, first 2 shown]
	ds_read_b128 v[109:112], v108 offset:736
	ds_read_b128 v[113:116], v108 offset:752
	s_waitcnt vmcnt(26) lgkmcnt(1)
	v_fma_f64 v[109:110], v[145:146], v[109:110], v[129:130]
	s_clause 0x1
	buffer_load_dword v129, off, s[0:3], 0 offset:72
	buffer_load_dword v130, off, s[0:3], 0 offset:76
	s_waitcnt vmcnt(27)
	v_fma_f64 v[109:110], v[139:140], v[111:112], v[109:110]
	s_waitcnt vmcnt(26) lgkmcnt(0)
	v_fma_f64 v[109:110], v[135:136], v[113:114], v[109:110]
	s_waitcnt vmcnt(21)
	v_fma_f64 v[117:118], v[117:118], v[115:116], v[109:110]
	ds_read_b128 v[109:112], v108 offset:768
	ds_read_b128 v[113:116], v108 offset:784
	s_waitcnt vmcnt(20) lgkmcnt(1)
	v_fma_f64 v[109:110], v[151:152], v[109:110], v[117:118]
	s_waitcnt vmcnt(19)
	v_fma_f64 v[109:110], v[143:144], v[111:112], v[109:110]
	s_waitcnt vmcnt(18) lgkmcnt(0)
	v_fma_f64 v[109:110], v[141:142], v[113:114], v[109:110]
	s_waitcnt vmcnt(13)
	v_fma_f64 v[117:118], v[119:120], v[115:116], v[109:110]
	ds_read_b128 v[109:112], v108 offset:800
	ds_read_b128 v[113:116], v108 offset:816
	s_waitcnt vmcnt(12) lgkmcnt(1)
	v_fma_f64 v[109:110], v[149:150], v[109:110], v[117:118]
	s_waitcnt vmcnt(11)
	v_fma_f64 v[109:110], v[147:148], v[111:112], v[109:110]
	s_waitcnt vmcnt(10) lgkmcnt(0)
	v_fma_f64 v[109:110], v[125:126], v[113:114], v[109:110]
	s_waitcnt vmcnt(5)
	v_fma_f64 v[113:114], v[121:122], v[115:116], v[109:110]
	ds_read_b128 v[109:112], v108 offset:832
	ds_read_b64 v[115:116], v108 offset:848
	s_waitcnt vmcnt(4) lgkmcnt(1)
	v_fma_f64 v[109:110], v[137:138], v[109:110], v[113:114]
	s_waitcnt vmcnt(3)
	v_fma_f64 v[109:110], v[127:128], v[111:112], v[109:110]
	s_waitcnt vmcnt(2) lgkmcnt(0)
	v_fma_f64 v[109:110], v[123:124], v[115:116], v[109:110]
	s_waitcnt vmcnt(0)
	v_add_f64 v[109:110], v[129:130], -v[109:110]
	buffer_store_dword v110, off, s[0:3], 0 offset:76
	buffer_store_dword v109, off, s[0:3], 0 offset:72
	v_cmpx_lt_u32_e32 8, v0
	s_cbranch_execz .LBB116_311
; %bb.310:
	s_clause 0x1
	buffer_load_dword v109, off, s[0:3], 0 offset:64
	buffer_load_dword v110, off, s[0:3], 0 offset:68
	buffer_store_dword v108, off, s[0:3], 0 offset:64
	buffer_store_dword v108, off, s[0:3], 0 offset:68
	s_waitcnt vmcnt(0)
	ds_write_b64 v107, v[109:110]
.LBB116_311:
	s_or_b32 exec_lo, exec_lo, s4
	s_waitcnt lgkmcnt(0)
	s_waitcnt_vscnt null, 0x0
	s_barrier
	buffer_gl0_inv
	s_clause 0x1c
	buffer_load_dword v117, off, s[0:3], 0 offset:72
	buffer_load_dword v118, off, s[0:3], 0 offset:76
	;; [unrolled: 1-line block ×29, first 2 shown]
	ds_read2_b64 v[109:112], v108 offset0:63 offset1:64
	ds_read2_b64 v[113:116], v108 offset0:65 offset1:66
	buffer_load_dword v142, off, s[0:3], 0 offset:188
	s_mov_b32 s4, exec_lo
	s_waitcnt vmcnt(28) lgkmcnt(1)
	v_fma_f64 v[109:110], v[117:118], v[109:110], 0
	s_clause 0x7
	buffer_load_dword v118, off, s[0:3], 0 offset:196
	buffer_load_dword v147, off, s[0:3], 0 offset:216
	buffer_load_dword v149, off, s[0:3], 0 offset:208
	buffer_load_dword v151, off, s[0:3], 0 offset:200
	buffer_load_dword v117, off, s[0:3], 0 offset:192
	buffer_load_dword v152, off, s[0:3], 0 offset:204
	buffer_load_dword v150, off, s[0:3], 0 offset:212
	buffer_load_dword v148, off, s[0:3], 0 offset:220
	s_waitcnt vmcnt(34)
	v_fma_f64 v[109:110], v[119:120], v[111:112], v[109:110]
	s_waitcnt vmcnt(32) lgkmcnt(0)
	v_fma_f64 v[109:110], v[121:122], v[113:114], v[109:110]
	s_waitcnt vmcnt(30)
	v_fma_f64 v[119:120], v[123:124], v[115:116], v[109:110]
	ds_read2_b64 v[109:112], v108 offset0:67 offset1:68
	ds_read2_b64 v[113:116], v108 offset0:69 offset1:70
	s_waitcnt vmcnt(28) lgkmcnt(1)
	v_fma_f64 v[109:110], v[125:126], v[109:110], v[119:120]
	s_clause 0x7
	buffer_load_dword v120, off, s[0:3], 0 offset:228
	buffer_load_dword v121, off, s[0:3], 0 offset:248
	buffer_load_dword v123, off, s[0:3], 0 offset:240
	buffer_load_dword v125, off, s[0:3], 0 offset:232
	buffer_load_dword v119, off, s[0:3], 0 offset:224
	buffer_load_dword v126, off, s[0:3], 0 offset:236
	buffer_load_dword v124, off, s[0:3], 0 offset:244
	buffer_load_dword v122, off, s[0:3], 0 offset:252
	s_waitcnt vmcnt(34)
	v_fma_f64 v[109:110], v[127:128], v[111:112], v[109:110]
	s_waitcnt vmcnt(32) lgkmcnt(0)
	v_fma_f64 v[109:110], v[129:130], v[113:114], v[109:110]
	s_waitcnt vmcnt(27)
	v_fma_f64 v[127:128], v[131:132], v[115:116], v[109:110]
	ds_read2_b64 v[109:112], v108 offset0:71 offset1:72
	ds_read2_b64 v[113:116], v108 offset0:73 offset1:74
	s_waitcnt vmcnt(26) lgkmcnt(1)
	v_fma_f64 v[109:110], v[137:138], v[109:110], v[127:128]
	s_clause 0x7
	buffer_load_dword v128, off, s[0:3], 0 offset:260
	buffer_load_dword v129, off, s[0:3], 0 offset:280
	buffer_load_dword v131, off, s[0:3], 0 offset:272
	buffer_load_dword v137, off, s[0:3], 0 offset:264
	buffer_load_dword v127, off, s[0:3], 0 offset:256
	buffer_load_dword v138, off, s[0:3], 0 offset:268
	buffer_load_dword v132, off, s[0:3], 0 offset:276
	buffer_load_dword v130, off, s[0:3], 0 offset:284
	s_waitcnt vmcnt(33)
	v_fma_f64 v[109:110], v[135:136], v[111:112], v[109:110]
	s_waitcnt vmcnt(32) lgkmcnt(0)
	v_fma_f64 v[109:110], v[133:134], v[113:114], v[109:110]
	s_waitcnt vmcnt(27)
	v_fma_f64 v[133:134], v[139:140], v[115:116], v[109:110]
	ds_read2_b64 v[109:112], v108 offset0:75 offset1:76
	ds_read2_b64 v[113:116], v108 offset0:77 offset1:78
	s_waitcnt vmcnt(26) lgkmcnt(1)
	v_fma_f64 v[109:110], v[145:146], v[109:110], v[133:134]
	s_clause 0x7
	buffer_load_dword v134, off, s[0:3], 0 offset:292
	buffer_load_dword v135, off, s[0:3], 0 offset:312
	buffer_load_dword v139, off, s[0:3], 0 offset:304
	buffer_load_dword v145, off, s[0:3], 0 offset:296
	buffer_load_dword v133, off, s[0:3], 0 offset:288
	buffer_load_dword v146, off, s[0:3], 0 offset:300
	buffer_load_dword v140, off, s[0:3], 0 offset:308
	buffer_load_dword v136, off, s[0:3], 0 offset:316
	s_waitcnt vmcnt(33)
	v_fma_f64 v[109:110], v[143:144], v[111:112], v[109:110]
	s_waitcnt vmcnt(32) lgkmcnt(0)
	v_fma_f64 v[109:110], v[141:142], v[113:114], v[109:110]
	s_waitcnt vmcnt(27)
	v_fma_f64 v[117:118], v[117:118], v[115:116], v[109:110]
	ds_read2_b64 v[109:112], v108 offset0:79 offset1:80
	ds_read2_b64 v[113:116], v108 offset0:81 offset1:82
	s_waitcnt vmcnt(26) lgkmcnt(1)
	v_fma_f64 v[109:110], v[151:152], v[109:110], v[117:118]
	s_clause 0x7
	buffer_load_dword v118, off, s[0:3], 0 offset:324
	buffer_load_dword v141, off, s[0:3], 0 offset:344
	buffer_load_dword v143, off, s[0:3], 0 offset:336
	buffer_load_dword v151, off, s[0:3], 0 offset:328
	buffer_load_dword v117, off, s[0:3], 0 offset:320
	buffer_load_dword v152, off, s[0:3], 0 offset:332
	buffer_load_dword v144, off, s[0:3], 0 offset:340
	buffer_load_dword v142, off, s[0:3], 0 offset:348
	s_waitcnt vmcnt(33)
	v_fma_f64 v[109:110], v[149:150], v[111:112], v[109:110]
	s_waitcnt vmcnt(32) lgkmcnt(0)
	v_fma_f64 v[109:110], v[147:148], v[113:114], v[109:110]
	s_waitcnt vmcnt(27)
	v_fma_f64 v[119:120], v[119:120], v[115:116], v[109:110]
	ds_read2_b64 v[109:112], v108 offset0:83 offset1:84
	ds_read2_b64 v[113:116], v108 offset0:85 offset1:86
	s_waitcnt vmcnt(26) lgkmcnt(1)
	v_fma_f64 v[109:110], v[125:126], v[109:110], v[119:120]
	s_clause 0x7
	buffer_load_dword v120, off, s[0:3], 0 offset:356
	buffer_load_dword v125, off, s[0:3], 0 offset:376
	buffer_load_dword v147, off, s[0:3], 0 offset:368
	buffer_load_dword v149, off, s[0:3], 0 offset:360
	buffer_load_dword v119, off, s[0:3], 0 offset:352
	buffer_load_dword v150, off, s[0:3], 0 offset:364
	buffer_load_dword v148, off, s[0:3], 0 offset:372
	buffer_load_dword v126, off, s[0:3], 0 offset:380
	s_waitcnt vmcnt(33)
	v_fma_f64 v[109:110], v[123:124], v[111:112], v[109:110]
	s_waitcnt vmcnt(32) lgkmcnt(0)
	v_fma_f64 v[109:110], v[121:122], v[113:114], v[109:110]
	s_waitcnt vmcnt(27)
	v_fma_f64 v[121:122], v[127:128], v[115:116], v[109:110]
	ds_read2_b64 v[109:112], v108 offset0:87 offset1:88
	ds_read2_b64 v[113:116], v108 offset0:89 offset1:90
	s_waitcnt vmcnt(26) lgkmcnt(1)
	v_fma_f64 v[109:110], v[137:138], v[109:110], v[121:122]
	s_clause 0x7
	buffer_load_dword v122, off, s[0:3], 0 offset:388
	buffer_load_dword v123, off, s[0:3], 0 offset:408
	buffer_load_dword v127, off, s[0:3], 0 offset:400
	buffer_load_dword v137, off, s[0:3], 0 offset:392
	buffer_load_dword v121, off, s[0:3], 0 offset:384
	buffer_load_dword v138, off, s[0:3], 0 offset:396
	buffer_load_dword v128, off, s[0:3], 0 offset:404
	buffer_load_dword v124, off, s[0:3], 0 offset:412
	s_waitcnt vmcnt(33)
	v_fma_f64 v[109:110], v[131:132], v[111:112], v[109:110]
	s_waitcnt vmcnt(32) lgkmcnt(0)
	v_fma_f64 v[109:110], v[129:130], v[113:114], v[109:110]
	s_waitcnt vmcnt(27)
	v_fma_f64 v[129:130], v[133:134], v[115:116], v[109:110]
	ds_read2_b64 v[109:112], v108 offset0:91 offset1:92
	ds_read2_b64 v[113:116], v108 offset0:93 offset1:94
	s_waitcnt vmcnt(26) lgkmcnt(1)
	v_fma_f64 v[109:110], v[145:146], v[109:110], v[129:130]
	s_clause 0x3
	buffer_load_dword v130, off, s[0:3], 0 offset:420
	buffer_load_dword v129, off, s[0:3], 0 offset:416
	buffer_load_dword v131, off, s[0:3], 0 offset:64
	buffer_load_dword v132, off, s[0:3], 0 offset:68
	s_waitcnt vmcnt(29)
	v_fma_f64 v[109:110], v[139:140], v[111:112], v[109:110]
	s_waitcnt vmcnt(28) lgkmcnt(0)
	v_fma_f64 v[109:110], v[135:136], v[113:114], v[109:110]
	s_waitcnt vmcnt(23)
	v_fma_f64 v[117:118], v[117:118], v[115:116], v[109:110]
	ds_read2_b64 v[109:112], v108 offset0:95 offset1:96
	ds_read2_b64 v[113:116], v108 offset0:97 offset1:98
	s_waitcnt vmcnt(22) lgkmcnt(1)
	v_fma_f64 v[109:110], v[151:152], v[109:110], v[117:118]
	s_waitcnt vmcnt(21)
	v_fma_f64 v[109:110], v[143:144], v[111:112], v[109:110]
	s_waitcnt vmcnt(20) lgkmcnt(0)
	v_fma_f64 v[109:110], v[141:142], v[113:114], v[109:110]
	s_waitcnt vmcnt(15)
	v_fma_f64 v[117:118], v[119:120], v[115:116], v[109:110]
	ds_read2_b64 v[109:112], v108 offset0:99 offset1:100
	ds_read2_b64 v[113:116], v108 offset0:101 offset1:102
	s_waitcnt vmcnt(14) lgkmcnt(1)
	v_fma_f64 v[109:110], v[149:150], v[109:110], v[117:118]
	;; [unrolled: 10-line block ×3, first 2 shown]
	s_waitcnt vmcnt(5)
	v_fma_f64 v[108:109], v[127:128], v[111:112], v[108:109]
	s_waitcnt vmcnt(4) lgkmcnt(0)
	v_fma_f64 v[108:109], v[123:124], v[113:114], v[108:109]
	s_waitcnt vmcnt(2)
	v_fma_f64 v[108:109], v[129:130], v[115:116], v[108:109]
	s_waitcnt vmcnt(0)
	v_add_f64 v[108:109], v[131:132], -v[108:109]
	buffer_store_dword v109, off, s[0:3], 0 offset:68
	buffer_store_dword v108, off, s[0:3], 0 offset:64
	v_cmpx_lt_u32_e32 7, v0
	s_cbranch_execz .LBB116_313
; %bb.312:
	s_clause 0x1
	buffer_load_dword v108, off, s[0:3], 0 offset:56
	buffer_load_dword v109, off, s[0:3], 0 offset:60
	v_mov_b32_e32 v110, 0
	buffer_store_dword v110, off, s[0:3], 0 offset:56
	buffer_store_dword v110, off, s[0:3], 0 offset:60
	s_waitcnt vmcnt(0)
	ds_write_b64 v107, v[108:109]
.LBB116_313:
	s_or_b32 exec_lo, exec_lo, s4
	s_waitcnt lgkmcnt(0)
	s_waitcnt_vscnt null, 0x0
	s_barrier
	buffer_gl0_inv
	s_clause 0x1c
	buffer_load_dword v117, off, s[0:3], 0 offset:64
	buffer_load_dword v118, off, s[0:3], 0 offset:68
	;; [unrolled: 1-line block ×29, first 2 shown]
	v_mov_b32_e32 v108, 0
	buffer_load_dword v142, off, s[0:3], 0 offset:180
	s_mov_b32 s4, exec_lo
	ds_read_b128 v[109:112], v108 offset:496
	ds_read_b128 v[113:116], v108 offset:512
	s_waitcnt vmcnt(28) lgkmcnt(1)
	v_fma_f64 v[109:110], v[117:118], v[109:110], 0
	s_clause 0x7
	buffer_load_dword v118, off, s[0:3], 0 offset:188
	buffer_load_dword v147, off, s[0:3], 0 offset:208
	buffer_load_dword v149, off, s[0:3], 0 offset:200
	buffer_load_dword v151, off, s[0:3], 0 offset:192
	buffer_load_dword v117, off, s[0:3], 0 offset:184
	buffer_load_dword v152, off, s[0:3], 0 offset:196
	buffer_load_dword v150, off, s[0:3], 0 offset:204
	buffer_load_dword v148, off, s[0:3], 0 offset:212
	s_waitcnt vmcnt(34)
	v_fma_f64 v[109:110], v[119:120], v[111:112], v[109:110]
	s_waitcnt vmcnt(32) lgkmcnt(0)
	v_fma_f64 v[109:110], v[121:122], v[113:114], v[109:110]
	s_waitcnt vmcnt(30)
	v_fma_f64 v[119:120], v[123:124], v[115:116], v[109:110]
	ds_read_b128 v[109:112], v108 offset:528
	ds_read_b128 v[113:116], v108 offset:544
	s_waitcnt vmcnt(28) lgkmcnt(1)
	v_fma_f64 v[109:110], v[125:126], v[109:110], v[119:120]
	s_clause 0x7
	buffer_load_dword v120, off, s[0:3], 0 offset:220
	buffer_load_dword v121, off, s[0:3], 0 offset:240
	buffer_load_dword v123, off, s[0:3], 0 offset:232
	buffer_load_dword v125, off, s[0:3], 0 offset:224
	buffer_load_dword v119, off, s[0:3], 0 offset:216
	buffer_load_dword v126, off, s[0:3], 0 offset:228
	buffer_load_dword v124, off, s[0:3], 0 offset:236
	buffer_load_dword v122, off, s[0:3], 0 offset:244
	s_waitcnt vmcnt(34)
	v_fma_f64 v[109:110], v[127:128], v[111:112], v[109:110]
	s_waitcnt vmcnt(32) lgkmcnt(0)
	v_fma_f64 v[109:110], v[129:130], v[113:114], v[109:110]
	s_waitcnt vmcnt(27)
	v_fma_f64 v[127:128], v[131:132], v[115:116], v[109:110]
	;; [unrolled: 19-line block ×7, first 2 shown]
	ds_read_b128 v[109:112], v108 offset:720
	ds_read_b128 v[113:116], v108 offset:736
	s_waitcnt vmcnt(26) lgkmcnt(1)
	v_fma_f64 v[109:110], v[145:146], v[109:110], v[129:130]
	s_clause 0x5
	buffer_load_dword v130, off, s[0:3], 0 offset:412
	buffer_load_dword v131, off, s[0:3], 0 offset:416
	;; [unrolled: 1-line block ×6, first 2 shown]
	s_waitcnt vmcnt(31)
	v_fma_f64 v[109:110], v[139:140], v[111:112], v[109:110]
	s_waitcnt vmcnt(30) lgkmcnt(0)
	v_fma_f64 v[109:110], v[135:136], v[113:114], v[109:110]
	s_waitcnt vmcnt(25)
	v_fma_f64 v[117:118], v[117:118], v[115:116], v[109:110]
	ds_read_b128 v[109:112], v108 offset:752
	ds_read_b128 v[113:116], v108 offset:768
	s_waitcnt vmcnt(24) lgkmcnt(1)
	v_fma_f64 v[109:110], v[151:152], v[109:110], v[117:118]
	s_waitcnt vmcnt(23)
	v_fma_f64 v[109:110], v[143:144], v[111:112], v[109:110]
	s_waitcnt vmcnt(22) lgkmcnt(0)
	v_fma_f64 v[109:110], v[141:142], v[113:114], v[109:110]
	s_waitcnt vmcnt(17)
	v_fma_f64 v[117:118], v[119:120], v[115:116], v[109:110]
	ds_read_b128 v[109:112], v108 offset:784
	ds_read_b128 v[113:116], v108 offset:800
	s_waitcnt vmcnt(16) lgkmcnt(1)
	v_fma_f64 v[109:110], v[149:150], v[109:110], v[117:118]
	;; [unrolled: 10-line block ×3, first 2 shown]
	s_waitcnt vmcnt(7)
	v_fma_f64 v[109:110], v[127:128], v[111:112], v[109:110]
	ds_read_b64 v[111:112], v108 offset:848
	s_waitcnt vmcnt(6) lgkmcnt(1)
	v_fma_f64 v[109:110], v[123:124], v[113:114], v[109:110]
	s_waitcnt vmcnt(3)
	v_fma_f64 v[109:110], v[129:130], v[115:116], v[109:110]
	s_waitcnt vmcnt(2) lgkmcnt(0)
	v_fma_f64 v[109:110], v[131:132], v[111:112], v[109:110]
	s_waitcnt vmcnt(0)
	v_add_f64 v[109:110], v[133:134], -v[109:110]
	buffer_store_dword v110, off, s[0:3], 0 offset:60
	buffer_store_dword v109, off, s[0:3], 0 offset:56
	v_cmpx_lt_u32_e32 6, v0
	s_cbranch_execz .LBB116_315
; %bb.314:
	s_clause 0x1
	buffer_load_dword v109, off, s[0:3], 0 offset:48
	buffer_load_dword v110, off, s[0:3], 0 offset:52
	buffer_store_dword v108, off, s[0:3], 0 offset:48
	buffer_store_dword v108, off, s[0:3], 0 offset:52
	s_waitcnt vmcnt(0)
	ds_write_b64 v107, v[109:110]
.LBB116_315:
	s_or_b32 exec_lo, exec_lo, s4
	s_waitcnt lgkmcnt(0)
	s_waitcnt_vscnt null, 0x0
	s_barrier
	buffer_gl0_inv
	s_clause 0x1c
	buffer_load_dword v117, off, s[0:3], 0 offset:56
	buffer_load_dword v118, off, s[0:3], 0 offset:60
	;; [unrolled: 1-line block ×29, first 2 shown]
	ds_read2_b64 v[109:112], v108 offset0:61 offset1:62
	ds_read2_b64 v[113:116], v108 offset0:63 offset1:64
	buffer_load_dword v142, off, s[0:3], 0 offset:172
	s_mov_b32 s4, exec_lo
	s_waitcnt vmcnt(28) lgkmcnt(1)
	v_fma_f64 v[109:110], v[117:118], v[109:110], 0
	s_clause 0x7
	buffer_load_dword v118, off, s[0:3], 0 offset:180
	buffer_load_dword v147, off, s[0:3], 0 offset:200
	buffer_load_dword v149, off, s[0:3], 0 offset:192
	buffer_load_dword v151, off, s[0:3], 0 offset:184
	buffer_load_dword v117, off, s[0:3], 0 offset:176
	buffer_load_dword v152, off, s[0:3], 0 offset:188
	buffer_load_dword v150, off, s[0:3], 0 offset:196
	buffer_load_dword v148, off, s[0:3], 0 offset:204
	s_waitcnt vmcnt(34)
	v_fma_f64 v[109:110], v[119:120], v[111:112], v[109:110]
	s_waitcnt vmcnt(32) lgkmcnt(0)
	v_fma_f64 v[109:110], v[121:122], v[113:114], v[109:110]
	s_waitcnt vmcnt(30)
	v_fma_f64 v[119:120], v[123:124], v[115:116], v[109:110]
	ds_read2_b64 v[109:112], v108 offset0:65 offset1:66
	ds_read2_b64 v[113:116], v108 offset0:67 offset1:68
	s_waitcnt vmcnt(28) lgkmcnt(1)
	v_fma_f64 v[109:110], v[125:126], v[109:110], v[119:120]
	s_clause 0x7
	buffer_load_dword v120, off, s[0:3], 0 offset:212
	buffer_load_dword v121, off, s[0:3], 0 offset:232
	buffer_load_dword v123, off, s[0:3], 0 offset:224
	buffer_load_dword v125, off, s[0:3], 0 offset:216
	buffer_load_dword v119, off, s[0:3], 0 offset:208
	buffer_load_dword v126, off, s[0:3], 0 offset:220
	buffer_load_dword v124, off, s[0:3], 0 offset:228
	buffer_load_dword v122, off, s[0:3], 0 offset:236
	s_waitcnt vmcnt(34)
	v_fma_f64 v[109:110], v[127:128], v[111:112], v[109:110]
	s_waitcnt vmcnt(32) lgkmcnt(0)
	v_fma_f64 v[109:110], v[129:130], v[113:114], v[109:110]
	s_waitcnt vmcnt(27)
	v_fma_f64 v[127:128], v[131:132], v[115:116], v[109:110]
	ds_read2_b64 v[109:112], v108 offset0:69 offset1:70
	ds_read2_b64 v[113:116], v108 offset0:71 offset1:72
	;; [unrolled: 19-line block ×7, first 2 shown]
	s_waitcnt vmcnt(26) lgkmcnt(1)
	v_fma_f64 v[109:110], v[145:146], v[109:110], v[129:130]
	s_clause 0x5
	buffer_load_dword v130, off, s[0:3], 0 offset:404
	buffer_load_dword v131, off, s[0:3], 0 offset:416
	;; [unrolled: 1-line block ×6, first 2 shown]
	s_waitcnt vmcnt(31)
	v_fma_f64 v[109:110], v[139:140], v[111:112], v[109:110]
	s_waitcnt vmcnt(30) lgkmcnt(0)
	v_fma_f64 v[109:110], v[135:136], v[113:114], v[109:110]
	s_waitcnt vmcnt(25)
	v_fma_f64 v[117:118], v[117:118], v[115:116], v[109:110]
	ds_read2_b64 v[109:112], v108 offset0:93 offset1:94
	s_clause 0x1
	buffer_load_dword v135, off, s[0:3], 0 offset:48
	buffer_load_dword v136, off, s[0:3], 0 offset:52
	ds_read2_b64 v[113:116], v108 offset0:95 offset1:96
	s_waitcnt vmcnt(26) lgkmcnt(1)
	v_fma_f64 v[109:110], v[151:152], v[109:110], v[117:118]
	s_waitcnt vmcnt(25)
	v_fma_f64 v[109:110], v[143:144], v[111:112], v[109:110]
	s_waitcnt vmcnt(24) lgkmcnt(0)
	v_fma_f64 v[109:110], v[141:142], v[113:114], v[109:110]
	s_waitcnt vmcnt(19)
	v_fma_f64 v[117:118], v[119:120], v[115:116], v[109:110]
	ds_read2_b64 v[109:112], v108 offset0:97 offset1:98
	ds_read2_b64 v[113:116], v108 offset0:99 offset1:100
	s_waitcnt vmcnt(18) lgkmcnt(1)
	v_fma_f64 v[109:110], v[149:150], v[109:110], v[117:118]
	s_waitcnt vmcnt(17)
	v_fma_f64 v[109:110], v[147:148], v[111:112], v[109:110]
	s_waitcnt vmcnt(16) lgkmcnt(0)
	v_fma_f64 v[109:110], v[125:126], v[113:114], v[109:110]
	s_waitcnt vmcnt(11)
	v_fma_f64 v[117:118], v[121:122], v[115:116], v[109:110]
	ds_read2_b64 v[109:112], v108 offset0:101 offset1:102
	ds_read2_b64 v[113:116], v108 offset0:103 offset1:104
	s_waitcnt vmcnt(10) lgkmcnt(1)
	v_fma_f64 v[109:110], v[137:138], v[109:110], v[117:118]
	s_waitcnt vmcnt(9)
	v_fma_f64 v[109:110], v[127:128], v[111:112], v[109:110]
	s_waitcnt vmcnt(8) lgkmcnt(0)
	v_fma_f64 v[109:110], v[123:124], v[113:114], v[109:110]
	s_waitcnt vmcnt(4)
	v_fma_f64 v[112:113], v[129:130], v[115:116], v[109:110]
	ds_read2_b64 v[108:111], v108 offset0:105 offset1:106
	s_waitcnt vmcnt(3) lgkmcnt(0)
	v_fma_f64 v[108:109], v[133:134], v[108:109], v[112:113]
	s_waitcnt vmcnt(2)
	v_fma_f64 v[108:109], v[131:132], v[110:111], v[108:109]
	s_waitcnt vmcnt(0)
	v_add_f64 v[108:109], v[135:136], -v[108:109]
	buffer_store_dword v109, off, s[0:3], 0 offset:52
	buffer_store_dword v108, off, s[0:3], 0 offset:48
	v_cmpx_lt_u32_e32 5, v0
	s_cbranch_execz .LBB116_317
; %bb.316:
	s_clause 0x1
	buffer_load_dword v108, off, s[0:3], 0 offset:40
	buffer_load_dword v109, off, s[0:3], 0 offset:44
	v_mov_b32_e32 v110, 0
	buffer_store_dword v110, off, s[0:3], 0 offset:40
	buffer_store_dword v110, off, s[0:3], 0 offset:44
	s_waitcnt vmcnt(0)
	ds_write_b64 v107, v[108:109]
.LBB116_317:
	s_or_b32 exec_lo, exec_lo, s4
	s_waitcnt lgkmcnt(0)
	s_waitcnt_vscnt null, 0x0
	s_barrier
	buffer_gl0_inv
	s_clause 0x1c
	buffer_load_dword v117, off, s[0:3], 0 offset:48
	buffer_load_dword v118, off, s[0:3], 0 offset:52
	;; [unrolled: 1-line block ×29, first 2 shown]
	v_mov_b32_e32 v108, 0
	buffer_load_dword v142, off, s[0:3], 0 offset:164
	s_mov_b32 s4, exec_lo
	ds_read_b128 v[109:112], v108 offset:480
	ds_read_b128 v[113:116], v108 offset:496
	s_waitcnt vmcnt(28) lgkmcnt(1)
	v_fma_f64 v[109:110], v[117:118], v[109:110], 0
	s_clause 0x7
	buffer_load_dword v118, off, s[0:3], 0 offset:172
	buffer_load_dword v147, off, s[0:3], 0 offset:192
	buffer_load_dword v149, off, s[0:3], 0 offset:184
	buffer_load_dword v151, off, s[0:3], 0 offset:176
	buffer_load_dword v117, off, s[0:3], 0 offset:168
	buffer_load_dword v152, off, s[0:3], 0 offset:180
	buffer_load_dword v150, off, s[0:3], 0 offset:188
	buffer_load_dword v148, off, s[0:3], 0 offset:196
	s_waitcnt vmcnt(34)
	v_fma_f64 v[109:110], v[119:120], v[111:112], v[109:110]
	s_waitcnt vmcnt(32) lgkmcnt(0)
	v_fma_f64 v[109:110], v[121:122], v[113:114], v[109:110]
	s_waitcnt vmcnt(30)
	v_fma_f64 v[119:120], v[123:124], v[115:116], v[109:110]
	ds_read_b128 v[109:112], v108 offset:512
	ds_read_b128 v[113:116], v108 offset:528
	s_waitcnt vmcnt(28) lgkmcnt(1)
	v_fma_f64 v[109:110], v[125:126], v[109:110], v[119:120]
	s_clause 0x7
	buffer_load_dword v120, off, s[0:3], 0 offset:204
	buffer_load_dword v121, off, s[0:3], 0 offset:224
	buffer_load_dword v123, off, s[0:3], 0 offset:216
	buffer_load_dword v125, off, s[0:3], 0 offset:208
	buffer_load_dword v119, off, s[0:3], 0 offset:200
	buffer_load_dword v126, off, s[0:3], 0 offset:212
	buffer_load_dword v124, off, s[0:3], 0 offset:220
	buffer_load_dword v122, off, s[0:3], 0 offset:228
	s_waitcnt vmcnt(34)
	v_fma_f64 v[109:110], v[127:128], v[111:112], v[109:110]
	s_waitcnt vmcnt(32) lgkmcnt(0)
	v_fma_f64 v[109:110], v[129:130], v[113:114], v[109:110]
	s_waitcnt vmcnt(27)
	v_fma_f64 v[127:128], v[131:132], v[115:116], v[109:110]
	;; [unrolled: 19-line block ×8, first 2 shown]
	ds_read_b128 v[109:112], v108 offset:736
	ds_read_b128 v[113:116], v108 offset:752
	s_waitcnt vmcnt(26) lgkmcnt(1)
	v_fma_f64 v[109:110], v[151:152], v[109:110], v[117:118]
	s_clause 0x1
	buffer_load_dword v117, off, s[0:3], 0 offset:40
	buffer_load_dword v118, off, s[0:3], 0 offset:44
	s_waitcnt vmcnt(27)
	v_fma_f64 v[109:110], v[143:144], v[111:112], v[109:110]
	s_waitcnt vmcnt(26) lgkmcnt(0)
	v_fma_f64 v[109:110], v[141:142], v[113:114], v[109:110]
	s_waitcnt vmcnt(21)
	v_fma_f64 v[119:120], v[119:120], v[115:116], v[109:110]
	ds_read_b128 v[109:112], v108 offset:768
	ds_read_b128 v[113:116], v108 offset:784
	s_waitcnt vmcnt(20) lgkmcnt(1)
	v_fma_f64 v[109:110], v[149:150], v[109:110], v[119:120]
	s_waitcnt vmcnt(19)
	v_fma_f64 v[109:110], v[147:148], v[111:112], v[109:110]
	s_waitcnt vmcnt(18) lgkmcnt(0)
	v_fma_f64 v[109:110], v[125:126], v[113:114], v[109:110]
	s_waitcnt vmcnt(13)
	v_fma_f64 v[119:120], v[121:122], v[115:116], v[109:110]
	ds_read_b128 v[109:112], v108 offset:800
	ds_read_b128 v[113:116], v108 offset:816
	s_waitcnt vmcnt(12) lgkmcnt(1)
	v_fma_f64 v[109:110], v[137:138], v[109:110], v[119:120]
	s_waitcnt vmcnt(11)
	v_fma_f64 v[109:110], v[127:128], v[111:112], v[109:110]
	s_waitcnt vmcnt(10) lgkmcnt(0)
	v_fma_f64 v[109:110], v[123:124], v[113:114], v[109:110]
	s_waitcnt vmcnt(5)
	v_fma_f64 v[113:114], v[129:130], v[115:116], v[109:110]
	ds_read_b128 v[109:112], v108 offset:832
	ds_read_b64 v[115:116], v108 offset:848
	s_waitcnt vmcnt(4) lgkmcnt(1)
	v_fma_f64 v[109:110], v[145:146], v[109:110], v[113:114]
	s_waitcnt vmcnt(3)
	v_fma_f64 v[109:110], v[133:134], v[111:112], v[109:110]
	s_waitcnt vmcnt(2) lgkmcnt(0)
	v_fma_f64 v[109:110], v[131:132], v[115:116], v[109:110]
	s_waitcnt vmcnt(0)
	v_add_f64 v[109:110], v[117:118], -v[109:110]
	buffer_store_dword v110, off, s[0:3], 0 offset:44
	buffer_store_dword v109, off, s[0:3], 0 offset:40
	v_cmpx_lt_u32_e32 4, v0
	s_cbranch_execz .LBB116_319
; %bb.318:
	s_clause 0x1
	buffer_load_dword v109, off, s[0:3], 0 offset:32
	buffer_load_dword v110, off, s[0:3], 0 offset:36
	buffer_store_dword v108, off, s[0:3], 0 offset:32
	buffer_store_dword v108, off, s[0:3], 0 offset:36
	s_waitcnt vmcnt(0)
	ds_write_b64 v107, v[109:110]
.LBB116_319:
	s_or_b32 exec_lo, exec_lo, s4
	s_waitcnt lgkmcnt(0)
	s_waitcnt_vscnt null, 0x0
	s_barrier
	buffer_gl0_inv
	s_clause 0x1c
	buffer_load_dword v117, off, s[0:3], 0 offset:40
	buffer_load_dword v118, off, s[0:3], 0 offset:44
	;; [unrolled: 1-line block ×29, first 2 shown]
	ds_read2_b64 v[109:112], v108 offset0:59 offset1:60
	ds_read2_b64 v[113:116], v108 offset0:61 offset1:62
	buffer_load_dword v142, off, s[0:3], 0 offset:156
	s_mov_b32 s4, exec_lo
	s_waitcnt vmcnt(28) lgkmcnt(1)
	v_fma_f64 v[109:110], v[117:118], v[109:110], 0
	s_clause 0x7
	buffer_load_dword v118, off, s[0:3], 0 offset:164
	buffer_load_dword v147, off, s[0:3], 0 offset:184
	buffer_load_dword v149, off, s[0:3], 0 offset:176
	buffer_load_dword v151, off, s[0:3], 0 offset:168
	buffer_load_dword v117, off, s[0:3], 0 offset:160
	buffer_load_dword v152, off, s[0:3], 0 offset:172
	buffer_load_dword v150, off, s[0:3], 0 offset:180
	buffer_load_dword v148, off, s[0:3], 0 offset:188
	s_waitcnt vmcnt(34)
	v_fma_f64 v[109:110], v[119:120], v[111:112], v[109:110]
	s_waitcnt vmcnt(32) lgkmcnt(0)
	v_fma_f64 v[109:110], v[121:122], v[113:114], v[109:110]
	s_waitcnt vmcnt(30)
	v_fma_f64 v[119:120], v[123:124], v[115:116], v[109:110]
	ds_read2_b64 v[109:112], v108 offset0:63 offset1:64
	ds_read2_b64 v[113:116], v108 offset0:65 offset1:66
	s_waitcnt vmcnt(28) lgkmcnt(1)
	v_fma_f64 v[109:110], v[125:126], v[109:110], v[119:120]
	s_clause 0x7
	buffer_load_dword v120, off, s[0:3], 0 offset:196
	buffer_load_dword v121, off, s[0:3], 0 offset:216
	buffer_load_dword v123, off, s[0:3], 0 offset:208
	buffer_load_dword v125, off, s[0:3], 0 offset:200
	buffer_load_dword v119, off, s[0:3], 0 offset:192
	buffer_load_dword v126, off, s[0:3], 0 offset:204
	buffer_load_dword v124, off, s[0:3], 0 offset:212
	buffer_load_dword v122, off, s[0:3], 0 offset:220
	s_waitcnt vmcnt(34)
	v_fma_f64 v[109:110], v[127:128], v[111:112], v[109:110]
	s_waitcnt vmcnt(32) lgkmcnt(0)
	v_fma_f64 v[109:110], v[129:130], v[113:114], v[109:110]
	s_waitcnt vmcnt(27)
	v_fma_f64 v[127:128], v[131:132], v[115:116], v[109:110]
	ds_read2_b64 v[109:112], v108 offset0:67 offset1:68
	ds_read2_b64 v[113:116], v108 offset0:69 offset1:70
	;; [unrolled: 19-line block ×8, first 2 shown]
	s_waitcnt vmcnt(26) lgkmcnt(1)
	v_fma_f64 v[109:110], v[151:152], v[109:110], v[117:118]
	s_clause 0x3
	buffer_load_dword v118, off, s[0:3], 0 offset:420
	buffer_load_dword v117, off, s[0:3], 0 offset:416
	;; [unrolled: 1-line block ×4, first 2 shown]
	s_waitcnt vmcnt(29)
	v_fma_f64 v[109:110], v[143:144], v[111:112], v[109:110]
	s_waitcnt vmcnt(28) lgkmcnt(0)
	v_fma_f64 v[109:110], v[141:142], v[113:114], v[109:110]
	s_waitcnt vmcnt(23)
	v_fma_f64 v[119:120], v[119:120], v[115:116], v[109:110]
	ds_read2_b64 v[109:112], v108 offset0:95 offset1:96
	ds_read2_b64 v[113:116], v108 offset0:97 offset1:98
	s_waitcnt vmcnt(22) lgkmcnt(1)
	v_fma_f64 v[109:110], v[149:150], v[109:110], v[119:120]
	s_waitcnt vmcnt(21)
	v_fma_f64 v[109:110], v[147:148], v[111:112], v[109:110]
	s_waitcnt vmcnt(20) lgkmcnt(0)
	v_fma_f64 v[109:110], v[125:126], v[113:114], v[109:110]
	s_waitcnt vmcnt(15)
	v_fma_f64 v[119:120], v[121:122], v[115:116], v[109:110]
	ds_read2_b64 v[109:112], v108 offset0:99 offset1:100
	ds_read2_b64 v[113:116], v108 offset0:101 offset1:102
	s_waitcnt vmcnt(14) lgkmcnt(1)
	v_fma_f64 v[109:110], v[137:138], v[109:110], v[119:120]
	;; [unrolled: 10-line block ×3, first 2 shown]
	s_waitcnt vmcnt(5)
	v_fma_f64 v[108:109], v[133:134], v[111:112], v[108:109]
	s_waitcnt vmcnt(4) lgkmcnt(0)
	v_fma_f64 v[108:109], v[131:132], v[113:114], v[108:109]
	s_waitcnt vmcnt(2)
	v_fma_f64 v[108:109], v[117:118], v[115:116], v[108:109]
	s_waitcnt vmcnt(0)
	v_add_f64 v[108:109], v[135:136], -v[108:109]
	buffer_store_dword v109, off, s[0:3], 0 offset:36
	buffer_store_dword v108, off, s[0:3], 0 offset:32
	v_cmpx_lt_u32_e32 3, v0
	s_cbranch_execz .LBB116_321
; %bb.320:
	s_clause 0x1
	buffer_load_dword v108, off, s[0:3], 0 offset:24
	buffer_load_dword v109, off, s[0:3], 0 offset:28
	v_mov_b32_e32 v110, 0
	buffer_store_dword v110, off, s[0:3], 0 offset:24
	buffer_store_dword v110, off, s[0:3], 0 offset:28
	s_waitcnt vmcnt(0)
	ds_write_b64 v107, v[108:109]
.LBB116_321:
	s_or_b32 exec_lo, exec_lo, s4
	s_waitcnt lgkmcnt(0)
	s_waitcnt_vscnt null, 0x0
	s_barrier
	buffer_gl0_inv
	s_clause 0x1c
	buffer_load_dword v117, off, s[0:3], 0 offset:32
	buffer_load_dword v118, off, s[0:3], 0 offset:36
	;; [unrolled: 1-line block ×29, first 2 shown]
	v_mov_b32_e32 v108, 0
	buffer_load_dword v142, off, s[0:3], 0 offset:148
	s_mov_b32 s4, exec_lo
	ds_read_b128 v[109:112], v108 offset:464
	ds_read_b128 v[113:116], v108 offset:480
	s_waitcnt vmcnt(28) lgkmcnt(1)
	v_fma_f64 v[109:110], v[117:118], v[109:110], 0
	s_clause 0x7
	buffer_load_dword v118, off, s[0:3], 0 offset:156
	buffer_load_dword v147, off, s[0:3], 0 offset:176
	buffer_load_dword v149, off, s[0:3], 0 offset:168
	buffer_load_dword v151, off, s[0:3], 0 offset:160
	buffer_load_dword v117, off, s[0:3], 0 offset:152
	buffer_load_dword v152, off, s[0:3], 0 offset:164
	buffer_load_dword v150, off, s[0:3], 0 offset:172
	buffer_load_dword v148, off, s[0:3], 0 offset:180
	s_waitcnt vmcnt(34)
	v_fma_f64 v[109:110], v[119:120], v[111:112], v[109:110]
	s_waitcnt vmcnt(32) lgkmcnt(0)
	v_fma_f64 v[109:110], v[121:122], v[113:114], v[109:110]
	s_waitcnt vmcnt(30)
	v_fma_f64 v[119:120], v[123:124], v[115:116], v[109:110]
	ds_read_b128 v[109:112], v108 offset:496
	ds_read_b128 v[113:116], v108 offset:512
	s_waitcnt vmcnt(28) lgkmcnt(1)
	v_fma_f64 v[109:110], v[125:126], v[109:110], v[119:120]
	s_clause 0x7
	buffer_load_dword v120, off, s[0:3], 0 offset:188
	buffer_load_dword v121, off, s[0:3], 0 offset:208
	buffer_load_dword v123, off, s[0:3], 0 offset:200
	buffer_load_dword v125, off, s[0:3], 0 offset:192
	buffer_load_dword v119, off, s[0:3], 0 offset:184
	buffer_load_dword v126, off, s[0:3], 0 offset:196
	buffer_load_dword v124, off, s[0:3], 0 offset:204
	buffer_load_dword v122, off, s[0:3], 0 offset:212
	s_waitcnt vmcnt(34)
	v_fma_f64 v[109:110], v[127:128], v[111:112], v[109:110]
	s_waitcnt vmcnt(32) lgkmcnt(0)
	v_fma_f64 v[109:110], v[129:130], v[113:114], v[109:110]
	s_waitcnt vmcnt(27)
	v_fma_f64 v[127:128], v[131:132], v[115:116], v[109:110]
	;; [unrolled: 19-line block ×8, first 2 shown]
	ds_read_b128 v[109:112], v108 offset:720
	ds_read_b128 v[113:116], v108 offset:736
	s_waitcnt vmcnt(26) lgkmcnt(1)
	v_fma_f64 v[109:110], v[151:152], v[109:110], v[117:118]
	s_clause 0x5
	buffer_load_dword v118, off, s[0:3], 0 offset:412
	buffer_load_dword v135, off, s[0:3], 0 offset:416
	;; [unrolled: 1-line block ×6, first 2 shown]
	s_waitcnt vmcnt(31)
	v_fma_f64 v[109:110], v[143:144], v[111:112], v[109:110]
	s_waitcnt vmcnt(30) lgkmcnt(0)
	v_fma_f64 v[109:110], v[141:142], v[113:114], v[109:110]
	s_waitcnt vmcnt(25)
	v_fma_f64 v[119:120], v[119:120], v[115:116], v[109:110]
	ds_read_b128 v[109:112], v108 offset:752
	ds_read_b128 v[113:116], v108 offset:768
	s_waitcnt vmcnt(24) lgkmcnt(1)
	v_fma_f64 v[109:110], v[149:150], v[109:110], v[119:120]
	s_waitcnt vmcnt(23)
	v_fma_f64 v[109:110], v[147:148], v[111:112], v[109:110]
	s_waitcnt vmcnt(22) lgkmcnt(0)
	v_fma_f64 v[109:110], v[125:126], v[113:114], v[109:110]
	s_waitcnt vmcnt(17)
	v_fma_f64 v[119:120], v[121:122], v[115:116], v[109:110]
	ds_read_b128 v[109:112], v108 offset:784
	ds_read_b128 v[113:116], v108 offset:800
	s_waitcnt vmcnt(16) lgkmcnt(1)
	v_fma_f64 v[109:110], v[137:138], v[109:110], v[119:120]
	;; [unrolled: 10-line block ×3, first 2 shown]
	s_waitcnt vmcnt(7)
	v_fma_f64 v[109:110], v[133:134], v[111:112], v[109:110]
	ds_read_b64 v[111:112], v108 offset:848
	s_waitcnt vmcnt(6) lgkmcnt(1)
	v_fma_f64 v[109:110], v[131:132], v[113:114], v[109:110]
	s_waitcnt vmcnt(3)
	v_fma_f64 v[109:110], v[117:118], v[115:116], v[109:110]
	s_waitcnt vmcnt(2) lgkmcnt(0)
	v_fma_f64 v[109:110], v[135:136], v[111:112], v[109:110]
	s_waitcnt vmcnt(0)
	v_add_f64 v[109:110], v[139:140], -v[109:110]
	buffer_store_dword v110, off, s[0:3], 0 offset:28
	buffer_store_dword v109, off, s[0:3], 0 offset:24
	v_cmpx_lt_u32_e32 2, v0
	s_cbranch_execz .LBB116_323
; %bb.322:
	s_clause 0x1
	buffer_load_dword v109, off, s[0:3], 0 offset:16
	buffer_load_dword v110, off, s[0:3], 0 offset:20
	buffer_store_dword v108, off, s[0:3], 0 offset:16
	buffer_store_dword v108, off, s[0:3], 0 offset:20
	s_waitcnt vmcnt(0)
	ds_write_b64 v107, v[109:110]
.LBB116_323:
	s_or_b32 exec_lo, exec_lo, s4
	s_waitcnt lgkmcnt(0)
	s_waitcnt_vscnt null, 0x0
	s_barrier
	buffer_gl0_inv
	s_clause 0x1c
	buffer_load_dword v117, off, s[0:3], 0 offset:24
	buffer_load_dword v118, off, s[0:3], 0 offset:28
	;; [unrolled: 1-line block ×29, first 2 shown]
	ds_read2_b64 v[109:112], v108 offset0:57 offset1:58
	ds_read2_b64 v[113:116], v108 offset0:59 offset1:60
	buffer_load_dword v142, off, s[0:3], 0 offset:140
	s_mov_b32 s4, exec_lo
	s_waitcnt vmcnt(28) lgkmcnt(1)
	v_fma_f64 v[109:110], v[117:118], v[109:110], 0
	s_clause 0x7
	buffer_load_dword v118, off, s[0:3], 0 offset:148
	buffer_load_dword v147, off, s[0:3], 0 offset:168
	buffer_load_dword v149, off, s[0:3], 0 offset:160
	buffer_load_dword v151, off, s[0:3], 0 offset:152
	buffer_load_dword v117, off, s[0:3], 0 offset:144
	buffer_load_dword v152, off, s[0:3], 0 offset:156
	buffer_load_dword v150, off, s[0:3], 0 offset:164
	buffer_load_dword v148, off, s[0:3], 0 offset:172
	s_waitcnt vmcnt(34)
	v_fma_f64 v[109:110], v[119:120], v[111:112], v[109:110]
	s_waitcnt vmcnt(32) lgkmcnt(0)
	v_fma_f64 v[109:110], v[121:122], v[113:114], v[109:110]
	s_waitcnt vmcnt(30)
	v_fma_f64 v[119:120], v[123:124], v[115:116], v[109:110]
	ds_read2_b64 v[109:112], v108 offset0:61 offset1:62
	ds_read2_b64 v[113:116], v108 offset0:63 offset1:64
	s_waitcnt vmcnt(28) lgkmcnt(1)
	v_fma_f64 v[109:110], v[125:126], v[109:110], v[119:120]
	s_clause 0x7
	buffer_load_dword v120, off, s[0:3], 0 offset:180
	buffer_load_dword v121, off, s[0:3], 0 offset:200
	buffer_load_dword v123, off, s[0:3], 0 offset:192
	buffer_load_dword v125, off, s[0:3], 0 offset:184
	buffer_load_dword v119, off, s[0:3], 0 offset:176
	buffer_load_dword v126, off, s[0:3], 0 offset:188
	buffer_load_dword v124, off, s[0:3], 0 offset:196
	buffer_load_dword v122, off, s[0:3], 0 offset:204
	s_waitcnt vmcnt(34)
	v_fma_f64 v[109:110], v[127:128], v[111:112], v[109:110]
	s_waitcnt vmcnt(32) lgkmcnt(0)
	v_fma_f64 v[109:110], v[129:130], v[113:114], v[109:110]
	s_waitcnt vmcnt(27)
	v_fma_f64 v[127:128], v[131:132], v[115:116], v[109:110]
	ds_read2_b64 v[109:112], v108 offset0:65 offset1:66
	ds_read2_b64 v[113:116], v108 offset0:67 offset1:68
	s_waitcnt vmcnt(26) lgkmcnt(1)
	v_fma_f64 v[109:110], v[137:138], v[109:110], v[127:128]
	s_clause 0x7
	buffer_load_dword v128, off, s[0:3], 0 offset:212
	buffer_load_dword v129, off, s[0:3], 0 offset:232
	buffer_load_dword v131, off, s[0:3], 0 offset:224
	buffer_load_dword v137, off, s[0:3], 0 offset:216
	buffer_load_dword v127, off, s[0:3], 0 offset:208
	buffer_load_dword v138, off, s[0:3], 0 offset:220
	buffer_load_dword v132, off, s[0:3], 0 offset:228
	buffer_load_dword v130, off, s[0:3], 0 offset:236
	s_waitcnt vmcnt(33)
	v_fma_f64 v[109:110], v[135:136], v[111:112], v[109:110]
	s_waitcnt vmcnt(32) lgkmcnt(0)
	v_fma_f64 v[109:110], v[133:134], v[113:114], v[109:110]
	s_waitcnt vmcnt(27)
	v_fma_f64 v[133:134], v[139:140], v[115:116], v[109:110]
	ds_read2_b64 v[109:112], v108 offset0:69 offset1:70
	ds_read2_b64 v[113:116], v108 offset0:71 offset1:72
	s_waitcnt vmcnt(26) lgkmcnt(1)
	v_fma_f64 v[109:110], v[145:146], v[109:110], v[133:134]
	s_clause 0x7
	buffer_load_dword v134, off, s[0:3], 0 offset:244
	buffer_load_dword v135, off, s[0:3], 0 offset:264
	buffer_load_dword v139, off, s[0:3], 0 offset:256
	buffer_load_dword v145, off, s[0:3], 0 offset:248
	buffer_load_dword v133, off, s[0:3], 0 offset:240
	buffer_load_dword v146, off, s[0:3], 0 offset:252
	buffer_load_dword v140, off, s[0:3], 0 offset:260
	buffer_load_dword v136, off, s[0:3], 0 offset:268
	s_waitcnt vmcnt(33)
	v_fma_f64 v[109:110], v[143:144], v[111:112], v[109:110]
	s_waitcnt vmcnt(32) lgkmcnt(0)
	v_fma_f64 v[109:110], v[141:142], v[113:114], v[109:110]
	s_waitcnt vmcnt(27)
	v_fma_f64 v[117:118], v[117:118], v[115:116], v[109:110]
	ds_read2_b64 v[109:112], v108 offset0:73 offset1:74
	ds_read2_b64 v[113:116], v108 offset0:75 offset1:76
	s_waitcnt vmcnt(26) lgkmcnt(1)
	v_fma_f64 v[109:110], v[151:152], v[109:110], v[117:118]
	s_clause 0x7
	buffer_load_dword v118, off, s[0:3], 0 offset:276
	buffer_load_dword v141, off, s[0:3], 0 offset:296
	buffer_load_dword v143, off, s[0:3], 0 offset:288
	buffer_load_dword v151, off, s[0:3], 0 offset:280
	buffer_load_dword v117, off, s[0:3], 0 offset:272
	buffer_load_dword v152, off, s[0:3], 0 offset:284
	buffer_load_dword v144, off, s[0:3], 0 offset:292
	buffer_load_dword v142, off, s[0:3], 0 offset:300
	s_waitcnt vmcnt(33)
	v_fma_f64 v[109:110], v[149:150], v[111:112], v[109:110]
	s_waitcnt vmcnt(32) lgkmcnt(0)
	v_fma_f64 v[109:110], v[147:148], v[113:114], v[109:110]
	s_waitcnt vmcnt(27)
	v_fma_f64 v[119:120], v[119:120], v[115:116], v[109:110]
	ds_read2_b64 v[109:112], v108 offset0:77 offset1:78
	ds_read2_b64 v[113:116], v108 offset0:79 offset1:80
	s_waitcnt vmcnt(26) lgkmcnt(1)
	v_fma_f64 v[109:110], v[125:126], v[109:110], v[119:120]
	s_clause 0x7
	buffer_load_dword v120, off, s[0:3], 0 offset:308
	buffer_load_dword v125, off, s[0:3], 0 offset:328
	buffer_load_dword v147, off, s[0:3], 0 offset:320
	buffer_load_dword v149, off, s[0:3], 0 offset:312
	buffer_load_dword v119, off, s[0:3], 0 offset:304
	buffer_load_dword v150, off, s[0:3], 0 offset:316
	buffer_load_dword v148, off, s[0:3], 0 offset:324
	buffer_load_dword v126, off, s[0:3], 0 offset:332
	s_waitcnt vmcnt(33)
	v_fma_f64 v[109:110], v[123:124], v[111:112], v[109:110]
	s_waitcnt vmcnt(32) lgkmcnt(0)
	v_fma_f64 v[109:110], v[121:122], v[113:114], v[109:110]
	s_waitcnt vmcnt(27)
	v_fma_f64 v[121:122], v[127:128], v[115:116], v[109:110]
	ds_read2_b64 v[109:112], v108 offset0:81 offset1:82
	ds_read2_b64 v[113:116], v108 offset0:83 offset1:84
	s_waitcnt vmcnt(26) lgkmcnt(1)
	v_fma_f64 v[109:110], v[137:138], v[109:110], v[121:122]
	s_clause 0x7
	buffer_load_dword v122, off, s[0:3], 0 offset:340
	buffer_load_dword v123, off, s[0:3], 0 offset:360
	buffer_load_dword v127, off, s[0:3], 0 offset:352
	buffer_load_dword v137, off, s[0:3], 0 offset:344
	buffer_load_dword v121, off, s[0:3], 0 offset:336
	buffer_load_dword v138, off, s[0:3], 0 offset:348
	buffer_load_dword v128, off, s[0:3], 0 offset:356
	buffer_load_dword v124, off, s[0:3], 0 offset:364
	s_waitcnt vmcnt(33)
	v_fma_f64 v[109:110], v[131:132], v[111:112], v[109:110]
	s_waitcnt vmcnt(32) lgkmcnt(0)
	v_fma_f64 v[109:110], v[129:130], v[113:114], v[109:110]
	s_waitcnt vmcnt(27)
	v_fma_f64 v[129:130], v[133:134], v[115:116], v[109:110]
	ds_read2_b64 v[109:112], v108 offset0:85 offset1:86
	ds_read2_b64 v[113:116], v108 offset0:87 offset1:88
	s_waitcnt vmcnt(26) lgkmcnt(1)
	v_fma_f64 v[109:110], v[145:146], v[109:110], v[129:130]
	s_clause 0x7
	buffer_load_dword v130, off, s[0:3], 0 offset:372
	buffer_load_dword v131, off, s[0:3], 0 offset:392
	buffer_load_dword v133, off, s[0:3], 0 offset:384
	buffer_load_dword v145, off, s[0:3], 0 offset:376
	buffer_load_dword v129, off, s[0:3], 0 offset:368
	buffer_load_dword v146, off, s[0:3], 0 offset:380
	buffer_load_dword v134, off, s[0:3], 0 offset:388
	buffer_load_dword v132, off, s[0:3], 0 offset:396
	s_waitcnt vmcnt(33)
	v_fma_f64 v[109:110], v[139:140], v[111:112], v[109:110]
	s_waitcnt vmcnt(32) lgkmcnt(0)
	v_fma_f64 v[109:110], v[135:136], v[113:114], v[109:110]
	s_waitcnt vmcnt(27)
	v_fma_f64 v[117:118], v[117:118], v[115:116], v[109:110]
	ds_read2_b64 v[109:112], v108 offset0:89 offset1:90
	ds_read2_b64 v[113:116], v108 offset0:91 offset1:92
	s_waitcnt vmcnt(26) lgkmcnt(1)
	v_fma_f64 v[109:110], v[151:152], v[109:110], v[117:118]
	s_clause 0x5
	buffer_load_dword v118, off, s[0:3], 0 offset:404
	buffer_load_dword v135, off, s[0:3], 0 offset:416
	buffer_load_dword v139, off, s[0:3], 0 offset:408
	buffer_load_dword v117, off, s[0:3], 0 offset:400
	buffer_load_dword v140, off, s[0:3], 0 offset:412
	buffer_load_dword v136, off, s[0:3], 0 offset:420
	s_waitcnt vmcnt(31)
	v_fma_f64 v[109:110], v[143:144], v[111:112], v[109:110]
	s_waitcnt vmcnt(30) lgkmcnt(0)
	v_fma_f64 v[109:110], v[141:142], v[113:114], v[109:110]
	s_waitcnt vmcnt(25)
	v_fma_f64 v[119:120], v[119:120], v[115:116], v[109:110]
	ds_read2_b64 v[109:112], v108 offset0:93 offset1:94
	s_clause 0x1
	buffer_load_dword v141, off, s[0:3], 0 offset:16
	buffer_load_dword v142, off, s[0:3], 0 offset:20
	ds_read2_b64 v[113:116], v108 offset0:95 offset1:96
	s_waitcnt vmcnt(26) lgkmcnt(1)
	v_fma_f64 v[109:110], v[149:150], v[109:110], v[119:120]
	s_waitcnt vmcnt(25)
	v_fma_f64 v[109:110], v[147:148], v[111:112], v[109:110]
	s_waitcnt vmcnt(24) lgkmcnt(0)
	v_fma_f64 v[109:110], v[125:126], v[113:114], v[109:110]
	s_waitcnt vmcnt(19)
	v_fma_f64 v[119:120], v[121:122], v[115:116], v[109:110]
	ds_read2_b64 v[109:112], v108 offset0:97 offset1:98
	ds_read2_b64 v[113:116], v108 offset0:99 offset1:100
	s_waitcnt vmcnt(18) lgkmcnt(1)
	v_fma_f64 v[109:110], v[137:138], v[109:110], v[119:120]
	s_waitcnt vmcnt(17)
	v_fma_f64 v[109:110], v[127:128], v[111:112], v[109:110]
	s_waitcnt vmcnt(16) lgkmcnt(0)
	v_fma_f64 v[109:110], v[123:124], v[113:114], v[109:110]
	s_waitcnt vmcnt(11)
	v_fma_f64 v[119:120], v[129:130], v[115:116], v[109:110]
	ds_read2_b64 v[109:112], v108 offset0:101 offset1:102
	;; [unrolled: 10-line block ×3, first 2 shown]
	s_waitcnt vmcnt(3) lgkmcnt(0)
	v_fma_f64 v[108:109], v[139:140], v[108:109], v[112:113]
	s_waitcnt vmcnt(2)
	v_fma_f64 v[108:109], v[135:136], v[110:111], v[108:109]
	s_waitcnt vmcnt(0)
	v_add_f64 v[108:109], v[141:142], -v[108:109]
	buffer_store_dword v109, off, s[0:3], 0 offset:20
	buffer_store_dword v108, off, s[0:3], 0 offset:16
	v_cmpx_lt_u32_e32 1, v0
	s_cbranch_execz .LBB116_325
; %bb.324:
	s_clause 0x1
	buffer_load_dword v108, off, s[0:3], 0 offset:8
	buffer_load_dword v109, off, s[0:3], 0 offset:12
	v_mov_b32_e32 v110, 0
	buffer_store_dword v110, off, s[0:3], 0 offset:8
	buffer_store_dword v110, off, s[0:3], 0 offset:12
	s_waitcnt vmcnt(0)
	ds_write_b64 v107, v[108:109]
.LBB116_325:
	s_or_b32 exec_lo, exec_lo, s4
	s_waitcnt lgkmcnt(0)
	s_waitcnt_vscnt null, 0x0
	s_barrier
	buffer_gl0_inv
	s_clause 0x1c
	buffer_load_dword v118, off, s[0:3], 0 offset:16
	buffer_load_dword v119, off, s[0:3], 0 offset:20
	;; [unrolled: 1-line block ×29, first 2 shown]
	v_mov_b32_e32 v109, 0
	buffer_load_dword v143, off, s[0:3], 0 offset:132
	s_mov_b32 s4, exec_lo
	ds_read_b128 v[110:113], v109 offset:448
	ds_read_b128 v[114:117], v109 offset:464
	s_waitcnt vmcnt(28) lgkmcnt(1)
	v_fma_f64 v[110:111], v[118:119], v[110:111], 0
	s_clause 0x7
	buffer_load_dword v119, off, s[0:3], 0 offset:140
	buffer_load_dword v148, off, s[0:3], 0 offset:160
	buffer_load_dword v150, off, s[0:3], 0 offset:152
	buffer_load_dword v152, off, s[0:3], 0 offset:144
	buffer_load_dword v118, off, s[0:3], 0 offset:136
	buffer_load_dword v153, off, s[0:3], 0 offset:148
	buffer_load_dword v151, off, s[0:3], 0 offset:156
	buffer_load_dword v149, off, s[0:3], 0 offset:164
	s_waitcnt vmcnt(34)
	v_fma_f64 v[110:111], v[120:121], v[112:113], v[110:111]
	s_waitcnt vmcnt(32) lgkmcnt(0)
	v_fma_f64 v[110:111], v[122:123], v[114:115], v[110:111]
	s_waitcnt vmcnt(30)
	v_fma_f64 v[120:121], v[124:125], v[116:117], v[110:111]
	ds_read_b128 v[110:113], v109 offset:480
	ds_read_b128 v[114:117], v109 offset:496
	s_waitcnt vmcnt(28) lgkmcnt(1)
	v_fma_f64 v[110:111], v[126:127], v[110:111], v[120:121]
	s_clause 0x7
	buffer_load_dword v121, off, s[0:3], 0 offset:172
	buffer_load_dword v122, off, s[0:3], 0 offset:192
	buffer_load_dword v124, off, s[0:3], 0 offset:184
	buffer_load_dword v126, off, s[0:3], 0 offset:176
	buffer_load_dword v120, off, s[0:3], 0 offset:168
	buffer_load_dword v127, off, s[0:3], 0 offset:180
	buffer_load_dword v125, off, s[0:3], 0 offset:188
	buffer_load_dword v123, off, s[0:3], 0 offset:196
	s_waitcnt vmcnt(34)
	v_fma_f64 v[110:111], v[128:129], v[112:113], v[110:111]
	s_waitcnt vmcnt(32) lgkmcnt(0)
	v_fma_f64 v[110:111], v[130:131], v[114:115], v[110:111]
	s_waitcnt vmcnt(27)
	v_fma_f64 v[128:129], v[132:133], v[116:117], v[110:111]
	;; [unrolled: 19-line block ×9, first 2 shown]
	ds_read_b128 v[110:113], v109 offset:736
	ds_read_b128 v[114:117], v109 offset:752
	s_waitcnt vmcnt(26) lgkmcnt(1)
	v_fma_f64 v[110:111], v[150:151], v[110:111], v[120:121]
	s_clause 0x1
	buffer_load_dword v120, off, s[0:3], 0 offset:8
	buffer_load_dword v121, off, s[0:3], 0 offset:12
	s_waitcnt vmcnt(27)
	v_fma_f64 v[110:111], v[148:149], v[112:113], v[110:111]
	s_waitcnt vmcnt(26) lgkmcnt(0)
	v_fma_f64 v[110:111], v[126:127], v[114:115], v[110:111]
	s_waitcnt vmcnt(21)
	v_fma_f64 v[122:123], v[122:123], v[116:117], v[110:111]
	ds_read_b128 v[110:113], v109 offset:768
	ds_read_b128 v[114:117], v109 offset:784
	s_waitcnt vmcnt(20) lgkmcnt(1)
	v_fma_f64 v[110:111], v[138:139], v[110:111], v[122:123]
	s_waitcnt vmcnt(19)
	v_fma_f64 v[110:111], v[128:129], v[112:113], v[110:111]
	s_waitcnt vmcnt(18) lgkmcnt(0)
	v_fma_f64 v[110:111], v[124:125], v[114:115], v[110:111]
	s_waitcnt vmcnt(13)
	v_fma_f64 v[122:123], v[130:131], v[116:117], v[110:111]
	ds_read_b128 v[110:113], v109 offset:800
	ds_read_b128 v[114:117], v109 offset:816
	s_waitcnt vmcnt(12) lgkmcnt(1)
	v_fma_f64 v[110:111], v[146:147], v[110:111], v[122:123]
	s_waitcnt vmcnt(11)
	v_fma_f64 v[110:111], v[134:135], v[112:113], v[110:111]
	s_waitcnt vmcnt(10) lgkmcnt(0)
	v_fma_f64 v[110:111], v[132:133], v[114:115], v[110:111]
	s_waitcnt vmcnt(5)
	v_fma_f64 v[114:115], v[118:119], v[116:117], v[110:111]
	ds_read_b128 v[110:113], v109 offset:832
	ds_read_b64 v[116:117], v109 offset:848
	s_waitcnt vmcnt(4) lgkmcnt(1)
	v_fma_f64 v[110:111], v[152:153], v[110:111], v[114:115]
	s_waitcnt vmcnt(3)
	v_fma_f64 v[110:111], v[140:141], v[112:113], v[110:111]
	s_waitcnt vmcnt(2) lgkmcnt(0)
	v_fma_f64 v[110:111], v[136:137], v[116:117], v[110:111]
	s_waitcnt vmcnt(0)
	v_add_f64 v[110:111], v[120:121], -v[110:111]
	buffer_store_dword v111, off, s[0:3], 0 offset:12
	buffer_store_dword v110, off, s[0:3], 0 offset:8
	v_cmpx_ne_u32_e32 0, v0
	s_cbranch_execz .LBB116_327
; %bb.326:
	s_clause 0x1
	buffer_load_dword v110, off, s[0:3], 0
	buffer_load_dword v111, off, s[0:3], 0 offset:4
	buffer_store_dword v109, off, s[0:3], 0
	buffer_store_dword v109, off, s[0:3], 0 offset:4
	s_waitcnt vmcnt(0)
	ds_write_b64 v107, v[110:111]
.LBB116_327:
	s_or_b32 exec_lo, exec_lo, s4
	s_waitcnt lgkmcnt(0)
	s_waitcnt_vscnt null, 0x0
	s_barrier
	buffer_gl0_inv
	s_clause 0x1c
	buffer_load_dword v107, off, s[0:3], 0 offset:8
	buffer_load_dword v108, off, s[0:3], 0 offset:12
	;; [unrolled: 1-line block ×29, first 2 shown]
	ds_read2_b64 v[110:113], v109 offset0:55 offset1:56
	ds_read2_b64 v[114:117], v109 offset0:57 offset1:58
	s_clause 0x8
	buffer_load_dword v141, off, s[0:3], 0 offset:124
	buffer_load_dword v147, off, s[0:3], 0 offset:132
	;; [unrolled: 1-line block ×9, first 2 shown]
	s_and_b32 vcc_lo, exec_lo, s16
	s_waitcnt vmcnt(36) lgkmcnt(1)
	v_fma_f64 v[107:108], v[107:108], v[110:111], 0
	s_waitcnt vmcnt(34)
	v_fma_f64 v[107:108], v[118:119], v[112:113], v[107:108]
	ds_read2_b64 v[110:113], v109 offset0:59 offset1:60
	s_waitcnt vmcnt(32) lgkmcnt(1)
	v_fma_f64 v[107:108], v[120:121], v[114:115], v[107:108]
	s_waitcnt vmcnt(30)
	v_fma_f64 v[107:108], v[122:123], v[116:117], v[107:108]
	ds_read2_b64 v[114:117], v109 offset0:61 offset1:62
	s_waitcnt vmcnt(28) lgkmcnt(1)
	v_fma_f64 v[107:108], v[124:125], v[110:111], v[107:108]
	s_clause 0x7
	buffer_load_dword v119, off, s[0:3], 0 offset:164
	buffer_load_dword v120, off, s[0:3], 0 offset:184
	buffer_load_dword v122, off, s[0:3], 0 offset:176
	buffer_load_dword v124, off, s[0:3], 0 offset:168
	buffer_load_dword v118, off, s[0:3], 0 offset:160
	buffer_load_dword v125, off, s[0:3], 0 offset:172
	buffer_load_dword v123, off, s[0:3], 0 offset:180
	buffer_load_dword v121, off, s[0:3], 0 offset:188
	s_waitcnt vmcnt(34)
	v_fma_f64 v[107:108], v[126:127], v[112:113], v[107:108]
	ds_read2_b64 v[110:113], v109 offset0:63 offset1:64
	s_waitcnt vmcnt(32) lgkmcnt(1)
	v_fma_f64 v[107:108], v[128:129], v[114:115], v[107:108]
	s_waitcnt vmcnt(27)
	v_fma_f64 v[107:108], v[130:131], v[116:117], v[107:108]
	ds_read2_b64 v[114:117], v109 offset0:65 offset1:66
	s_waitcnt vmcnt(26) lgkmcnt(1)
	v_fma_f64 v[107:108], v[136:137], v[110:111], v[107:108]
	s_clause 0x7
	buffer_load_dword v127, off, s[0:3], 0 offset:196
	buffer_load_dword v128, off, s[0:3], 0 offset:216
	buffer_load_dword v130, off, s[0:3], 0 offset:208
	buffer_load_dword v136, off, s[0:3], 0 offset:200
	buffer_load_dword v126, off, s[0:3], 0 offset:192
	buffer_load_dword v137, off, s[0:3], 0 offset:204
	buffer_load_dword v131, off, s[0:3], 0 offset:212
	buffer_load_dword v129, off, s[0:3], 0 offset:220
	;; [unrolled: 19-line block ×8, first 2 shown]
	s_waitcnt vmcnt(33)
	v_fma_f64 v[110:111], v[146:147], v[112:113], v[110:111]
	s_waitcnt vmcnt(32) lgkmcnt(0)
	v_fma_f64 v[110:111], v[142:143], v[114:115], v[110:111]
	s_waitcnt vmcnt(27)
	v_fma_f64 v[118:119], v[118:119], v[116:117], v[110:111]
	ds_read2_b64 v[110:113], v109 offset0:91 offset1:92
	ds_read2_b64 v[114:117], v109 offset0:93 offset1:94
	s_waitcnt vmcnt(26) lgkmcnt(1)
	v_fma_f64 v[110:111], v[150:151], v[110:111], v[118:119]
	s_clause 0x3
	buffer_load_dword v119, off, s[0:3], 0 offset:420
	buffer_load_dword v118, off, s[0:3], 0 offset:416
	buffer_load_dword v142, off, s[0:3], 0
	buffer_load_dword v143, off, s[0:3], 0 offset:4
	s_waitcnt vmcnt(29)
	v_fma_f64 v[110:111], v[148:149], v[112:113], v[110:111]
	s_waitcnt vmcnt(28) lgkmcnt(0)
	v_fma_f64 v[110:111], v[124:125], v[114:115], v[110:111]
	s_waitcnt vmcnt(23)
	v_fma_f64 v[120:121], v[120:121], v[116:117], v[110:111]
	ds_read2_b64 v[110:113], v109 offset0:95 offset1:96
	ds_read2_b64 v[114:117], v109 offset0:97 offset1:98
	s_waitcnt vmcnt(22) lgkmcnt(1)
	v_fma_f64 v[110:111], v[136:137], v[110:111], v[120:121]
	s_waitcnt vmcnt(21)
	v_fma_f64 v[110:111], v[126:127], v[112:113], v[110:111]
	s_waitcnt vmcnt(20) lgkmcnt(0)
	v_fma_f64 v[110:111], v[122:123], v[114:115], v[110:111]
	s_waitcnt vmcnt(15)
	v_fma_f64 v[120:121], v[128:129], v[116:117], v[110:111]
	ds_read2_b64 v[110:113], v109 offset0:99 offset1:100
	ds_read2_b64 v[114:117], v109 offset0:101 offset1:102
	s_waitcnt vmcnt(14) lgkmcnt(1)
	v_fma_f64 v[110:111], v[144:145], v[110:111], v[120:121]
	s_waitcnt vmcnt(13)
	v_fma_f64 v[110:111], v[132:133], v[112:113], v[110:111]
	s_waitcnt vmcnt(12) lgkmcnt(0)
	v_fma_f64 v[110:111], v[130:131], v[114:115], v[110:111]
	s_waitcnt vmcnt(7)
	v_fma_f64 v[120:121], v[134:135], v[116:117], v[110:111]
	ds_read2_b64 v[110:113], v109 offset0:103 offset1:104
	ds_read2_b64 v[114:117], v109 offset0:105 offset1:106
	s_waitcnt vmcnt(6) lgkmcnt(1)
	v_fma_f64 v[109:110], v[140:141], v[110:111], v[120:121]
	s_waitcnt vmcnt(5)
	v_fma_f64 v[109:110], v[138:139], v[112:113], v[109:110]
	s_waitcnt vmcnt(4) lgkmcnt(0)
	v_fma_f64 v[109:110], v[107:108], v[114:115], v[109:110]
	s_waitcnt vmcnt(2)
	v_fma_f64 v[109:110], v[118:119], v[116:117], v[109:110]
	s_waitcnt vmcnt(0)
	v_add_f64 v[109:110], v[142:143], -v[109:110]
	buffer_store_dword v110, off, s[0:3], 0 offset:4
	buffer_store_dword v109, off, s[0:3], 0
	s_cbranch_vccz .LBB116_432
; %bb.328:
	v_mov_b32_e32 v0, 0
	global_load_dword v109, v0, s[12:13] offset:204
	s_waitcnt vmcnt(0)
	v_add_nc_u32_e32 v109, -1, v109
	v_cmp_ne_u32_e32 vcc_lo, 51, v109
	s_cbranch_vccz .LBB116_330
; %bb.329:
	v_lshlrev_b32_e32 v109, 3, v109
	s_clause 0x1
	buffer_load_dword v110, v109, s[0:3], 0 offen
	buffer_load_dword v111, v109, s[0:3], 0 offen offset:4
	s_waitcnt vmcnt(1)
	buffer_store_dword v110, off, s[0:3], 0 offset:408
	s_waitcnt vmcnt(0)
	buffer_store_dword v111, off, s[0:3], 0 offset:412
	buffer_store_dword v107, v109, s[0:3], 0 offen
	buffer_store_dword v108, v109, s[0:3], 0 offen offset:4
.LBB116_330:
	global_load_dword v0, v0, s[12:13] offset:200
	s_waitcnt vmcnt(0)
	v_add_nc_u32_e32 v0, -1, v0
	v_cmp_eq_u32_e32 vcc_lo, 50, v0
	s_cbranch_vccnz .LBB116_332
; %bb.331:
	v_lshlrev_b32_e32 v0, 3, v0
	s_clause 0x3
	buffer_load_dword v107, v0, s[0:3], 0 offen
	buffer_load_dword v108, v0, s[0:3], 0 offen offset:4
	buffer_load_dword v109, off, s[0:3], 0 offset:404
	buffer_load_dword v110, off, s[0:3], 0 offset:400
	s_waitcnt vmcnt(3)
	buffer_store_dword v107, off, s[0:3], 0 offset:400
	s_waitcnt vmcnt(2)
	buffer_store_dword v108, off, s[0:3], 0 offset:404
	s_waitcnt vmcnt(1)
	buffer_store_dword v109, v0, s[0:3], 0 offen offset:4
	s_waitcnt vmcnt(0)
	buffer_store_dword v110, v0, s[0:3], 0 offen
.LBB116_332:
	v_mov_b32_e32 v0, 0
	global_load_dword v107, v0, s[12:13] offset:196
	s_waitcnt vmcnt(0)
	v_add_nc_u32_e32 v107, -1, v107
	v_cmp_eq_u32_e32 vcc_lo, 49, v107
	s_cbranch_vccnz .LBB116_334
; %bb.333:
	v_lshlrev_b32_e32 v107, 3, v107
	s_clause 0x3
	buffer_load_dword v108, v107, s[0:3], 0 offen
	buffer_load_dword v109, v107, s[0:3], 0 offen offset:4
	buffer_load_dword v110, off, s[0:3], 0 offset:392
	buffer_load_dword v111, off, s[0:3], 0 offset:396
	s_waitcnt vmcnt(3)
	buffer_store_dword v108, off, s[0:3], 0 offset:392
	s_waitcnt vmcnt(2)
	buffer_store_dword v109, off, s[0:3], 0 offset:396
	s_waitcnt vmcnt(1)
	buffer_store_dword v110, v107, s[0:3], 0 offen
	s_waitcnt vmcnt(0)
	buffer_store_dword v111, v107, s[0:3], 0 offen offset:4
.LBB116_334:
	global_load_dword v0, v0, s[12:13] offset:192
	s_waitcnt vmcnt(0)
	v_add_nc_u32_e32 v0, -1, v0
	v_cmp_eq_u32_e32 vcc_lo, 48, v0
	s_cbranch_vccnz .LBB116_336
; %bb.335:
	v_lshlrev_b32_e32 v0, 3, v0
	s_clause 0x3
	buffer_load_dword v107, v0, s[0:3], 0 offen
	buffer_load_dword v108, v0, s[0:3], 0 offen offset:4
	buffer_load_dword v109, off, s[0:3], 0 offset:388
	buffer_load_dword v110, off, s[0:3], 0 offset:384
	s_waitcnt vmcnt(3)
	buffer_store_dword v107, off, s[0:3], 0 offset:384
	s_waitcnt vmcnt(2)
	buffer_store_dword v108, off, s[0:3], 0 offset:388
	s_waitcnt vmcnt(1)
	buffer_store_dword v109, v0, s[0:3], 0 offen offset:4
	s_waitcnt vmcnt(0)
	buffer_store_dword v110, v0, s[0:3], 0 offen
.LBB116_336:
	v_mov_b32_e32 v0, 0
	global_load_dword v107, v0, s[12:13] offset:188
	s_waitcnt vmcnt(0)
	v_add_nc_u32_e32 v107, -1, v107
	v_cmp_eq_u32_e32 vcc_lo, 47, v107
	s_cbranch_vccnz .LBB116_338
; %bb.337:
	v_lshlrev_b32_e32 v107, 3, v107
	s_clause 0x3
	buffer_load_dword v108, v107, s[0:3], 0 offen
	buffer_load_dword v109, v107, s[0:3], 0 offen offset:4
	buffer_load_dword v110, off, s[0:3], 0 offset:376
	buffer_load_dword v111, off, s[0:3], 0 offset:380
	s_waitcnt vmcnt(3)
	buffer_store_dword v108, off, s[0:3], 0 offset:376
	s_waitcnt vmcnt(2)
	buffer_store_dword v109, off, s[0:3], 0 offset:380
	s_waitcnt vmcnt(1)
	buffer_store_dword v110, v107, s[0:3], 0 offen
	s_waitcnt vmcnt(0)
	buffer_store_dword v111, v107, s[0:3], 0 offen offset:4
.LBB116_338:
	;; [unrolled: 43-line block ×25, first 2 shown]
	global_load_dword v0, v0, s[12:13]
	s_clause 0x1
	buffer_load_dword v109, off, s[0:3], 0
	buffer_load_dword v110, off, s[0:3], 0 offset:4
	s_waitcnt vmcnt(2)
	v_add_nc_u32_e32 v0, -1, v0
	v_cmp_eq_u32_e32 vcc_lo, 0, v0
	s_cbranch_vccnz .LBB116_432
; %bb.431:
	v_lshlrev_b32_e32 v0, 3, v0
	s_clause 0x1
	buffer_load_dword v107, v0, s[0:3], 0 offen offset:4
	buffer_load_dword v108, v0, s[0:3], 0 offen
	s_waitcnt vmcnt(1)
	buffer_store_dword v107, off, s[0:3], 0 offset:4
	s_waitcnt vmcnt(0)
	buffer_store_dword v108, off, s[0:3], 0
	buffer_store_dword v110, v0, s[0:3], 0 offen offset:4
	buffer_store_dword v109, v0, s[0:3], 0 offen
	s_clause 0x1
	buffer_load_dword v109, off, s[0:3], 0
	buffer_load_dword v110, off, s[0:3], 0 offset:4
.LBB116_432:
	s_waitcnt vmcnt(0)
	flat_store_dwordx2 v[1:2], v[109:110]
	s_clause 0x1
	buffer_load_dword v0, off, s[0:3], 0 offset:8
	buffer_load_dword v1, off, s[0:3], 0 offset:12
	s_waitcnt vmcnt(0)
	flat_store_dwordx2 v[3:4], v[0:1]
	s_clause 0x1
	buffer_load_dword v0, off, s[0:3], 0 offset:16
	buffer_load_dword v1, off, s[0:3], 0 offset:20
	s_waitcnt vmcnt(0)
	flat_store_dwordx2 v[5:6], v[0:1]
	s_clause 0x1
	buffer_load_dword v0, off, s[0:3], 0 offset:24
	buffer_load_dword v1, off, s[0:3], 0 offset:28
	s_waitcnt vmcnt(0)
	flat_store_dwordx2 v[7:8], v[0:1]
	s_clause 0x1
	buffer_load_dword v0, off, s[0:3], 0 offset:32
	buffer_load_dword v1, off, s[0:3], 0 offset:36
	s_waitcnt vmcnt(0)
	flat_store_dwordx2 v[9:10], v[0:1]
	s_clause 0x1
	buffer_load_dword v0, off, s[0:3], 0 offset:40
	buffer_load_dword v1, off, s[0:3], 0 offset:44
	s_waitcnt vmcnt(0)
	flat_store_dwordx2 v[11:12], v[0:1]
	s_clause 0x1
	buffer_load_dword v0, off, s[0:3], 0 offset:48
	buffer_load_dword v1, off, s[0:3], 0 offset:52
	s_waitcnt vmcnt(0)
	flat_store_dwordx2 v[13:14], v[0:1]
	s_clause 0x1
	buffer_load_dword v0, off, s[0:3], 0 offset:56
	buffer_load_dword v1, off, s[0:3], 0 offset:60
	s_waitcnt vmcnt(0)
	flat_store_dwordx2 v[15:16], v[0:1]
	s_clause 0x1
	buffer_load_dword v0, off, s[0:3], 0 offset:64
	buffer_load_dword v1, off, s[0:3], 0 offset:68
	s_waitcnt vmcnt(0)
	flat_store_dwordx2 v[17:18], v[0:1]
	s_clause 0x1
	buffer_load_dword v0, off, s[0:3], 0 offset:72
	buffer_load_dword v1, off, s[0:3], 0 offset:76
	s_waitcnt vmcnt(0)
	flat_store_dwordx2 v[19:20], v[0:1]
	s_clause 0x1
	buffer_load_dword v0, off, s[0:3], 0 offset:80
	buffer_load_dword v1, off, s[0:3], 0 offset:84
	s_waitcnt vmcnt(0)
	flat_store_dwordx2 v[21:22], v[0:1]
	s_clause 0x1
	buffer_load_dword v0, off, s[0:3], 0 offset:88
	buffer_load_dword v1, off, s[0:3], 0 offset:92
	s_waitcnt vmcnt(0)
	flat_store_dwordx2 v[23:24], v[0:1]
	s_clause 0x1
	buffer_load_dword v0, off, s[0:3], 0 offset:96
	buffer_load_dword v1, off, s[0:3], 0 offset:100
	s_waitcnt vmcnt(0)
	flat_store_dwordx2 v[25:26], v[0:1]
	s_clause 0x1
	buffer_load_dword v0, off, s[0:3], 0 offset:104
	buffer_load_dword v1, off, s[0:3], 0 offset:108
	s_waitcnt vmcnt(0)
	flat_store_dwordx2 v[27:28], v[0:1]
	s_clause 0x1
	buffer_load_dword v0, off, s[0:3], 0 offset:112
	buffer_load_dword v1, off, s[0:3], 0 offset:116
	s_waitcnt vmcnt(0)
	flat_store_dwordx2 v[29:30], v[0:1]
	s_clause 0x1
	buffer_load_dword v0, off, s[0:3], 0 offset:120
	buffer_load_dword v1, off, s[0:3], 0 offset:124
	s_waitcnt vmcnt(0)
	flat_store_dwordx2 v[31:32], v[0:1]
	s_clause 0x1
	buffer_load_dword v0, off, s[0:3], 0 offset:128
	buffer_load_dword v1, off, s[0:3], 0 offset:132
	s_waitcnt vmcnt(0)
	flat_store_dwordx2 v[33:34], v[0:1]
	s_clause 0x1
	buffer_load_dword v0, off, s[0:3], 0 offset:136
	buffer_load_dword v1, off, s[0:3], 0 offset:140
	s_waitcnt vmcnt(0)
	flat_store_dwordx2 v[35:36], v[0:1]
	s_clause 0x1
	buffer_load_dword v0, off, s[0:3], 0 offset:144
	buffer_load_dword v1, off, s[0:3], 0 offset:148
	s_waitcnt vmcnt(0)
	flat_store_dwordx2 v[37:38], v[0:1]
	s_clause 0x1
	buffer_load_dword v0, off, s[0:3], 0 offset:152
	buffer_load_dword v1, off, s[0:3], 0 offset:156
	s_waitcnt vmcnt(0)
	flat_store_dwordx2 v[39:40], v[0:1]
	s_clause 0x1
	buffer_load_dword v0, off, s[0:3], 0 offset:160
	buffer_load_dword v1, off, s[0:3], 0 offset:164
	s_waitcnt vmcnt(0)
	flat_store_dwordx2 v[41:42], v[0:1]
	s_clause 0x1
	buffer_load_dword v0, off, s[0:3], 0 offset:168
	buffer_load_dword v1, off, s[0:3], 0 offset:172
	s_waitcnt vmcnt(0)
	flat_store_dwordx2 v[43:44], v[0:1]
	s_clause 0x1
	buffer_load_dword v0, off, s[0:3], 0 offset:176
	buffer_load_dword v1, off, s[0:3], 0 offset:180
	s_waitcnt vmcnt(0)
	flat_store_dwordx2 v[45:46], v[0:1]
	s_clause 0x1
	buffer_load_dword v0, off, s[0:3], 0 offset:184
	buffer_load_dword v1, off, s[0:3], 0 offset:188
	s_waitcnt vmcnt(0)
	flat_store_dwordx2 v[47:48], v[0:1]
	s_clause 0x1
	buffer_load_dword v0, off, s[0:3], 0 offset:192
	buffer_load_dword v1, off, s[0:3], 0 offset:196
	s_waitcnt vmcnt(0)
	flat_store_dwordx2 v[49:50], v[0:1]
	s_clause 0x1
	buffer_load_dword v0, off, s[0:3], 0 offset:200
	buffer_load_dword v1, off, s[0:3], 0 offset:204
	s_waitcnt vmcnt(0)
	flat_store_dwordx2 v[51:52], v[0:1]
	s_clause 0x1
	buffer_load_dword v0, off, s[0:3], 0 offset:208
	buffer_load_dword v1, off, s[0:3], 0 offset:212
	s_waitcnt vmcnt(0)
	flat_store_dwordx2 v[53:54], v[0:1]
	s_clause 0x1
	buffer_load_dword v0, off, s[0:3], 0 offset:216
	buffer_load_dword v1, off, s[0:3], 0 offset:220
	s_waitcnt vmcnt(0)
	flat_store_dwordx2 v[55:56], v[0:1]
	s_clause 0x1
	buffer_load_dword v0, off, s[0:3], 0 offset:224
	buffer_load_dword v1, off, s[0:3], 0 offset:228
	s_waitcnt vmcnt(0)
	flat_store_dwordx2 v[57:58], v[0:1]
	s_clause 0x1
	buffer_load_dword v0, off, s[0:3], 0 offset:232
	buffer_load_dword v1, off, s[0:3], 0 offset:236
	s_waitcnt vmcnt(0)
	flat_store_dwordx2 v[59:60], v[0:1]
	s_clause 0x1
	buffer_load_dword v0, off, s[0:3], 0 offset:240
	buffer_load_dword v1, off, s[0:3], 0 offset:244
	s_waitcnt vmcnt(0)
	flat_store_dwordx2 v[61:62], v[0:1]
	s_clause 0x1
	buffer_load_dword v0, off, s[0:3], 0 offset:248
	buffer_load_dword v1, off, s[0:3], 0 offset:252
	s_waitcnt vmcnt(0)
	flat_store_dwordx2 v[63:64], v[0:1]
	s_clause 0x1
	buffer_load_dword v0, off, s[0:3], 0 offset:256
	buffer_load_dword v1, off, s[0:3], 0 offset:260
	s_waitcnt vmcnt(0)
	flat_store_dwordx2 v[65:66], v[0:1]
	s_clause 0x1
	buffer_load_dword v0, off, s[0:3], 0 offset:264
	buffer_load_dword v1, off, s[0:3], 0 offset:268
	s_waitcnt vmcnt(0)
	flat_store_dwordx2 v[67:68], v[0:1]
	s_clause 0x1
	buffer_load_dword v0, off, s[0:3], 0 offset:272
	buffer_load_dword v1, off, s[0:3], 0 offset:276
	s_waitcnt vmcnt(0)
	flat_store_dwordx2 v[69:70], v[0:1]
	s_clause 0x1
	buffer_load_dword v0, off, s[0:3], 0 offset:280
	buffer_load_dword v1, off, s[0:3], 0 offset:284
	s_waitcnt vmcnt(0)
	flat_store_dwordx2 v[71:72], v[0:1]
	s_clause 0x1
	buffer_load_dword v0, off, s[0:3], 0 offset:288
	buffer_load_dword v1, off, s[0:3], 0 offset:292
	s_waitcnt vmcnt(0)
	flat_store_dwordx2 v[73:74], v[0:1]
	s_clause 0x1
	buffer_load_dword v0, off, s[0:3], 0 offset:296
	buffer_load_dword v1, off, s[0:3], 0 offset:300
	s_waitcnt vmcnt(0)
	flat_store_dwordx2 v[75:76], v[0:1]
	s_clause 0x1
	buffer_load_dword v0, off, s[0:3], 0 offset:304
	buffer_load_dword v1, off, s[0:3], 0 offset:308
	s_waitcnt vmcnt(0)
	flat_store_dwordx2 v[77:78], v[0:1]
	s_clause 0x1
	buffer_load_dword v0, off, s[0:3], 0 offset:312
	buffer_load_dword v1, off, s[0:3], 0 offset:316
	s_waitcnt vmcnt(0)
	flat_store_dwordx2 v[79:80], v[0:1]
	s_clause 0x1
	buffer_load_dword v0, off, s[0:3], 0 offset:320
	buffer_load_dword v1, off, s[0:3], 0 offset:324
	s_waitcnt vmcnt(0)
	flat_store_dwordx2 v[81:82], v[0:1]
	s_clause 0x1
	buffer_load_dword v0, off, s[0:3], 0 offset:328
	buffer_load_dword v1, off, s[0:3], 0 offset:332
	s_waitcnt vmcnt(0)
	flat_store_dwordx2 v[83:84], v[0:1]
	s_clause 0x1
	buffer_load_dword v0, off, s[0:3], 0 offset:336
	buffer_load_dword v1, off, s[0:3], 0 offset:340
	s_waitcnt vmcnt(0)
	flat_store_dwordx2 v[85:86], v[0:1]
	s_clause 0x1
	buffer_load_dword v0, off, s[0:3], 0 offset:344
	buffer_load_dword v1, off, s[0:3], 0 offset:348
	s_waitcnt vmcnt(0)
	flat_store_dwordx2 v[87:88], v[0:1]
	s_clause 0x1
	buffer_load_dword v0, off, s[0:3], 0 offset:352
	buffer_load_dword v1, off, s[0:3], 0 offset:356
	s_waitcnt vmcnt(0)
	flat_store_dwordx2 v[89:90], v[0:1]
	s_clause 0x1
	buffer_load_dword v0, off, s[0:3], 0 offset:360
	buffer_load_dword v1, off, s[0:3], 0 offset:364
	s_waitcnt vmcnt(0)
	flat_store_dwordx2 v[91:92], v[0:1]
	s_clause 0x1
	buffer_load_dword v0, off, s[0:3], 0 offset:368
	buffer_load_dword v1, off, s[0:3], 0 offset:372
	s_waitcnt vmcnt(0)
	flat_store_dwordx2 v[93:94], v[0:1]
	s_clause 0x1
	buffer_load_dword v0, off, s[0:3], 0 offset:376
	buffer_load_dword v1, off, s[0:3], 0 offset:380
	s_waitcnt vmcnt(0)
	flat_store_dwordx2 v[95:96], v[0:1]
	s_clause 0x1
	buffer_load_dword v0, off, s[0:3], 0 offset:384
	buffer_load_dword v1, off, s[0:3], 0 offset:388
	s_waitcnt vmcnt(0)
	flat_store_dwordx2 v[97:98], v[0:1]
	s_clause 0x1
	buffer_load_dword v0, off, s[0:3], 0 offset:392
	buffer_load_dword v1, off, s[0:3], 0 offset:396
	s_waitcnt vmcnt(0)
	flat_store_dwordx2 v[99:100], v[0:1]
	s_clause 0x1
	buffer_load_dword v0, off, s[0:3], 0 offset:400
	buffer_load_dword v1, off, s[0:3], 0 offset:404
	s_waitcnt vmcnt(0)
	flat_store_dwordx2 v[101:102], v[0:1]
	s_clause 0x1
	buffer_load_dword v0, off, s[0:3], 0 offset:408
	buffer_load_dword v1, off, s[0:3], 0 offset:412
	s_waitcnt vmcnt(0)
	flat_store_dwordx2 v[103:104], v[0:1]
	s_clause 0x1
	buffer_load_dword v0, off, s[0:3], 0 offset:416
	buffer_load_dword v1, off, s[0:3], 0 offset:420
	s_waitcnt vmcnt(0)
	flat_store_dwordx2 v[105:106], v[0:1]
	s_endpgm
	.section	.rodata,"a",@progbits
	.p2align	6, 0x0
	.amdhsa_kernel _ZN9rocsolver6v33100L18getri_kernel_smallILi53EdPKPdEEvT1_iilPiilS6_bb
		.amdhsa_group_segment_fixed_size 856
		.amdhsa_private_segment_fixed_size 432
		.amdhsa_kernarg_size 60
		.amdhsa_user_sgpr_count 6
		.amdhsa_user_sgpr_private_segment_buffer 1
		.amdhsa_user_sgpr_dispatch_ptr 0
		.amdhsa_user_sgpr_queue_ptr 0
		.amdhsa_user_sgpr_kernarg_segment_ptr 1
		.amdhsa_user_sgpr_dispatch_id 0
		.amdhsa_user_sgpr_flat_scratch_init 0
		.amdhsa_user_sgpr_private_segment_size 0
		.amdhsa_wavefront_size32 1
		.amdhsa_uses_dynamic_stack 0
		.amdhsa_system_sgpr_private_segment_wavefront_offset 1
		.amdhsa_system_sgpr_workgroup_id_x 1
		.amdhsa_system_sgpr_workgroup_id_y 0
		.amdhsa_system_sgpr_workgroup_id_z 0
		.amdhsa_system_sgpr_workgroup_info 0
		.amdhsa_system_vgpr_workitem_id 0
		.amdhsa_next_free_vgpr 154
		.amdhsa_next_free_sgpr 20
		.amdhsa_reserve_vcc 1
		.amdhsa_reserve_flat_scratch 0
		.amdhsa_float_round_mode_32 0
		.amdhsa_float_round_mode_16_64 0
		.amdhsa_float_denorm_mode_32 3
		.amdhsa_float_denorm_mode_16_64 3
		.amdhsa_dx10_clamp 1
		.amdhsa_ieee_mode 1
		.amdhsa_fp16_overflow 0
		.amdhsa_workgroup_processor_mode 1
		.amdhsa_memory_ordered 1
		.amdhsa_forward_progress 1
		.amdhsa_shared_vgpr_count 0
		.amdhsa_exception_fp_ieee_invalid_op 0
		.amdhsa_exception_fp_denorm_src 0
		.amdhsa_exception_fp_ieee_div_zero 0
		.amdhsa_exception_fp_ieee_overflow 0
		.amdhsa_exception_fp_ieee_underflow 0
		.amdhsa_exception_fp_ieee_inexact 0
		.amdhsa_exception_int_div_zero 0
	.end_amdhsa_kernel
	.section	.text._ZN9rocsolver6v33100L18getri_kernel_smallILi53EdPKPdEEvT1_iilPiilS6_bb,"axG",@progbits,_ZN9rocsolver6v33100L18getri_kernel_smallILi53EdPKPdEEvT1_iilPiilS6_bb,comdat
.Lfunc_end116:
	.size	_ZN9rocsolver6v33100L18getri_kernel_smallILi53EdPKPdEEvT1_iilPiilS6_bb, .Lfunc_end116-_ZN9rocsolver6v33100L18getri_kernel_smallILi53EdPKPdEEvT1_iilPiilS6_bb
                                        ; -- End function
	.set _ZN9rocsolver6v33100L18getri_kernel_smallILi53EdPKPdEEvT1_iilPiilS6_bb.num_vgpr, 154
	.set _ZN9rocsolver6v33100L18getri_kernel_smallILi53EdPKPdEEvT1_iilPiilS6_bb.num_agpr, 0
	.set _ZN9rocsolver6v33100L18getri_kernel_smallILi53EdPKPdEEvT1_iilPiilS6_bb.numbered_sgpr, 20
	.set _ZN9rocsolver6v33100L18getri_kernel_smallILi53EdPKPdEEvT1_iilPiilS6_bb.num_named_barrier, 0
	.set _ZN9rocsolver6v33100L18getri_kernel_smallILi53EdPKPdEEvT1_iilPiilS6_bb.private_seg_size, 432
	.set _ZN9rocsolver6v33100L18getri_kernel_smallILi53EdPKPdEEvT1_iilPiilS6_bb.uses_vcc, 1
	.set _ZN9rocsolver6v33100L18getri_kernel_smallILi53EdPKPdEEvT1_iilPiilS6_bb.uses_flat_scratch, 0
	.set _ZN9rocsolver6v33100L18getri_kernel_smallILi53EdPKPdEEvT1_iilPiilS6_bb.has_dyn_sized_stack, 0
	.set _ZN9rocsolver6v33100L18getri_kernel_smallILi53EdPKPdEEvT1_iilPiilS6_bb.has_recursion, 0
	.set _ZN9rocsolver6v33100L18getri_kernel_smallILi53EdPKPdEEvT1_iilPiilS6_bb.has_indirect_call, 0
	.section	.AMDGPU.csdata,"",@progbits
; Kernel info:
; codeLenInByte = 74976
; TotalNumSgprs: 22
; NumVgprs: 154
; ScratchSize: 432
; MemoryBound: 1
; FloatMode: 240
; IeeeMode: 1
; LDSByteSize: 856 bytes/workgroup (compile time only)
; SGPRBlocks: 0
; VGPRBlocks: 19
; NumSGPRsForWavesPerEU: 22
; NumVGPRsForWavesPerEU: 154
; Occupancy: 6
; WaveLimiterHint : 1
; COMPUTE_PGM_RSRC2:SCRATCH_EN: 1
; COMPUTE_PGM_RSRC2:USER_SGPR: 6
; COMPUTE_PGM_RSRC2:TRAP_HANDLER: 0
; COMPUTE_PGM_RSRC2:TGID_X_EN: 1
; COMPUTE_PGM_RSRC2:TGID_Y_EN: 0
; COMPUTE_PGM_RSRC2:TGID_Z_EN: 0
; COMPUTE_PGM_RSRC2:TIDIG_COMP_CNT: 0
	.section	.text._ZN9rocsolver6v33100L18getri_kernel_smallILi54EdPKPdEEvT1_iilPiilS6_bb,"axG",@progbits,_ZN9rocsolver6v33100L18getri_kernel_smallILi54EdPKPdEEvT1_iilPiilS6_bb,comdat
	.globl	_ZN9rocsolver6v33100L18getri_kernel_smallILi54EdPKPdEEvT1_iilPiilS6_bb ; -- Begin function _ZN9rocsolver6v33100L18getri_kernel_smallILi54EdPKPdEEvT1_iilPiilS6_bb
	.p2align	8
	.type	_ZN9rocsolver6v33100L18getri_kernel_smallILi54EdPKPdEEvT1_iilPiilS6_bb,@function
_ZN9rocsolver6v33100L18getri_kernel_smallILi54EdPKPdEEvT1_iilPiilS6_bb: ; @_ZN9rocsolver6v33100L18getri_kernel_smallILi54EdPKPdEEvT1_iilPiilS6_bb
; %bb.0:
	s_add_u32 s0, s0, s7
	s_addc_u32 s1, s1, 0
	s_mov_b32 s7, exec_lo
	v_cmpx_gt_u32_e32 54, v0
	s_cbranch_execz .LBB117_226
; %bb.1:
	s_clause 0x2
	s_load_dword s17, s[4:5], 0x38
	s_load_dwordx2 s[12:13], s[4:5], 0x0
	s_load_dwordx4 s[8:11], s[4:5], 0x28
	s_waitcnt lgkmcnt(0)
	s_bitcmp1_b32 s17, 8
	s_cselect_b32 s16, -1, 0
	s_ashr_i32 s7, s6, 31
	s_lshl_b64 s[14:15], s[6:7], 3
	s_add_u32 s12, s12, s14
	s_addc_u32 s13, s13, s15
	s_load_dwordx2 s[14:15], s[12:13], 0x0
	s_bfe_u32 s12, s17, 0x10008
	s_cmp_eq_u32 s12, 0
                                        ; implicit-def: $sgpr12_sgpr13
	s_cbranch_scc1 .LBB117_3
; %bb.2:
	s_clause 0x1
	s_load_dword s12, s[4:5], 0x20
	s_load_dwordx2 s[18:19], s[4:5], 0x18
	s_mul_i32 s13, s8, s7
	s_mul_hi_u32 s17, s8, s6
	s_mul_i32 s9, s9, s6
	s_add_i32 s13, s17, s13
	s_mul_i32 s8, s8, s6
	s_add_i32 s9, s13, s9
	s_lshl_b64 s[8:9], s[8:9], 2
	s_waitcnt lgkmcnt(0)
	s_ashr_i32 s13, s12, 31
	s_add_u32 s17, s18, s8
	s_addc_u32 s18, s19, s9
	s_lshl_b64 s[8:9], s[12:13], 2
	s_add_u32 s12, s17, s8
	s_addc_u32 s13, s18, s9
.LBB117_3:
	s_clause 0x1
	s_load_dwordx2 s[8:9], s[4:5], 0x8
	s_load_dword s17, s[4:5], 0x38
	v_lshlrev_b32_e32 v111, 3, v0
	s_waitcnt lgkmcnt(0)
	s_ashr_i32 s5, s8, 31
	s_mov_b32 s4, s8
	v_add3_u32 v9, s9, s9, v0
	s_lshl_b64 s[4:5], s[4:5], 3
	s_add_u32 s4, s14, s4
	s_addc_u32 s5, s15, s5
	v_add_co_u32 v1, s8, s4, v111
	v_add_co_ci_u32_e64 v2, null, s5, 0, s8
	s_mov_b32 s14, s9
	s_ashr_i32 s15, s9, 31
	v_ashrrev_i32_e32 v10, 31, v9
	flat_load_dwordx2 v[5:6], v[1:2]
	s_lshl_b64 s[14:15], s[14:15], 3
	v_add_nc_u32_e32 v12, s9, v9
	v_add_co_u32 v3, vcc_lo, v1, s14
	v_add_co_ci_u32_e64 v4, null, s15, v2, vcc_lo
	v_ashrrev_i32_e32 v13, 31, v12
	s_bitcmp0_b32 s17, 0
	s_waitcnt vmcnt(0) lgkmcnt(0)
	buffer_store_dword v6, off, s[0:3], 0 offset:4
	buffer_store_dword v5, off, s[0:3], 0
	flat_load_dwordx2 v[7:8], v[3:4]
	v_lshlrev_b64 v[5:6], 3, v[9:10]
	s_waitcnt vmcnt(0) lgkmcnt(0)
	buffer_store_dword v8, off, s[0:3], 0 offset:12
	buffer_store_dword v7, off, s[0:3], 0 offset:8
	v_add_co_u32 v5, vcc_lo, s4, v5
	v_add_co_ci_u32_e64 v6, null, s5, v6, vcc_lo
	v_lshlrev_b64 v[7:8], 3, v[12:13]
	flat_load_dwordx2 v[10:11], v[5:6]
	s_waitcnt vmcnt(0) lgkmcnt(0)
	buffer_store_dword v11, off, s[0:3], 0 offset:20
	buffer_store_dword v10, off, s[0:3], 0 offset:16
	v_add_co_u32 v7, vcc_lo, s4, v7
	v_add_co_ci_u32_e64 v8, null, s5, v8, vcc_lo
	v_add_nc_u32_e32 v11, s9, v12
	flat_load_dwordx2 v[13:14], v[7:8]
	s_waitcnt vmcnt(0) lgkmcnt(0)
	buffer_store_dword v14, off, s[0:3], 0 offset:28
	buffer_store_dword v13, off, s[0:3], 0 offset:24
	v_ashrrev_i32_e32 v12, 31, v11
	v_add_nc_u32_e32 v15, s9, v11
	v_lshlrev_b64 v[9:10], 3, v[11:12]
	v_ashrrev_i32_e32 v16, 31, v15
	v_add_nc_u32_e32 v18, s9, v15
	v_add_co_u32 v9, vcc_lo, s4, v9
	v_add_co_ci_u32_e64 v10, null, s5, v10, vcc_lo
	v_lshlrev_b64 v[11:12], 3, v[15:16]
	v_ashrrev_i32_e32 v19, 31, v18
	flat_load_dwordx2 v[13:14], v[9:10]
	s_waitcnt vmcnt(0) lgkmcnt(0)
	buffer_store_dword v14, off, s[0:3], 0 offset:36
	buffer_store_dword v13, off, s[0:3], 0 offset:32
	v_add_co_u32 v11, vcc_lo, s4, v11
	v_add_co_ci_u32_e64 v12, null, s5, v12, vcc_lo
	v_lshlrev_b64 v[13:14], 3, v[18:19]
	flat_load_dwordx2 v[16:17], v[11:12]
	s_waitcnt vmcnt(0) lgkmcnt(0)
	buffer_store_dword v17, off, s[0:3], 0 offset:44
	buffer_store_dword v16, off, s[0:3], 0 offset:40
	v_add_co_u32 v13, vcc_lo, s4, v13
	v_add_co_ci_u32_e64 v14, null, s5, v14, vcc_lo
	v_add_nc_u32_e32 v17, s9, v18
	flat_load_dwordx2 v[19:20], v[13:14]
	s_waitcnt vmcnt(0) lgkmcnt(0)
	buffer_store_dword v20, off, s[0:3], 0 offset:52
	buffer_store_dword v19, off, s[0:3], 0 offset:48
	v_ashrrev_i32_e32 v18, 31, v17
	v_add_nc_u32_e32 v21, s9, v17
	v_lshlrev_b64 v[15:16], 3, v[17:18]
	v_ashrrev_i32_e32 v22, 31, v21
	v_add_nc_u32_e32 v24, s9, v21
	v_add_co_u32 v15, vcc_lo, s4, v15
	v_add_co_ci_u32_e64 v16, null, s5, v16, vcc_lo
	v_lshlrev_b64 v[17:18], 3, v[21:22]
	v_ashrrev_i32_e32 v25, 31, v24
	flat_load_dwordx2 v[19:20], v[15:16]
	;; [unrolled: 27-line block ×16, first 2 shown]
	s_waitcnt vmcnt(0) lgkmcnt(0)
	buffer_store_dword v104, off, s[0:3], 0 offset:396
	buffer_store_dword v103, off, s[0:3], 0 offset:392
	v_add_co_u32 v101, vcc_lo, s4, v101
	v_add_co_ci_u32_e64 v102, null, s5, v102, vcc_lo
	v_lshlrev_b64 v[103:104], 3, v[108:109]
	flat_load_dwordx2 v[106:107], v[101:102]
	s_waitcnt vmcnt(0) lgkmcnt(0)
	buffer_store_dword v107, off, s[0:3], 0 offset:404
	buffer_store_dword v106, off, s[0:3], 0 offset:400
	v_add_co_u32 v103, vcc_lo, s4, v103
	v_add_co_ci_u32_e64 v104, null, s5, v104, vcc_lo
	v_add_nc_u32_e32 v107, s9, v108
	flat_load_dwordx2 v[109:110], v[103:104]
	s_waitcnt vmcnt(0) lgkmcnt(0)
	buffer_store_dword v110, off, s[0:3], 0 offset:412
	buffer_store_dword v109, off, s[0:3], 0 offset:408
	v_ashrrev_i32_e32 v108, 31, v107
	v_lshlrev_b64 v[105:106], 3, v[107:108]
	v_add_nc_u32_e32 v107, s9, v107
	v_add_co_u32 v105, vcc_lo, s4, v105
	v_add_co_ci_u32_e64 v106, null, s5, v106, vcc_lo
	v_ashrrev_i32_e32 v108, 31, v107
	flat_load_dwordx2 v[109:110], v[105:106]
	s_waitcnt vmcnt(0) lgkmcnt(0)
	buffer_store_dword v110, off, s[0:3], 0 offset:420
	buffer_store_dword v109, off, s[0:3], 0 offset:416
	v_lshlrev_b64 v[107:108], 3, v[107:108]
	v_add_co_u32 v107, vcc_lo, s4, v107
	v_add_co_ci_u32_e64 v108, null, s5, v108, vcc_lo
	s_mov_b32 s5, -1
	flat_load_dwordx2 v[109:110], v[107:108]
	s_waitcnt vmcnt(0) lgkmcnt(0)
	buffer_store_dword v110, off, s[0:3], 0 offset:428
	buffer_store_dword v109, off, s[0:3], 0 offset:424
	s_cbranch_scc1 .LBB117_224
; %bb.4:
	v_cmp_eq_u32_e64 s4, 0, v0
	s_and_saveexec_b32 s5, s4
; %bb.5:
	v_mov_b32_e32 v109, 0
	ds_write_b32 v109, v109 offset:864
; %bb.6:
	s_or_b32 exec_lo, exec_lo, s5
	v_lshl_add_u32 v109, v0, 3, 0
	s_waitcnt lgkmcnt(0)
	s_waitcnt_vscnt null, 0x0
	s_barrier
	buffer_gl0_inv
	s_mov_b32 s8, exec_lo
	s_clause 0x1
	buffer_load_dword v112, v109, s[0:3], 0 offen
	buffer_load_dword v113, v109, s[0:3], 0 offen offset:4
	s_waitcnt vmcnt(0)
	v_cmpx_eq_f64_e32 0, v[112:113]
	s_cbranch_execz .LBB117_10
; %bb.7:
	v_mov_b32_e32 v110, 0
	s_mov_b32 s9, 0
	ds_read_b32 v112, v110 offset:864
	s_waitcnt lgkmcnt(0)
	v_readfirstlane_b32 s5, v112
	v_add_nc_u32_e32 v112, 1, v0
	s_cmp_eq_u32 s5, 0
	v_cmp_gt_i32_e32 vcc_lo, s5, v112
	s_cselect_b32 s14, -1, 0
	s_or_b32 s14, s14, vcc_lo
	s_and_b32 exec_lo, exec_lo, s14
	s_cbranch_execz .LBB117_10
; %bb.8:
	v_mov_b32_e32 v113, s5
.LBB117_9:                              ; =>This Inner Loop Header: Depth=1
	ds_cmpst_rtn_b32 v113, v110, v113, v112 offset:864
	s_waitcnt lgkmcnt(0)
	v_cmp_ne_u32_e32 vcc_lo, 0, v113
	v_cmp_le_i32_e64 s5, v113, v112
	s_and_b32 s5, vcc_lo, s5
	s_and_b32 s5, exec_lo, s5
	s_or_b32 s9, s5, s9
	s_andn2_b32 exec_lo, exec_lo, s9
	s_cbranch_execnz .LBB117_9
.LBB117_10:
	s_or_b32 exec_lo, exec_lo, s8
	v_mov_b32_e32 v110, 0
	s_barrier
	buffer_gl0_inv
	ds_read_b32 v112, v110 offset:864
	s_and_saveexec_b32 s5, s4
	s_cbranch_execz .LBB117_12
; %bb.11:
	s_lshl_b64 s[8:9], s[6:7], 2
	s_add_u32 s8, s10, s8
	s_addc_u32 s9, s11, s9
	s_waitcnt lgkmcnt(0)
	global_store_dword v110, v112, s[8:9]
.LBB117_12:
	s_or_b32 exec_lo, exec_lo, s5
	s_waitcnt lgkmcnt(0)
	v_cmp_ne_u32_e32 vcc_lo, 0, v112
	s_mov_b32 s5, 0
	s_cbranch_vccnz .LBB117_224
; %bb.13:
	s_clause 0x1
	buffer_load_dword v112, v109, s[0:3], 0 offen
	buffer_load_dword v113, v109, s[0:3], 0 offen offset:4
	s_waitcnt vmcnt(0)
	v_div_scale_f64 v[114:115], null, v[112:113], v[112:113], 1.0
	v_div_scale_f64 v[120:121], vcc_lo, 1.0, v[112:113], 1.0
	v_rcp_f64_e32 v[116:117], v[114:115]
	v_fma_f64 v[118:119], -v[114:115], v[116:117], 1.0
	v_fma_f64 v[116:117], v[116:117], v[118:119], v[116:117]
	v_fma_f64 v[118:119], -v[114:115], v[116:117], 1.0
	v_fma_f64 v[116:117], v[116:117], v[118:119], v[116:117]
	v_mul_f64 v[118:119], v[120:121], v[116:117]
	v_fma_f64 v[114:115], -v[114:115], v[118:119], v[120:121]
	v_div_fmas_f64 v[114:115], v[114:115], v[116:117], v[118:119]
	v_div_fixup_f64 v[113:114], v[114:115], v[112:113], 1.0
	v_add_nc_u32_e32 v112, 0x1b0, v111
	buffer_store_dword v114, v109, s[0:3], 0 offen offset:4
	buffer_store_dword v113, v109, s[0:3], 0 offen
	s_clause 0x1
	buffer_load_dword v116, off, s[0:3], 0 offset:12
	buffer_load_dword v115, off, s[0:3], 0 offset:8
	v_xor_b32_e32 v114, 0x80000000, v114
	s_waitcnt vmcnt(0)
	ds_write2_b64 v111, v[113:114], v[115:116] offset1:54
	s_waitcnt lgkmcnt(0)
	s_waitcnt_vscnt null, 0x0
	s_barrier
	buffer_gl0_inv
	s_and_saveexec_b32 s5, s4
	s_cbranch_execz .LBB117_15
; %bb.14:
	s_clause 0x1
	buffer_load_dword v113, v109, s[0:3], 0 offen
	buffer_load_dword v114, v109, s[0:3], 0 offen offset:4
	ds_read_b64 v[115:116], v112
	v_mov_b32_e32 v110, 0
	ds_read_b64 v[117:118], v110 offset:8
	s_waitcnt vmcnt(0) lgkmcnt(1)
	v_fma_f64 v[113:114], v[113:114], v[115:116], 0
	s_waitcnt lgkmcnt(0)
	v_mul_f64 v[113:114], v[113:114], v[117:118]
	buffer_store_dword v113, off, s[0:3], 0 offset:8
	buffer_store_dword v114, off, s[0:3], 0 offset:12
.LBB117_15:
	s_or_b32 exec_lo, exec_lo, s5
	s_waitcnt_vscnt null, 0x0
	s_barrier
	buffer_gl0_inv
	s_clause 0x1
	buffer_load_dword v113, off, s[0:3], 0 offset:16
	buffer_load_dword v114, off, s[0:3], 0 offset:20
	s_mov_b32 s5, exec_lo
	s_waitcnt vmcnt(0)
	ds_write_b64 v112, v[113:114]
	s_waitcnt lgkmcnt(0)
	s_barrier
	buffer_gl0_inv
	v_cmpx_gt_u32_e32 2, v0
	s_cbranch_execz .LBB117_19
; %bb.16:
	s_clause 0x1
	buffer_load_dword v113, v109, s[0:3], 0 offen
	buffer_load_dword v114, v109, s[0:3], 0 offen offset:4
	ds_read_b64 v[109:110], v112
	s_waitcnt vmcnt(0) lgkmcnt(0)
	v_fma_f64 v[109:110], v[113:114], v[109:110], 0
	s_and_saveexec_b32 s8, s4
	s_cbranch_execz .LBB117_18
; %bb.17:
	s_clause 0x1
	buffer_load_dword v113, off, s[0:3], 0 offset:8
	buffer_load_dword v114, off, s[0:3], 0 offset:12
	v_mov_b32_e32 v115, 0
	ds_read_b64 v[115:116], v115 offset:440
	s_waitcnt vmcnt(0) lgkmcnt(0)
	v_fma_f64 v[109:110], v[113:114], v[115:116], v[109:110]
.LBB117_18:
	s_or_b32 exec_lo, exec_lo, s8
	v_mov_b32_e32 v113, 0
	ds_read_b64 v[113:114], v113 offset:16
	s_waitcnt lgkmcnt(0)
	v_mul_f64 v[109:110], v[109:110], v[113:114]
	buffer_store_dword v110, off, s[0:3], 0 offset:20
	buffer_store_dword v109, off, s[0:3], 0 offset:16
.LBB117_19:
	s_or_b32 exec_lo, exec_lo, s5
	s_waitcnt_vscnt null, 0x0
	s_barrier
	buffer_gl0_inv
	s_clause 0x1
	buffer_load_dword v109, off, s[0:3], 0 offset:24
	buffer_load_dword v110, off, s[0:3], 0 offset:28
	v_add_nc_u32_e32 v113, -1, v0
	s_mov_b32 s4, exec_lo
	s_waitcnt vmcnt(0)
	ds_write_b64 v112, v[109:110]
	s_waitcnt lgkmcnt(0)
	s_barrier
	buffer_gl0_inv
	v_cmpx_gt_u32_e32 3, v0
	s_cbranch_execz .LBB117_23
; %bb.20:
	v_mov_b32_e32 v109, 0
	v_add_nc_u32_e32 v114, -1, v0
	v_add_nc_u32_e32 v115, 0x1b0, v111
	v_mov_b32_e32 v110, 0
	v_mov_b32_e32 v116, v111
	s_mov_b32 s5, 0
.LBB117_21:                             ; =>This Inner Loop Header: Depth=1
	s_clause 0x1
	buffer_load_dword v117, v116, s[0:3], 0 offen
	buffer_load_dword v118, v116, s[0:3], 0 offen offset:4
	ds_read_b64 v[119:120], v115
	v_add_nc_u32_e32 v114, 1, v114
	v_add_nc_u32_e32 v115, 8, v115
	v_add_nc_u32_e32 v116, 8, v116
	v_cmp_lt_u32_e32 vcc_lo, 1, v114
	s_or_b32 s5, vcc_lo, s5
	s_waitcnt vmcnt(0) lgkmcnt(0)
	v_fma_f64 v[109:110], v[117:118], v[119:120], v[109:110]
	s_andn2_b32 exec_lo, exec_lo, s5
	s_cbranch_execnz .LBB117_21
; %bb.22:
	s_or_b32 exec_lo, exec_lo, s5
	v_mov_b32_e32 v114, 0
	ds_read_b64 v[114:115], v114 offset:24
	s_waitcnt lgkmcnt(0)
	v_mul_f64 v[109:110], v[109:110], v[114:115]
	buffer_store_dword v110, off, s[0:3], 0 offset:28
	buffer_store_dword v109, off, s[0:3], 0 offset:24
.LBB117_23:
	s_or_b32 exec_lo, exec_lo, s4
	s_waitcnt_vscnt null, 0x0
	s_barrier
	buffer_gl0_inv
	s_clause 0x1
	buffer_load_dword v109, off, s[0:3], 0 offset:32
	buffer_load_dword v110, off, s[0:3], 0 offset:36
	s_mov_b32 s4, exec_lo
	s_waitcnt vmcnt(0)
	ds_write_b64 v112, v[109:110]
	s_waitcnt lgkmcnt(0)
	s_barrier
	buffer_gl0_inv
	v_cmpx_gt_u32_e32 4, v0
	s_cbranch_execz .LBB117_27
; %bb.24:
	v_mov_b32_e32 v109, 0
	v_add_nc_u32_e32 v114, -1, v0
	v_add_nc_u32_e32 v115, 0x1b0, v111
	v_mov_b32_e32 v110, 0
	v_mov_b32_e32 v116, v111
	s_mov_b32 s5, 0
.LBB117_25:                             ; =>This Inner Loop Header: Depth=1
	s_clause 0x1
	buffer_load_dword v117, v116, s[0:3], 0 offen
	buffer_load_dword v118, v116, s[0:3], 0 offen offset:4
	ds_read_b64 v[119:120], v115
	v_add_nc_u32_e32 v114, 1, v114
	v_add_nc_u32_e32 v115, 8, v115
	v_add_nc_u32_e32 v116, 8, v116
	v_cmp_lt_u32_e32 vcc_lo, 2, v114
	s_or_b32 s5, vcc_lo, s5
	s_waitcnt vmcnt(0) lgkmcnt(0)
	v_fma_f64 v[109:110], v[117:118], v[119:120], v[109:110]
	s_andn2_b32 exec_lo, exec_lo, s5
	s_cbranch_execnz .LBB117_25
; %bb.26:
	s_or_b32 exec_lo, exec_lo, s5
	v_mov_b32_e32 v114, 0
	ds_read_b64 v[114:115], v114 offset:32
	s_waitcnt lgkmcnt(0)
	v_mul_f64 v[109:110], v[109:110], v[114:115]
	buffer_store_dword v110, off, s[0:3], 0 offset:36
	buffer_store_dword v109, off, s[0:3], 0 offset:32
.LBB117_27:
	s_or_b32 exec_lo, exec_lo, s4
	s_waitcnt_vscnt null, 0x0
	s_barrier
	buffer_gl0_inv
	s_clause 0x1
	buffer_load_dword v109, off, s[0:3], 0 offset:40
	buffer_load_dword v110, off, s[0:3], 0 offset:44
	;; [unrolled: 45-line block ×20, first 2 shown]
	s_mov_b32 s4, exec_lo
	s_waitcnt vmcnt(0)
	ds_write_b64 v112, v[109:110]
	s_waitcnt lgkmcnt(0)
	s_barrier
	buffer_gl0_inv
	v_cmpx_gt_u32_e32 23, v0
	s_cbranch_execz .LBB117_103
; %bb.100:
	v_mov_b32_e32 v109, 0
	v_add_nc_u32_e32 v114, -1, v0
	v_add_nc_u32_e32 v115, 0x1b0, v111
	v_mov_b32_e32 v110, 0
	v_mov_b32_e32 v116, v111
	s_mov_b32 s5, 0
.LBB117_101:                            ; =>This Inner Loop Header: Depth=1
	s_clause 0x1
	buffer_load_dword v117, v116, s[0:3], 0 offen
	buffer_load_dword v118, v116, s[0:3], 0 offen offset:4
	ds_read_b64 v[119:120], v115
	v_add_nc_u32_e32 v114, 1, v114
	v_add_nc_u32_e32 v115, 8, v115
	v_add_nc_u32_e32 v116, 8, v116
	v_cmp_lt_u32_e32 vcc_lo, 21, v114
	s_or_b32 s5, vcc_lo, s5
	s_waitcnt vmcnt(0) lgkmcnt(0)
	v_fma_f64 v[109:110], v[117:118], v[119:120], v[109:110]
	s_andn2_b32 exec_lo, exec_lo, s5
	s_cbranch_execnz .LBB117_101
; %bb.102:
	s_or_b32 exec_lo, exec_lo, s5
	v_mov_b32_e32 v114, 0
	ds_read_b64 v[114:115], v114 offset:184
	s_waitcnt lgkmcnt(0)
	v_mul_f64 v[109:110], v[109:110], v[114:115]
	buffer_store_dword v110, off, s[0:3], 0 offset:188
	buffer_store_dword v109, off, s[0:3], 0 offset:184
.LBB117_103:
	s_or_b32 exec_lo, exec_lo, s4
	s_waitcnt_vscnt null, 0x0
	s_barrier
	buffer_gl0_inv
	s_clause 0x1
	buffer_load_dword v109, off, s[0:3], 0 offset:192
	buffer_load_dword v110, off, s[0:3], 0 offset:196
	s_mov_b32 s4, exec_lo
	s_waitcnt vmcnt(0)
	ds_write_b64 v112, v[109:110]
	s_waitcnt lgkmcnt(0)
	s_barrier
	buffer_gl0_inv
	v_cmpx_gt_u32_e32 24, v0
	s_cbranch_execz .LBB117_107
; %bb.104:
	v_mov_b32_e32 v109, 0
	v_add_nc_u32_e32 v114, -1, v0
	v_add_nc_u32_e32 v115, 0x1b0, v111
	v_mov_b32_e32 v110, 0
	v_mov_b32_e32 v116, v111
	s_mov_b32 s5, 0
.LBB117_105:                            ; =>This Inner Loop Header: Depth=1
	s_clause 0x1
	buffer_load_dword v117, v116, s[0:3], 0 offen
	buffer_load_dword v118, v116, s[0:3], 0 offen offset:4
	ds_read_b64 v[119:120], v115
	v_add_nc_u32_e32 v114, 1, v114
	v_add_nc_u32_e32 v115, 8, v115
	v_add_nc_u32_e32 v116, 8, v116
	v_cmp_lt_u32_e32 vcc_lo, 22, v114
	s_or_b32 s5, vcc_lo, s5
	s_waitcnt vmcnt(0) lgkmcnt(0)
	v_fma_f64 v[109:110], v[117:118], v[119:120], v[109:110]
	s_andn2_b32 exec_lo, exec_lo, s5
	s_cbranch_execnz .LBB117_105
; %bb.106:
	s_or_b32 exec_lo, exec_lo, s5
	v_mov_b32_e32 v114, 0
	ds_read_b64 v[114:115], v114 offset:192
	s_waitcnt lgkmcnt(0)
	v_mul_f64 v[109:110], v[109:110], v[114:115]
	buffer_store_dword v110, off, s[0:3], 0 offset:196
	buffer_store_dword v109, off, s[0:3], 0 offset:192
.LBB117_107:
	s_or_b32 exec_lo, exec_lo, s4
	s_waitcnt_vscnt null, 0x0
	s_barrier
	buffer_gl0_inv
	s_clause 0x1
	buffer_load_dword v109, off, s[0:3], 0 offset:200
	buffer_load_dword v110, off, s[0:3], 0 offset:204
	;; [unrolled: 45-line block ×30, first 2 shown]
	s_mov_b32 s4, exec_lo
	s_waitcnt vmcnt(0)
	ds_write_b64 v112, v[109:110]
	s_waitcnt lgkmcnt(0)
	s_barrier
	buffer_gl0_inv
	v_cmpx_ne_u32_e32 53, v0
	s_cbranch_execz .LBB117_223
; %bb.220:
	v_mov_b32_e32 v109, 0
	v_mov_b32_e32 v110, 0
	s_mov_b32 s5, 0
.LBB117_221:                            ; =>This Inner Loop Header: Depth=1
	s_clause 0x1
	buffer_load_dword v114, v111, s[0:3], 0 offen
	buffer_load_dword v115, v111, s[0:3], 0 offen offset:4
	ds_read_b64 v[116:117], v112
	v_add_nc_u32_e32 v113, 1, v113
	v_add_nc_u32_e32 v112, 8, v112
	;; [unrolled: 1-line block ×3, first 2 shown]
	v_cmp_lt_u32_e32 vcc_lo, 51, v113
	s_or_b32 s5, vcc_lo, s5
	s_waitcnt vmcnt(0) lgkmcnt(0)
	v_fma_f64 v[109:110], v[114:115], v[116:117], v[109:110]
	s_andn2_b32 exec_lo, exec_lo, s5
	s_cbranch_execnz .LBB117_221
; %bb.222:
	s_or_b32 exec_lo, exec_lo, s5
	v_mov_b32_e32 v111, 0
	ds_read_b64 v[111:112], v111 offset:424
	s_waitcnt lgkmcnt(0)
	v_mul_f64 v[109:110], v[109:110], v[111:112]
	buffer_store_dword v110, off, s[0:3], 0 offset:428
	buffer_store_dword v109, off, s[0:3], 0 offset:424
.LBB117_223:
	s_or_b32 exec_lo, exec_lo, s4
	s_mov_b32 s5, -1
	s_waitcnt_vscnt null, 0x0
	s_barrier
	buffer_gl0_inv
.LBB117_224:
	s_and_b32 vcc_lo, exec_lo, s5
	s_cbranch_vccz .LBB117_226
; %bb.225:
	s_lshl_b64 s[4:5], s[6:7], 2
	v_mov_b32_e32 v109, 0
	s_add_u32 s4, s10, s4
	s_addc_u32 s5, s11, s5
	global_load_dword v109, v109, s[4:5]
	s_waitcnt vmcnt(0)
	v_cmp_ne_u32_e32 vcc_lo, 0, v109
	s_cbranch_vccz .LBB117_227
.LBB117_226:
	s_endpgm
.LBB117_227:
	v_lshl_add_u32 v109, v0, 3, 0x1b0
	s_mov_b32 s4, exec_lo
	v_cmpx_eq_u32_e32 53, v0
	s_cbranch_execz .LBB117_229
; %bb.228:
	s_clause 0x1
	buffer_load_dword v110, off, s[0:3], 0 offset:416
	buffer_load_dword v111, off, s[0:3], 0 offset:420
	v_mov_b32_e32 v112, 0
	buffer_store_dword v112, off, s[0:3], 0 offset:416
	buffer_store_dword v112, off, s[0:3], 0 offset:420
	s_waitcnt vmcnt(0)
	ds_write_b64 v109, v[110:111]
.LBB117_229:
	s_or_b32 exec_lo, exec_lo, s4
	s_waitcnt lgkmcnt(0)
	s_waitcnt_vscnt null, 0x0
	s_barrier
	buffer_gl0_inv
	s_clause 0x3
	buffer_load_dword v111, off, s[0:3], 0 offset:424
	buffer_load_dword v112, off, s[0:3], 0 offset:428
	;; [unrolled: 1-line block ×4, first 2 shown]
	v_mov_b32_e32 v110, 0
	s_mov_b32 s4, exec_lo
	ds_read_b64 v[115:116], v110 offset:856
	s_waitcnt vmcnt(2) lgkmcnt(0)
	v_fma_f64 v[111:112], v[111:112], v[115:116], 0
	s_waitcnt vmcnt(0)
	v_add_f64 v[111:112], v[113:114], -v[111:112]
	buffer_store_dword v111, off, s[0:3], 0 offset:416
	buffer_store_dword v112, off, s[0:3], 0 offset:420
	v_cmpx_lt_u32_e32 51, v0
	s_cbranch_execz .LBB117_231
; %bb.230:
	s_clause 0x1
	buffer_load_dword v111, off, s[0:3], 0 offset:408
	buffer_load_dword v112, off, s[0:3], 0 offset:412
	buffer_store_dword v110, off, s[0:3], 0 offset:408
	buffer_store_dword v110, off, s[0:3], 0 offset:412
	s_waitcnt vmcnt(0)
	ds_write_b64 v109, v[111:112]
.LBB117_231:
	s_or_b32 exec_lo, exec_lo, s4
	s_waitcnt lgkmcnt(0)
	s_waitcnt_vscnt null, 0x0
	s_barrier
	buffer_gl0_inv
	s_clause 0x5
	buffer_load_dword v114, off, s[0:3], 0 offset:416
	buffer_load_dword v115, off, s[0:3], 0 offset:420
	;; [unrolled: 1-line block ×6, first 2 shown]
	ds_read_b128 v[110:113], v110 offset:848
	s_mov_b32 s4, exec_lo
	s_waitcnt vmcnt(4) lgkmcnt(0)
	v_fma_f64 v[110:111], v[114:115], v[110:111], 0
	s_waitcnt vmcnt(2)
	v_fma_f64 v[110:111], v[116:117], v[112:113], v[110:111]
	s_waitcnt vmcnt(0)
	v_add_f64 v[110:111], v[118:119], -v[110:111]
	buffer_store_dword v110, off, s[0:3], 0 offset:408
	buffer_store_dword v111, off, s[0:3], 0 offset:412
	v_cmpx_lt_u32_e32 50, v0
	s_cbranch_execz .LBB117_233
; %bb.232:
	s_clause 0x1
	buffer_load_dword v110, off, s[0:3], 0 offset:400
	buffer_load_dword v111, off, s[0:3], 0 offset:404
	v_mov_b32_e32 v112, 0
	buffer_store_dword v112, off, s[0:3], 0 offset:400
	buffer_store_dword v112, off, s[0:3], 0 offset:404
	s_waitcnt vmcnt(0)
	ds_write_b64 v109, v[110:111]
.LBB117_233:
	s_or_b32 exec_lo, exec_lo, s4
	s_waitcnt lgkmcnt(0)
	s_waitcnt_vscnt null, 0x0
	s_barrier
	buffer_gl0_inv
	s_clause 0x7
	buffer_load_dword v115, off, s[0:3], 0 offset:408
	buffer_load_dword v116, off, s[0:3], 0 offset:412
	;; [unrolled: 1-line block ×8, first 2 shown]
	v_mov_b32_e32 v110, 0
	ds_read2_b64 v[111:114], v110 offset0:105 offset1:106
	ds_read_b64 v[123:124], v110 offset:856
	s_mov_b32 s4, exec_lo
	s_waitcnt vmcnt(6) lgkmcnt(1)
	v_fma_f64 v[111:112], v[115:116], v[111:112], 0
	s_waitcnt vmcnt(4)
	v_fma_f64 v[111:112], v[117:118], v[113:114], v[111:112]
	s_waitcnt vmcnt(2) lgkmcnt(0)
	v_fma_f64 v[111:112], v[119:120], v[123:124], v[111:112]
	s_waitcnt vmcnt(0)
	v_add_f64 v[111:112], v[121:122], -v[111:112]
	buffer_store_dword v111, off, s[0:3], 0 offset:400
	buffer_store_dword v112, off, s[0:3], 0 offset:404
	v_cmpx_lt_u32_e32 49, v0
	s_cbranch_execz .LBB117_235
; %bb.234:
	s_clause 0x1
	buffer_load_dword v111, off, s[0:3], 0 offset:392
	buffer_load_dword v112, off, s[0:3], 0 offset:396
	buffer_store_dword v110, off, s[0:3], 0 offset:392
	buffer_store_dword v110, off, s[0:3], 0 offset:396
	s_waitcnt vmcnt(0)
	ds_write_b64 v109, v[111:112]
.LBB117_235:
	s_or_b32 exec_lo, exec_lo, s4
	s_waitcnt lgkmcnt(0)
	s_waitcnt_vscnt null, 0x0
	s_barrier
	buffer_gl0_inv
	s_clause 0x9
	buffer_load_dword v119, off, s[0:3], 0 offset:400
	buffer_load_dword v120, off, s[0:3], 0 offset:404
	;; [unrolled: 1-line block ×10, first 2 shown]
	ds_read_b128 v[111:114], v110 offset:832
	ds_read_b128 v[115:118], v110 offset:848
	s_mov_b32 s4, exec_lo
	s_waitcnt vmcnt(8) lgkmcnt(1)
	v_fma_f64 v[110:111], v[119:120], v[111:112], 0
	s_waitcnt vmcnt(6)
	v_fma_f64 v[110:111], v[121:122], v[113:114], v[110:111]
	s_waitcnt vmcnt(4) lgkmcnt(0)
	v_fma_f64 v[110:111], v[123:124], v[115:116], v[110:111]
	s_waitcnt vmcnt(2)
	v_fma_f64 v[110:111], v[125:126], v[117:118], v[110:111]
	s_waitcnt vmcnt(0)
	v_add_f64 v[110:111], v[127:128], -v[110:111]
	buffer_store_dword v110, off, s[0:3], 0 offset:392
	buffer_store_dword v111, off, s[0:3], 0 offset:396
	v_cmpx_lt_u32_e32 48, v0
	s_cbranch_execz .LBB117_237
; %bb.236:
	s_clause 0x1
	buffer_load_dword v110, off, s[0:3], 0 offset:384
	buffer_load_dword v111, off, s[0:3], 0 offset:388
	v_mov_b32_e32 v112, 0
	buffer_store_dword v112, off, s[0:3], 0 offset:384
	buffer_store_dword v112, off, s[0:3], 0 offset:388
	s_waitcnt vmcnt(0)
	ds_write_b64 v109, v[110:111]
.LBB117_237:
	s_or_b32 exec_lo, exec_lo, s4
	s_waitcnt lgkmcnt(0)
	s_waitcnt_vscnt null, 0x0
	s_barrier
	buffer_gl0_inv
	s_clause 0xb
	buffer_load_dword v119, off, s[0:3], 0 offset:392
	buffer_load_dword v120, off, s[0:3], 0 offset:396
	;; [unrolled: 1-line block ×12, first 2 shown]
	v_mov_b32_e32 v110, 0
	ds_read2_b64 v[111:114], v110 offset0:103 offset1:104
	ds_read2_b64 v[115:118], v110 offset0:105 offset1:106
	s_mov_b32 s4, exec_lo
	s_waitcnt vmcnt(10) lgkmcnt(1)
	v_fma_f64 v[111:112], v[119:120], v[111:112], 0
	s_waitcnt vmcnt(8)
	v_fma_f64 v[111:112], v[121:122], v[113:114], v[111:112]
	ds_read_b64 v[113:114], v110 offset:856
	s_waitcnt vmcnt(6) lgkmcnt(1)
	v_fma_f64 v[111:112], v[123:124], v[115:116], v[111:112]
	s_waitcnt vmcnt(4)
	v_fma_f64 v[111:112], v[125:126], v[117:118], v[111:112]
	s_waitcnt vmcnt(2) lgkmcnt(0)
	v_fma_f64 v[111:112], v[127:128], v[113:114], v[111:112]
	s_waitcnt vmcnt(0)
	v_add_f64 v[111:112], v[129:130], -v[111:112]
	buffer_store_dword v111, off, s[0:3], 0 offset:384
	buffer_store_dword v112, off, s[0:3], 0 offset:388
	v_cmpx_lt_u32_e32 47, v0
	s_cbranch_execz .LBB117_239
; %bb.238:
	s_clause 0x1
	buffer_load_dword v111, off, s[0:3], 0 offset:376
	buffer_load_dword v112, off, s[0:3], 0 offset:380
	buffer_store_dword v110, off, s[0:3], 0 offset:376
	buffer_store_dword v110, off, s[0:3], 0 offset:380
	s_waitcnt vmcnt(0)
	ds_write_b64 v109, v[111:112]
.LBB117_239:
	s_or_b32 exec_lo, exec_lo, s4
	s_waitcnt lgkmcnt(0)
	s_waitcnt_vscnt null, 0x0
	s_barrier
	buffer_gl0_inv
	s_clause 0xd
	buffer_load_dword v119, off, s[0:3], 0 offset:384
	buffer_load_dword v120, off, s[0:3], 0 offset:388
	;; [unrolled: 1-line block ×14, first 2 shown]
	ds_read_b128 v[111:114], v110 offset:816
	ds_read_b128 v[115:118], v110 offset:832
	s_mov_b32 s4, exec_lo
	s_waitcnt vmcnt(12) lgkmcnt(1)
	v_fma_f64 v[111:112], v[119:120], v[111:112], 0
	s_waitcnt vmcnt(10)
	v_fma_f64 v[111:112], v[121:122], v[113:114], v[111:112]
	s_waitcnt vmcnt(8) lgkmcnt(0)
	v_fma_f64 v[111:112], v[123:124], v[115:116], v[111:112]
	s_waitcnt vmcnt(6)
	v_fma_f64 v[114:115], v[125:126], v[117:118], v[111:112]
	ds_read_b128 v[110:113], v110 offset:848
	s_waitcnt vmcnt(4) lgkmcnt(0)
	v_fma_f64 v[110:111], v[127:128], v[110:111], v[114:115]
	s_waitcnt vmcnt(2)
	v_fma_f64 v[110:111], v[129:130], v[112:113], v[110:111]
	s_waitcnt vmcnt(0)
	v_add_f64 v[110:111], v[131:132], -v[110:111]
	buffer_store_dword v110, off, s[0:3], 0 offset:376
	buffer_store_dword v111, off, s[0:3], 0 offset:380
	v_cmpx_lt_u32_e32 46, v0
	s_cbranch_execz .LBB117_241
; %bb.240:
	s_clause 0x1
	buffer_load_dword v110, off, s[0:3], 0 offset:368
	buffer_load_dword v111, off, s[0:3], 0 offset:372
	v_mov_b32_e32 v112, 0
	buffer_store_dword v112, off, s[0:3], 0 offset:368
	buffer_store_dword v112, off, s[0:3], 0 offset:372
	s_waitcnt vmcnt(0)
	ds_write_b64 v109, v[110:111]
.LBB117_241:
	s_or_b32 exec_lo, exec_lo, s4
	s_waitcnt lgkmcnt(0)
	s_waitcnt_vscnt null, 0x0
	s_barrier
	buffer_gl0_inv
	s_clause 0xf
	buffer_load_dword v119, off, s[0:3], 0 offset:376
	buffer_load_dword v120, off, s[0:3], 0 offset:380
	;; [unrolled: 1-line block ×16, first 2 shown]
	v_mov_b32_e32 v110, 0
	ds_read2_b64 v[111:114], v110 offset0:101 offset1:102
	ds_read2_b64 v[115:118], v110 offset0:103 offset1:104
	s_mov_b32 s4, exec_lo
	s_waitcnt vmcnt(14) lgkmcnt(1)
	v_fma_f64 v[111:112], v[119:120], v[111:112], 0
	s_waitcnt vmcnt(12)
	v_fma_f64 v[111:112], v[121:122], v[113:114], v[111:112]
	s_waitcnt vmcnt(10) lgkmcnt(0)
	v_fma_f64 v[111:112], v[123:124], v[115:116], v[111:112]
	s_waitcnt vmcnt(8)
	v_fma_f64 v[115:116], v[125:126], v[117:118], v[111:112]
	ds_read2_b64 v[111:114], v110 offset0:105 offset1:106
	ds_read_b64 v[117:118], v110 offset:856
	s_waitcnt vmcnt(6) lgkmcnt(1)
	v_fma_f64 v[111:112], v[127:128], v[111:112], v[115:116]
	s_waitcnt vmcnt(4)
	v_fma_f64 v[111:112], v[129:130], v[113:114], v[111:112]
	s_waitcnt vmcnt(2) lgkmcnt(0)
	v_fma_f64 v[111:112], v[131:132], v[117:118], v[111:112]
	s_waitcnt vmcnt(0)
	v_add_f64 v[111:112], v[133:134], -v[111:112]
	buffer_store_dword v111, off, s[0:3], 0 offset:368
	buffer_store_dword v112, off, s[0:3], 0 offset:372
	v_cmpx_lt_u32_e32 45, v0
	s_cbranch_execz .LBB117_243
; %bb.242:
	s_clause 0x1
	buffer_load_dword v111, off, s[0:3], 0 offset:360
	buffer_load_dword v112, off, s[0:3], 0 offset:364
	buffer_store_dword v110, off, s[0:3], 0 offset:360
	buffer_store_dword v110, off, s[0:3], 0 offset:364
	s_waitcnt vmcnt(0)
	ds_write_b64 v109, v[111:112]
.LBB117_243:
	s_or_b32 exec_lo, exec_lo, s4
	s_waitcnt lgkmcnt(0)
	s_waitcnt_vscnt null, 0x0
	s_barrier
	buffer_gl0_inv
	s_clause 0x11
	buffer_load_dword v119, off, s[0:3], 0 offset:368
	buffer_load_dword v120, off, s[0:3], 0 offset:372
	;; [unrolled: 1-line block ×18, first 2 shown]
	ds_read_b128 v[111:114], v110 offset:800
	ds_read_b128 v[115:118], v110 offset:816
	s_mov_b32 s4, exec_lo
	s_waitcnt vmcnt(16) lgkmcnt(1)
	v_fma_f64 v[111:112], v[119:120], v[111:112], 0
	s_waitcnt vmcnt(14)
	v_fma_f64 v[111:112], v[121:122], v[113:114], v[111:112]
	s_waitcnt vmcnt(12) lgkmcnt(0)
	v_fma_f64 v[111:112], v[123:124], v[115:116], v[111:112]
	s_waitcnt vmcnt(10)
	v_fma_f64 v[119:120], v[125:126], v[117:118], v[111:112]
	ds_read_b128 v[111:114], v110 offset:832
	ds_read_b128 v[115:118], v110 offset:848
	s_waitcnt vmcnt(8) lgkmcnt(1)
	v_fma_f64 v[110:111], v[127:128], v[111:112], v[119:120]
	s_waitcnt vmcnt(6)
	v_fma_f64 v[110:111], v[129:130], v[113:114], v[110:111]
	s_waitcnt vmcnt(4) lgkmcnt(0)
	v_fma_f64 v[110:111], v[131:132], v[115:116], v[110:111]
	s_waitcnt vmcnt(2)
	v_fma_f64 v[110:111], v[133:134], v[117:118], v[110:111]
	s_waitcnt vmcnt(0)
	v_add_f64 v[110:111], v[135:136], -v[110:111]
	buffer_store_dword v110, off, s[0:3], 0 offset:360
	buffer_store_dword v111, off, s[0:3], 0 offset:364
	v_cmpx_lt_u32_e32 44, v0
	s_cbranch_execz .LBB117_245
; %bb.244:
	s_clause 0x1
	buffer_load_dword v110, off, s[0:3], 0 offset:352
	buffer_load_dword v111, off, s[0:3], 0 offset:356
	v_mov_b32_e32 v112, 0
	buffer_store_dword v112, off, s[0:3], 0 offset:352
	buffer_store_dword v112, off, s[0:3], 0 offset:356
	s_waitcnt vmcnt(0)
	ds_write_b64 v109, v[110:111]
.LBB117_245:
	s_or_b32 exec_lo, exec_lo, s4
	s_waitcnt lgkmcnt(0)
	s_waitcnt_vscnt null, 0x0
	s_barrier
	buffer_gl0_inv
	s_clause 0x13
	buffer_load_dword v119, off, s[0:3], 0 offset:360
	buffer_load_dword v120, off, s[0:3], 0 offset:364
	;; [unrolled: 1-line block ×20, first 2 shown]
	v_mov_b32_e32 v110, 0
	ds_read2_b64 v[111:114], v110 offset0:99 offset1:100
	ds_read2_b64 v[115:118], v110 offset0:101 offset1:102
	s_mov_b32 s4, exec_lo
	s_waitcnt vmcnt(18) lgkmcnt(1)
	v_fma_f64 v[111:112], v[119:120], v[111:112], 0
	s_waitcnt vmcnt(16)
	v_fma_f64 v[111:112], v[121:122], v[113:114], v[111:112]
	s_waitcnt vmcnt(14) lgkmcnt(0)
	v_fma_f64 v[111:112], v[123:124], v[115:116], v[111:112]
	s_waitcnt vmcnt(12)
	v_fma_f64 v[119:120], v[125:126], v[117:118], v[111:112]
	ds_read2_b64 v[111:114], v110 offset0:103 offset1:104
	ds_read2_b64 v[115:118], v110 offset0:105 offset1:106
	s_waitcnt vmcnt(10) lgkmcnt(1)
	v_fma_f64 v[111:112], v[127:128], v[111:112], v[119:120]
	s_waitcnt vmcnt(8)
	v_fma_f64 v[111:112], v[129:130], v[113:114], v[111:112]
	ds_read_b64 v[113:114], v110 offset:856
	s_waitcnt vmcnt(6) lgkmcnt(1)
	v_fma_f64 v[111:112], v[131:132], v[115:116], v[111:112]
	s_waitcnt vmcnt(3)
	v_fma_f64 v[111:112], v[133:134], v[117:118], v[111:112]
	s_waitcnt vmcnt(2) lgkmcnt(0)
	v_fma_f64 v[111:112], v[135:136], v[113:114], v[111:112]
	s_waitcnt vmcnt(0)
	v_add_f64 v[111:112], v[137:138], -v[111:112]
	buffer_store_dword v111, off, s[0:3], 0 offset:352
	buffer_store_dword v112, off, s[0:3], 0 offset:356
	v_cmpx_lt_u32_e32 43, v0
	s_cbranch_execz .LBB117_247
; %bb.246:
	s_clause 0x1
	buffer_load_dword v111, off, s[0:3], 0 offset:344
	buffer_load_dword v112, off, s[0:3], 0 offset:348
	buffer_store_dword v110, off, s[0:3], 0 offset:344
	buffer_store_dword v110, off, s[0:3], 0 offset:348
	s_waitcnt vmcnt(0)
	ds_write_b64 v109, v[111:112]
.LBB117_247:
	s_or_b32 exec_lo, exec_lo, s4
	s_waitcnt lgkmcnt(0)
	s_waitcnt_vscnt null, 0x0
	s_barrier
	buffer_gl0_inv
	s_clause 0x15
	buffer_load_dword v119, off, s[0:3], 0 offset:352
	buffer_load_dword v120, off, s[0:3], 0 offset:356
	buffer_load_dword v121, off, s[0:3], 0 offset:360
	buffer_load_dword v122, off, s[0:3], 0 offset:364
	buffer_load_dword v123, off, s[0:3], 0 offset:368
	buffer_load_dword v124, off, s[0:3], 0 offset:372
	buffer_load_dword v125, off, s[0:3], 0 offset:376
	buffer_load_dword v126, off, s[0:3], 0 offset:380
	buffer_load_dword v127, off, s[0:3], 0 offset:384
	buffer_load_dword v128, off, s[0:3], 0 offset:388
	buffer_load_dword v129, off, s[0:3], 0 offset:392
	buffer_load_dword v130, off, s[0:3], 0 offset:396
	buffer_load_dword v131, off, s[0:3], 0 offset:400
	buffer_load_dword v132, off, s[0:3], 0 offset:404
	buffer_load_dword v134, off, s[0:3], 0 offset:412
	buffer_load_dword v135, off, s[0:3], 0 offset:424
	buffer_load_dword v137, off, s[0:3], 0 offset:416
	buffer_load_dword v133, off, s[0:3], 0 offset:408
	buffer_load_dword v138, off, s[0:3], 0 offset:420
	buffer_load_dword v136, off, s[0:3], 0 offset:428
	buffer_load_dword v139, off, s[0:3], 0 offset:344
	buffer_load_dword v140, off, s[0:3], 0 offset:348
	ds_read_b128 v[111:114], v110 offset:784
	ds_read_b128 v[115:118], v110 offset:800
	s_mov_b32 s4, exec_lo
	s_waitcnt vmcnt(20) lgkmcnt(1)
	v_fma_f64 v[111:112], v[119:120], v[111:112], 0
	s_waitcnt vmcnt(18)
	v_fma_f64 v[111:112], v[121:122], v[113:114], v[111:112]
	s_waitcnt vmcnt(16) lgkmcnt(0)
	v_fma_f64 v[111:112], v[123:124], v[115:116], v[111:112]
	s_waitcnt vmcnt(14)
	v_fma_f64 v[119:120], v[125:126], v[117:118], v[111:112]
	ds_read_b128 v[111:114], v110 offset:816
	ds_read_b128 v[115:118], v110 offset:832
	s_waitcnt vmcnt(12) lgkmcnt(1)
	v_fma_f64 v[111:112], v[127:128], v[111:112], v[119:120]
	s_waitcnt vmcnt(10)
	v_fma_f64 v[111:112], v[129:130], v[113:114], v[111:112]
	s_waitcnt vmcnt(8) lgkmcnt(0)
	v_fma_f64 v[111:112], v[131:132], v[115:116], v[111:112]
	s_waitcnt vmcnt(4)
	v_fma_f64 v[114:115], v[133:134], v[117:118], v[111:112]
	ds_read_b128 v[110:113], v110 offset:848
	s_waitcnt vmcnt(3) lgkmcnt(0)
	v_fma_f64 v[110:111], v[137:138], v[110:111], v[114:115]
	s_waitcnt vmcnt(2)
	v_fma_f64 v[110:111], v[135:136], v[112:113], v[110:111]
	s_waitcnt vmcnt(0)
	v_add_f64 v[110:111], v[139:140], -v[110:111]
	buffer_store_dword v110, off, s[0:3], 0 offset:344
	buffer_store_dword v111, off, s[0:3], 0 offset:348
	v_cmpx_lt_u32_e32 42, v0
	s_cbranch_execz .LBB117_249
; %bb.248:
	s_clause 0x1
	buffer_load_dword v110, off, s[0:3], 0 offset:336
	buffer_load_dword v111, off, s[0:3], 0 offset:340
	v_mov_b32_e32 v112, 0
	buffer_store_dword v112, off, s[0:3], 0 offset:336
	buffer_store_dword v112, off, s[0:3], 0 offset:340
	s_waitcnt vmcnt(0)
	ds_write_b64 v109, v[110:111]
.LBB117_249:
	s_or_b32 exec_lo, exec_lo, s4
	s_waitcnt lgkmcnt(0)
	s_waitcnt_vscnt null, 0x0
	s_barrier
	buffer_gl0_inv
	s_clause 0x17
	buffer_load_dword v115, off, s[0:3], 0 offset:344
	buffer_load_dword v116, off, s[0:3], 0 offset:348
	;; [unrolled: 1-line block ×24, first 2 shown]
	v_mov_b32_e32 v110, 0
	s_mov_b32 s4, exec_lo
	ds_read2_b64 v[111:114], v110 offset0:97 offset1:98
	s_waitcnt vmcnt(22) lgkmcnt(0)
	v_fma_f64 v[111:112], v[115:116], v[111:112], 0
	s_waitcnt vmcnt(20)
	v_fma_f64 v[115:116], v[117:118], v[113:114], v[111:112]
	ds_read2_b64 v[111:114], v110 offset0:99 offset1:100
	s_waitcnt vmcnt(18) lgkmcnt(0)
	v_fma_f64 v[111:112], v[119:120], v[111:112], v[115:116]
	s_waitcnt vmcnt(16)
	v_fma_f64 v[115:116], v[121:122], v[113:114], v[111:112]
	;; [unrolled: 5-line block ×5, first 2 shown]
	ds_read_b64 v[113:114], v110 offset:856
	s_waitcnt vmcnt(2) lgkmcnt(0)
	v_fma_f64 v[111:112], v[135:136], v[113:114], v[111:112]
	s_waitcnt vmcnt(0)
	v_add_f64 v[111:112], v[137:138], -v[111:112]
	buffer_store_dword v112, off, s[0:3], 0 offset:340
	buffer_store_dword v111, off, s[0:3], 0 offset:336
	v_cmpx_lt_u32_e32 41, v0
	s_cbranch_execz .LBB117_251
; %bb.250:
	s_clause 0x1
	buffer_load_dword v111, off, s[0:3], 0 offset:328
	buffer_load_dword v112, off, s[0:3], 0 offset:332
	buffer_store_dword v110, off, s[0:3], 0 offset:328
	buffer_store_dword v110, off, s[0:3], 0 offset:332
	s_waitcnt vmcnt(0)
	ds_write_b64 v109, v[111:112]
.LBB117_251:
	s_or_b32 exec_lo, exec_lo, s4
	s_waitcnt lgkmcnt(0)
	s_waitcnt_vscnt null, 0x0
	s_barrier
	buffer_gl0_inv
	s_clause 0x19
	buffer_load_dword v115, off, s[0:3], 0 offset:336
	buffer_load_dword v116, off, s[0:3], 0 offset:340
	;; [unrolled: 1-line block ×26, first 2 shown]
	ds_read_b128 v[111:114], v110 offset:768
	s_mov_b32 s4, exec_lo
	s_waitcnt vmcnt(24) lgkmcnt(0)
	v_fma_f64 v[111:112], v[115:116], v[111:112], 0
	s_waitcnt vmcnt(22)
	v_fma_f64 v[115:116], v[117:118], v[113:114], v[111:112]
	ds_read_b128 v[111:114], v110 offset:784
	s_waitcnt vmcnt(20) lgkmcnt(0)
	v_fma_f64 v[111:112], v[119:120], v[111:112], v[115:116]
	s_waitcnt vmcnt(18)
	v_fma_f64 v[115:116], v[121:122], v[113:114], v[111:112]
	ds_read_b128 v[111:114], v110 offset:800
	;; [unrolled: 5-line block ×5, first 2 shown]
	s_waitcnt vmcnt(4) lgkmcnt(0)
	v_fma_f64 v[110:111], v[135:136], v[110:111], v[114:115]
	s_waitcnt vmcnt(2)
	v_fma_f64 v[110:111], v[137:138], v[112:113], v[110:111]
	s_waitcnt vmcnt(0)
	v_add_f64 v[110:111], v[139:140], -v[110:111]
	buffer_store_dword v111, off, s[0:3], 0 offset:332
	buffer_store_dword v110, off, s[0:3], 0 offset:328
	v_cmpx_lt_u32_e32 40, v0
	s_cbranch_execz .LBB117_253
; %bb.252:
	s_clause 0x1
	buffer_load_dword v110, off, s[0:3], 0 offset:320
	buffer_load_dword v111, off, s[0:3], 0 offset:324
	v_mov_b32_e32 v112, 0
	buffer_store_dword v112, off, s[0:3], 0 offset:320
	buffer_store_dword v112, off, s[0:3], 0 offset:324
	s_waitcnt vmcnt(0)
	ds_write_b64 v109, v[110:111]
.LBB117_253:
	s_or_b32 exec_lo, exec_lo, s4
	s_waitcnt lgkmcnt(0)
	s_waitcnt_vscnt null, 0x0
	s_barrier
	buffer_gl0_inv
	s_clause 0x1b
	buffer_load_dword v115, off, s[0:3], 0 offset:328
	buffer_load_dword v116, off, s[0:3], 0 offset:332
	;; [unrolled: 1-line block ×28, first 2 shown]
	v_mov_b32_e32 v110, 0
	s_mov_b32 s4, exec_lo
	ds_read2_b64 v[111:114], v110 offset0:95 offset1:96
	s_waitcnt vmcnt(26) lgkmcnt(0)
	v_fma_f64 v[111:112], v[115:116], v[111:112], 0
	s_waitcnt vmcnt(24)
	v_fma_f64 v[115:116], v[117:118], v[113:114], v[111:112]
	ds_read2_b64 v[111:114], v110 offset0:97 offset1:98
	s_waitcnt vmcnt(22) lgkmcnt(0)
	v_fma_f64 v[111:112], v[119:120], v[111:112], v[115:116]
	s_waitcnt vmcnt(20)
	v_fma_f64 v[115:116], v[121:122], v[113:114], v[111:112]
	;; [unrolled: 5-line block ×6, first 2 shown]
	ds_read_b64 v[113:114], v110 offset:856
	s_waitcnt vmcnt(2) lgkmcnt(0)
	v_fma_f64 v[111:112], v[139:140], v[113:114], v[111:112]
	s_waitcnt vmcnt(0)
	v_add_f64 v[111:112], v[141:142], -v[111:112]
	buffer_store_dword v112, off, s[0:3], 0 offset:324
	buffer_store_dword v111, off, s[0:3], 0 offset:320
	v_cmpx_lt_u32_e32 39, v0
	s_cbranch_execz .LBB117_255
; %bb.254:
	s_clause 0x1
	buffer_load_dword v111, off, s[0:3], 0 offset:312
	buffer_load_dword v112, off, s[0:3], 0 offset:316
	buffer_store_dword v110, off, s[0:3], 0 offset:312
	buffer_store_dword v110, off, s[0:3], 0 offset:316
	s_waitcnt vmcnt(0)
	ds_write_b64 v109, v[111:112]
.LBB117_255:
	s_or_b32 exec_lo, exec_lo, s4
	s_waitcnt lgkmcnt(0)
	s_waitcnt_vscnt null, 0x0
	s_barrier
	buffer_gl0_inv
	s_clause 0x1b
	buffer_load_dword v119, off, s[0:3], 0 offset:320
	buffer_load_dword v120, off, s[0:3], 0 offset:324
	;; [unrolled: 1-line block ×28, first 2 shown]
	ds_read_b128 v[111:114], v110 offset:752
	s_clause 0x1
	buffer_load_dword v147, off, s[0:3], 0 offset:312
	buffer_load_dword v148, off, s[0:3], 0 offset:316
	ds_read_b128 v[115:118], v110 offset:768
	s_mov_b32 s4, exec_lo
	s_waitcnt vmcnt(28) lgkmcnt(1)
	v_fma_f64 v[111:112], v[119:120], v[111:112], 0
	s_waitcnt vmcnt(26)
	v_fma_f64 v[111:112], v[121:122], v[113:114], v[111:112]
	s_waitcnt vmcnt(24) lgkmcnt(0)
	v_fma_f64 v[111:112], v[123:124], v[115:116], v[111:112]
	s_waitcnt vmcnt(22)
	v_fma_f64 v[119:120], v[125:126], v[117:118], v[111:112]
	ds_read_b128 v[111:114], v110 offset:784
	ds_read_b128 v[115:118], v110 offset:800
	s_waitcnt vmcnt(20) lgkmcnt(1)
	v_fma_f64 v[111:112], v[127:128], v[111:112], v[119:120]
	s_waitcnt vmcnt(18)
	v_fma_f64 v[111:112], v[129:130], v[113:114], v[111:112]
	s_waitcnt vmcnt(16) lgkmcnt(0)
	v_fma_f64 v[111:112], v[131:132], v[115:116], v[111:112]
	s_waitcnt vmcnt(11)
	v_fma_f64 v[119:120], v[133:134], v[117:118], v[111:112]
	ds_read_b128 v[111:114], v110 offset:816
	ds_read_b128 v[115:118], v110 offset:832
	s_waitcnt vmcnt(10) lgkmcnt(1)
	v_fma_f64 v[111:112], v[139:140], v[111:112], v[119:120]
	s_waitcnt vmcnt(9)
	v_fma_f64 v[111:112], v[137:138], v[113:114], v[111:112]
	s_waitcnt vmcnt(8) lgkmcnt(0)
	v_fma_f64 v[111:112], v[135:136], v[115:116], v[111:112]
	s_waitcnt vmcnt(4)
	v_fma_f64 v[114:115], v[141:142], v[117:118], v[111:112]
	ds_read_b128 v[110:113], v110 offset:848
	s_waitcnt vmcnt(3) lgkmcnt(0)
	v_fma_f64 v[110:111], v[145:146], v[110:111], v[114:115]
	s_waitcnt vmcnt(2)
	v_fma_f64 v[110:111], v[143:144], v[112:113], v[110:111]
	s_waitcnt vmcnt(0)
	v_add_f64 v[110:111], v[147:148], -v[110:111]
	buffer_store_dword v111, off, s[0:3], 0 offset:316
	buffer_store_dword v110, off, s[0:3], 0 offset:312
	v_cmpx_lt_u32_e32 38, v0
	s_cbranch_execz .LBB117_257
; %bb.256:
	s_clause 0x1
	buffer_load_dword v110, off, s[0:3], 0 offset:304
	buffer_load_dword v111, off, s[0:3], 0 offset:308
	v_mov_b32_e32 v112, 0
	buffer_store_dword v112, off, s[0:3], 0 offset:304
	buffer_store_dword v112, off, s[0:3], 0 offset:308
	s_waitcnt vmcnt(0)
	ds_write_b64 v109, v[110:111]
.LBB117_257:
	s_or_b32 exec_lo, exec_lo, s4
	s_waitcnt lgkmcnt(0)
	s_waitcnt_vscnt null, 0x0
	s_barrier
	buffer_gl0_inv
	s_clause 0x1c
	buffer_load_dword v119, off, s[0:3], 0 offset:312
	buffer_load_dword v120, off, s[0:3], 0 offset:316
	;; [unrolled: 1-line block ×29, first 2 shown]
	v_mov_b32_e32 v110, 0
	buffer_load_dword v144, off, s[0:3], 0 offset:428
	s_mov_b32 s4, exec_lo
	ds_read2_b64 v[111:114], v110 offset0:93 offset1:94
	ds_read2_b64 v[115:118], v110 offset0:95 offset1:96
	s_waitcnt vmcnt(28) lgkmcnt(1)
	v_fma_f64 v[111:112], v[119:120], v[111:112], 0
	s_clause 0x1
	buffer_load_dword v119, off, s[0:3], 0 offset:304
	buffer_load_dword v120, off, s[0:3], 0 offset:308
	s_waitcnt vmcnt(28)
	v_fma_f64 v[111:112], v[121:122], v[113:114], v[111:112]
	s_waitcnt vmcnt(26) lgkmcnt(0)
	v_fma_f64 v[111:112], v[123:124], v[115:116], v[111:112]
	s_waitcnt vmcnt(24)
	v_fma_f64 v[121:122], v[125:126], v[117:118], v[111:112]
	ds_read2_b64 v[111:114], v110 offset0:97 offset1:98
	ds_read2_b64 v[115:118], v110 offset0:99 offset1:100
	s_waitcnt vmcnt(22) lgkmcnt(1)
	v_fma_f64 v[111:112], v[127:128], v[111:112], v[121:122]
	s_waitcnt vmcnt(20)
	v_fma_f64 v[111:112], v[129:130], v[113:114], v[111:112]
	s_waitcnt vmcnt(18) lgkmcnt(0)
	v_fma_f64 v[111:112], v[131:132], v[115:116], v[111:112]
	s_waitcnt vmcnt(13)
	v_fma_f64 v[121:122], v[133:134], v[117:118], v[111:112]
	ds_read2_b64 v[111:114], v110 offset0:101 offset1:102
	ds_read2_b64 v[115:118], v110 offset0:103 offset1:104
	s_waitcnt vmcnt(12) lgkmcnt(1)
	v_fma_f64 v[111:112], v[139:140], v[111:112], v[121:122]
	s_waitcnt vmcnt(11)
	v_fma_f64 v[111:112], v[137:138], v[113:114], v[111:112]
	s_waitcnt vmcnt(10) lgkmcnt(0)
	v_fma_f64 v[111:112], v[135:136], v[115:116], v[111:112]
	s_waitcnt vmcnt(5)
	v_fma_f64 v[115:116], v[141:142], v[117:118], v[111:112]
	ds_read2_b64 v[111:114], v110 offset0:105 offset1:106
	ds_read_b64 v[117:118], v110 offset:856
	s_waitcnt vmcnt(4) lgkmcnt(1)
	v_fma_f64 v[111:112], v[147:148], v[111:112], v[115:116]
	s_waitcnt vmcnt(3)
	v_fma_f64 v[111:112], v[145:146], v[113:114], v[111:112]
	s_waitcnt vmcnt(2) lgkmcnt(0)
	v_fma_f64 v[111:112], v[143:144], v[117:118], v[111:112]
	s_waitcnt vmcnt(0)
	v_add_f64 v[111:112], v[119:120], -v[111:112]
	buffer_store_dword v112, off, s[0:3], 0 offset:308
	buffer_store_dword v111, off, s[0:3], 0 offset:304
	v_cmpx_lt_u32_e32 37, v0
	s_cbranch_execz .LBB117_259
; %bb.258:
	s_clause 0x1
	buffer_load_dword v111, off, s[0:3], 0 offset:296
	buffer_load_dword v112, off, s[0:3], 0 offset:300
	buffer_store_dword v110, off, s[0:3], 0 offset:296
	buffer_store_dword v110, off, s[0:3], 0 offset:300
	s_waitcnt vmcnt(0)
	ds_write_b64 v109, v[111:112]
.LBB117_259:
	s_or_b32 exec_lo, exec_lo, s4
	s_waitcnt lgkmcnt(0)
	s_waitcnt_vscnt null, 0x0
	s_barrier
	buffer_gl0_inv
	s_clause 0x1c
	buffer_load_dword v119, off, s[0:3], 0 offset:304
	buffer_load_dword v120, off, s[0:3], 0 offset:308
	;; [unrolled: 1-line block ×29, first 2 shown]
	ds_read_b128 v[111:114], v110 offset:736
	ds_read_b128 v[115:118], v110 offset:752
	buffer_load_dword v144, off, s[0:3], 0 offset:420
	s_mov_b32 s4, exec_lo
	s_waitcnt vmcnt(28) lgkmcnt(1)
	v_fma_f64 v[111:112], v[119:120], v[111:112], 0
	s_clause 0x1
	buffer_load_dword v120, off, s[0:3], 0 offset:428
	buffer_load_dword v119, off, s[0:3], 0 offset:424
	s_waitcnt vmcnt(28)
	v_fma_f64 v[111:112], v[121:122], v[113:114], v[111:112]
	s_clause 0x1
	buffer_load_dword v121, off, s[0:3], 0 offset:296
	buffer_load_dword v122, off, s[0:3], 0 offset:300
	s_waitcnt vmcnt(28) lgkmcnt(0)
	v_fma_f64 v[111:112], v[123:124], v[115:116], v[111:112]
	s_waitcnt vmcnt(26)
	v_fma_f64 v[123:124], v[125:126], v[117:118], v[111:112]
	ds_read_b128 v[111:114], v110 offset:768
	ds_read_b128 v[115:118], v110 offset:784
	s_waitcnt vmcnt(24) lgkmcnt(1)
	v_fma_f64 v[111:112], v[127:128], v[111:112], v[123:124]
	s_waitcnt vmcnt(22)
	v_fma_f64 v[111:112], v[129:130], v[113:114], v[111:112]
	s_waitcnt vmcnt(20) lgkmcnt(0)
	v_fma_f64 v[111:112], v[131:132], v[115:116], v[111:112]
	s_waitcnt vmcnt(15)
	v_fma_f64 v[123:124], v[133:134], v[117:118], v[111:112]
	ds_read_b128 v[111:114], v110 offset:800
	ds_read_b128 v[115:118], v110 offset:816
	s_waitcnt vmcnt(14) lgkmcnt(1)
	v_fma_f64 v[111:112], v[139:140], v[111:112], v[123:124]
	s_waitcnt vmcnt(13)
	v_fma_f64 v[111:112], v[137:138], v[113:114], v[111:112]
	;; [unrolled: 10-line block ×3, first 2 shown]
	s_waitcnt vmcnt(4) lgkmcnt(0)
	v_fma_f64 v[110:111], v[143:144], v[115:116], v[110:111]
	s_waitcnt vmcnt(2)
	v_fma_f64 v[110:111], v[119:120], v[117:118], v[110:111]
	s_waitcnt vmcnt(0)
	v_add_f64 v[110:111], v[121:122], -v[110:111]
	buffer_store_dword v111, off, s[0:3], 0 offset:300
	buffer_store_dword v110, off, s[0:3], 0 offset:296
	v_cmpx_lt_u32_e32 36, v0
	s_cbranch_execz .LBB117_261
; %bb.260:
	s_clause 0x1
	buffer_load_dword v110, off, s[0:3], 0 offset:288
	buffer_load_dword v111, off, s[0:3], 0 offset:292
	v_mov_b32_e32 v112, 0
	buffer_store_dword v112, off, s[0:3], 0 offset:288
	buffer_store_dword v112, off, s[0:3], 0 offset:292
	s_waitcnt vmcnt(0)
	ds_write_b64 v109, v[110:111]
.LBB117_261:
	s_or_b32 exec_lo, exec_lo, s4
	s_waitcnt lgkmcnt(0)
	s_waitcnt_vscnt null, 0x0
	s_barrier
	buffer_gl0_inv
	s_clause 0x1c
	buffer_load_dword v119, off, s[0:3], 0 offset:296
	buffer_load_dword v120, off, s[0:3], 0 offset:300
	buffer_load_dword v121, off, s[0:3], 0 offset:304
	buffer_load_dword v122, off, s[0:3], 0 offset:308
	buffer_load_dword v123, off, s[0:3], 0 offset:312
	buffer_load_dword v124, off, s[0:3], 0 offset:316
	buffer_load_dword v125, off, s[0:3], 0 offset:320
	buffer_load_dword v126, off, s[0:3], 0 offset:324
	buffer_load_dword v127, off, s[0:3], 0 offset:328
	buffer_load_dword v128, off, s[0:3], 0 offset:332
	buffer_load_dword v129, off, s[0:3], 0 offset:336
	buffer_load_dword v130, off, s[0:3], 0 offset:340
	buffer_load_dword v131, off, s[0:3], 0 offset:344
	buffer_load_dword v132, off, s[0:3], 0 offset:348
	buffer_load_dword v134, off, s[0:3], 0 offset:356
	buffer_load_dword v135, off, s[0:3], 0 offset:376
	buffer_load_dword v137, off, s[0:3], 0 offset:368
	buffer_load_dword v139, off, s[0:3], 0 offset:360
	buffer_load_dword v133, off, s[0:3], 0 offset:352
	buffer_load_dword v140, off, s[0:3], 0 offset:364
	buffer_load_dword v138, off, s[0:3], 0 offset:372
	buffer_load_dword v136, off, s[0:3], 0 offset:380
	buffer_load_dword v142, off, s[0:3], 0 offset:388
	buffer_load_dword v143, off, s[0:3], 0 offset:408
	buffer_load_dword v145, off, s[0:3], 0 offset:400
	buffer_load_dword v147, off, s[0:3], 0 offset:392
	buffer_load_dword v141, off, s[0:3], 0 offset:384
	buffer_load_dword v148, off, s[0:3], 0 offset:396
	buffer_load_dword v146, off, s[0:3], 0 offset:404
	v_mov_b32_e32 v110, 0
	buffer_load_dword v144, off, s[0:3], 0 offset:412
	s_mov_b32 s4, exec_lo
	ds_read2_b64 v[111:114], v110 offset0:91 offset1:92
	ds_read2_b64 v[115:118], v110 offset0:93 offset1:94
	s_waitcnt vmcnt(28) lgkmcnt(1)
	v_fma_f64 v[111:112], v[119:120], v[111:112], 0
	s_clause 0x3
	buffer_load_dword v120, off, s[0:3], 0 offset:420
	buffer_load_dword v149, off, s[0:3], 0 offset:424
	;; [unrolled: 1-line block ×4, first 2 shown]
	s_waitcnt vmcnt(30)
	v_fma_f64 v[111:112], v[121:122], v[113:114], v[111:112]
	s_clause 0x1
	buffer_load_dword v121, off, s[0:3], 0 offset:288
	buffer_load_dword v122, off, s[0:3], 0 offset:292
	s_waitcnt vmcnt(30) lgkmcnt(0)
	v_fma_f64 v[111:112], v[123:124], v[115:116], v[111:112]
	s_waitcnt vmcnt(28)
	v_fma_f64 v[123:124], v[125:126], v[117:118], v[111:112]
	ds_read2_b64 v[111:114], v110 offset0:95 offset1:96
	ds_read2_b64 v[115:118], v110 offset0:97 offset1:98
	s_waitcnt vmcnt(26) lgkmcnt(1)
	v_fma_f64 v[111:112], v[127:128], v[111:112], v[123:124]
	s_waitcnt vmcnt(24)
	v_fma_f64 v[111:112], v[129:130], v[113:114], v[111:112]
	s_waitcnt vmcnt(22) lgkmcnt(0)
	v_fma_f64 v[111:112], v[131:132], v[115:116], v[111:112]
	s_waitcnt vmcnt(17)
	v_fma_f64 v[123:124], v[133:134], v[117:118], v[111:112]
	ds_read2_b64 v[111:114], v110 offset0:99 offset1:100
	ds_read2_b64 v[115:118], v110 offset0:101 offset1:102
	s_waitcnt vmcnt(16) lgkmcnt(1)
	v_fma_f64 v[111:112], v[139:140], v[111:112], v[123:124]
	s_waitcnt vmcnt(15)
	v_fma_f64 v[111:112], v[137:138], v[113:114], v[111:112]
	;; [unrolled: 10-line block ×3, first 2 shown]
	ds_read_b64 v[113:114], v110 offset:856
	s_waitcnt vmcnt(6) lgkmcnt(1)
	v_fma_f64 v[111:112], v[143:144], v[115:116], v[111:112]
	s_waitcnt vmcnt(3)
	v_fma_f64 v[111:112], v[119:120], v[117:118], v[111:112]
	s_waitcnt vmcnt(2) lgkmcnt(0)
	v_fma_f64 v[111:112], v[149:150], v[113:114], v[111:112]
	s_waitcnt vmcnt(0)
	v_add_f64 v[111:112], v[121:122], -v[111:112]
	buffer_store_dword v112, off, s[0:3], 0 offset:292
	buffer_store_dword v111, off, s[0:3], 0 offset:288
	v_cmpx_lt_u32_e32 35, v0
	s_cbranch_execz .LBB117_263
; %bb.262:
	s_clause 0x1
	buffer_load_dword v111, off, s[0:3], 0 offset:280
	buffer_load_dword v112, off, s[0:3], 0 offset:284
	buffer_store_dword v110, off, s[0:3], 0 offset:280
	buffer_store_dword v110, off, s[0:3], 0 offset:284
	s_waitcnt vmcnt(0)
	ds_write_b64 v109, v[111:112]
.LBB117_263:
	s_or_b32 exec_lo, exec_lo, s4
	s_waitcnt lgkmcnt(0)
	s_waitcnt_vscnt null, 0x0
	s_barrier
	buffer_gl0_inv
	s_clause 0x1c
	buffer_load_dword v119, off, s[0:3], 0 offset:288
	buffer_load_dword v120, off, s[0:3], 0 offset:292
	;; [unrolled: 1-line block ×29, first 2 shown]
	ds_read_b128 v[111:114], v110 offset:720
	ds_read_b128 v[115:118], v110 offset:736
	buffer_load_dword v144, off, s[0:3], 0 offset:404
	s_mov_b32 s4, exec_lo
	s_waitcnt vmcnt(28) lgkmcnt(1)
	v_fma_f64 v[111:112], v[119:120], v[111:112], 0
	s_clause 0x5
	buffer_load_dword v120, off, s[0:3], 0 offset:412
	buffer_load_dword v149, off, s[0:3], 0 offset:424
	;; [unrolled: 1-line block ×6, first 2 shown]
	s_waitcnt vmcnt(32)
	v_fma_f64 v[111:112], v[121:122], v[113:114], v[111:112]
	s_waitcnt vmcnt(30) lgkmcnt(0)
	v_fma_f64 v[111:112], v[123:124], v[115:116], v[111:112]
	s_waitcnt vmcnt(28)
	v_fma_f64 v[121:122], v[125:126], v[117:118], v[111:112]
	ds_read_b128 v[111:114], v110 offset:752
	s_clause 0x1
	buffer_load_dword v123, off, s[0:3], 0 offset:280
	buffer_load_dword v124, off, s[0:3], 0 offset:284
	ds_read_b128 v[115:118], v110 offset:768
	s_waitcnt vmcnt(28) lgkmcnt(1)
	v_fma_f64 v[111:112], v[127:128], v[111:112], v[121:122]
	s_waitcnt vmcnt(26)
	v_fma_f64 v[111:112], v[129:130], v[113:114], v[111:112]
	s_waitcnt vmcnt(24) lgkmcnt(0)
	v_fma_f64 v[111:112], v[131:132], v[115:116], v[111:112]
	s_waitcnt vmcnt(19)
	v_fma_f64 v[121:122], v[133:134], v[117:118], v[111:112]
	ds_read_b128 v[111:114], v110 offset:784
	ds_read_b128 v[115:118], v110 offset:800
	s_waitcnt vmcnt(18) lgkmcnt(1)
	v_fma_f64 v[111:112], v[139:140], v[111:112], v[121:122]
	s_waitcnt vmcnt(17)
	v_fma_f64 v[111:112], v[137:138], v[113:114], v[111:112]
	s_waitcnt vmcnt(16) lgkmcnt(0)
	v_fma_f64 v[111:112], v[135:136], v[115:116], v[111:112]
	s_waitcnt vmcnt(11)
	v_fma_f64 v[121:122], v[141:142], v[117:118], v[111:112]
	ds_read_b128 v[111:114], v110 offset:816
	ds_read_b128 v[115:118], v110 offset:832
	s_waitcnt vmcnt(10) lgkmcnt(1)
	v_fma_f64 v[111:112], v[147:148], v[111:112], v[121:122]
	s_waitcnt vmcnt(9)
	v_fma_f64 v[111:112], v[145:146], v[113:114], v[111:112]
	s_waitcnt vmcnt(8) lgkmcnt(0)
	v_fma_f64 v[111:112], v[143:144], v[115:116], v[111:112]
	s_waitcnt vmcnt(4)
	v_fma_f64 v[114:115], v[119:120], v[117:118], v[111:112]
	ds_read_b128 v[110:113], v110 offset:848
	s_waitcnt vmcnt(3) lgkmcnt(0)
	v_fma_f64 v[110:111], v[151:152], v[110:111], v[114:115]
	s_waitcnt vmcnt(2)
	v_fma_f64 v[110:111], v[149:150], v[112:113], v[110:111]
	s_waitcnt vmcnt(0)
	v_add_f64 v[110:111], v[123:124], -v[110:111]
	buffer_store_dword v111, off, s[0:3], 0 offset:284
	buffer_store_dword v110, off, s[0:3], 0 offset:280
	v_cmpx_lt_u32_e32 34, v0
	s_cbranch_execz .LBB117_265
; %bb.264:
	s_clause 0x1
	buffer_load_dword v110, off, s[0:3], 0 offset:272
	buffer_load_dword v111, off, s[0:3], 0 offset:276
	v_mov_b32_e32 v112, 0
	buffer_store_dword v112, off, s[0:3], 0 offset:272
	buffer_store_dword v112, off, s[0:3], 0 offset:276
	s_waitcnt vmcnt(0)
	ds_write_b64 v109, v[110:111]
.LBB117_265:
	s_or_b32 exec_lo, exec_lo, s4
	s_waitcnt lgkmcnt(0)
	s_waitcnt_vscnt null, 0x0
	s_barrier
	buffer_gl0_inv
	s_clause 0x1c
	buffer_load_dword v119, off, s[0:3], 0 offset:280
	buffer_load_dword v120, off, s[0:3], 0 offset:284
	buffer_load_dword v121, off, s[0:3], 0 offset:288
	buffer_load_dword v122, off, s[0:3], 0 offset:292
	buffer_load_dword v123, off, s[0:3], 0 offset:296
	buffer_load_dword v124, off, s[0:3], 0 offset:300
	buffer_load_dword v125, off, s[0:3], 0 offset:304
	buffer_load_dword v126, off, s[0:3], 0 offset:308
	buffer_load_dword v127, off, s[0:3], 0 offset:312
	buffer_load_dword v128, off, s[0:3], 0 offset:316
	buffer_load_dword v129, off, s[0:3], 0 offset:320
	buffer_load_dword v130, off, s[0:3], 0 offset:324
	buffer_load_dword v131, off, s[0:3], 0 offset:328
	buffer_load_dword v132, off, s[0:3], 0 offset:332
	buffer_load_dword v134, off, s[0:3], 0 offset:340
	buffer_load_dword v135, off, s[0:3], 0 offset:360
	buffer_load_dword v137, off, s[0:3], 0 offset:352
	buffer_load_dword v139, off, s[0:3], 0 offset:344
	buffer_load_dword v133, off, s[0:3], 0 offset:336
	buffer_load_dword v140, off, s[0:3], 0 offset:348
	buffer_load_dword v138, off, s[0:3], 0 offset:356
	buffer_load_dword v136, off, s[0:3], 0 offset:364
	buffer_load_dword v142, off, s[0:3], 0 offset:372
	buffer_load_dword v143, off, s[0:3], 0 offset:392
	buffer_load_dword v145, off, s[0:3], 0 offset:384
	buffer_load_dword v147, off, s[0:3], 0 offset:376
	buffer_load_dword v141, off, s[0:3], 0 offset:368
	buffer_load_dword v148, off, s[0:3], 0 offset:380
	buffer_load_dword v146, off, s[0:3], 0 offset:388
	v_mov_b32_e32 v110, 0
	buffer_load_dword v144, off, s[0:3], 0 offset:396
	s_mov_b32 s4, exec_lo
	ds_read2_b64 v[111:114], v110 offset0:89 offset1:90
	ds_read2_b64 v[115:118], v110 offset0:91 offset1:92
	s_waitcnt vmcnt(28) lgkmcnt(1)
	v_fma_f64 v[111:112], v[119:120], v[111:112], 0
	s_clause 0x7
	buffer_load_dword v120, off, s[0:3], 0 offset:404
	buffer_load_dword v149, off, s[0:3], 0 offset:424
	;; [unrolled: 1-line block ×8, first 2 shown]
	s_waitcnt vmcnt(34)
	v_fma_f64 v[111:112], v[121:122], v[113:114], v[111:112]
	s_waitcnt vmcnt(32) lgkmcnt(0)
	v_fma_f64 v[111:112], v[123:124], v[115:116], v[111:112]
	s_waitcnt vmcnt(30)
	v_fma_f64 v[121:122], v[125:126], v[117:118], v[111:112]
	ds_read2_b64 v[111:114], v110 offset0:93 offset1:94
	ds_read2_b64 v[115:118], v110 offset0:95 offset1:96
	s_waitcnt vmcnt(28) lgkmcnt(1)
	v_fma_f64 v[111:112], v[127:128], v[111:112], v[121:122]
	s_clause 0x1
	buffer_load_dword v121, off, s[0:3], 0 offset:272
	buffer_load_dword v122, off, s[0:3], 0 offset:276
	s_waitcnt vmcnt(28)
	v_fma_f64 v[111:112], v[129:130], v[113:114], v[111:112]
	s_waitcnt vmcnt(26) lgkmcnt(0)
	v_fma_f64 v[111:112], v[131:132], v[115:116], v[111:112]
	s_waitcnt vmcnt(21)
	v_fma_f64 v[123:124], v[133:134], v[117:118], v[111:112]
	ds_read2_b64 v[111:114], v110 offset0:97 offset1:98
	ds_read2_b64 v[115:118], v110 offset0:99 offset1:100
	s_waitcnt vmcnt(20) lgkmcnt(1)
	v_fma_f64 v[111:112], v[139:140], v[111:112], v[123:124]
	s_waitcnt vmcnt(19)
	v_fma_f64 v[111:112], v[137:138], v[113:114], v[111:112]
	s_waitcnt vmcnt(18) lgkmcnt(0)
	v_fma_f64 v[111:112], v[135:136], v[115:116], v[111:112]
	s_waitcnt vmcnt(13)
	v_fma_f64 v[123:124], v[141:142], v[117:118], v[111:112]
	ds_read2_b64 v[111:114], v110 offset0:101 offset1:102
	ds_read2_b64 v[115:118], v110 offset0:103 offset1:104
	s_waitcnt vmcnt(12) lgkmcnt(1)
	v_fma_f64 v[111:112], v[147:148], v[111:112], v[123:124]
	s_waitcnt vmcnt(11)
	v_fma_f64 v[111:112], v[145:146], v[113:114], v[111:112]
	s_waitcnt vmcnt(10) lgkmcnt(0)
	v_fma_f64 v[111:112], v[143:144], v[115:116], v[111:112]
	s_waitcnt vmcnt(5)
	v_fma_f64 v[115:116], v[119:120], v[117:118], v[111:112]
	ds_read2_b64 v[111:114], v110 offset0:105 offset1:106
	ds_read_b64 v[117:118], v110 offset:856
	s_waitcnt vmcnt(4) lgkmcnt(1)
	v_fma_f64 v[111:112], v[153:154], v[111:112], v[115:116]
	s_waitcnt vmcnt(3)
	v_fma_f64 v[111:112], v[151:152], v[113:114], v[111:112]
	s_waitcnt vmcnt(2) lgkmcnt(0)
	v_fma_f64 v[111:112], v[149:150], v[117:118], v[111:112]
	s_waitcnt vmcnt(0)
	v_add_f64 v[111:112], v[121:122], -v[111:112]
	buffer_store_dword v112, off, s[0:3], 0 offset:276
	buffer_store_dword v111, off, s[0:3], 0 offset:272
	v_cmpx_lt_u32_e32 33, v0
	s_cbranch_execz .LBB117_267
; %bb.266:
	s_clause 0x1
	buffer_load_dword v111, off, s[0:3], 0 offset:264
	buffer_load_dword v112, off, s[0:3], 0 offset:268
	buffer_store_dword v110, off, s[0:3], 0 offset:264
	buffer_store_dword v110, off, s[0:3], 0 offset:268
	s_waitcnt vmcnt(0)
	ds_write_b64 v109, v[111:112]
.LBB117_267:
	s_or_b32 exec_lo, exec_lo, s4
	s_waitcnt lgkmcnt(0)
	s_waitcnt_vscnt null, 0x0
	s_barrier
	buffer_gl0_inv
	s_clause 0x1c
	buffer_load_dword v119, off, s[0:3], 0 offset:272
	buffer_load_dword v120, off, s[0:3], 0 offset:276
	;; [unrolled: 1-line block ×29, first 2 shown]
	ds_read_b128 v[111:114], v110 offset:704
	ds_read_b128 v[115:118], v110 offset:720
	buffer_load_dword v144, off, s[0:3], 0 offset:388
	s_mov_b32 s4, exec_lo
	s_waitcnt vmcnt(28) lgkmcnt(1)
	v_fma_f64 v[111:112], v[119:120], v[111:112], 0
	s_clause 0x7
	buffer_load_dword v120, off, s[0:3], 0 offset:396
	buffer_load_dword v149, off, s[0:3], 0 offset:416
	;; [unrolled: 1-line block ×8, first 2 shown]
	s_waitcnt vmcnt(34)
	v_fma_f64 v[111:112], v[121:122], v[113:114], v[111:112]
	s_waitcnt vmcnt(32) lgkmcnt(0)
	v_fma_f64 v[111:112], v[123:124], v[115:116], v[111:112]
	s_waitcnt vmcnt(30)
	v_fma_f64 v[121:122], v[125:126], v[117:118], v[111:112]
	ds_read_b128 v[111:114], v110 offset:736
	ds_read_b128 v[115:118], v110 offset:752
	s_waitcnt vmcnt(28) lgkmcnt(1)
	v_fma_f64 v[111:112], v[127:128], v[111:112], v[121:122]
	s_clause 0x3
	buffer_load_dword v122, off, s[0:3], 0 offset:428
	buffer_load_dword v121, off, s[0:3], 0 offset:424
	buffer_load_dword v123, off, s[0:3], 0 offset:264
	buffer_load_dword v124, off, s[0:3], 0 offset:268
	s_waitcnt vmcnt(30)
	v_fma_f64 v[111:112], v[129:130], v[113:114], v[111:112]
	s_waitcnt vmcnt(28) lgkmcnt(0)
	v_fma_f64 v[111:112], v[131:132], v[115:116], v[111:112]
	s_waitcnt vmcnt(23)
	v_fma_f64 v[125:126], v[133:134], v[117:118], v[111:112]
	ds_read_b128 v[111:114], v110 offset:768
	ds_read_b128 v[115:118], v110 offset:784
	s_waitcnt vmcnt(22) lgkmcnt(1)
	v_fma_f64 v[111:112], v[139:140], v[111:112], v[125:126]
	s_waitcnt vmcnt(21)
	v_fma_f64 v[111:112], v[137:138], v[113:114], v[111:112]
	s_waitcnt vmcnt(20) lgkmcnt(0)
	v_fma_f64 v[111:112], v[135:136], v[115:116], v[111:112]
	s_waitcnt vmcnt(15)
	v_fma_f64 v[125:126], v[141:142], v[117:118], v[111:112]
	ds_read_b128 v[111:114], v110 offset:800
	ds_read_b128 v[115:118], v110 offset:816
	s_waitcnt vmcnt(14) lgkmcnt(1)
	v_fma_f64 v[111:112], v[147:148], v[111:112], v[125:126]
	;; [unrolled: 10-line block ×3, first 2 shown]
	s_waitcnt vmcnt(5)
	v_fma_f64 v[110:111], v[151:152], v[113:114], v[110:111]
	s_waitcnt vmcnt(4) lgkmcnt(0)
	v_fma_f64 v[110:111], v[149:150], v[115:116], v[110:111]
	s_waitcnt vmcnt(2)
	v_fma_f64 v[110:111], v[121:122], v[117:118], v[110:111]
	s_waitcnt vmcnt(0)
	v_add_f64 v[110:111], v[123:124], -v[110:111]
	buffer_store_dword v111, off, s[0:3], 0 offset:268
	buffer_store_dword v110, off, s[0:3], 0 offset:264
	v_cmpx_lt_u32_e32 32, v0
	s_cbranch_execz .LBB117_269
; %bb.268:
	s_clause 0x1
	buffer_load_dword v110, off, s[0:3], 0 offset:256
	buffer_load_dword v111, off, s[0:3], 0 offset:260
	v_mov_b32_e32 v112, 0
	buffer_store_dword v112, off, s[0:3], 0 offset:256
	buffer_store_dword v112, off, s[0:3], 0 offset:260
	s_waitcnt vmcnt(0)
	ds_write_b64 v109, v[110:111]
.LBB117_269:
	s_or_b32 exec_lo, exec_lo, s4
	s_waitcnt lgkmcnt(0)
	s_waitcnt_vscnt null, 0x0
	s_barrier
	buffer_gl0_inv
	s_clause 0x1c
	buffer_load_dword v119, off, s[0:3], 0 offset:264
	buffer_load_dword v120, off, s[0:3], 0 offset:268
	;; [unrolled: 1-line block ×29, first 2 shown]
	v_mov_b32_e32 v110, 0
	buffer_load_dword v144, off, s[0:3], 0 offset:380
	s_mov_b32 s4, exec_lo
	ds_read2_b64 v[111:114], v110 offset0:87 offset1:88
	ds_read2_b64 v[115:118], v110 offset0:89 offset1:90
	s_waitcnt vmcnt(28) lgkmcnt(1)
	v_fma_f64 v[111:112], v[119:120], v[111:112], 0
	s_clause 0x7
	buffer_load_dword v120, off, s[0:3], 0 offset:388
	buffer_load_dword v149, off, s[0:3], 0 offset:408
	;; [unrolled: 1-line block ×8, first 2 shown]
	s_waitcnt vmcnt(34)
	v_fma_f64 v[111:112], v[121:122], v[113:114], v[111:112]
	s_waitcnt vmcnt(32) lgkmcnt(0)
	v_fma_f64 v[111:112], v[123:124], v[115:116], v[111:112]
	s_waitcnt vmcnt(30)
	v_fma_f64 v[121:122], v[125:126], v[117:118], v[111:112]
	ds_read2_b64 v[111:114], v110 offset0:91 offset1:92
	ds_read2_b64 v[115:118], v110 offset0:93 offset1:94
	s_waitcnt vmcnt(28) lgkmcnt(1)
	v_fma_f64 v[111:112], v[127:128], v[111:112], v[121:122]
	s_clause 0x5
	buffer_load_dword v122, off, s[0:3], 0 offset:420
	buffer_load_dword v123, off, s[0:3], 0 offset:424
	;; [unrolled: 1-line block ×6, first 2 shown]
	s_waitcnt vmcnt(32)
	v_fma_f64 v[111:112], v[129:130], v[113:114], v[111:112]
	s_waitcnt vmcnt(30) lgkmcnt(0)
	v_fma_f64 v[111:112], v[131:132], v[115:116], v[111:112]
	s_waitcnt vmcnt(25)
	v_fma_f64 v[127:128], v[133:134], v[117:118], v[111:112]
	ds_read2_b64 v[111:114], v110 offset0:95 offset1:96
	ds_read2_b64 v[115:118], v110 offset0:97 offset1:98
	s_waitcnt vmcnt(24) lgkmcnt(1)
	v_fma_f64 v[111:112], v[139:140], v[111:112], v[127:128]
	s_waitcnt vmcnt(23)
	v_fma_f64 v[111:112], v[137:138], v[113:114], v[111:112]
	s_waitcnt vmcnt(22) lgkmcnt(0)
	v_fma_f64 v[111:112], v[135:136], v[115:116], v[111:112]
	s_waitcnt vmcnt(17)
	v_fma_f64 v[127:128], v[141:142], v[117:118], v[111:112]
	ds_read2_b64 v[111:114], v110 offset0:99 offset1:100
	ds_read2_b64 v[115:118], v110 offset0:101 offset1:102
	s_waitcnt vmcnt(16) lgkmcnt(1)
	v_fma_f64 v[111:112], v[147:148], v[111:112], v[127:128]
	;; [unrolled: 10-line block ×3, first 2 shown]
	s_waitcnt vmcnt(7)
	v_fma_f64 v[111:112], v[151:152], v[113:114], v[111:112]
	ds_read_b64 v[113:114], v110 offset:856
	s_waitcnt vmcnt(6) lgkmcnt(1)
	v_fma_f64 v[111:112], v[149:150], v[115:116], v[111:112]
	s_waitcnt vmcnt(3)
	v_fma_f64 v[111:112], v[121:122], v[117:118], v[111:112]
	s_waitcnt vmcnt(2) lgkmcnt(0)
	v_fma_f64 v[111:112], v[123:124], v[113:114], v[111:112]
	s_waitcnt vmcnt(0)
	v_add_f64 v[111:112], v[125:126], -v[111:112]
	buffer_store_dword v112, off, s[0:3], 0 offset:260
	buffer_store_dword v111, off, s[0:3], 0 offset:256
	v_cmpx_lt_u32_e32 31, v0
	s_cbranch_execz .LBB117_271
; %bb.270:
	s_clause 0x1
	buffer_load_dword v111, off, s[0:3], 0 offset:248
	buffer_load_dword v112, off, s[0:3], 0 offset:252
	buffer_store_dword v110, off, s[0:3], 0 offset:248
	buffer_store_dword v110, off, s[0:3], 0 offset:252
	s_waitcnt vmcnt(0)
	ds_write_b64 v109, v[111:112]
.LBB117_271:
	s_or_b32 exec_lo, exec_lo, s4
	s_waitcnt lgkmcnt(0)
	s_waitcnt_vscnt null, 0x0
	s_barrier
	buffer_gl0_inv
	s_clause 0x1c
	buffer_load_dword v119, off, s[0:3], 0 offset:256
	buffer_load_dword v120, off, s[0:3], 0 offset:260
	;; [unrolled: 1-line block ×29, first 2 shown]
	ds_read_b128 v[111:114], v110 offset:688
	ds_read_b128 v[115:118], v110 offset:704
	buffer_load_dword v144, off, s[0:3], 0 offset:372
	s_mov_b32 s4, exec_lo
	s_waitcnt vmcnt(28) lgkmcnt(1)
	v_fma_f64 v[111:112], v[119:120], v[111:112], 0
	s_clause 0x7
	buffer_load_dword v120, off, s[0:3], 0 offset:380
	buffer_load_dword v149, off, s[0:3], 0 offset:400
	;; [unrolled: 1-line block ×8, first 2 shown]
	s_waitcnt vmcnt(34)
	v_fma_f64 v[111:112], v[121:122], v[113:114], v[111:112]
	s_waitcnt vmcnt(32) lgkmcnt(0)
	v_fma_f64 v[111:112], v[123:124], v[115:116], v[111:112]
	s_waitcnt vmcnt(30)
	v_fma_f64 v[121:122], v[125:126], v[117:118], v[111:112]
	ds_read_b128 v[111:114], v110 offset:720
	ds_read_b128 v[115:118], v110 offset:736
	s_waitcnt vmcnt(28) lgkmcnt(1)
	v_fma_f64 v[111:112], v[127:128], v[111:112], v[121:122]
	s_clause 0x5
	buffer_load_dword v122, off, s[0:3], 0 offset:412
	buffer_load_dword v123, off, s[0:3], 0 offset:424
	;; [unrolled: 1-line block ×6, first 2 shown]
	s_waitcnt vmcnt(32)
	v_fma_f64 v[111:112], v[129:130], v[113:114], v[111:112]
	s_waitcnt vmcnt(30) lgkmcnt(0)
	v_fma_f64 v[111:112], v[131:132], v[115:116], v[111:112]
	s_waitcnt vmcnt(25)
	v_fma_f64 v[127:128], v[133:134], v[117:118], v[111:112]
	ds_read_b128 v[111:114], v110 offset:752
	s_clause 0x1
	buffer_load_dword v129, off, s[0:3], 0 offset:248
	buffer_load_dword v130, off, s[0:3], 0 offset:252
	ds_read_b128 v[115:118], v110 offset:768
	s_waitcnt vmcnt(26) lgkmcnt(1)
	v_fma_f64 v[111:112], v[139:140], v[111:112], v[127:128]
	s_waitcnt vmcnt(25)
	v_fma_f64 v[111:112], v[137:138], v[113:114], v[111:112]
	s_waitcnt vmcnt(24) lgkmcnt(0)
	v_fma_f64 v[111:112], v[135:136], v[115:116], v[111:112]
	s_waitcnt vmcnt(19)
	v_fma_f64 v[127:128], v[141:142], v[117:118], v[111:112]
	ds_read_b128 v[111:114], v110 offset:784
	ds_read_b128 v[115:118], v110 offset:800
	s_waitcnt vmcnt(18) lgkmcnt(1)
	v_fma_f64 v[111:112], v[147:148], v[111:112], v[127:128]
	s_waitcnt vmcnt(17)
	v_fma_f64 v[111:112], v[145:146], v[113:114], v[111:112]
	s_waitcnt vmcnt(16) lgkmcnt(0)
	v_fma_f64 v[111:112], v[143:144], v[115:116], v[111:112]
	s_waitcnt vmcnt(11)
	v_fma_f64 v[119:120], v[119:120], v[117:118], v[111:112]
	ds_read_b128 v[111:114], v110 offset:816
	;; [unrolled: 10-line block ×3, first 2 shown]
	s_waitcnt vmcnt(3) lgkmcnt(0)
	v_fma_f64 v[110:111], v[125:126], v[110:111], v[114:115]
	s_waitcnt vmcnt(2)
	v_fma_f64 v[110:111], v[123:124], v[112:113], v[110:111]
	s_waitcnt vmcnt(0)
	v_add_f64 v[110:111], v[129:130], -v[110:111]
	buffer_store_dword v111, off, s[0:3], 0 offset:252
	buffer_store_dword v110, off, s[0:3], 0 offset:248
	v_cmpx_lt_u32_e32 30, v0
	s_cbranch_execz .LBB117_273
; %bb.272:
	s_clause 0x1
	buffer_load_dword v110, off, s[0:3], 0 offset:240
	buffer_load_dword v111, off, s[0:3], 0 offset:244
	v_mov_b32_e32 v112, 0
	buffer_store_dword v112, off, s[0:3], 0 offset:240
	buffer_store_dword v112, off, s[0:3], 0 offset:244
	s_waitcnt vmcnt(0)
	ds_write_b64 v109, v[110:111]
.LBB117_273:
	s_or_b32 exec_lo, exec_lo, s4
	s_waitcnt lgkmcnt(0)
	s_waitcnt_vscnt null, 0x0
	s_barrier
	buffer_gl0_inv
	s_clause 0x1c
	buffer_load_dword v119, off, s[0:3], 0 offset:248
	buffer_load_dword v120, off, s[0:3], 0 offset:252
	;; [unrolled: 1-line block ×29, first 2 shown]
	v_mov_b32_e32 v110, 0
	buffer_load_dword v144, off, s[0:3], 0 offset:364
	s_mov_b32 s4, exec_lo
	ds_read2_b64 v[111:114], v110 offset0:85 offset1:86
	ds_read2_b64 v[115:118], v110 offset0:87 offset1:88
	s_waitcnt vmcnt(28) lgkmcnt(1)
	v_fma_f64 v[111:112], v[119:120], v[111:112], 0
	s_clause 0x7
	buffer_load_dword v120, off, s[0:3], 0 offset:372
	buffer_load_dword v149, off, s[0:3], 0 offset:392
	;; [unrolled: 1-line block ×8, first 2 shown]
	s_waitcnt vmcnt(34)
	v_fma_f64 v[111:112], v[121:122], v[113:114], v[111:112]
	s_waitcnt vmcnt(32) lgkmcnt(0)
	v_fma_f64 v[111:112], v[123:124], v[115:116], v[111:112]
	s_waitcnt vmcnt(30)
	v_fma_f64 v[121:122], v[125:126], v[117:118], v[111:112]
	ds_read2_b64 v[111:114], v110 offset0:89 offset1:90
	ds_read2_b64 v[115:118], v110 offset0:91 offset1:92
	s_waitcnt vmcnt(28) lgkmcnt(1)
	v_fma_f64 v[111:112], v[127:128], v[111:112], v[121:122]
	s_clause 0x7
	buffer_load_dword v122, off, s[0:3], 0 offset:404
	buffer_load_dword v123, off, s[0:3], 0 offset:424
	;; [unrolled: 1-line block ×8, first 2 shown]
	s_waitcnt vmcnt(34)
	v_fma_f64 v[111:112], v[129:130], v[113:114], v[111:112]
	s_waitcnt vmcnt(32) lgkmcnt(0)
	v_fma_f64 v[111:112], v[131:132], v[115:116], v[111:112]
	s_waitcnt vmcnt(27)
	v_fma_f64 v[129:130], v[133:134], v[117:118], v[111:112]
	ds_read2_b64 v[111:114], v110 offset0:93 offset1:94
	ds_read2_b64 v[115:118], v110 offset0:95 offset1:96
	s_waitcnt vmcnt(26) lgkmcnt(1)
	v_fma_f64 v[111:112], v[139:140], v[111:112], v[129:130]
	s_clause 0x1
	buffer_load_dword v129, off, s[0:3], 0 offset:240
	buffer_load_dword v130, off, s[0:3], 0 offset:244
	s_waitcnt vmcnt(27)
	v_fma_f64 v[111:112], v[137:138], v[113:114], v[111:112]
	s_waitcnt vmcnt(26) lgkmcnt(0)
	v_fma_f64 v[111:112], v[135:136], v[115:116], v[111:112]
	s_waitcnt vmcnt(21)
	v_fma_f64 v[131:132], v[141:142], v[117:118], v[111:112]
	ds_read2_b64 v[111:114], v110 offset0:97 offset1:98
	ds_read2_b64 v[115:118], v110 offset0:99 offset1:100
	s_waitcnt vmcnt(20) lgkmcnt(1)
	v_fma_f64 v[111:112], v[147:148], v[111:112], v[131:132]
	s_waitcnt vmcnt(19)
	v_fma_f64 v[111:112], v[145:146], v[113:114], v[111:112]
	s_waitcnt vmcnt(18) lgkmcnt(0)
	v_fma_f64 v[111:112], v[143:144], v[115:116], v[111:112]
	s_waitcnt vmcnt(13)
	v_fma_f64 v[119:120], v[119:120], v[117:118], v[111:112]
	ds_read2_b64 v[111:114], v110 offset0:101 offset1:102
	ds_read2_b64 v[115:118], v110 offset0:103 offset1:104
	s_waitcnt vmcnt(12) lgkmcnt(1)
	v_fma_f64 v[111:112], v[153:154], v[111:112], v[119:120]
	s_waitcnt vmcnt(11)
	v_fma_f64 v[111:112], v[151:152], v[113:114], v[111:112]
	s_waitcnt vmcnt(10) lgkmcnt(0)
	v_fma_f64 v[111:112], v[149:150], v[115:116], v[111:112]
	s_waitcnt vmcnt(5)
	v_fma_f64 v[115:116], v[121:122], v[117:118], v[111:112]
	ds_read2_b64 v[111:114], v110 offset0:105 offset1:106
	ds_read_b64 v[117:118], v110 offset:856
	s_waitcnt vmcnt(4) lgkmcnt(1)
	v_fma_f64 v[111:112], v[127:128], v[111:112], v[115:116]
	s_waitcnt vmcnt(3)
	v_fma_f64 v[111:112], v[125:126], v[113:114], v[111:112]
	s_waitcnt vmcnt(2) lgkmcnt(0)
	v_fma_f64 v[111:112], v[123:124], v[117:118], v[111:112]
	s_waitcnt vmcnt(0)
	v_add_f64 v[111:112], v[129:130], -v[111:112]
	buffer_store_dword v112, off, s[0:3], 0 offset:244
	buffer_store_dword v111, off, s[0:3], 0 offset:240
	v_cmpx_lt_u32_e32 29, v0
	s_cbranch_execz .LBB117_275
; %bb.274:
	s_clause 0x1
	buffer_load_dword v111, off, s[0:3], 0 offset:232
	buffer_load_dword v112, off, s[0:3], 0 offset:236
	buffer_store_dword v110, off, s[0:3], 0 offset:232
	buffer_store_dword v110, off, s[0:3], 0 offset:236
	s_waitcnt vmcnt(0)
	ds_write_b64 v109, v[111:112]
.LBB117_275:
	s_or_b32 exec_lo, exec_lo, s4
	s_waitcnt lgkmcnt(0)
	s_waitcnt_vscnt null, 0x0
	s_barrier
	buffer_gl0_inv
	s_clause 0x1c
	buffer_load_dword v119, off, s[0:3], 0 offset:240
	buffer_load_dword v120, off, s[0:3], 0 offset:244
	;; [unrolled: 1-line block ×29, first 2 shown]
	ds_read_b128 v[111:114], v110 offset:672
	ds_read_b128 v[115:118], v110 offset:688
	buffer_load_dword v144, off, s[0:3], 0 offset:356
	s_mov_b32 s4, exec_lo
	s_waitcnt vmcnt(28) lgkmcnt(1)
	v_fma_f64 v[111:112], v[119:120], v[111:112], 0
	s_clause 0x7
	buffer_load_dword v120, off, s[0:3], 0 offset:364
	buffer_load_dword v149, off, s[0:3], 0 offset:384
	;; [unrolled: 1-line block ×8, first 2 shown]
	s_waitcnt vmcnt(34)
	v_fma_f64 v[111:112], v[121:122], v[113:114], v[111:112]
	s_waitcnt vmcnt(32) lgkmcnt(0)
	v_fma_f64 v[111:112], v[123:124], v[115:116], v[111:112]
	s_waitcnt vmcnt(30)
	v_fma_f64 v[121:122], v[125:126], v[117:118], v[111:112]
	ds_read_b128 v[111:114], v110 offset:704
	ds_read_b128 v[115:118], v110 offset:720
	s_waitcnt vmcnt(28) lgkmcnt(1)
	v_fma_f64 v[111:112], v[127:128], v[111:112], v[121:122]
	s_clause 0x7
	buffer_load_dword v122, off, s[0:3], 0 offset:396
	buffer_load_dword v123, off, s[0:3], 0 offset:416
	buffer_load_dword v125, off, s[0:3], 0 offset:408
	buffer_load_dword v127, off, s[0:3], 0 offset:400
	buffer_load_dword v121, off, s[0:3], 0 offset:392
	buffer_load_dword v128, off, s[0:3], 0 offset:404
	buffer_load_dword v126, off, s[0:3], 0 offset:412
	buffer_load_dword v124, off, s[0:3], 0 offset:420
	s_waitcnt vmcnt(34)
	v_fma_f64 v[111:112], v[129:130], v[113:114], v[111:112]
	s_waitcnt vmcnt(32) lgkmcnt(0)
	v_fma_f64 v[111:112], v[131:132], v[115:116], v[111:112]
	s_waitcnt vmcnt(27)
	v_fma_f64 v[129:130], v[133:134], v[117:118], v[111:112]
	ds_read_b128 v[111:114], v110 offset:736
	ds_read_b128 v[115:118], v110 offset:752
	s_waitcnt vmcnt(26) lgkmcnt(1)
	v_fma_f64 v[111:112], v[139:140], v[111:112], v[129:130]
	s_clause 0x3
	buffer_load_dword v130, off, s[0:3], 0 offset:428
	buffer_load_dword v129, off, s[0:3], 0 offset:424
	;; [unrolled: 1-line block ×4, first 2 shown]
	s_waitcnt vmcnt(29)
	v_fma_f64 v[111:112], v[137:138], v[113:114], v[111:112]
	s_waitcnt vmcnt(28) lgkmcnt(0)
	v_fma_f64 v[111:112], v[135:136], v[115:116], v[111:112]
	s_waitcnt vmcnt(23)
	v_fma_f64 v[133:134], v[141:142], v[117:118], v[111:112]
	ds_read_b128 v[111:114], v110 offset:768
	ds_read_b128 v[115:118], v110 offset:784
	s_waitcnt vmcnt(22) lgkmcnt(1)
	v_fma_f64 v[111:112], v[147:148], v[111:112], v[133:134]
	s_waitcnt vmcnt(21)
	v_fma_f64 v[111:112], v[145:146], v[113:114], v[111:112]
	s_waitcnt vmcnt(20) lgkmcnt(0)
	v_fma_f64 v[111:112], v[143:144], v[115:116], v[111:112]
	s_waitcnt vmcnt(15)
	v_fma_f64 v[119:120], v[119:120], v[117:118], v[111:112]
	ds_read_b128 v[111:114], v110 offset:800
	ds_read_b128 v[115:118], v110 offset:816
	s_waitcnt vmcnt(14) lgkmcnt(1)
	v_fma_f64 v[111:112], v[153:154], v[111:112], v[119:120]
	;; [unrolled: 10-line block ×3, first 2 shown]
	s_waitcnt vmcnt(5)
	v_fma_f64 v[110:111], v[125:126], v[113:114], v[110:111]
	s_waitcnt vmcnt(4) lgkmcnt(0)
	v_fma_f64 v[110:111], v[123:124], v[115:116], v[110:111]
	s_waitcnt vmcnt(2)
	v_fma_f64 v[110:111], v[129:130], v[117:118], v[110:111]
	s_waitcnt vmcnt(0)
	v_add_f64 v[110:111], v[131:132], -v[110:111]
	buffer_store_dword v111, off, s[0:3], 0 offset:236
	buffer_store_dword v110, off, s[0:3], 0 offset:232
	v_cmpx_lt_u32_e32 28, v0
	s_cbranch_execz .LBB117_277
; %bb.276:
	s_clause 0x1
	buffer_load_dword v110, off, s[0:3], 0 offset:224
	buffer_load_dword v111, off, s[0:3], 0 offset:228
	v_mov_b32_e32 v112, 0
	buffer_store_dword v112, off, s[0:3], 0 offset:224
	buffer_store_dword v112, off, s[0:3], 0 offset:228
	s_waitcnt vmcnt(0)
	ds_write_b64 v109, v[110:111]
.LBB117_277:
	s_or_b32 exec_lo, exec_lo, s4
	s_waitcnt lgkmcnt(0)
	s_waitcnt_vscnt null, 0x0
	s_barrier
	buffer_gl0_inv
	s_clause 0x1c
	buffer_load_dword v119, off, s[0:3], 0 offset:232
	buffer_load_dword v120, off, s[0:3], 0 offset:236
	;; [unrolled: 1-line block ×29, first 2 shown]
	v_mov_b32_e32 v110, 0
	buffer_load_dword v144, off, s[0:3], 0 offset:348
	s_mov_b32 s4, exec_lo
	ds_read2_b64 v[111:114], v110 offset0:83 offset1:84
	ds_read2_b64 v[115:118], v110 offset0:85 offset1:86
	s_waitcnt vmcnt(28) lgkmcnt(1)
	v_fma_f64 v[111:112], v[119:120], v[111:112], 0
	s_clause 0x7
	buffer_load_dword v120, off, s[0:3], 0 offset:356
	buffer_load_dword v149, off, s[0:3], 0 offset:376
	;; [unrolled: 1-line block ×8, first 2 shown]
	s_waitcnt vmcnt(34)
	v_fma_f64 v[111:112], v[121:122], v[113:114], v[111:112]
	s_waitcnt vmcnt(32) lgkmcnt(0)
	v_fma_f64 v[111:112], v[123:124], v[115:116], v[111:112]
	s_waitcnt vmcnt(30)
	v_fma_f64 v[121:122], v[125:126], v[117:118], v[111:112]
	ds_read2_b64 v[111:114], v110 offset0:87 offset1:88
	ds_read2_b64 v[115:118], v110 offset0:89 offset1:90
	s_waitcnt vmcnt(28) lgkmcnt(1)
	v_fma_f64 v[111:112], v[127:128], v[111:112], v[121:122]
	s_clause 0x7
	buffer_load_dword v122, off, s[0:3], 0 offset:388
	buffer_load_dword v123, off, s[0:3], 0 offset:408
	;; [unrolled: 1-line block ×8, first 2 shown]
	s_waitcnt vmcnt(34)
	v_fma_f64 v[111:112], v[129:130], v[113:114], v[111:112]
	s_waitcnt vmcnt(32) lgkmcnt(0)
	v_fma_f64 v[111:112], v[131:132], v[115:116], v[111:112]
	s_waitcnt vmcnt(27)
	v_fma_f64 v[129:130], v[133:134], v[117:118], v[111:112]
	ds_read2_b64 v[111:114], v110 offset0:91 offset1:92
	ds_read2_b64 v[115:118], v110 offset0:93 offset1:94
	s_waitcnt vmcnt(26) lgkmcnt(1)
	v_fma_f64 v[111:112], v[139:140], v[111:112], v[129:130]
	s_clause 0x5
	buffer_load_dword v130, off, s[0:3], 0 offset:420
	buffer_load_dword v131, off, s[0:3], 0 offset:424
	;; [unrolled: 1-line block ×6, first 2 shown]
	s_waitcnt vmcnt(31)
	v_fma_f64 v[111:112], v[137:138], v[113:114], v[111:112]
	s_waitcnt vmcnt(30) lgkmcnt(0)
	v_fma_f64 v[111:112], v[135:136], v[115:116], v[111:112]
	s_waitcnt vmcnt(25)
	v_fma_f64 v[135:136], v[141:142], v[117:118], v[111:112]
	ds_read2_b64 v[111:114], v110 offset0:95 offset1:96
	ds_read2_b64 v[115:118], v110 offset0:97 offset1:98
	s_waitcnt vmcnt(24) lgkmcnt(1)
	v_fma_f64 v[111:112], v[147:148], v[111:112], v[135:136]
	s_waitcnt vmcnt(23)
	v_fma_f64 v[111:112], v[145:146], v[113:114], v[111:112]
	s_waitcnt vmcnt(22) lgkmcnt(0)
	v_fma_f64 v[111:112], v[143:144], v[115:116], v[111:112]
	s_waitcnt vmcnt(17)
	v_fma_f64 v[119:120], v[119:120], v[117:118], v[111:112]
	ds_read2_b64 v[111:114], v110 offset0:99 offset1:100
	ds_read2_b64 v[115:118], v110 offset0:101 offset1:102
	s_waitcnt vmcnt(16) lgkmcnt(1)
	v_fma_f64 v[111:112], v[153:154], v[111:112], v[119:120]
	;; [unrolled: 10-line block ×3, first 2 shown]
	s_waitcnt vmcnt(7)
	v_fma_f64 v[111:112], v[125:126], v[113:114], v[111:112]
	ds_read_b64 v[113:114], v110 offset:856
	s_waitcnt vmcnt(6) lgkmcnt(1)
	v_fma_f64 v[111:112], v[123:124], v[115:116], v[111:112]
	s_waitcnt vmcnt(3)
	v_fma_f64 v[111:112], v[129:130], v[117:118], v[111:112]
	s_waitcnt vmcnt(2) lgkmcnt(0)
	v_fma_f64 v[111:112], v[131:132], v[113:114], v[111:112]
	s_waitcnt vmcnt(0)
	v_add_f64 v[111:112], v[133:134], -v[111:112]
	buffer_store_dword v112, off, s[0:3], 0 offset:228
	buffer_store_dword v111, off, s[0:3], 0 offset:224
	v_cmpx_lt_u32_e32 27, v0
	s_cbranch_execz .LBB117_279
; %bb.278:
	s_clause 0x1
	buffer_load_dword v111, off, s[0:3], 0 offset:216
	buffer_load_dword v112, off, s[0:3], 0 offset:220
	buffer_store_dword v110, off, s[0:3], 0 offset:216
	buffer_store_dword v110, off, s[0:3], 0 offset:220
	s_waitcnt vmcnt(0)
	ds_write_b64 v109, v[111:112]
.LBB117_279:
	s_or_b32 exec_lo, exec_lo, s4
	s_waitcnt lgkmcnt(0)
	s_waitcnt_vscnt null, 0x0
	s_barrier
	buffer_gl0_inv
	s_clause 0x1c
	buffer_load_dword v119, off, s[0:3], 0 offset:224
	buffer_load_dword v120, off, s[0:3], 0 offset:228
	;; [unrolled: 1-line block ×29, first 2 shown]
	ds_read_b128 v[111:114], v110 offset:656
	ds_read_b128 v[115:118], v110 offset:672
	buffer_load_dword v144, off, s[0:3], 0 offset:340
	s_mov_b32 s4, exec_lo
	s_waitcnt vmcnt(28) lgkmcnt(1)
	v_fma_f64 v[111:112], v[119:120], v[111:112], 0
	s_clause 0x7
	buffer_load_dword v120, off, s[0:3], 0 offset:348
	buffer_load_dword v149, off, s[0:3], 0 offset:368
	;; [unrolled: 1-line block ×8, first 2 shown]
	s_waitcnt vmcnt(34)
	v_fma_f64 v[111:112], v[121:122], v[113:114], v[111:112]
	s_waitcnt vmcnt(32) lgkmcnt(0)
	v_fma_f64 v[111:112], v[123:124], v[115:116], v[111:112]
	s_waitcnt vmcnt(30)
	v_fma_f64 v[121:122], v[125:126], v[117:118], v[111:112]
	ds_read_b128 v[111:114], v110 offset:688
	ds_read_b128 v[115:118], v110 offset:704
	s_waitcnt vmcnt(28) lgkmcnt(1)
	v_fma_f64 v[111:112], v[127:128], v[111:112], v[121:122]
	s_clause 0x7
	buffer_load_dword v122, off, s[0:3], 0 offset:380
	buffer_load_dword v123, off, s[0:3], 0 offset:400
	;; [unrolled: 1-line block ×8, first 2 shown]
	s_waitcnt vmcnt(34)
	v_fma_f64 v[111:112], v[129:130], v[113:114], v[111:112]
	s_waitcnt vmcnt(32) lgkmcnt(0)
	v_fma_f64 v[111:112], v[131:132], v[115:116], v[111:112]
	s_waitcnt vmcnt(27)
	v_fma_f64 v[129:130], v[133:134], v[117:118], v[111:112]
	ds_read_b128 v[111:114], v110 offset:720
	ds_read_b128 v[115:118], v110 offset:736
	s_waitcnt vmcnt(26) lgkmcnt(1)
	v_fma_f64 v[111:112], v[139:140], v[111:112], v[129:130]
	s_clause 0x5
	buffer_load_dword v130, off, s[0:3], 0 offset:412
	buffer_load_dword v131, off, s[0:3], 0 offset:424
	;; [unrolled: 1-line block ×6, first 2 shown]
	s_waitcnt vmcnt(31)
	v_fma_f64 v[111:112], v[137:138], v[113:114], v[111:112]
	s_waitcnt vmcnt(30) lgkmcnt(0)
	v_fma_f64 v[111:112], v[135:136], v[115:116], v[111:112]
	s_waitcnt vmcnt(25)
	v_fma_f64 v[135:136], v[141:142], v[117:118], v[111:112]
	ds_read_b128 v[111:114], v110 offset:752
	s_clause 0x1
	buffer_load_dword v137, off, s[0:3], 0 offset:216
	buffer_load_dword v138, off, s[0:3], 0 offset:220
	ds_read_b128 v[115:118], v110 offset:768
	s_waitcnt vmcnt(26) lgkmcnt(1)
	v_fma_f64 v[111:112], v[147:148], v[111:112], v[135:136]
	s_waitcnt vmcnt(25)
	v_fma_f64 v[111:112], v[145:146], v[113:114], v[111:112]
	s_waitcnt vmcnt(24) lgkmcnt(0)
	v_fma_f64 v[111:112], v[143:144], v[115:116], v[111:112]
	s_waitcnt vmcnt(19)
	v_fma_f64 v[119:120], v[119:120], v[117:118], v[111:112]
	ds_read_b128 v[111:114], v110 offset:784
	ds_read_b128 v[115:118], v110 offset:800
	s_waitcnt vmcnt(18) lgkmcnt(1)
	v_fma_f64 v[111:112], v[153:154], v[111:112], v[119:120]
	s_waitcnt vmcnt(17)
	v_fma_f64 v[111:112], v[151:152], v[113:114], v[111:112]
	s_waitcnt vmcnt(16) lgkmcnt(0)
	v_fma_f64 v[111:112], v[149:150], v[115:116], v[111:112]
	s_waitcnt vmcnt(11)
	v_fma_f64 v[119:120], v[121:122], v[117:118], v[111:112]
	ds_read_b128 v[111:114], v110 offset:816
	;; [unrolled: 10-line block ×3, first 2 shown]
	s_waitcnt vmcnt(3) lgkmcnt(0)
	v_fma_f64 v[110:111], v[133:134], v[110:111], v[114:115]
	s_waitcnt vmcnt(2)
	v_fma_f64 v[110:111], v[131:132], v[112:113], v[110:111]
	s_waitcnt vmcnt(0)
	v_add_f64 v[110:111], v[137:138], -v[110:111]
	buffer_store_dword v111, off, s[0:3], 0 offset:220
	buffer_store_dword v110, off, s[0:3], 0 offset:216
	v_cmpx_lt_u32_e32 26, v0
	s_cbranch_execz .LBB117_281
; %bb.280:
	s_clause 0x1
	buffer_load_dword v110, off, s[0:3], 0 offset:208
	buffer_load_dword v111, off, s[0:3], 0 offset:212
	v_mov_b32_e32 v112, 0
	buffer_store_dword v112, off, s[0:3], 0 offset:208
	buffer_store_dword v112, off, s[0:3], 0 offset:212
	s_waitcnt vmcnt(0)
	ds_write_b64 v109, v[110:111]
.LBB117_281:
	s_or_b32 exec_lo, exec_lo, s4
	s_waitcnt lgkmcnt(0)
	s_waitcnt_vscnt null, 0x0
	s_barrier
	buffer_gl0_inv
	s_clause 0x1c
	buffer_load_dword v119, off, s[0:3], 0 offset:216
	buffer_load_dword v120, off, s[0:3], 0 offset:220
	;; [unrolled: 1-line block ×29, first 2 shown]
	v_mov_b32_e32 v110, 0
	buffer_load_dword v144, off, s[0:3], 0 offset:332
	s_mov_b32 s4, exec_lo
	ds_read2_b64 v[111:114], v110 offset0:81 offset1:82
	ds_read2_b64 v[115:118], v110 offset0:83 offset1:84
	s_waitcnt vmcnt(28) lgkmcnt(1)
	v_fma_f64 v[111:112], v[119:120], v[111:112], 0
	s_clause 0x7
	buffer_load_dword v120, off, s[0:3], 0 offset:340
	buffer_load_dword v149, off, s[0:3], 0 offset:360
	buffer_load_dword v151, off, s[0:3], 0 offset:352
	buffer_load_dword v153, off, s[0:3], 0 offset:344
	buffer_load_dword v119, off, s[0:3], 0 offset:336
	buffer_load_dword v154, off, s[0:3], 0 offset:348
	buffer_load_dword v152, off, s[0:3], 0 offset:356
	buffer_load_dword v150, off, s[0:3], 0 offset:364
	s_waitcnt vmcnt(34)
	v_fma_f64 v[111:112], v[121:122], v[113:114], v[111:112]
	s_waitcnt vmcnt(32) lgkmcnt(0)
	v_fma_f64 v[111:112], v[123:124], v[115:116], v[111:112]
	s_waitcnt vmcnt(30)
	v_fma_f64 v[121:122], v[125:126], v[117:118], v[111:112]
	ds_read2_b64 v[111:114], v110 offset0:85 offset1:86
	ds_read2_b64 v[115:118], v110 offset0:87 offset1:88
	s_waitcnt vmcnt(28) lgkmcnt(1)
	v_fma_f64 v[111:112], v[127:128], v[111:112], v[121:122]
	s_clause 0x7
	buffer_load_dword v122, off, s[0:3], 0 offset:372
	buffer_load_dword v123, off, s[0:3], 0 offset:392
	buffer_load_dword v125, off, s[0:3], 0 offset:384
	buffer_load_dword v127, off, s[0:3], 0 offset:376
	buffer_load_dword v121, off, s[0:3], 0 offset:368
	buffer_load_dword v128, off, s[0:3], 0 offset:380
	buffer_load_dword v126, off, s[0:3], 0 offset:388
	buffer_load_dword v124, off, s[0:3], 0 offset:396
	s_waitcnt vmcnt(34)
	v_fma_f64 v[111:112], v[129:130], v[113:114], v[111:112]
	s_waitcnt vmcnt(32) lgkmcnt(0)
	v_fma_f64 v[111:112], v[131:132], v[115:116], v[111:112]
	s_waitcnt vmcnt(27)
	v_fma_f64 v[129:130], v[133:134], v[117:118], v[111:112]
	;; [unrolled: 19-line block ×3, first 2 shown]
	ds_read2_b64 v[111:114], v110 offset0:93 offset1:94
	ds_read2_b64 v[115:118], v110 offset0:95 offset1:96
	s_waitcnt vmcnt(26) lgkmcnt(1)
	v_fma_f64 v[111:112], v[147:148], v[111:112], v[135:136]
	s_clause 0x1
	buffer_load_dword v135, off, s[0:3], 0 offset:208
	buffer_load_dword v136, off, s[0:3], 0 offset:212
	s_waitcnt vmcnt(27)
	v_fma_f64 v[111:112], v[145:146], v[113:114], v[111:112]
	s_waitcnt vmcnt(26) lgkmcnt(0)
	v_fma_f64 v[111:112], v[143:144], v[115:116], v[111:112]
	s_waitcnt vmcnt(21)
	v_fma_f64 v[119:120], v[119:120], v[117:118], v[111:112]
	ds_read2_b64 v[111:114], v110 offset0:97 offset1:98
	ds_read2_b64 v[115:118], v110 offset0:99 offset1:100
	s_waitcnt vmcnt(20) lgkmcnt(1)
	v_fma_f64 v[111:112], v[153:154], v[111:112], v[119:120]
	s_waitcnt vmcnt(19)
	v_fma_f64 v[111:112], v[151:152], v[113:114], v[111:112]
	s_waitcnt vmcnt(18) lgkmcnt(0)
	v_fma_f64 v[111:112], v[149:150], v[115:116], v[111:112]
	s_waitcnt vmcnt(13)
	v_fma_f64 v[119:120], v[121:122], v[117:118], v[111:112]
	ds_read2_b64 v[111:114], v110 offset0:101 offset1:102
	ds_read2_b64 v[115:118], v110 offset0:103 offset1:104
	s_waitcnt vmcnt(12) lgkmcnt(1)
	v_fma_f64 v[111:112], v[127:128], v[111:112], v[119:120]
	s_waitcnt vmcnt(11)
	v_fma_f64 v[111:112], v[125:126], v[113:114], v[111:112]
	s_waitcnt vmcnt(10) lgkmcnt(0)
	v_fma_f64 v[111:112], v[123:124], v[115:116], v[111:112]
	s_waitcnt vmcnt(5)
	v_fma_f64 v[115:116], v[129:130], v[117:118], v[111:112]
	ds_read2_b64 v[111:114], v110 offset0:105 offset1:106
	ds_read_b64 v[117:118], v110 offset:856
	s_waitcnt vmcnt(4) lgkmcnt(1)
	v_fma_f64 v[111:112], v[139:140], v[111:112], v[115:116]
	s_waitcnt vmcnt(3)
	v_fma_f64 v[111:112], v[133:134], v[113:114], v[111:112]
	s_waitcnt vmcnt(2) lgkmcnt(0)
	v_fma_f64 v[111:112], v[131:132], v[117:118], v[111:112]
	s_waitcnt vmcnt(0)
	v_add_f64 v[111:112], v[135:136], -v[111:112]
	buffer_store_dword v112, off, s[0:3], 0 offset:212
	buffer_store_dword v111, off, s[0:3], 0 offset:208
	v_cmpx_lt_u32_e32 25, v0
	s_cbranch_execz .LBB117_283
; %bb.282:
	s_clause 0x1
	buffer_load_dword v111, off, s[0:3], 0 offset:200
	buffer_load_dword v112, off, s[0:3], 0 offset:204
	buffer_store_dword v110, off, s[0:3], 0 offset:200
	buffer_store_dword v110, off, s[0:3], 0 offset:204
	s_waitcnt vmcnt(0)
	ds_write_b64 v109, v[111:112]
.LBB117_283:
	s_or_b32 exec_lo, exec_lo, s4
	s_waitcnt lgkmcnt(0)
	s_waitcnt_vscnt null, 0x0
	s_barrier
	buffer_gl0_inv
	s_clause 0x1c
	buffer_load_dword v119, off, s[0:3], 0 offset:208
	buffer_load_dword v120, off, s[0:3], 0 offset:212
	buffer_load_dword v121, off, s[0:3], 0 offset:216
	buffer_load_dword v122, off, s[0:3], 0 offset:220
	buffer_load_dword v123, off, s[0:3], 0 offset:224
	buffer_load_dword v124, off, s[0:3], 0 offset:228
	buffer_load_dword v125, off, s[0:3], 0 offset:232
	buffer_load_dword v126, off, s[0:3], 0 offset:236
	buffer_load_dword v127, off, s[0:3], 0 offset:240
	buffer_load_dword v128, off, s[0:3], 0 offset:244
	buffer_load_dword v129, off, s[0:3], 0 offset:248
	buffer_load_dword v130, off, s[0:3], 0 offset:252
	buffer_load_dword v131, off, s[0:3], 0 offset:256
	buffer_load_dword v132, off, s[0:3], 0 offset:260
	buffer_load_dword v134, off, s[0:3], 0 offset:268
	buffer_load_dword v135, off, s[0:3], 0 offset:288
	buffer_load_dword v137, off, s[0:3], 0 offset:280
	buffer_load_dword v139, off, s[0:3], 0 offset:272
	buffer_load_dword v133, off, s[0:3], 0 offset:264
	buffer_load_dword v140, off, s[0:3], 0 offset:276
	buffer_load_dword v138, off, s[0:3], 0 offset:284
	buffer_load_dword v136, off, s[0:3], 0 offset:292
	buffer_load_dword v142, off, s[0:3], 0 offset:300
	buffer_load_dword v143, off, s[0:3], 0 offset:320
	buffer_load_dword v145, off, s[0:3], 0 offset:312
	buffer_load_dword v147, off, s[0:3], 0 offset:304
	buffer_load_dword v141, off, s[0:3], 0 offset:296
	buffer_load_dword v148, off, s[0:3], 0 offset:308
	buffer_load_dword v146, off, s[0:3], 0 offset:316
	ds_read_b128 v[111:114], v110 offset:640
	ds_read_b128 v[115:118], v110 offset:656
	buffer_load_dword v144, off, s[0:3], 0 offset:324
	s_mov_b32 s4, exec_lo
	s_waitcnt vmcnt(28) lgkmcnt(1)
	v_fma_f64 v[111:112], v[119:120], v[111:112], 0
	s_clause 0x7
	buffer_load_dword v120, off, s[0:3], 0 offset:332
	buffer_load_dword v149, off, s[0:3], 0 offset:352
	buffer_load_dword v151, off, s[0:3], 0 offset:344
	buffer_load_dword v153, off, s[0:3], 0 offset:336
	buffer_load_dword v119, off, s[0:3], 0 offset:328
	buffer_load_dword v154, off, s[0:3], 0 offset:340
	buffer_load_dword v152, off, s[0:3], 0 offset:348
	buffer_load_dword v150, off, s[0:3], 0 offset:356
	s_waitcnt vmcnt(34)
	v_fma_f64 v[111:112], v[121:122], v[113:114], v[111:112]
	s_waitcnt vmcnt(32) lgkmcnt(0)
	v_fma_f64 v[111:112], v[123:124], v[115:116], v[111:112]
	s_waitcnt vmcnt(30)
	v_fma_f64 v[121:122], v[125:126], v[117:118], v[111:112]
	ds_read_b128 v[111:114], v110 offset:672
	ds_read_b128 v[115:118], v110 offset:688
	s_waitcnt vmcnt(28) lgkmcnt(1)
	v_fma_f64 v[111:112], v[127:128], v[111:112], v[121:122]
	s_clause 0x7
	buffer_load_dword v122, off, s[0:3], 0 offset:364
	buffer_load_dword v123, off, s[0:3], 0 offset:384
	buffer_load_dword v125, off, s[0:3], 0 offset:376
	buffer_load_dword v127, off, s[0:3], 0 offset:368
	buffer_load_dword v121, off, s[0:3], 0 offset:360
	buffer_load_dword v128, off, s[0:3], 0 offset:372
	buffer_load_dword v126, off, s[0:3], 0 offset:380
	buffer_load_dword v124, off, s[0:3], 0 offset:388
	s_waitcnt vmcnt(34)
	v_fma_f64 v[111:112], v[129:130], v[113:114], v[111:112]
	s_waitcnt vmcnt(32) lgkmcnt(0)
	v_fma_f64 v[111:112], v[131:132], v[115:116], v[111:112]
	s_waitcnt vmcnt(27)
	v_fma_f64 v[129:130], v[133:134], v[117:118], v[111:112]
	ds_read_b128 v[111:114], v110 offset:704
	ds_read_b128 v[115:118], v110 offset:720
	;; [unrolled: 19-line block ×3, first 2 shown]
	s_waitcnt vmcnt(26) lgkmcnt(1)
	v_fma_f64 v[111:112], v[147:148], v[111:112], v[135:136]
	s_clause 0x3
	buffer_load_dword v136, off, s[0:3], 0 offset:428
	buffer_load_dword v135, off, s[0:3], 0 offset:424
	buffer_load_dword v137, off, s[0:3], 0 offset:200
	buffer_load_dword v138, off, s[0:3], 0 offset:204
	s_waitcnt vmcnt(29)
	v_fma_f64 v[111:112], v[145:146], v[113:114], v[111:112]
	s_waitcnt vmcnt(28) lgkmcnt(0)
	v_fma_f64 v[111:112], v[143:144], v[115:116], v[111:112]
	s_waitcnt vmcnt(23)
	v_fma_f64 v[119:120], v[119:120], v[117:118], v[111:112]
	ds_read_b128 v[111:114], v110 offset:768
	ds_read_b128 v[115:118], v110 offset:784
	s_waitcnt vmcnt(22) lgkmcnt(1)
	v_fma_f64 v[111:112], v[153:154], v[111:112], v[119:120]
	s_waitcnt vmcnt(21)
	v_fma_f64 v[111:112], v[151:152], v[113:114], v[111:112]
	s_waitcnt vmcnt(20) lgkmcnt(0)
	v_fma_f64 v[111:112], v[149:150], v[115:116], v[111:112]
	s_waitcnt vmcnt(15)
	v_fma_f64 v[119:120], v[121:122], v[117:118], v[111:112]
	ds_read_b128 v[111:114], v110 offset:800
	ds_read_b128 v[115:118], v110 offset:816
	s_waitcnt vmcnt(14) lgkmcnt(1)
	v_fma_f64 v[111:112], v[127:128], v[111:112], v[119:120]
	;; [unrolled: 10-line block ×3, first 2 shown]
	s_waitcnt vmcnt(5)
	v_fma_f64 v[110:111], v[133:134], v[113:114], v[110:111]
	s_waitcnt vmcnt(4) lgkmcnt(0)
	v_fma_f64 v[110:111], v[131:132], v[115:116], v[110:111]
	s_waitcnt vmcnt(2)
	v_fma_f64 v[110:111], v[135:136], v[117:118], v[110:111]
	s_waitcnt vmcnt(0)
	v_add_f64 v[110:111], v[137:138], -v[110:111]
	buffer_store_dword v111, off, s[0:3], 0 offset:204
	buffer_store_dword v110, off, s[0:3], 0 offset:200
	v_cmpx_lt_u32_e32 24, v0
	s_cbranch_execz .LBB117_285
; %bb.284:
	s_clause 0x1
	buffer_load_dword v110, off, s[0:3], 0 offset:192
	buffer_load_dword v111, off, s[0:3], 0 offset:196
	v_mov_b32_e32 v112, 0
	buffer_store_dword v112, off, s[0:3], 0 offset:192
	buffer_store_dword v112, off, s[0:3], 0 offset:196
	s_waitcnt vmcnt(0)
	ds_write_b64 v109, v[110:111]
.LBB117_285:
	s_or_b32 exec_lo, exec_lo, s4
	s_waitcnt lgkmcnt(0)
	s_waitcnt_vscnt null, 0x0
	s_barrier
	buffer_gl0_inv
	s_clause 0x1c
	buffer_load_dword v119, off, s[0:3], 0 offset:200
	buffer_load_dword v120, off, s[0:3], 0 offset:204
	;; [unrolled: 1-line block ×29, first 2 shown]
	v_mov_b32_e32 v110, 0
	buffer_load_dword v144, off, s[0:3], 0 offset:316
	s_mov_b32 s4, exec_lo
	ds_read2_b64 v[111:114], v110 offset0:79 offset1:80
	ds_read2_b64 v[115:118], v110 offset0:81 offset1:82
	s_waitcnt vmcnt(28) lgkmcnt(1)
	v_fma_f64 v[111:112], v[119:120], v[111:112], 0
	s_clause 0x7
	buffer_load_dword v120, off, s[0:3], 0 offset:324
	buffer_load_dword v149, off, s[0:3], 0 offset:344
	buffer_load_dword v151, off, s[0:3], 0 offset:336
	buffer_load_dword v153, off, s[0:3], 0 offset:328
	buffer_load_dword v119, off, s[0:3], 0 offset:320
	buffer_load_dword v154, off, s[0:3], 0 offset:332
	buffer_load_dword v152, off, s[0:3], 0 offset:340
	buffer_load_dword v150, off, s[0:3], 0 offset:348
	s_waitcnt vmcnt(34)
	v_fma_f64 v[111:112], v[121:122], v[113:114], v[111:112]
	s_waitcnt vmcnt(32) lgkmcnt(0)
	v_fma_f64 v[111:112], v[123:124], v[115:116], v[111:112]
	s_waitcnt vmcnt(30)
	v_fma_f64 v[121:122], v[125:126], v[117:118], v[111:112]
	ds_read2_b64 v[111:114], v110 offset0:83 offset1:84
	ds_read2_b64 v[115:118], v110 offset0:85 offset1:86
	s_waitcnt vmcnt(28) lgkmcnt(1)
	v_fma_f64 v[111:112], v[127:128], v[111:112], v[121:122]
	s_clause 0x7
	buffer_load_dword v122, off, s[0:3], 0 offset:356
	buffer_load_dword v123, off, s[0:3], 0 offset:376
	buffer_load_dword v125, off, s[0:3], 0 offset:368
	buffer_load_dword v127, off, s[0:3], 0 offset:360
	buffer_load_dword v121, off, s[0:3], 0 offset:352
	buffer_load_dword v128, off, s[0:3], 0 offset:364
	buffer_load_dword v126, off, s[0:3], 0 offset:372
	buffer_load_dword v124, off, s[0:3], 0 offset:380
	s_waitcnt vmcnt(34)
	v_fma_f64 v[111:112], v[129:130], v[113:114], v[111:112]
	s_waitcnt vmcnt(32) lgkmcnt(0)
	v_fma_f64 v[111:112], v[131:132], v[115:116], v[111:112]
	s_waitcnt vmcnt(27)
	v_fma_f64 v[129:130], v[133:134], v[117:118], v[111:112]
	;; [unrolled: 19-line block ×3, first 2 shown]
	ds_read2_b64 v[111:114], v110 offset0:91 offset1:92
	ds_read2_b64 v[115:118], v110 offset0:93 offset1:94
	s_waitcnt vmcnt(26) lgkmcnt(1)
	v_fma_f64 v[111:112], v[147:148], v[111:112], v[135:136]
	s_clause 0x5
	buffer_load_dword v136, off, s[0:3], 0 offset:420
	buffer_load_dword v137, off, s[0:3], 0 offset:424
	buffer_load_dword v135, off, s[0:3], 0 offset:416
	buffer_load_dword v138, off, s[0:3], 0 offset:428
	buffer_load_dword v141, off, s[0:3], 0 offset:192
	buffer_load_dword v142, off, s[0:3], 0 offset:196
	s_waitcnt vmcnt(31)
	v_fma_f64 v[111:112], v[145:146], v[113:114], v[111:112]
	s_waitcnt vmcnt(30) lgkmcnt(0)
	v_fma_f64 v[111:112], v[143:144], v[115:116], v[111:112]
	s_waitcnt vmcnt(25)
	v_fma_f64 v[119:120], v[119:120], v[117:118], v[111:112]
	ds_read2_b64 v[111:114], v110 offset0:95 offset1:96
	ds_read2_b64 v[115:118], v110 offset0:97 offset1:98
	s_waitcnt vmcnt(24) lgkmcnt(1)
	v_fma_f64 v[111:112], v[153:154], v[111:112], v[119:120]
	s_waitcnt vmcnt(23)
	v_fma_f64 v[111:112], v[151:152], v[113:114], v[111:112]
	s_waitcnt vmcnt(22) lgkmcnt(0)
	v_fma_f64 v[111:112], v[149:150], v[115:116], v[111:112]
	s_waitcnt vmcnt(17)
	v_fma_f64 v[119:120], v[121:122], v[117:118], v[111:112]
	ds_read2_b64 v[111:114], v110 offset0:99 offset1:100
	ds_read2_b64 v[115:118], v110 offset0:101 offset1:102
	s_waitcnt vmcnt(16) lgkmcnt(1)
	v_fma_f64 v[111:112], v[127:128], v[111:112], v[119:120]
	;; [unrolled: 10-line block ×3, first 2 shown]
	s_waitcnt vmcnt(7)
	v_fma_f64 v[111:112], v[133:134], v[113:114], v[111:112]
	ds_read_b64 v[113:114], v110 offset:856
	s_waitcnt vmcnt(6) lgkmcnt(1)
	v_fma_f64 v[111:112], v[131:132], v[115:116], v[111:112]
	s_waitcnt vmcnt(3)
	v_fma_f64 v[111:112], v[135:136], v[117:118], v[111:112]
	s_waitcnt vmcnt(2) lgkmcnt(0)
	v_fma_f64 v[111:112], v[137:138], v[113:114], v[111:112]
	s_waitcnt vmcnt(0)
	v_add_f64 v[111:112], v[141:142], -v[111:112]
	buffer_store_dword v112, off, s[0:3], 0 offset:196
	buffer_store_dword v111, off, s[0:3], 0 offset:192
	v_cmpx_lt_u32_e32 23, v0
	s_cbranch_execz .LBB117_287
; %bb.286:
	s_clause 0x1
	buffer_load_dword v111, off, s[0:3], 0 offset:184
	buffer_load_dword v112, off, s[0:3], 0 offset:188
	buffer_store_dword v110, off, s[0:3], 0 offset:184
	buffer_store_dword v110, off, s[0:3], 0 offset:188
	s_waitcnt vmcnt(0)
	ds_write_b64 v109, v[111:112]
.LBB117_287:
	s_or_b32 exec_lo, exec_lo, s4
	s_waitcnt lgkmcnt(0)
	s_waitcnt_vscnt null, 0x0
	s_barrier
	buffer_gl0_inv
	s_clause 0x1c
	buffer_load_dword v119, off, s[0:3], 0 offset:192
	buffer_load_dword v120, off, s[0:3], 0 offset:196
	;; [unrolled: 1-line block ×29, first 2 shown]
	ds_read_b128 v[111:114], v110 offset:624
	ds_read_b128 v[115:118], v110 offset:640
	buffer_load_dword v144, off, s[0:3], 0 offset:308
	s_mov_b32 s4, exec_lo
	s_waitcnt vmcnt(28) lgkmcnt(1)
	v_fma_f64 v[111:112], v[119:120], v[111:112], 0
	s_clause 0x7
	buffer_load_dword v120, off, s[0:3], 0 offset:316
	buffer_load_dword v149, off, s[0:3], 0 offset:336
	buffer_load_dword v151, off, s[0:3], 0 offset:328
	buffer_load_dword v153, off, s[0:3], 0 offset:320
	buffer_load_dword v119, off, s[0:3], 0 offset:312
	buffer_load_dword v154, off, s[0:3], 0 offset:324
	buffer_load_dword v152, off, s[0:3], 0 offset:332
	buffer_load_dword v150, off, s[0:3], 0 offset:340
	s_waitcnt vmcnt(34)
	v_fma_f64 v[111:112], v[121:122], v[113:114], v[111:112]
	s_waitcnt vmcnt(32) lgkmcnt(0)
	v_fma_f64 v[111:112], v[123:124], v[115:116], v[111:112]
	s_waitcnt vmcnt(30)
	v_fma_f64 v[121:122], v[125:126], v[117:118], v[111:112]
	ds_read_b128 v[111:114], v110 offset:656
	ds_read_b128 v[115:118], v110 offset:672
	s_waitcnt vmcnt(28) lgkmcnt(1)
	v_fma_f64 v[111:112], v[127:128], v[111:112], v[121:122]
	s_clause 0x7
	buffer_load_dword v122, off, s[0:3], 0 offset:348
	buffer_load_dword v123, off, s[0:3], 0 offset:368
	buffer_load_dword v125, off, s[0:3], 0 offset:360
	buffer_load_dword v127, off, s[0:3], 0 offset:352
	buffer_load_dword v121, off, s[0:3], 0 offset:344
	buffer_load_dword v128, off, s[0:3], 0 offset:356
	buffer_load_dword v126, off, s[0:3], 0 offset:364
	buffer_load_dword v124, off, s[0:3], 0 offset:372
	s_waitcnt vmcnt(34)
	v_fma_f64 v[111:112], v[129:130], v[113:114], v[111:112]
	s_waitcnt vmcnt(32) lgkmcnt(0)
	v_fma_f64 v[111:112], v[131:132], v[115:116], v[111:112]
	s_waitcnt vmcnt(27)
	v_fma_f64 v[129:130], v[133:134], v[117:118], v[111:112]
	ds_read_b128 v[111:114], v110 offset:688
	ds_read_b128 v[115:118], v110 offset:704
	;; [unrolled: 19-line block ×3, first 2 shown]
	s_waitcnt vmcnt(26) lgkmcnt(1)
	v_fma_f64 v[111:112], v[147:148], v[111:112], v[135:136]
	s_clause 0x5
	buffer_load_dword v136, off, s[0:3], 0 offset:412
	buffer_load_dword v137, off, s[0:3], 0 offset:424
	;; [unrolled: 1-line block ×6, first 2 shown]
	s_waitcnt vmcnt(31)
	v_fma_f64 v[111:112], v[145:146], v[113:114], v[111:112]
	s_waitcnt vmcnt(30) lgkmcnt(0)
	v_fma_f64 v[111:112], v[143:144], v[115:116], v[111:112]
	s_waitcnt vmcnt(25)
	v_fma_f64 v[119:120], v[119:120], v[117:118], v[111:112]
	ds_read_b128 v[111:114], v110 offset:752
	s_clause 0x1
	buffer_load_dword v143, off, s[0:3], 0 offset:184
	buffer_load_dword v144, off, s[0:3], 0 offset:188
	ds_read_b128 v[115:118], v110 offset:768
	s_waitcnt vmcnt(26) lgkmcnt(1)
	v_fma_f64 v[111:112], v[153:154], v[111:112], v[119:120]
	s_waitcnt vmcnt(25)
	v_fma_f64 v[111:112], v[151:152], v[113:114], v[111:112]
	s_waitcnt vmcnt(24) lgkmcnt(0)
	v_fma_f64 v[111:112], v[149:150], v[115:116], v[111:112]
	s_waitcnt vmcnt(19)
	v_fma_f64 v[119:120], v[121:122], v[117:118], v[111:112]
	ds_read_b128 v[111:114], v110 offset:784
	ds_read_b128 v[115:118], v110 offset:800
	s_waitcnt vmcnt(18) lgkmcnt(1)
	v_fma_f64 v[111:112], v[127:128], v[111:112], v[119:120]
	s_waitcnt vmcnt(17)
	v_fma_f64 v[111:112], v[125:126], v[113:114], v[111:112]
	s_waitcnt vmcnt(16) lgkmcnt(0)
	v_fma_f64 v[111:112], v[123:124], v[115:116], v[111:112]
	s_waitcnt vmcnt(11)
	v_fma_f64 v[119:120], v[129:130], v[117:118], v[111:112]
	ds_read_b128 v[111:114], v110 offset:816
	;; [unrolled: 10-line block ×3, first 2 shown]
	s_waitcnt vmcnt(3) lgkmcnt(0)
	v_fma_f64 v[110:111], v[141:142], v[110:111], v[114:115]
	s_waitcnt vmcnt(2)
	v_fma_f64 v[110:111], v[137:138], v[112:113], v[110:111]
	s_waitcnt vmcnt(0)
	v_add_f64 v[110:111], v[143:144], -v[110:111]
	buffer_store_dword v111, off, s[0:3], 0 offset:188
	buffer_store_dword v110, off, s[0:3], 0 offset:184
	v_cmpx_lt_u32_e32 22, v0
	s_cbranch_execz .LBB117_289
; %bb.288:
	s_clause 0x1
	buffer_load_dword v110, off, s[0:3], 0 offset:176
	buffer_load_dword v111, off, s[0:3], 0 offset:180
	v_mov_b32_e32 v112, 0
	buffer_store_dword v112, off, s[0:3], 0 offset:176
	buffer_store_dword v112, off, s[0:3], 0 offset:180
	s_waitcnt vmcnt(0)
	ds_write_b64 v109, v[110:111]
.LBB117_289:
	s_or_b32 exec_lo, exec_lo, s4
	s_waitcnt lgkmcnt(0)
	s_waitcnt_vscnt null, 0x0
	s_barrier
	buffer_gl0_inv
	s_clause 0x1c
	buffer_load_dword v119, off, s[0:3], 0 offset:184
	buffer_load_dword v120, off, s[0:3], 0 offset:188
	;; [unrolled: 1-line block ×29, first 2 shown]
	v_mov_b32_e32 v110, 0
	buffer_load_dword v144, off, s[0:3], 0 offset:300
	s_mov_b32 s4, exec_lo
	ds_read2_b64 v[111:114], v110 offset0:77 offset1:78
	ds_read2_b64 v[115:118], v110 offset0:79 offset1:80
	s_waitcnt vmcnt(28) lgkmcnt(1)
	v_fma_f64 v[111:112], v[119:120], v[111:112], 0
	s_clause 0x7
	buffer_load_dword v120, off, s[0:3], 0 offset:308
	buffer_load_dword v149, off, s[0:3], 0 offset:328
	buffer_load_dword v151, off, s[0:3], 0 offset:320
	buffer_load_dword v153, off, s[0:3], 0 offset:312
	buffer_load_dword v119, off, s[0:3], 0 offset:304
	buffer_load_dword v154, off, s[0:3], 0 offset:316
	buffer_load_dword v152, off, s[0:3], 0 offset:324
	buffer_load_dword v150, off, s[0:3], 0 offset:332
	s_waitcnt vmcnt(34)
	v_fma_f64 v[111:112], v[121:122], v[113:114], v[111:112]
	s_waitcnt vmcnt(32) lgkmcnt(0)
	v_fma_f64 v[111:112], v[123:124], v[115:116], v[111:112]
	s_waitcnt vmcnt(30)
	v_fma_f64 v[121:122], v[125:126], v[117:118], v[111:112]
	ds_read2_b64 v[111:114], v110 offset0:81 offset1:82
	ds_read2_b64 v[115:118], v110 offset0:83 offset1:84
	s_waitcnt vmcnt(28) lgkmcnt(1)
	v_fma_f64 v[111:112], v[127:128], v[111:112], v[121:122]
	s_clause 0x7
	buffer_load_dword v122, off, s[0:3], 0 offset:340
	buffer_load_dword v123, off, s[0:3], 0 offset:360
	buffer_load_dword v125, off, s[0:3], 0 offset:352
	buffer_load_dword v127, off, s[0:3], 0 offset:344
	buffer_load_dword v121, off, s[0:3], 0 offset:336
	buffer_load_dword v128, off, s[0:3], 0 offset:348
	buffer_load_dword v126, off, s[0:3], 0 offset:356
	buffer_load_dword v124, off, s[0:3], 0 offset:364
	s_waitcnt vmcnt(34)
	v_fma_f64 v[111:112], v[129:130], v[113:114], v[111:112]
	s_waitcnt vmcnt(32) lgkmcnt(0)
	v_fma_f64 v[111:112], v[131:132], v[115:116], v[111:112]
	s_waitcnt vmcnt(27)
	v_fma_f64 v[129:130], v[133:134], v[117:118], v[111:112]
	;; [unrolled: 19-line block ×4, first 2 shown]
	ds_read2_b64 v[111:114], v110 offset0:93 offset1:94
	ds_read2_b64 v[115:118], v110 offset0:95 offset1:96
	s_waitcnt vmcnt(26) lgkmcnt(1)
	v_fma_f64 v[111:112], v[153:154], v[111:112], v[119:120]
	s_clause 0x1
	buffer_load_dword v119, off, s[0:3], 0 offset:176
	buffer_load_dword v120, off, s[0:3], 0 offset:180
	s_waitcnt vmcnt(27)
	v_fma_f64 v[111:112], v[151:152], v[113:114], v[111:112]
	s_waitcnt vmcnt(26) lgkmcnt(0)
	v_fma_f64 v[111:112], v[149:150], v[115:116], v[111:112]
	s_waitcnt vmcnt(21)
	v_fma_f64 v[121:122], v[121:122], v[117:118], v[111:112]
	ds_read2_b64 v[111:114], v110 offset0:97 offset1:98
	ds_read2_b64 v[115:118], v110 offset0:99 offset1:100
	s_waitcnt vmcnt(20) lgkmcnt(1)
	v_fma_f64 v[111:112], v[127:128], v[111:112], v[121:122]
	s_waitcnt vmcnt(19)
	v_fma_f64 v[111:112], v[125:126], v[113:114], v[111:112]
	s_waitcnt vmcnt(18) lgkmcnt(0)
	v_fma_f64 v[111:112], v[123:124], v[115:116], v[111:112]
	s_waitcnt vmcnt(13)
	v_fma_f64 v[121:122], v[129:130], v[117:118], v[111:112]
	ds_read2_b64 v[111:114], v110 offset0:101 offset1:102
	ds_read2_b64 v[115:118], v110 offset0:103 offset1:104
	s_waitcnt vmcnt(12) lgkmcnt(1)
	v_fma_f64 v[111:112], v[139:140], v[111:112], v[121:122]
	s_waitcnt vmcnt(11)
	v_fma_f64 v[111:112], v[133:134], v[113:114], v[111:112]
	s_waitcnt vmcnt(10) lgkmcnt(0)
	v_fma_f64 v[111:112], v[131:132], v[115:116], v[111:112]
	s_waitcnt vmcnt(5)
	v_fma_f64 v[115:116], v[135:136], v[117:118], v[111:112]
	ds_read2_b64 v[111:114], v110 offset0:105 offset1:106
	ds_read_b64 v[117:118], v110 offset:856
	s_waitcnt vmcnt(4) lgkmcnt(1)
	v_fma_f64 v[111:112], v[147:148], v[111:112], v[115:116]
	s_waitcnt vmcnt(3)
	v_fma_f64 v[111:112], v[141:142], v[113:114], v[111:112]
	s_waitcnt vmcnt(2) lgkmcnt(0)
	v_fma_f64 v[111:112], v[137:138], v[117:118], v[111:112]
	s_waitcnt vmcnt(0)
	v_add_f64 v[111:112], v[119:120], -v[111:112]
	buffer_store_dword v112, off, s[0:3], 0 offset:180
	buffer_store_dword v111, off, s[0:3], 0 offset:176
	v_cmpx_lt_u32_e32 21, v0
	s_cbranch_execz .LBB117_291
; %bb.290:
	s_clause 0x1
	buffer_load_dword v111, off, s[0:3], 0 offset:168
	buffer_load_dword v112, off, s[0:3], 0 offset:172
	buffer_store_dword v110, off, s[0:3], 0 offset:168
	buffer_store_dword v110, off, s[0:3], 0 offset:172
	s_waitcnt vmcnt(0)
	ds_write_b64 v109, v[111:112]
.LBB117_291:
	s_or_b32 exec_lo, exec_lo, s4
	s_waitcnt lgkmcnt(0)
	s_waitcnt_vscnt null, 0x0
	s_barrier
	buffer_gl0_inv
	s_clause 0x1c
	buffer_load_dword v119, off, s[0:3], 0 offset:176
	buffer_load_dword v120, off, s[0:3], 0 offset:180
	;; [unrolled: 1-line block ×29, first 2 shown]
	ds_read_b128 v[111:114], v110 offset:608
	ds_read_b128 v[115:118], v110 offset:624
	buffer_load_dword v144, off, s[0:3], 0 offset:292
	s_mov_b32 s4, exec_lo
	s_waitcnt vmcnt(28) lgkmcnt(1)
	v_fma_f64 v[111:112], v[119:120], v[111:112], 0
	s_clause 0x7
	buffer_load_dword v120, off, s[0:3], 0 offset:300
	buffer_load_dword v149, off, s[0:3], 0 offset:320
	buffer_load_dword v151, off, s[0:3], 0 offset:312
	buffer_load_dword v153, off, s[0:3], 0 offset:304
	buffer_load_dword v119, off, s[0:3], 0 offset:296
	buffer_load_dword v154, off, s[0:3], 0 offset:308
	buffer_load_dword v152, off, s[0:3], 0 offset:316
	buffer_load_dword v150, off, s[0:3], 0 offset:324
	s_waitcnt vmcnt(34)
	v_fma_f64 v[111:112], v[121:122], v[113:114], v[111:112]
	s_waitcnt vmcnt(32) lgkmcnt(0)
	v_fma_f64 v[111:112], v[123:124], v[115:116], v[111:112]
	s_waitcnt vmcnt(30)
	v_fma_f64 v[121:122], v[125:126], v[117:118], v[111:112]
	ds_read_b128 v[111:114], v110 offset:640
	ds_read_b128 v[115:118], v110 offset:656
	s_waitcnt vmcnt(28) lgkmcnt(1)
	v_fma_f64 v[111:112], v[127:128], v[111:112], v[121:122]
	s_clause 0x7
	buffer_load_dword v122, off, s[0:3], 0 offset:332
	buffer_load_dword v123, off, s[0:3], 0 offset:352
	buffer_load_dword v125, off, s[0:3], 0 offset:344
	buffer_load_dword v127, off, s[0:3], 0 offset:336
	buffer_load_dword v121, off, s[0:3], 0 offset:328
	buffer_load_dword v128, off, s[0:3], 0 offset:340
	buffer_load_dword v126, off, s[0:3], 0 offset:348
	buffer_load_dword v124, off, s[0:3], 0 offset:356
	s_waitcnt vmcnt(34)
	v_fma_f64 v[111:112], v[129:130], v[113:114], v[111:112]
	s_waitcnt vmcnt(32) lgkmcnt(0)
	v_fma_f64 v[111:112], v[131:132], v[115:116], v[111:112]
	s_waitcnt vmcnt(27)
	v_fma_f64 v[129:130], v[133:134], v[117:118], v[111:112]
	ds_read_b128 v[111:114], v110 offset:672
	ds_read_b128 v[115:118], v110 offset:688
	;; [unrolled: 19-line block ×4, first 2 shown]
	s_waitcnt vmcnt(26) lgkmcnt(1)
	v_fma_f64 v[111:112], v[153:154], v[111:112], v[119:120]
	s_clause 0x3
	buffer_load_dword v120, off, s[0:3], 0 offset:428
	buffer_load_dword v119, off, s[0:3], 0 offset:424
	;; [unrolled: 1-line block ×4, first 2 shown]
	s_waitcnt vmcnt(29)
	v_fma_f64 v[111:112], v[151:152], v[113:114], v[111:112]
	s_waitcnt vmcnt(28) lgkmcnt(0)
	v_fma_f64 v[111:112], v[149:150], v[115:116], v[111:112]
	s_waitcnt vmcnt(23)
	v_fma_f64 v[121:122], v[121:122], v[117:118], v[111:112]
	ds_read_b128 v[111:114], v110 offset:768
	ds_read_b128 v[115:118], v110 offset:784
	s_waitcnt vmcnt(22) lgkmcnt(1)
	v_fma_f64 v[111:112], v[127:128], v[111:112], v[121:122]
	s_waitcnt vmcnt(21)
	v_fma_f64 v[111:112], v[125:126], v[113:114], v[111:112]
	s_waitcnt vmcnt(20) lgkmcnt(0)
	v_fma_f64 v[111:112], v[123:124], v[115:116], v[111:112]
	s_waitcnt vmcnt(15)
	v_fma_f64 v[121:122], v[129:130], v[117:118], v[111:112]
	ds_read_b128 v[111:114], v110 offset:800
	ds_read_b128 v[115:118], v110 offset:816
	s_waitcnt vmcnt(14) lgkmcnt(1)
	v_fma_f64 v[111:112], v[139:140], v[111:112], v[121:122]
	;; [unrolled: 10-line block ×3, first 2 shown]
	s_waitcnt vmcnt(5)
	v_fma_f64 v[110:111], v[141:142], v[113:114], v[110:111]
	s_waitcnt vmcnt(4) lgkmcnt(0)
	v_fma_f64 v[110:111], v[137:138], v[115:116], v[110:111]
	s_waitcnt vmcnt(2)
	v_fma_f64 v[110:111], v[119:120], v[117:118], v[110:111]
	s_waitcnt vmcnt(0)
	v_add_f64 v[110:111], v[143:144], -v[110:111]
	buffer_store_dword v111, off, s[0:3], 0 offset:172
	buffer_store_dword v110, off, s[0:3], 0 offset:168
	v_cmpx_lt_u32_e32 20, v0
	s_cbranch_execz .LBB117_293
; %bb.292:
	s_clause 0x1
	buffer_load_dword v110, off, s[0:3], 0 offset:160
	buffer_load_dword v111, off, s[0:3], 0 offset:164
	v_mov_b32_e32 v112, 0
	buffer_store_dword v112, off, s[0:3], 0 offset:160
	buffer_store_dword v112, off, s[0:3], 0 offset:164
	s_waitcnt vmcnt(0)
	ds_write_b64 v109, v[110:111]
.LBB117_293:
	s_or_b32 exec_lo, exec_lo, s4
	s_waitcnt lgkmcnt(0)
	s_waitcnt_vscnt null, 0x0
	s_barrier
	buffer_gl0_inv
	s_clause 0x1c
	buffer_load_dword v119, off, s[0:3], 0 offset:168
	buffer_load_dword v120, off, s[0:3], 0 offset:172
	;; [unrolled: 1-line block ×29, first 2 shown]
	v_mov_b32_e32 v110, 0
	buffer_load_dword v144, off, s[0:3], 0 offset:284
	s_mov_b32 s4, exec_lo
	ds_read2_b64 v[111:114], v110 offset0:75 offset1:76
	ds_read2_b64 v[115:118], v110 offset0:77 offset1:78
	s_waitcnt vmcnt(28) lgkmcnt(1)
	v_fma_f64 v[111:112], v[119:120], v[111:112], 0
	s_clause 0x7
	buffer_load_dword v120, off, s[0:3], 0 offset:292
	buffer_load_dword v149, off, s[0:3], 0 offset:312
	buffer_load_dword v151, off, s[0:3], 0 offset:304
	buffer_load_dword v153, off, s[0:3], 0 offset:296
	buffer_load_dword v119, off, s[0:3], 0 offset:288
	buffer_load_dword v154, off, s[0:3], 0 offset:300
	buffer_load_dword v152, off, s[0:3], 0 offset:308
	buffer_load_dword v150, off, s[0:3], 0 offset:316
	s_waitcnt vmcnt(34)
	v_fma_f64 v[111:112], v[121:122], v[113:114], v[111:112]
	s_waitcnt vmcnt(32) lgkmcnt(0)
	v_fma_f64 v[111:112], v[123:124], v[115:116], v[111:112]
	s_waitcnt vmcnt(30)
	v_fma_f64 v[121:122], v[125:126], v[117:118], v[111:112]
	ds_read2_b64 v[111:114], v110 offset0:79 offset1:80
	ds_read2_b64 v[115:118], v110 offset0:81 offset1:82
	s_waitcnt vmcnt(28) lgkmcnt(1)
	v_fma_f64 v[111:112], v[127:128], v[111:112], v[121:122]
	s_clause 0x7
	buffer_load_dword v122, off, s[0:3], 0 offset:324
	buffer_load_dword v123, off, s[0:3], 0 offset:344
	buffer_load_dword v125, off, s[0:3], 0 offset:336
	buffer_load_dword v127, off, s[0:3], 0 offset:328
	buffer_load_dword v121, off, s[0:3], 0 offset:320
	buffer_load_dword v128, off, s[0:3], 0 offset:332
	buffer_load_dword v126, off, s[0:3], 0 offset:340
	buffer_load_dword v124, off, s[0:3], 0 offset:348
	s_waitcnt vmcnt(34)
	v_fma_f64 v[111:112], v[129:130], v[113:114], v[111:112]
	s_waitcnt vmcnt(32) lgkmcnt(0)
	v_fma_f64 v[111:112], v[131:132], v[115:116], v[111:112]
	s_waitcnt vmcnt(27)
	v_fma_f64 v[129:130], v[133:134], v[117:118], v[111:112]
	;; [unrolled: 19-line block ×4, first 2 shown]
	ds_read2_b64 v[111:114], v110 offset0:91 offset1:92
	ds_read2_b64 v[115:118], v110 offset0:93 offset1:94
	s_waitcnt vmcnt(26) lgkmcnt(1)
	v_fma_f64 v[111:112], v[153:154], v[111:112], v[119:120]
	s_clause 0x5
	buffer_load_dword v120, off, s[0:3], 0 offset:420
	buffer_load_dword v143, off, s[0:3], 0 offset:424
	;; [unrolled: 1-line block ×6, first 2 shown]
	s_waitcnt vmcnt(31)
	v_fma_f64 v[111:112], v[151:152], v[113:114], v[111:112]
	s_waitcnt vmcnt(30) lgkmcnt(0)
	v_fma_f64 v[111:112], v[149:150], v[115:116], v[111:112]
	s_waitcnt vmcnt(25)
	v_fma_f64 v[121:122], v[121:122], v[117:118], v[111:112]
	ds_read2_b64 v[111:114], v110 offset0:95 offset1:96
	ds_read2_b64 v[115:118], v110 offset0:97 offset1:98
	s_waitcnt vmcnt(24) lgkmcnt(1)
	v_fma_f64 v[111:112], v[127:128], v[111:112], v[121:122]
	s_waitcnt vmcnt(23)
	v_fma_f64 v[111:112], v[125:126], v[113:114], v[111:112]
	s_waitcnt vmcnt(22) lgkmcnt(0)
	v_fma_f64 v[111:112], v[123:124], v[115:116], v[111:112]
	s_waitcnt vmcnt(17)
	v_fma_f64 v[121:122], v[129:130], v[117:118], v[111:112]
	ds_read2_b64 v[111:114], v110 offset0:99 offset1:100
	ds_read2_b64 v[115:118], v110 offset0:101 offset1:102
	s_waitcnt vmcnt(16) lgkmcnt(1)
	v_fma_f64 v[111:112], v[139:140], v[111:112], v[121:122]
	;; [unrolled: 10-line block ×3, first 2 shown]
	s_waitcnt vmcnt(7)
	v_fma_f64 v[111:112], v[141:142], v[113:114], v[111:112]
	ds_read_b64 v[113:114], v110 offset:856
	s_waitcnt vmcnt(6) lgkmcnt(1)
	v_fma_f64 v[111:112], v[137:138], v[115:116], v[111:112]
	s_waitcnt vmcnt(3)
	v_fma_f64 v[111:112], v[119:120], v[117:118], v[111:112]
	s_waitcnt vmcnt(2) lgkmcnt(0)
	v_fma_f64 v[111:112], v[143:144], v[113:114], v[111:112]
	s_waitcnt vmcnt(0)
	v_add_f64 v[111:112], v[145:146], -v[111:112]
	buffer_store_dword v112, off, s[0:3], 0 offset:164
	buffer_store_dword v111, off, s[0:3], 0 offset:160
	v_cmpx_lt_u32_e32 19, v0
	s_cbranch_execz .LBB117_295
; %bb.294:
	s_clause 0x1
	buffer_load_dword v111, off, s[0:3], 0 offset:152
	buffer_load_dword v112, off, s[0:3], 0 offset:156
	buffer_store_dword v110, off, s[0:3], 0 offset:152
	buffer_store_dword v110, off, s[0:3], 0 offset:156
	s_waitcnt vmcnt(0)
	ds_write_b64 v109, v[111:112]
.LBB117_295:
	s_or_b32 exec_lo, exec_lo, s4
	s_waitcnt lgkmcnt(0)
	s_waitcnt_vscnt null, 0x0
	s_barrier
	buffer_gl0_inv
	s_clause 0x1c
	buffer_load_dword v119, off, s[0:3], 0 offset:160
	buffer_load_dword v120, off, s[0:3], 0 offset:164
	;; [unrolled: 1-line block ×29, first 2 shown]
	ds_read_b128 v[111:114], v110 offset:592
	ds_read_b128 v[115:118], v110 offset:608
	buffer_load_dword v144, off, s[0:3], 0 offset:276
	s_mov_b32 s4, exec_lo
	s_waitcnt vmcnt(28) lgkmcnt(1)
	v_fma_f64 v[111:112], v[119:120], v[111:112], 0
	s_clause 0x7
	buffer_load_dword v120, off, s[0:3], 0 offset:284
	buffer_load_dword v149, off, s[0:3], 0 offset:304
	buffer_load_dword v151, off, s[0:3], 0 offset:296
	buffer_load_dword v153, off, s[0:3], 0 offset:288
	buffer_load_dword v119, off, s[0:3], 0 offset:280
	buffer_load_dword v154, off, s[0:3], 0 offset:292
	buffer_load_dword v152, off, s[0:3], 0 offset:300
	buffer_load_dword v150, off, s[0:3], 0 offset:308
	s_waitcnt vmcnt(34)
	v_fma_f64 v[111:112], v[121:122], v[113:114], v[111:112]
	s_waitcnt vmcnt(32) lgkmcnt(0)
	v_fma_f64 v[111:112], v[123:124], v[115:116], v[111:112]
	s_waitcnt vmcnt(30)
	v_fma_f64 v[121:122], v[125:126], v[117:118], v[111:112]
	ds_read_b128 v[111:114], v110 offset:624
	ds_read_b128 v[115:118], v110 offset:640
	s_waitcnt vmcnt(28) lgkmcnt(1)
	v_fma_f64 v[111:112], v[127:128], v[111:112], v[121:122]
	s_clause 0x7
	buffer_load_dword v122, off, s[0:3], 0 offset:316
	buffer_load_dword v123, off, s[0:3], 0 offset:336
	buffer_load_dword v125, off, s[0:3], 0 offset:328
	buffer_load_dword v127, off, s[0:3], 0 offset:320
	buffer_load_dword v121, off, s[0:3], 0 offset:312
	buffer_load_dword v128, off, s[0:3], 0 offset:324
	buffer_load_dword v126, off, s[0:3], 0 offset:332
	buffer_load_dword v124, off, s[0:3], 0 offset:340
	s_waitcnt vmcnt(34)
	v_fma_f64 v[111:112], v[129:130], v[113:114], v[111:112]
	s_waitcnt vmcnt(32) lgkmcnt(0)
	v_fma_f64 v[111:112], v[131:132], v[115:116], v[111:112]
	s_waitcnt vmcnt(27)
	v_fma_f64 v[129:130], v[133:134], v[117:118], v[111:112]
	ds_read_b128 v[111:114], v110 offset:656
	ds_read_b128 v[115:118], v110 offset:672
	;; [unrolled: 19-line block ×4, first 2 shown]
	s_waitcnt vmcnt(26) lgkmcnt(1)
	v_fma_f64 v[111:112], v[153:154], v[111:112], v[119:120]
	s_clause 0x5
	buffer_load_dword v120, off, s[0:3], 0 offset:412
	buffer_load_dword v143, off, s[0:3], 0 offset:424
	buffer_load_dword v145, off, s[0:3], 0 offset:416
	buffer_load_dword v119, off, s[0:3], 0 offset:408
	buffer_load_dword v146, off, s[0:3], 0 offset:420
	buffer_load_dword v144, off, s[0:3], 0 offset:428
	s_waitcnt vmcnt(31)
	v_fma_f64 v[111:112], v[151:152], v[113:114], v[111:112]
	s_waitcnt vmcnt(30) lgkmcnt(0)
	v_fma_f64 v[111:112], v[149:150], v[115:116], v[111:112]
	s_waitcnt vmcnt(25)
	v_fma_f64 v[121:122], v[121:122], v[117:118], v[111:112]
	ds_read_b128 v[111:114], v110 offset:752
	s_clause 0x1
	buffer_load_dword v149, off, s[0:3], 0 offset:152
	buffer_load_dword v150, off, s[0:3], 0 offset:156
	ds_read_b128 v[115:118], v110 offset:768
	s_waitcnt vmcnt(26) lgkmcnt(1)
	v_fma_f64 v[111:112], v[127:128], v[111:112], v[121:122]
	s_waitcnt vmcnt(25)
	v_fma_f64 v[111:112], v[125:126], v[113:114], v[111:112]
	s_waitcnt vmcnt(24) lgkmcnt(0)
	v_fma_f64 v[111:112], v[123:124], v[115:116], v[111:112]
	s_waitcnt vmcnt(19)
	v_fma_f64 v[121:122], v[129:130], v[117:118], v[111:112]
	ds_read_b128 v[111:114], v110 offset:784
	ds_read_b128 v[115:118], v110 offset:800
	s_waitcnt vmcnt(18) lgkmcnt(1)
	v_fma_f64 v[111:112], v[139:140], v[111:112], v[121:122]
	s_waitcnt vmcnt(17)
	v_fma_f64 v[111:112], v[133:134], v[113:114], v[111:112]
	s_waitcnt vmcnt(16) lgkmcnt(0)
	v_fma_f64 v[111:112], v[131:132], v[115:116], v[111:112]
	s_waitcnt vmcnt(11)
	v_fma_f64 v[121:122], v[135:136], v[117:118], v[111:112]
	ds_read_b128 v[111:114], v110 offset:816
	;; [unrolled: 10-line block ×3, first 2 shown]
	s_waitcnt vmcnt(3) lgkmcnt(0)
	v_fma_f64 v[110:111], v[145:146], v[110:111], v[114:115]
	s_waitcnt vmcnt(2)
	v_fma_f64 v[110:111], v[143:144], v[112:113], v[110:111]
	s_waitcnt vmcnt(0)
	v_add_f64 v[110:111], v[149:150], -v[110:111]
	buffer_store_dword v111, off, s[0:3], 0 offset:156
	buffer_store_dword v110, off, s[0:3], 0 offset:152
	v_cmpx_lt_u32_e32 18, v0
	s_cbranch_execz .LBB117_297
; %bb.296:
	s_clause 0x1
	buffer_load_dword v110, off, s[0:3], 0 offset:144
	buffer_load_dword v111, off, s[0:3], 0 offset:148
	v_mov_b32_e32 v112, 0
	buffer_store_dword v112, off, s[0:3], 0 offset:144
	buffer_store_dword v112, off, s[0:3], 0 offset:148
	s_waitcnt vmcnt(0)
	ds_write_b64 v109, v[110:111]
.LBB117_297:
	s_or_b32 exec_lo, exec_lo, s4
	s_waitcnt lgkmcnt(0)
	s_waitcnt_vscnt null, 0x0
	s_barrier
	buffer_gl0_inv
	s_clause 0x1c
	buffer_load_dword v119, off, s[0:3], 0 offset:152
	buffer_load_dword v120, off, s[0:3], 0 offset:156
	;; [unrolled: 1-line block ×29, first 2 shown]
	v_mov_b32_e32 v110, 0
	buffer_load_dword v144, off, s[0:3], 0 offset:268
	s_mov_b32 s4, exec_lo
	ds_read2_b64 v[111:114], v110 offset0:73 offset1:74
	ds_read2_b64 v[115:118], v110 offset0:75 offset1:76
	s_waitcnt vmcnt(28) lgkmcnt(1)
	v_fma_f64 v[111:112], v[119:120], v[111:112], 0
	s_clause 0x7
	buffer_load_dword v120, off, s[0:3], 0 offset:276
	buffer_load_dword v149, off, s[0:3], 0 offset:296
	buffer_load_dword v151, off, s[0:3], 0 offset:288
	buffer_load_dword v153, off, s[0:3], 0 offset:280
	buffer_load_dword v119, off, s[0:3], 0 offset:272
	buffer_load_dword v154, off, s[0:3], 0 offset:284
	buffer_load_dword v152, off, s[0:3], 0 offset:292
	buffer_load_dword v150, off, s[0:3], 0 offset:300
	s_waitcnt vmcnt(34)
	v_fma_f64 v[111:112], v[121:122], v[113:114], v[111:112]
	s_waitcnt vmcnt(32) lgkmcnt(0)
	v_fma_f64 v[111:112], v[123:124], v[115:116], v[111:112]
	s_waitcnt vmcnt(30)
	v_fma_f64 v[121:122], v[125:126], v[117:118], v[111:112]
	ds_read2_b64 v[111:114], v110 offset0:77 offset1:78
	ds_read2_b64 v[115:118], v110 offset0:79 offset1:80
	s_waitcnt vmcnt(28) lgkmcnt(1)
	v_fma_f64 v[111:112], v[127:128], v[111:112], v[121:122]
	s_clause 0x7
	buffer_load_dword v122, off, s[0:3], 0 offset:308
	buffer_load_dword v123, off, s[0:3], 0 offset:328
	buffer_load_dword v125, off, s[0:3], 0 offset:320
	buffer_load_dword v127, off, s[0:3], 0 offset:312
	buffer_load_dword v121, off, s[0:3], 0 offset:304
	buffer_load_dword v128, off, s[0:3], 0 offset:316
	buffer_load_dword v126, off, s[0:3], 0 offset:324
	buffer_load_dword v124, off, s[0:3], 0 offset:332
	s_waitcnt vmcnt(34)
	v_fma_f64 v[111:112], v[129:130], v[113:114], v[111:112]
	s_waitcnt vmcnt(32) lgkmcnt(0)
	v_fma_f64 v[111:112], v[131:132], v[115:116], v[111:112]
	s_waitcnt vmcnt(27)
	v_fma_f64 v[129:130], v[133:134], v[117:118], v[111:112]
	;; [unrolled: 19-line block ×5, first 2 shown]
	ds_read2_b64 v[111:114], v110 offset0:93 offset1:94
	ds_read2_b64 v[115:118], v110 offset0:95 offset1:96
	s_waitcnt vmcnt(26) lgkmcnt(1)
	v_fma_f64 v[111:112], v[127:128], v[111:112], v[121:122]
	s_clause 0x1
	buffer_load_dword v121, off, s[0:3], 0 offset:144
	buffer_load_dword v122, off, s[0:3], 0 offset:148
	s_waitcnt vmcnt(27)
	v_fma_f64 v[111:112], v[125:126], v[113:114], v[111:112]
	s_waitcnt vmcnt(26) lgkmcnt(0)
	v_fma_f64 v[111:112], v[123:124], v[115:116], v[111:112]
	s_waitcnt vmcnt(21)
	v_fma_f64 v[123:124], v[129:130], v[117:118], v[111:112]
	ds_read2_b64 v[111:114], v110 offset0:97 offset1:98
	ds_read2_b64 v[115:118], v110 offset0:99 offset1:100
	s_waitcnt vmcnt(20) lgkmcnt(1)
	v_fma_f64 v[111:112], v[139:140], v[111:112], v[123:124]
	s_waitcnt vmcnt(19)
	v_fma_f64 v[111:112], v[133:134], v[113:114], v[111:112]
	s_waitcnt vmcnt(18) lgkmcnt(0)
	v_fma_f64 v[111:112], v[131:132], v[115:116], v[111:112]
	s_waitcnt vmcnt(13)
	v_fma_f64 v[123:124], v[135:136], v[117:118], v[111:112]
	ds_read2_b64 v[111:114], v110 offset0:101 offset1:102
	ds_read2_b64 v[115:118], v110 offset0:103 offset1:104
	s_waitcnt vmcnt(12) lgkmcnt(1)
	v_fma_f64 v[111:112], v[147:148], v[111:112], v[123:124]
	s_waitcnt vmcnt(11)
	v_fma_f64 v[111:112], v[141:142], v[113:114], v[111:112]
	s_waitcnt vmcnt(10) lgkmcnt(0)
	v_fma_f64 v[111:112], v[137:138], v[115:116], v[111:112]
	s_waitcnt vmcnt(5)
	v_fma_f64 v[115:116], v[119:120], v[117:118], v[111:112]
	ds_read2_b64 v[111:114], v110 offset0:105 offset1:106
	ds_read_b64 v[117:118], v110 offset:856
	s_waitcnt vmcnt(4) lgkmcnt(1)
	v_fma_f64 v[111:112], v[153:154], v[111:112], v[115:116]
	s_waitcnt vmcnt(3)
	v_fma_f64 v[111:112], v[145:146], v[113:114], v[111:112]
	s_waitcnt vmcnt(2) lgkmcnt(0)
	v_fma_f64 v[111:112], v[143:144], v[117:118], v[111:112]
	s_waitcnt vmcnt(0)
	v_add_f64 v[111:112], v[121:122], -v[111:112]
	buffer_store_dword v112, off, s[0:3], 0 offset:148
	buffer_store_dword v111, off, s[0:3], 0 offset:144
	v_cmpx_lt_u32_e32 17, v0
	s_cbranch_execz .LBB117_299
; %bb.298:
	s_clause 0x1
	buffer_load_dword v111, off, s[0:3], 0 offset:136
	buffer_load_dword v112, off, s[0:3], 0 offset:140
	buffer_store_dword v110, off, s[0:3], 0 offset:136
	buffer_store_dword v110, off, s[0:3], 0 offset:140
	s_waitcnt vmcnt(0)
	ds_write_b64 v109, v[111:112]
.LBB117_299:
	s_or_b32 exec_lo, exec_lo, s4
	s_waitcnt lgkmcnt(0)
	s_waitcnt_vscnt null, 0x0
	s_barrier
	buffer_gl0_inv
	s_clause 0x1c
	buffer_load_dword v119, off, s[0:3], 0 offset:144
	buffer_load_dword v120, off, s[0:3], 0 offset:148
	;; [unrolled: 1-line block ×29, first 2 shown]
	ds_read_b128 v[111:114], v110 offset:576
	ds_read_b128 v[115:118], v110 offset:592
	buffer_load_dword v144, off, s[0:3], 0 offset:260
	s_mov_b32 s4, exec_lo
	s_waitcnt vmcnt(28) lgkmcnt(1)
	v_fma_f64 v[111:112], v[119:120], v[111:112], 0
	s_clause 0x7
	buffer_load_dword v120, off, s[0:3], 0 offset:268
	buffer_load_dword v149, off, s[0:3], 0 offset:288
	buffer_load_dword v151, off, s[0:3], 0 offset:280
	buffer_load_dword v153, off, s[0:3], 0 offset:272
	buffer_load_dword v119, off, s[0:3], 0 offset:264
	buffer_load_dword v154, off, s[0:3], 0 offset:276
	buffer_load_dword v152, off, s[0:3], 0 offset:284
	buffer_load_dword v150, off, s[0:3], 0 offset:292
	s_waitcnt vmcnt(34)
	v_fma_f64 v[111:112], v[121:122], v[113:114], v[111:112]
	s_waitcnt vmcnt(32) lgkmcnt(0)
	v_fma_f64 v[111:112], v[123:124], v[115:116], v[111:112]
	s_waitcnt vmcnt(30)
	v_fma_f64 v[121:122], v[125:126], v[117:118], v[111:112]
	ds_read_b128 v[111:114], v110 offset:608
	ds_read_b128 v[115:118], v110 offset:624
	s_waitcnt vmcnt(28) lgkmcnt(1)
	v_fma_f64 v[111:112], v[127:128], v[111:112], v[121:122]
	s_clause 0x7
	buffer_load_dword v122, off, s[0:3], 0 offset:300
	buffer_load_dword v123, off, s[0:3], 0 offset:320
	buffer_load_dword v125, off, s[0:3], 0 offset:312
	buffer_load_dword v127, off, s[0:3], 0 offset:304
	buffer_load_dword v121, off, s[0:3], 0 offset:296
	buffer_load_dword v128, off, s[0:3], 0 offset:308
	buffer_load_dword v126, off, s[0:3], 0 offset:316
	buffer_load_dword v124, off, s[0:3], 0 offset:324
	s_waitcnt vmcnt(34)
	v_fma_f64 v[111:112], v[129:130], v[113:114], v[111:112]
	s_waitcnt vmcnt(32) lgkmcnt(0)
	v_fma_f64 v[111:112], v[131:132], v[115:116], v[111:112]
	s_waitcnt vmcnt(27)
	v_fma_f64 v[129:130], v[133:134], v[117:118], v[111:112]
	ds_read_b128 v[111:114], v110 offset:640
	ds_read_b128 v[115:118], v110 offset:656
	s_waitcnt vmcnt(26) lgkmcnt(1)
	v_fma_f64 v[111:112], v[139:140], v[111:112], v[129:130]
	s_clause 0x7
	buffer_load_dword v130, off, s[0:3], 0 offset:332
	buffer_load_dword v131, off, s[0:3], 0 offset:352
	buffer_load_dword v133, off, s[0:3], 0 offset:344
	buffer_load_dword v139, off, s[0:3], 0 offset:336
	buffer_load_dword v129, off, s[0:3], 0 offset:328
	buffer_load_dword v140, off, s[0:3], 0 offset:340
	buffer_load_dword v134, off, s[0:3], 0 offset:348
	buffer_load_dword v132, off, s[0:3], 0 offset:356
	s_waitcnt vmcnt(33)
	v_fma_f64 v[111:112], v[137:138], v[113:114], v[111:112]
	s_waitcnt vmcnt(32) lgkmcnt(0)
	v_fma_f64 v[111:112], v[135:136], v[115:116], v[111:112]
	s_waitcnt vmcnt(27)
	v_fma_f64 v[135:136], v[141:142], v[117:118], v[111:112]
	ds_read_b128 v[111:114], v110 offset:672
	ds_read_b128 v[115:118], v110 offset:688
	s_waitcnt vmcnt(26) lgkmcnt(1)
	v_fma_f64 v[111:112], v[147:148], v[111:112], v[135:136]
	s_clause 0x7
	buffer_load_dword v136, off, s[0:3], 0 offset:364
	buffer_load_dword v137, off, s[0:3], 0 offset:384
	buffer_load_dword v141, off, s[0:3], 0 offset:376
	buffer_load_dword v147, off, s[0:3], 0 offset:368
	buffer_load_dword v135, off, s[0:3], 0 offset:360
	buffer_load_dword v148, off, s[0:3], 0 offset:372
	buffer_load_dword v142, off, s[0:3], 0 offset:380
	buffer_load_dword v138, off, s[0:3], 0 offset:388
	s_waitcnt vmcnt(33)
	v_fma_f64 v[111:112], v[145:146], v[113:114], v[111:112]
	s_waitcnt vmcnt(32) lgkmcnt(0)
	v_fma_f64 v[111:112], v[143:144], v[115:116], v[111:112]
	s_waitcnt vmcnt(27)
	v_fma_f64 v[119:120], v[119:120], v[117:118], v[111:112]
	ds_read_b128 v[111:114], v110 offset:704
	ds_read_b128 v[115:118], v110 offset:720
	s_waitcnt vmcnt(26) lgkmcnt(1)
	v_fma_f64 v[111:112], v[153:154], v[111:112], v[119:120]
	s_clause 0x7
	buffer_load_dword v120, off, s[0:3], 0 offset:396
	buffer_load_dword v143, off, s[0:3], 0 offset:416
	buffer_load_dword v145, off, s[0:3], 0 offset:408
	buffer_load_dword v153, off, s[0:3], 0 offset:400
	buffer_load_dword v119, off, s[0:3], 0 offset:392
	buffer_load_dword v154, off, s[0:3], 0 offset:404
	buffer_load_dword v146, off, s[0:3], 0 offset:412
	buffer_load_dword v144, off, s[0:3], 0 offset:420
	s_waitcnt vmcnt(33)
	v_fma_f64 v[111:112], v[151:152], v[113:114], v[111:112]
	s_waitcnt vmcnt(32) lgkmcnt(0)
	v_fma_f64 v[111:112], v[149:150], v[115:116], v[111:112]
	s_waitcnt vmcnt(27)
	v_fma_f64 v[121:122], v[121:122], v[117:118], v[111:112]
	ds_read_b128 v[111:114], v110 offset:736
	ds_read_b128 v[115:118], v110 offset:752
	s_waitcnt vmcnt(26) lgkmcnt(1)
	v_fma_f64 v[111:112], v[127:128], v[111:112], v[121:122]
	s_clause 0x1
	buffer_load_dword v122, off, s[0:3], 0 offset:428
	buffer_load_dword v121, off, s[0:3], 0 offset:424
	s_waitcnt vmcnt(27)
	v_fma_f64 v[111:112], v[125:126], v[113:114], v[111:112]
	s_clause 0x1
	buffer_load_dword v125, off, s[0:3], 0 offset:136
	buffer_load_dword v126, off, s[0:3], 0 offset:140
	s_waitcnt vmcnt(28) lgkmcnt(0)
	v_fma_f64 v[111:112], v[123:124], v[115:116], v[111:112]
	s_waitcnt vmcnt(23)
	v_fma_f64 v[123:124], v[129:130], v[117:118], v[111:112]
	ds_read_b128 v[111:114], v110 offset:768
	ds_read_b128 v[115:118], v110 offset:784
	s_waitcnt vmcnt(22) lgkmcnt(1)
	v_fma_f64 v[111:112], v[139:140], v[111:112], v[123:124]
	s_waitcnt vmcnt(21)
	v_fma_f64 v[111:112], v[133:134], v[113:114], v[111:112]
	s_waitcnt vmcnt(20) lgkmcnt(0)
	v_fma_f64 v[111:112], v[131:132], v[115:116], v[111:112]
	s_waitcnt vmcnt(15)
	v_fma_f64 v[123:124], v[135:136], v[117:118], v[111:112]
	ds_read_b128 v[111:114], v110 offset:800
	ds_read_b128 v[115:118], v110 offset:816
	s_waitcnt vmcnt(14) lgkmcnt(1)
	v_fma_f64 v[111:112], v[147:148], v[111:112], v[123:124]
	s_waitcnt vmcnt(13)
	v_fma_f64 v[111:112], v[141:142], v[113:114], v[111:112]
	;; [unrolled: 10-line block ×3, first 2 shown]
	s_waitcnt vmcnt(4) lgkmcnt(0)
	v_fma_f64 v[110:111], v[143:144], v[115:116], v[110:111]
	s_waitcnt vmcnt(2)
	v_fma_f64 v[110:111], v[121:122], v[117:118], v[110:111]
	s_waitcnt vmcnt(0)
	v_add_f64 v[110:111], v[125:126], -v[110:111]
	buffer_store_dword v111, off, s[0:3], 0 offset:140
	buffer_store_dword v110, off, s[0:3], 0 offset:136
	v_cmpx_lt_u32_e32 16, v0
	s_cbranch_execz .LBB117_301
; %bb.300:
	s_clause 0x1
	buffer_load_dword v110, off, s[0:3], 0 offset:128
	buffer_load_dword v111, off, s[0:3], 0 offset:132
	v_mov_b32_e32 v112, 0
	buffer_store_dword v112, off, s[0:3], 0 offset:128
	buffer_store_dword v112, off, s[0:3], 0 offset:132
	s_waitcnt vmcnt(0)
	ds_write_b64 v109, v[110:111]
.LBB117_301:
	s_or_b32 exec_lo, exec_lo, s4
	s_waitcnt lgkmcnt(0)
	s_waitcnt_vscnt null, 0x0
	s_barrier
	buffer_gl0_inv
	s_clause 0x1c
	buffer_load_dword v119, off, s[0:3], 0 offset:136
	buffer_load_dword v120, off, s[0:3], 0 offset:140
	;; [unrolled: 1-line block ×29, first 2 shown]
	v_mov_b32_e32 v110, 0
	buffer_load_dword v144, off, s[0:3], 0 offset:252
	s_mov_b32 s4, exec_lo
	ds_read2_b64 v[111:114], v110 offset0:71 offset1:72
	ds_read2_b64 v[115:118], v110 offset0:73 offset1:74
	s_waitcnt vmcnt(28) lgkmcnt(1)
	v_fma_f64 v[111:112], v[119:120], v[111:112], 0
	s_clause 0x7
	buffer_load_dword v120, off, s[0:3], 0 offset:260
	buffer_load_dword v149, off, s[0:3], 0 offset:280
	buffer_load_dword v151, off, s[0:3], 0 offset:272
	buffer_load_dword v153, off, s[0:3], 0 offset:264
	buffer_load_dword v119, off, s[0:3], 0 offset:256
	buffer_load_dword v154, off, s[0:3], 0 offset:268
	buffer_load_dword v152, off, s[0:3], 0 offset:276
	buffer_load_dword v150, off, s[0:3], 0 offset:284
	s_waitcnt vmcnt(34)
	v_fma_f64 v[111:112], v[121:122], v[113:114], v[111:112]
	s_waitcnt vmcnt(32) lgkmcnt(0)
	v_fma_f64 v[111:112], v[123:124], v[115:116], v[111:112]
	s_waitcnt vmcnt(30)
	v_fma_f64 v[121:122], v[125:126], v[117:118], v[111:112]
	ds_read2_b64 v[111:114], v110 offset0:75 offset1:76
	ds_read2_b64 v[115:118], v110 offset0:77 offset1:78
	s_waitcnt vmcnt(28) lgkmcnt(1)
	v_fma_f64 v[111:112], v[127:128], v[111:112], v[121:122]
	s_clause 0x7
	buffer_load_dword v122, off, s[0:3], 0 offset:292
	buffer_load_dword v123, off, s[0:3], 0 offset:312
	buffer_load_dword v125, off, s[0:3], 0 offset:304
	buffer_load_dword v127, off, s[0:3], 0 offset:296
	buffer_load_dword v121, off, s[0:3], 0 offset:288
	buffer_load_dword v128, off, s[0:3], 0 offset:300
	buffer_load_dword v126, off, s[0:3], 0 offset:308
	buffer_load_dword v124, off, s[0:3], 0 offset:316
	s_waitcnt vmcnt(34)
	v_fma_f64 v[111:112], v[129:130], v[113:114], v[111:112]
	s_waitcnt vmcnt(32) lgkmcnt(0)
	v_fma_f64 v[111:112], v[131:132], v[115:116], v[111:112]
	s_waitcnt vmcnt(27)
	v_fma_f64 v[129:130], v[133:134], v[117:118], v[111:112]
	;; [unrolled: 19-line block ×5, first 2 shown]
	ds_read2_b64 v[111:114], v110 offset0:91 offset1:92
	ds_read2_b64 v[115:118], v110 offset0:93 offset1:94
	s_waitcnt vmcnt(26) lgkmcnt(1)
	v_fma_f64 v[111:112], v[127:128], v[111:112], v[121:122]
	s_clause 0x3
	buffer_load_dword v122, off, s[0:3], 0 offset:420
	buffer_load_dword v127, off, s[0:3], 0 offset:424
	;; [unrolled: 1-line block ×4, first 2 shown]
	s_waitcnt vmcnt(29)
	v_fma_f64 v[111:112], v[125:126], v[113:114], v[111:112]
	s_waitcnt vmcnt(28) lgkmcnt(0)
	v_fma_f64 v[111:112], v[123:124], v[115:116], v[111:112]
	s_clause 0x1
	buffer_load_dword v123, off, s[0:3], 0 offset:128
	buffer_load_dword v124, off, s[0:3], 0 offset:132
	s_waitcnt vmcnt(25)
	v_fma_f64 v[125:126], v[129:130], v[117:118], v[111:112]
	ds_read2_b64 v[111:114], v110 offset0:95 offset1:96
	ds_read2_b64 v[115:118], v110 offset0:97 offset1:98
	s_waitcnt vmcnt(24) lgkmcnt(1)
	v_fma_f64 v[111:112], v[139:140], v[111:112], v[125:126]
	s_waitcnt vmcnt(23)
	v_fma_f64 v[111:112], v[133:134], v[113:114], v[111:112]
	s_waitcnt vmcnt(22) lgkmcnt(0)
	v_fma_f64 v[111:112], v[131:132], v[115:116], v[111:112]
	s_waitcnt vmcnt(17)
	v_fma_f64 v[125:126], v[135:136], v[117:118], v[111:112]
	ds_read2_b64 v[111:114], v110 offset0:99 offset1:100
	ds_read2_b64 v[115:118], v110 offset0:101 offset1:102
	s_waitcnt vmcnt(16) lgkmcnt(1)
	v_fma_f64 v[111:112], v[147:148], v[111:112], v[125:126]
	s_waitcnt vmcnt(15)
	v_fma_f64 v[111:112], v[141:142], v[113:114], v[111:112]
	s_waitcnt vmcnt(14) lgkmcnt(0)
	v_fma_f64 v[111:112], v[137:138], v[115:116], v[111:112]
	s_waitcnt vmcnt(9)
	v_fma_f64 v[119:120], v[119:120], v[117:118], v[111:112]
	ds_read2_b64 v[111:114], v110 offset0:103 offset1:104
	ds_read2_b64 v[115:118], v110 offset0:105 offset1:106
	s_waitcnt vmcnt(8) lgkmcnt(1)
	v_fma_f64 v[111:112], v[153:154], v[111:112], v[119:120]
	s_waitcnt vmcnt(7)
	v_fma_f64 v[111:112], v[145:146], v[113:114], v[111:112]
	ds_read_b64 v[113:114], v110 offset:856
	s_waitcnt vmcnt(6) lgkmcnt(1)
	v_fma_f64 v[111:112], v[143:144], v[115:116], v[111:112]
	s_waitcnt vmcnt(3)
	v_fma_f64 v[111:112], v[121:122], v[117:118], v[111:112]
	s_waitcnt vmcnt(2) lgkmcnt(0)
	v_fma_f64 v[111:112], v[127:128], v[113:114], v[111:112]
	s_waitcnt vmcnt(0)
	v_add_f64 v[111:112], v[123:124], -v[111:112]
	buffer_store_dword v112, off, s[0:3], 0 offset:132
	buffer_store_dword v111, off, s[0:3], 0 offset:128
	v_cmpx_lt_u32_e32 15, v0
	s_cbranch_execz .LBB117_303
; %bb.302:
	s_clause 0x1
	buffer_load_dword v111, off, s[0:3], 0 offset:120
	buffer_load_dword v112, off, s[0:3], 0 offset:124
	buffer_store_dword v110, off, s[0:3], 0 offset:120
	buffer_store_dword v110, off, s[0:3], 0 offset:124
	s_waitcnt vmcnt(0)
	ds_write_b64 v109, v[111:112]
.LBB117_303:
	s_or_b32 exec_lo, exec_lo, s4
	s_waitcnt lgkmcnt(0)
	s_waitcnt_vscnt null, 0x0
	s_barrier
	buffer_gl0_inv
	s_clause 0x1c
	buffer_load_dword v119, off, s[0:3], 0 offset:128
	buffer_load_dword v120, off, s[0:3], 0 offset:132
	;; [unrolled: 1-line block ×29, first 2 shown]
	ds_read_b128 v[111:114], v110 offset:560
	ds_read_b128 v[115:118], v110 offset:576
	buffer_load_dword v144, off, s[0:3], 0 offset:244
	s_mov_b32 s4, exec_lo
	s_waitcnt vmcnt(28) lgkmcnt(1)
	v_fma_f64 v[111:112], v[119:120], v[111:112], 0
	s_clause 0x7
	buffer_load_dword v120, off, s[0:3], 0 offset:252
	buffer_load_dword v149, off, s[0:3], 0 offset:272
	buffer_load_dword v151, off, s[0:3], 0 offset:264
	buffer_load_dword v153, off, s[0:3], 0 offset:256
	buffer_load_dword v119, off, s[0:3], 0 offset:248
	buffer_load_dword v154, off, s[0:3], 0 offset:260
	buffer_load_dword v152, off, s[0:3], 0 offset:268
	buffer_load_dword v150, off, s[0:3], 0 offset:276
	s_waitcnt vmcnt(34)
	v_fma_f64 v[111:112], v[121:122], v[113:114], v[111:112]
	s_waitcnt vmcnt(32) lgkmcnt(0)
	v_fma_f64 v[111:112], v[123:124], v[115:116], v[111:112]
	s_waitcnt vmcnt(30)
	v_fma_f64 v[121:122], v[125:126], v[117:118], v[111:112]
	ds_read_b128 v[111:114], v110 offset:592
	ds_read_b128 v[115:118], v110 offset:608
	s_waitcnt vmcnt(28) lgkmcnt(1)
	v_fma_f64 v[111:112], v[127:128], v[111:112], v[121:122]
	s_clause 0x7
	buffer_load_dword v122, off, s[0:3], 0 offset:284
	buffer_load_dword v123, off, s[0:3], 0 offset:304
	buffer_load_dword v125, off, s[0:3], 0 offset:296
	buffer_load_dword v127, off, s[0:3], 0 offset:288
	buffer_load_dword v121, off, s[0:3], 0 offset:280
	buffer_load_dword v128, off, s[0:3], 0 offset:292
	buffer_load_dword v126, off, s[0:3], 0 offset:300
	buffer_load_dword v124, off, s[0:3], 0 offset:308
	s_waitcnt vmcnt(34)
	v_fma_f64 v[111:112], v[129:130], v[113:114], v[111:112]
	s_waitcnt vmcnt(32) lgkmcnt(0)
	v_fma_f64 v[111:112], v[131:132], v[115:116], v[111:112]
	s_waitcnt vmcnt(27)
	v_fma_f64 v[129:130], v[133:134], v[117:118], v[111:112]
	ds_read_b128 v[111:114], v110 offset:624
	ds_read_b128 v[115:118], v110 offset:640
	;; [unrolled: 19-line block ×5, first 2 shown]
	s_waitcnt vmcnt(26) lgkmcnt(1)
	v_fma_f64 v[111:112], v[127:128], v[111:112], v[121:122]
	s_clause 0x5
	buffer_load_dword v122, off, s[0:3], 0 offset:412
	buffer_load_dword v127, off, s[0:3], 0 offset:424
	;; [unrolled: 1-line block ×6, first 2 shown]
	s_waitcnt vmcnt(31)
	v_fma_f64 v[111:112], v[125:126], v[113:114], v[111:112]
	s_waitcnt vmcnt(30) lgkmcnt(0)
	v_fma_f64 v[111:112], v[123:124], v[115:116], v[111:112]
	s_waitcnt vmcnt(25)
	v_fma_f64 v[123:124], v[129:130], v[117:118], v[111:112]
	ds_read_b128 v[111:114], v110 offset:752
	s_clause 0x1
	buffer_load_dword v125, off, s[0:3], 0 offset:120
	buffer_load_dword v126, off, s[0:3], 0 offset:124
	ds_read_b128 v[115:118], v110 offset:768
	s_waitcnt vmcnt(26) lgkmcnt(1)
	v_fma_f64 v[111:112], v[139:140], v[111:112], v[123:124]
	s_waitcnt vmcnt(25)
	v_fma_f64 v[111:112], v[133:134], v[113:114], v[111:112]
	s_waitcnt vmcnt(24) lgkmcnt(0)
	v_fma_f64 v[111:112], v[131:132], v[115:116], v[111:112]
	s_waitcnt vmcnt(19)
	v_fma_f64 v[123:124], v[135:136], v[117:118], v[111:112]
	ds_read_b128 v[111:114], v110 offset:784
	ds_read_b128 v[115:118], v110 offset:800
	s_waitcnt vmcnt(18) lgkmcnt(1)
	v_fma_f64 v[111:112], v[147:148], v[111:112], v[123:124]
	s_waitcnt vmcnt(17)
	v_fma_f64 v[111:112], v[141:142], v[113:114], v[111:112]
	s_waitcnt vmcnt(16) lgkmcnt(0)
	v_fma_f64 v[111:112], v[137:138], v[115:116], v[111:112]
	s_waitcnt vmcnt(11)
	v_fma_f64 v[119:120], v[119:120], v[117:118], v[111:112]
	ds_read_b128 v[111:114], v110 offset:816
	ds_read_b128 v[115:118], v110 offset:832
	s_waitcnt vmcnt(10) lgkmcnt(1)
	v_fma_f64 v[111:112], v[153:154], v[111:112], v[119:120]
	s_waitcnt vmcnt(9)
	v_fma_f64 v[111:112], v[145:146], v[113:114], v[111:112]
	s_waitcnt vmcnt(8) lgkmcnt(0)
	v_fma_f64 v[111:112], v[143:144], v[115:116], v[111:112]
	s_waitcnt vmcnt(4)
	v_fma_f64 v[114:115], v[121:122], v[117:118], v[111:112]
	ds_read_b128 v[110:113], v110 offset:848
	s_waitcnt vmcnt(3) lgkmcnt(0)
	v_fma_f64 v[110:111], v[149:150], v[110:111], v[114:115]
	s_waitcnt vmcnt(2)
	v_fma_f64 v[110:111], v[127:128], v[112:113], v[110:111]
	s_waitcnt vmcnt(0)
	v_add_f64 v[110:111], v[125:126], -v[110:111]
	buffer_store_dword v111, off, s[0:3], 0 offset:124
	buffer_store_dword v110, off, s[0:3], 0 offset:120
	v_cmpx_lt_u32_e32 14, v0
	s_cbranch_execz .LBB117_305
; %bb.304:
	s_clause 0x1
	buffer_load_dword v110, off, s[0:3], 0 offset:112
	buffer_load_dword v111, off, s[0:3], 0 offset:116
	v_mov_b32_e32 v112, 0
	buffer_store_dword v112, off, s[0:3], 0 offset:112
	buffer_store_dword v112, off, s[0:3], 0 offset:116
	s_waitcnt vmcnt(0)
	ds_write_b64 v109, v[110:111]
.LBB117_305:
	s_or_b32 exec_lo, exec_lo, s4
	s_waitcnt lgkmcnt(0)
	s_waitcnt_vscnt null, 0x0
	s_barrier
	buffer_gl0_inv
	s_clause 0x1c
	buffer_load_dword v119, off, s[0:3], 0 offset:120
	buffer_load_dword v120, off, s[0:3], 0 offset:124
	;; [unrolled: 1-line block ×29, first 2 shown]
	v_mov_b32_e32 v110, 0
	buffer_load_dword v144, off, s[0:3], 0 offset:236
	s_mov_b32 s4, exec_lo
	ds_read2_b64 v[111:114], v110 offset0:69 offset1:70
	ds_read2_b64 v[115:118], v110 offset0:71 offset1:72
	s_waitcnt vmcnt(28) lgkmcnt(1)
	v_fma_f64 v[111:112], v[119:120], v[111:112], 0
	s_clause 0x7
	buffer_load_dword v120, off, s[0:3], 0 offset:244
	buffer_load_dword v149, off, s[0:3], 0 offset:264
	buffer_load_dword v151, off, s[0:3], 0 offset:256
	buffer_load_dword v153, off, s[0:3], 0 offset:248
	buffer_load_dword v119, off, s[0:3], 0 offset:240
	buffer_load_dword v154, off, s[0:3], 0 offset:252
	buffer_load_dword v152, off, s[0:3], 0 offset:260
	buffer_load_dword v150, off, s[0:3], 0 offset:268
	s_waitcnt vmcnt(34)
	v_fma_f64 v[111:112], v[121:122], v[113:114], v[111:112]
	s_waitcnt vmcnt(32) lgkmcnt(0)
	v_fma_f64 v[111:112], v[123:124], v[115:116], v[111:112]
	s_waitcnt vmcnt(30)
	v_fma_f64 v[121:122], v[125:126], v[117:118], v[111:112]
	ds_read2_b64 v[111:114], v110 offset0:73 offset1:74
	ds_read2_b64 v[115:118], v110 offset0:75 offset1:76
	s_waitcnt vmcnt(28) lgkmcnt(1)
	v_fma_f64 v[111:112], v[127:128], v[111:112], v[121:122]
	s_clause 0x7
	buffer_load_dword v122, off, s[0:3], 0 offset:276
	buffer_load_dword v123, off, s[0:3], 0 offset:296
	buffer_load_dword v125, off, s[0:3], 0 offset:288
	buffer_load_dword v127, off, s[0:3], 0 offset:280
	buffer_load_dword v121, off, s[0:3], 0 offset:272
	buffer_load_dword v128, off, s[0:3], 0 offset:284
	buffer_load_dword v126, off, s[0:3], 0 offset:292
	buffer_load_dword v124, off, s[0:3], 0 offset:300
	s_waitcnt vmcnt(34)
	v_fma_f64 v[111:112], v[129:130], v[113:114], v[111:112]
	s_waitcnt vmcnt(32) lgkmcnt(0)
	v_fma_f64 v[111:112], v[131:132], v[115:116], v[111:112]
	s_waitcnt vmcnt(27)
	v_fma_f64 v[129:130], v[133:134], v[117:118], v[111:112]
	;; [unrolled: 19-line block ×6, first 2 shown]
	ds_read2_b64 v[111:114], v110 offset0:93 offset1:94
	ds_read2_b64 v[115:118], v110 offset0:95 offset1:96
	s_waitcnt vmcnt(26) lgkmcnt(1)
	v_fma_f64 v[111:112], v[139:140], v[111:112], v[123:124]
	s_clause 0x1
	buffer_load_dword v123, off, s[0:3], 0 offset:112
	buffer_load_dword v124, off, s[0:3], 0 offset:116
	s_waitcnt vmcnt(27)
	v_fma_f64 v[111:112], v[133:134], v[113:114], v[111:112]
	s_waitcnt vmcnt(26) lgkmcnt(0)
	v_fma_f64 v[111:112], v[131:132], v[115:116], v[111:112]
	s_waitcnt vmcnt(21)
	v_fma_f64 v[125:126], v[135:136], v[117:118], v[111:112]
	ds_read2_b64 v[111:114], v110 offset0:97 offset1:98
	ds_read2_b64 v[115:118], v110 offset0:99 offset1:100
	s_waitcnt vmcnt(20) lgkmcnt(1)
	v_fma_f64 v[111:112], v[147:148], v[111:112], v[125:126]
	s_waitcnt vmcnt(19)
	v_fma_f64 v[111:112], v[141:142], v[113:114], v[111:112]
	s_waitcnt vmcnt(18) lgkmcnt(0)
	v_fma_f64 v[111:112], v[137:138], v[115:116], v[111:112]
	s_waitcnt vmcnt(13)
	v_fma_f64 v[119:120], v[119:120], v[117:118], v[111:112]
	ds_read2_b64 v[111:114], v110 offset0:101 offset1:102
	ds_read2_b64 v[115:118], v110 offset0:103 offset1:104
	s_waitcnt vmcnt(12) lgkmcnt(1)
	v_fma_f64 v[111:112], v[153:154], v[111:112], v[119:120]
	s_waitcnt vmcnt(11)
	v_fma_f64 v[111:112], v[145:146], v[113:114], v[111:112]
	s_waitcnt vmcnt(10) lgkmcnt(0)
	v_fma_f64 v[111:112], v[143:144], v[115:116], v[111:112]
	s_waitcnt vmcnt(5)
	v_fma_f64 v[115:116], v[121:122], v[117:118], v[111:112]
	ds_read2_b64 v[111:114], v110 offset0:105 offset1:106
	ds_read_b64 v[117:118], v110 offset:856
	s_waitcnt vmcnt(4) lgkmcnt(1)
	v_fma_f64 v[111:112], v[151:152], v[111:112], v[115:116]
	s_waitcnt vmcnt(3)
	v_fma_f64 v[111:112], v[149:150], v[113:114], v[111:112]
	s_waitcnt vmcnt(2) lgkmcnt(0)
	v_fma_f64 v[111:112], v[127:128], v[117:118], v[111:112]
	s_waitcnt vmcnt(0)
	v_add_f64 v[111:112], v[123:124], -v[111:112]
	buffer_store_dword v112, off, s[0:3], 0 offset:116
	buffer_store_dword v111, off, s[0:3], 0 offset:112
	v_cmpx_lt_u32_e32 13, v0
	s_cbranch_execz .LBB117_307
; %bb.306:
	s_clause 0x1
	buffer_load_dword v111, off, s[0:3], 0 offset:104
	buffer_load_dword v112, off, s[0:3], 0 offset:108
	buffer_store_dword v110, off, s[0:3], 0 offset:104
	buffer_store_dword v110, off, s[0:3], 0 offset:108
	s_waitcnt vmcnt(0)
	ds_write_b64 v109, v[111:112]
.LBB117_307:
	s_or_b32 exec_lo, exec_lo, s4
	s_waitcnt lgkmcnt(0)
	s_waitcnt_vscnt null, 0x0
	s_barrier
	buffer_gl0_inv
	s_clause 0x1c
	buffer_load_dword v119, off, s[0:3], 0 offset:112
	buffer_load_dword v120, off, s[0:3], 0 offset:116
	;; [unrolled: 1-line block ×29, first 2 shown]
	ds_read_b128 v[111:114], v110 offset:544
	ds_read_b128 v[115:118], v110 offset:560
	buffer_load_dword v144, off, s[0:3], 0 offset:228
	s_mov_b32 s4, exec_lo
	s_waitcnt vmcnt(28) lgkmcnt(1)
	v_fma_f64 v[111:112], v[119:120], v[111:112], 0
	s_clause 0x7
	buffer_load_dword v120, off, s[0:3], 0 offset:236
	buffer_load_dword v149, off, s[0:3], 0 offset:256
	buffer_load_dword v151, off, s[0:3], 0 offset:248
	buffer_load_dword v153, off, s[0:3], 0 offset:240
	buffer_load_dword v119, off, s[0:3], 0 offset:232
	buffer_load_dword v154, off, s[0:3], 0 offset:244
	buffer_load_dword v152, off, s[0:3], 0 offset:252
	buffer_load_dword v150, off, s[0:3], 0 offset:260
	s_waitcnt vmcnt(34)
	v_fma_f64 v[111:112], v[121:122], v[113:114], v[111:112]
	s_waitcnt vmcnt(32) lgkmcnt(0)
	v_fma_f64 v[111:112], v[123:124], v[115:116], v[111:112]
	s_waitcnt vmcnt(30)
	v_fma_f64 v[121:122], v[125:126], v[117:118], v[111:112]
	ds_read_b128 v[111:114], v110 offset:576
	ds_read_b128 v[115:118], v110 offset:592
	s_waitcnt vmcnt(28) lgkmcnt(1)
	v_fma_f64 v[111:112], v[127:128], v[111:112], v[121:122]
	s_clause 0x7
	buffer_load_dword v122, off, s[0:3], 0 offset:268
	buffer_load_dword v123, off, s[0:3], 0 offset:288
	buffer_load_dword v125, off, s[0:3], 0 offset:280
	buffer_load_dword v127, off, s[0:3], 0 offset:272
	buffer_load_dword v121, off, s[0:3], 0 offset:264
	buffer_load_dword v128, off, s[0:3], 0 offset:276
	buffer_load_dword v126, off, s[0:3], 0 offset:284
	buffer_load_dword v124, off, s[0:3], 0 offset:292
	s_waitcnt vmcnt(34)
	v_fma_f64 v[111:112], v[129:130], v[113:114], v[111:112]
	s_waitcnt vmcnt(32) lgkmcnt(0)
	v_fma_f64 v[111:112], v[131:132], v[115:116], v[111:112]
	s_waitcnt vmcnt(27)
	v_fma_f64 v[129:130], v[133:134], v[117:118], v[111:112]
	ds_read_b128 v[111:114], v110 offset:608
	ds_read_b128 v[115:118], v110 offset:624
	;; [unrolled: 19-line block ×6, first 2 shown]
	s_waitcnt vmcnt(26) lgkmcnt(1)
	v_fma_f64 v[111:112], v[139:140], v[111:112], v[123:124]
	s_clause 0x3
	buffer_load_dword v124, off, s[0:3], 0 offset:428
	buffer_load_dword v123, off, s[0:3], 0 offset:424
	;; [unrolled: 1-line block ×4, first 2 shown]
	s_waitcnt vmcnt(29)
	v_fma_f64 v[111:112], v[133:134], v[113:114], v[111:112]
	s_waitcnt vmcnt(28) lgkmcnt(0)
	v_fma_f64 v[111:112], v[131:132], v[115:116], v[111:112]
	s_waitcnt vmcnt(23)
	v_fma_f64 v[129:130], v[135:136], v[117:118], v[111:112]
	ds_read_b128 v[111:114], v110 offset:768
	ds_read_b128 v[115:118], v110 offset:784
	s_waitcnt vmcnt(22) lgkmcnt(1)
	v_fma_f64 v[111:112], v[147:148], v[111:112], v[129:130]
	s_waitcnt vmcnt(21)
	v_fma_f64 v[111:112], v[141:142], v[113:114], v[111:112]
	s_waitcnt vmcnt(20) lgkmcnt(0)
	v_fma_f64 v[111:112], v[137:138], v[115:116], v[111:112]
	s_waitcnt vmcnt(15)
	v_fma_f64 v[119:120], v[119:120], v[117:118], v[111:112]
	ds_read_b128 v[111:114], v110 offset:800
	ds_read_b128 v[115:118], v110 offset:816
	s_waitcnt vmcnt(14) lgkmcnt(1)
	v_fma_f64 v[111:112], v[153:154], v[111:112], v[119:120]
	;; [unrolled: 10-line block ×3, first 2 shown]
	s_waitcnt vmcnt(5)
	v_fma_f64 v[110:111], v[149:150], v[113:114], v[110:111]
	s_waitcnt vmcnt(4) lgkmcnt(0)
	v_fma_f64 v[110:111], v[127:128], v[115:116], v[110:111]
	s_waitcnt vmcnt(2)
	v_fma_f64 v[110:111], v[123:124], v[117:118], v[110:111]
	s_waitcnt vmcnt(0)
	v_add_f64 v[110:111], v[125:126], -v[110:111]
	buffer_store_dword v111, off, s[0:3], 0 offset:108
	buffer_store_dword v110, off, s[0:3], 0 offset:104
	v_cmpx_lt_u32_e32 12, v0
	s_cbranch_execz .LBB117_309
; %bb.308:
	s_clause 0x1
	buffer_load_dword v110, off, s[0:3], 0 offset:96
	buffer_load_dword v111, off, s[0:3], 0 offset:100
	v_mov_b32_e32 v112, 0
	buffer_store_dword v112, off, s[0:3], 0 offset:96
	buffer_store_dword v112, off, s[0:3], 0 offset:100
	s_waitcnt vmcnt(0)
	ds_write_b64 v109, v[110:111]
.LBB117_309:
	s_or_b32 exec_lo, exec_lo, s4
	s_waitcnt lgkmcnt(0)
	s_waitcnt_vscnt null, 0x0
	s_barrier
	buffer_gl0_inv
	s_clause 0x1c
	buffer_load_dword v119, off, s[0:3], 0 offset:104
	buffer_load_dword v120, off, s[0:3], 0 offset:108
	;; [unrolled: 1-line block ×29, first 2 shown]
	v_mov_b32_e32 v110, 0
	buffer_load_dword v144, off, s[0:3], 0 offset:220
	s_mov_b32 s4, exec_lo
	ds_read2_b64 v[111:114], v110 offset0:67 offset1:68
	ds_read2_b64 v[115:118], v110 offset0:69 offset1:70
	s_waitcnt vmcnt(28) lgkmcnt(1)
	v_fma_f64 v[111:112], v[119:120], v[111:112], 0
	s_clause 0x7
	buffer_load_dword v120, off, s[0:3], 0 offset:228
	buffer_load_dword v149, off, s[0:3], 0 offset:248
	buffer_load_dword v151, off, s[0:3], 0 offset:240
	buffer_load_dword v153, off, s[0:3], 0 offset:232
	buffer_load_dword v119, off, s[0:3], 0 offset:224
	buffer_load_dword v154, off, s[0:3], 0 offset:236
	buffer_load_dword v152, off, s[0:3], 0 offset:244
	buffer_load_dword v150, off, s[0:3], 0 offset:252
	s_waitcnt vmcnt(34)
	v_fma_f64 v[111:112], v[121:122], v[113:114], v[111:112]
	s_waitcnt vmcnt(32) lgkmcnt(0)
	v_fma_f64 v[111:112], v[123:124], v[115:116], v[111:112]
	s_waitcnt vmcnt(30)
	v_fma_f64 v[121:122], v[125:126], v[117:118], v[111:112]
	ds_read2_b64 v[111:114], v110 offset0:71 offset1:72
	ds_read2_b64 v[115:118], v110 offset0:73 offset1:74
	s_waitcnt vmcnt(28) lgkmcnt(1)
	v_fma_f64 v[111:112], v[127:128], v[111:112], v[121:122]
	s_clause 0x7
	buffer_load_dword v122, off, s[0:3], 0 offset:260
	buffer_load_dword v123, off, s[0:3], 0 offset:280
	buffer_load_dword v125, off, s[0:3], 0 offset:272
	buffer_load_dword v127, off, s[0:3], 0 offset:264
	buffer_load_dword v121, off, s[0:3], 0 offset:256
	buffer_load_dword v128, off, s[0:3], 0 offset:268
	buffer_load_dword v126, off, s[0:3], 0 offset:276
	buffer_load_dword v124, off, s[0:3], 0 offset:284
	s_waitcnt vmcnt(34)
	v_fma_f64 v[111:112], v[129:130], v[113:114], v[111:112]
	s_waitcnt vmcnt(32) lgkmcnt(0)
	v_fma_f64 v[111:112], v[131:132], v[115:116], v[111:112]
	s_waitcnt vmcnt(27)
	v_fma_f64 v[129:130], v[133:134], v[117:118], v[111:112]
	;; [unrolled: 19-line block ×6, first 2 shown]
	ds_read2_b64 v[111:114], v110 offset0:91 offset1:92
	ds_read2_b64 v[115:118], v110 offset0:93 offset1:94
	s_waitcnt vmcnt(26) lgkmcnt(1)
	v_fma_f64 v[111:112], v[139:140], v[111:112], v[123:124]
	s_clause 0x5
	buffer_load_dword v124, off, s[0:3], 0 offset:420
	buffer_load_dword v125, off, s[0:3], 0 offset:424
	;; [unrolled: 1-line block ×6, first 2 shown]
	s_waitcnt vmcnt(31)
	v_fma_f64 v[111:112], v[133:134], v[113:114], v[111:112]
	s_waitcnt vmcnt(30) lgkmcnt(0)
	v_fma_f64 v[111:112], v[131:132], v[115:116], v[111:112]
	s_waitcnt vmcnt(25)
	v_fma_f64 v[131:132], v[135:136], v[117:118], v[111:112]
	ds_read2_b64 v[111:114], v110 offset0:95 offset1:96
	ds_read2_b64 v[115:118], v110 offset0:97 offset1:98
	s_waitcnt vmcnt(24) lgkmcnt(1)
	v_fma_f64 v[111:112], v[147:148], v[111:112], v[131:132]
	s_waitcnt vmcnt(23)
	v_fma_f64 v[111:112], v[141:142], v[113:114], v[111:112]
	s_waitcnt vmcnt(22) lgkmcnt(0)
	v_fma_f64 v[111:112], v[137:138], v[115:116], v[111:112]
	s_waitcnt vmcnt(17)
	v_fma_f64 v[119:120], v[119:120], v[117:118], v[111:112]
	ds_read2_b64 v[111:114], v110 offset0:99 offset1:100
	ds_read2_b64 v[115:118], v110 offset0:101 offset1:102
	s_waitcnt vmcnt(16) lgkmcnt(1)
	v_fma_f64 v[111:112], v[153:154], v[111:112], v[119:120]
	;; [unrolled: 10-line block ×3, first 2 shown]
	s_waitcnt vmcnt(7)
	v_fma_f64 v[111:112], v[149:150], v[113:114], v[111:112]
	ds_read_b64 v[113:114], v110 offset:856
	s_waitcnt vmcnt(6) lgkmcnt(1)
	v_fma_f64 v[111:112], v[127:128], v[115:116], v[111:112]
	s_waitcnt vmcnt(3)
	v_fma_f64 v[111:112], v[123:124], v[117:118], v[111:112]
	s_waitcnt vmcnt(2) lgkmcnt(0)
	v_fma_f64 v[111:112], v[125:126], v[113:114], v[111:112]
	s_waitcnt vmcnt(0)
	v_add_f64 v[111:112], v[129:130], -v[111:112]
	buffer_store_dword v112, off, s[0:3], 0 offset:100
	buffer_store_dword v111, off, s[0:3], 0 offset:96
	v_cmpx_lt_u32_e32 11, v0
	s_cbranch_execz .LBB117_311
; %bb.310:
	s_clause 0x1
	buffer_load_dword v111, off, s[0:3], 0 offset:88
	buffer_load_dword v112, off, s[0:3], 0 offset:92
	buffer_store_dword v110, off, s[0:3], 0 offset:88
	buffer_store_dword v110, off, s[0:3], 0 offset:92
	s_waitcnt vmcnt(0)
	ds_write_b64 v109, v[111:112]
.LBB117_311:
	s_or_b32 exec_lo, exec_lo, s4
	s_waitcnt lgkmcnt(0)
	s_waitcnt_vscnt null, 0x0
	s_barrier
	buffer_gl0_inv
	s_clause 0x1c
	buffer_load_dword v119, off, s[0:3], 0 offset:96
	buffer_load_dword v120, off, s[0:3], 0 offset:100
	;; [unrolled: 1-line block ×29, first 2 shown]
	ds_read_b128 v[111:114], v110 offset:528
	ds_read_b128 v[115:118], v110 offset:544
	buffer_load_dword v144, off, s[0:3], 0 offset:212
	s_mov_b32 s4, exec_lo
	s_waitcnt vmcnt(28) lgkmcnt(1)
	v_fma_f64 v[111:112], v[119:120], v[111:112], 0
	s_clause 0x7
	buffer_load_dword v120, off, s[0:3], 0 offset:220
	buffer_load_dword v149, off, s[0:3], 0 offset:240
	buffer_load_dword v151, off, s[0:3], 0 offset:232
	buffer_load_dword v153, off, s[0:3], 0 offset:224
	buffer_load_dword v119, off, s[0:3], 0 offset:216
	buffer_load_dword v154, off, s[0:3], 0 offset:228
	buffer_load_dword v152, off, s[0:3], 0 offset:236
	buffer_load_dword v150, off, s[0:3], 0 offset:244
	s_waitcnt vmcnt(34)
	v_fma_f64 v[111:112], v[121:122], v[113:114], v[111:112]
	s_waitcnt vmcnt(32) lgkmcnt(0)
	v_fma_f64 v[111:112], v[123:124], v[115:116], v[111:112]
	s_waitcnt vmcnt(30)
	v_fma_f64 v[121:122], v[125:126], v[117:118], v[111:112]
	ds_read_b128 v[111:114], v110 offset:560
	ds_read_b128 v[115:118], v110 offset:576
	s_waitcnt vmcnt(28) lgkmcnt(1)
	v_fma_f64 v[111:112], v[127:128], v[111:112], v[121:122]
	s_clause 0x7
	buffer_load_dword v122, off, s[0:3], 0 offset:252
	buffer_load_dword v123, off, s[0:3], 0 offset:272
	buffer_load_dword v125, off, s[0:3], 0 offset:264
	buffer_load_dword v127, off, s[0:3], 0 offset:256
	buffer_load_dword v121, off, s[0:3], 0 offset:248
	buffer_load_dword v128, off, s[0:3], 0 offset:260
	buffer_load_dword v126, off, s[0:3], 0 offset:268
	buffer_load_dword v124, off, s[0:3], 0 offset:276
	s_waitcnt vmcnt(34)
	v_fma_f64 v[111:112], v[129:130], v[113:114], v[111:112]
	s_waitcnt vmcnt(32) lgkmcnt(0)
	v_fma_f64 v[111:112], v[131:132], v[115:116], v[111:112]
	s_waitcnt vmcnt(27)
	v_fma_f64 v[129:130], v[133:134], v[117:118], v[111:112]
	ds_read_b128 v[111:114], v110 offset:592
	ds_read_b128 v[115:118], v110 offset:608
	;; [unrolled: 19-line block ×6, first 2 shown]
	s_waitcnt vmcnt(26) lgkmcnt(1)
	v_fma_f64 v[111:112], v[139:140], v[111:112], v[123:124]
	s_clause 0x5
	buffer_load_dword v124, off, s[0:3], 0 offset:412
	buffer_load_dword v125, off, s[0:3], 0 offset:424
	;; [unrolled: 1-line block ×6, first 2 shown]
	s_waitcnt vmcnt(31)
	v_fma_f64 v[111:112], v[133:134], v[113:114], v[111:112]
	s_waitcnt vmcnt(30) lgkmcnt(0)
	v_fma_f64 v[111:112], v[131:132], v[115:116], v[111:112]
	s_waitcnt vmcnt(25)
	v_fma_f64 v[131:132], v[135:136], v[117:118], v[111:112]
	ds_read_b128 v[111:114], v110 offset:752
	s_clause 0x1
	buffer_load_dword v133, off, s[0:3], 0 offset:88
	buffer_load_dword v134, off, s[0:3], 0 offset:92
	ds_read_b128 v[115:118], v110 offset:768
	s_waitcnt vmcnt(26) lgkmcnt(1)
	v_fma_f64 v[111:112], v[147:148], v[111:112], v[131:132]
	s_waitcnt vmcnt(25)
	v_fma_f64 v[111:112], v[141:142], v[113:114], v[111:112]
	s_waitcnt vmcnt(24) lgkmcnt(0)
	v_fma_f64 v[111:112], v[137:138], v[115:116], v[111:112]
	s_waitcnt vmcnt(19)
	v_fma_f64 v[119:120], v[119:120], v[117:118], v[111:112]
	ds_read_b128 v[111:114], v110 offset:784
	ds_read_b128 v[115:118], v110 offset:800
	s_waitcnt vmcnt(18) lgkmcnt(1)
	v_fma_f64 v[111:112], v[153:154], v[111:112], v[119:120]
	s_waitcnt vmcnt(17)
	v_fma_f64 v[111:112], v[145:146], v[113:114], v[111:112]
	s_waitcnt vmcnt(16) lgkmcnt(0)
	v_fma_f64 v[111:112], v[143:144], v[115:116], v[111:112]
	s_waitcnt vmcnt(11)
	v_fma_f64 v[119:120], v[121:122], v[117:118], v[111:112]
	ds_read_b128 v[111:114], v110 offset:816
	;; [unrolled: 10-line block ×3, first 2 shown]
	s_waitcnt vmcnt(3) lgkmcnt(0)
	v_fma_f64 v[110:111], v[129:130], v[110:111], v[114:115]
	s_waitcnt vmcnt(2)
	v_fma_f64 v[110:111], v[125:126], v[112:113], v[110:111]
	s_waitcnt vmcnt(0)
	v_add_f64 v[110:111], v[133:134], -v[110:111]
	buffer_store_dword v111, off, s[0:3], 0 offset:92
	buffer_store_dword v110, off, s[0:3], 0 offset:88
	v_cmpx_lt_u32_e32 10, v0
	s_cbranch_execz .LBB117_313
; %bb.312:
	s_clause 0x1
	buffer_load_dword v110, off, s[0:3], 0 offset:80
	buffer_load_dword v111, off, s[0:3], 0 offset:84
	v_mov_b32_e32 v112, 0
	buffer_store_dword v112, off, s[0:3], 0 offset:80
	buffer_store_dword v112, off, s[0:3], 0 offset:84
	s_waitcnt vmcnt(0)
	ds_write_b64 v109, v[110:111]
.LBB117_313:
	s_or_b32 exec_lo, exec_lo, s4
	s_waitcnt lgkmcnt(0)
	s_waitcnt_vscnt null, 0x0
	s_barrier
	buffer_gl0_inv
	s_clause 0x1c
	buffer_load_dword v119, off, s[0:3], 0 offset:88
	buffer_load_dword v120, off, s[0:3], 0 offset:92
	;; [unrolled: 1-line block ×29, first 2 shown]
	v_mov_b32_e32 v110, 0
	buffer_load_dword v144, off, s[0:3], 0 offset:204
	s_mov_b32 s4, exec_lo
	ds_read2_b64 v[111:114], v110 offset0:65 offset1:66
	ds_read2_b64 v[115:118], v110 offset0:67 offset1:68
	s_waitcnt vmcnt(28) lgkmcnt(1)
	v_fma_f64 v[111:112], v[119:120], v[111:112], 0
	s_clause 0x7
	buffer_load_dword v120, off, s[0:3], 0 offset:212
	buffer_load_dword v149, off, s[0:3], 0 offset:232
	buffer_load_dword v151, off, s[0:3], 0 offset:224
	buffer_load_dword v153, off, s[0:3], 0 offset:216
	buffer_load_dword v119, off, s[0:3], 0 offset:208
	buffer_load_dword v154, off, s[0:3], 0 offset:220
	buffer_load_dword v152, off, s[0:3], 0 offset:228
	buffer_load_dword v150, off, s[0:3], 0 offset:236
	s_waitcnt vmcnt(34)
	v_fma_f64 v[111:112], v[121:122], v[113:114], v[111:112]
	s_waitcnt vmcnt(32) lgkmcnt(0)
	v_fma_f64 v[111:112], v[123:124], v[115:116], v[111:112]
	s_waitcnt vmcnt(30)
	v_fma_f64 v[121:122], v[125:126], v[117:118], v[111:112]
	ds_read2_b64 v[111:114], v110 offset0:69 offset1:70
	ds_read2_b64 v[115:118], v110 offset0:71 offset1:72
	s_waitcnt vmcnt(28) lgkmcnt(1)
	v_fma_f64 v[111:112], v[127:128], v[111:112], v[121:122]
	s_clause 0x7
	buffer_load_dword v122, off, s[0:3], 0 offset:244
	buffer_load_dword v123, off, s[0:3], 0 offset:264
	buffer_load_dword v125, off, s[0:3], 0 offset:256
	buffer_load_dword v127, off, s[0:3], 0 offset:248
	buffer_load_dword v121, off, s[0:3], 0 offset:240
	buffer_load_dword v128, off, s[0:3], 0 offset:252
	buffer_load_dword v126, off, s[0:3], 0 offset:260
	buffer_load_dword v124, off, s[0:3], 0 offset:268
	s_waitcnt vmcnt(34)
	v_fma_f64 v[111:112], v[129:130], v[113:114], v[111:112]
	s_waitcnt vmcnt(32) lgkmcnt(0)
	v_fma_f64 v[111:112], v[131:132], v[115:116], v[111:112]
	s_waitcnt vmcnt(27)
	v_fma_f64 v[129:130], v[133:134], v[117:118], v[111:112]
	;; [unrolled: 19-line block ×7, first 2 shown]
	ds_read2_b64 v[111:114], v110 offset0:93 offset1:94
	ds_read2_b64 v[115:118], v110 offset0:95 offset1:96
	s_waitcnt vmcnt(26) lgkmcnt(1)
	v_fma_f64 v[111:112], v[147:148], v[111:112], v[131:132]
	s_clause 0x1
	buffer_load_dword v131, off, s[0:3], 0 offset:80
	buffer_load_dword v132, off, s[0:3], 0 offset:84
	s_waitcnt vmcnt(27)
	v_fma_f64 v[111:112], v[141:142], v[113:114], v[111:112]
	s_waitcnt vmcnt(26) lgkmcnt(0)
	v_fma_f64 v[111:112], v[137:138], v[115:116], v[111:112]
	s_waitcnt vmcnt(21)
	v_fma_f64 v[119:120], v[119:120], v[117:118], v[111:112]
	ds_read2_b64 v[111:114], v110 offset0:97 offset1:98
	ds_read2_b64 v[115:118], v110 offset0:99 offset1:100
	s_waitcnt vmcnt(20) lgkmcnt(1)
	v_fma_f64 v[111:112], v[153:154], v[111:112], v[119:120]
	s_waitcnt vmcnt(19)
	v_fma_f64 v[111:112], v[145:146], v[113:114], v[111:112]
	s_waitcnt vmcnt(18) lgkmcnt(0)
	v_fma_f64 v[111:112], v[143:144], v[115:116], v[111:112]
	s_waitcnt vmcnt(13)
	v_fma_f64 v[119:120], v[121:122], v[117:118], v[111:112]
	ds_read2_b64 v[111:114], v110 offset0:101 offset1:102
	ds_read2_b64 v[115:118], v110 offset0:103 offset1:104
	s_waitcnt vmcnt(12) lgkmcnt(1)
	v_fma_f64 v[111:112], v[151:152], v[111:112], v[119:120]
	s_waitcnt vmcnt(11)
	v_fma_f64 v[111:112], v[149:150], v[113:114], v[111:112]
	s_waitcnt vmcnt(10) lgkmcnt(0)
	v_fma_f64 v[111:112], v[127:128], v[115:116], v[111:112]
	s_waitcnt vmcnt(5)
	v_fma_f64 v[115:116], v[123:124], v[117:118], v[111:112]
	ds_read2_b64 v[111:114], v110 offset0:105 offset1:106
	ds_read_b64 v[117:118], v110 offset:856
	s_waitcnt vmcnt(4) lgkmcnt(1)
	v_fma_f64 v[111:112], v[139:140], v[111:112], v[115:116]
	s_waitcnt vmcnt(3)
	v_fma_f64 v[111:112], v[129:130], v[113:114], v[111:112]
	s_waitcnt vmcnt(2) lgkmcnt(0)
	v_fma_f64 v[111:112], v[125:126], v[117:118], v[111:112]
	s_waitcnt vmcnt(0)
	v_add_f64 v[111:112], v[131:132], -v[111:112]
	buffer_store_dword v112, off, s[0:3], 0 offset:84
	buffer_store_dword v111, off, s[0:3], 0 offset:80
	v_cmpx_lt_u32_e32 9, v0
	s_cbranch_execz .LBB117_315
; %bb.314:
	s_clause 0x1
	buffer_load_dword v111, off, s[0:3], 0 offset:72
	buffer_load_dword v112, off, s[0:3], 0 offset:76
	buffer_store_dword v110, off, s[0:3], 0 offset:72
	buffer_store_dword v110, off, s[0:3], 0 offset:76
	s_waitcnt vmcnt(0)
	ds_write_b64 v109, v[111:112]
.LBB117_315:
	s_or_b32 exec_lo, exec_lo, s4
	s_waitcnt lgkmcnt(0)
	s_waitcnt_vscnt null, 0x0
	s_barrier
	buffer_gl0_inv
	s_clause 0x1c
	buffer_load_dword v119, off, s[0:3], 0 offset:80
	buffer_load_dword v120, off, s[0:3], 0 offset:84
	;; [unrolled: 1-line block ×29, first 2 shown]
	ds_read_b128 v[111:114], v110 offset:512
	ds_read_b128 v[115:118], v110 offset:528
	buffer_load_dword v144, off, s[0:3], 0 offset:196
	s_mov_b32 s4, exec_lo
	s_waitcnt vmcnt(28) lgkmcnt(1)
	v_fma_f64 v[111:112], v[119:120], v[111:112], 0
	s_clause 0x7
	buffer_load_dword v120, off, s[0:3], 0 offset:204
	buffer_load_dword v149, off, s[0:3], 0 offset:224
	buffer_load_dword v151, off, s[0:3], 0 offset:216
	buffer_load_dword v153, off, s[0:3], 0 offset:208
	buffer_load_dword v119, off, s[0:3], 0 offset:200
	buffer_load_dword v154, off, s[0:3], 0 offset:212
	buffer_load_dword v152, off, s[0:3], 0 offset:220
	buffer_load_dword v150, off, s[0:3], 0 offset:228
	s_waitcnt vmcnt(34)
	v_fma_f64 v[111:112], v[121:122], v[113:114], v[111:112]
	s_waitcnt vmcnt(32) lgkmcnt(0)
	v_fma_f64 v[111:112], v[123:124], v[115:116], v[111:112]
	s_waitcnt vmcnt(30)
	v_fma_f64 v[121:122], v[125:126], v[117:118], v[111:112]
	ds_read_b128 v[111:114], v110 offset:544
	ds_read_b128 v[115:118], v110 offset:560
	s_waitcnt vmcnt(28) lgkmcnt(1)
	v_fma_f64 v[111:112], v[127:128], v[111:112], v[121:122]
	s_clause 0x7
	buffer_load_dword v122, off, s[0:3], 0 offset:236
	buffer_load_dword v123, off, s[0:3], 0 offset:256
	buffer_load_dword v125, off, s[0:3], 0 offset:248
	buffer_load_dword v127, off, s[0:3], 0 offset:240
	buffer_load_dword v121, off, s[0:3], 0 offset:232
	buffer_load_dword v128, off, s[0:3], 0 offset:244
	buffer_load_dword v126, off, s[0:3], 0 offset:252
	buffer_load_dword v124, off, s[0:3], 0 offset:260
	s_waitcnt vmcnt(34)
	v_fma_f64 v[111:112], v[129:130], v[113:114], v[111:112]
	s_waitcnt vmcnt(32) lgkmcnt(0)
	v_fma_f64 v[111:112], v[131:132], v[115:116], v[111:112]
	s_waitcnt vmcnt(27)
	v_fma_f64 v[129:130], v[133:134], v[117:118], v[111:112]
	ds_read_b128 v[111:114], v110 offset:576
	ds_read_b128 v[115:118], v110 offset:592
	;; [unrolled: 19-line block ×7, first 2 shown]
	s_waitcnt vmcnt(26) lgkmcnt(1)
	v_fma_f64 v[111:112], v[147:148], v[111:112], v[131:132]
	s_clause 0x3
	buffer_load_dword v132, off, s[0:3], 0 offset:428
	buffer_load_dword v131, off, s[0:3], 0 offset:424
	buffer_load_dword v133, off, s[0:3], 0 offset:72
	buffer_load_dword v134, off, s[0:3], 0 offset:76
	s_waitcnt vmcnt(29)
	v_fma_f64 v[111:112], v[141:142], v[113:114], v[111:112]
	s_waitcnt vmcnt(28) lgkmcnt(0)
	v_fma_f64 v[111:112], v[137:138], v[115:116], v[111:112]
	s_waitcnt vmcnt(23)
	v_fma_f64 v[119:120], v[119:120], v[117:118], v[111:112]
	ds_read_b128 v[111:114], v110 offset:768
	ds_read_b128 v[115:118], v110 offset:784
	s_waitcnt vmcnt(22) lgkmcnt(1)
	v_fma_f64 v[111:112], v[153:154], v[111:112], v[119:120]
	s_waitcnt vmcnt(21)
	v_fma_f64 v[111:112], v[145:146], v[113:114], v[111:112]
	s_waitcnt vmcnt(20) lgkmcnt(0)
	v_fma_f64 v[111:112], v[143:144], v[115:116], v[111:112]
	s_waitcnt vmcnt(15)
	v_fma_f64 v[119:120], v[121:122], v[117:118], v[111:112]
	ds_read_b128 v[111:114], v110 offset:800
	ds_read_b128 v[115:118], v110 offset:816
	s_waitcnt vmcnt(14) lgkmcnt(1)
	v_fma_f64 v[111:112], v[151:152], v[111:112], v[119:120]
	s_waitcnt vmcnt(13)
	v_fma_f64 v[111:112], v[149:150], v[113:114], v[111:112]
	s_waitcnt vmcnt(12) lgkmcnt(0)
	v_fma_f64 v[111:112], v[127:128], v[115:116], v[111:112]
	s_waitcnt vmcnt(7)
	v_fma_f64 v[119:120], v[123:124], v[117:118], v[111:112]
	ds_read_b128 v[111:114], v110 offset:832
	ds_read_b128 v[115:118], v110 offset:848
	s_waitcnt vmcnt(6) lgkmcnt(1)
	v_fma_f64 v[110:111], v[139:140], v[111:112], v[119:120]
	s_waitcnt vmcnt(5)
	v_fma_f64 v[110:111], v[129:130], v[113:114], v[110:111]
	s_waitcnt vmcnt(4) lgkmcnt(0)
	v_fma_f64 v[110:111], v[125:126], v[115:116], v[110:111]
	s_waitcnt vmcnt(2)
	v_fma_f64 v[110:111], v[131:132], v[117:118], v[110:111]
	s_waitcnt vmcnt(0)
	v_add_f64 v[110:111], v[133:134], -v[110:111]
	buffer_store_dword v111, off, s[0:3], 0 offset:76
	buffer_store_dword v110, off, s[0:3], 0 offset:72
	v_cmpx_lt_u32_e32 8, v0
	s_cbranch_execz .LBB117_317
; %bb.316:
	s_clause 0x1
	buffer_load_dword v110, off, s[0:3], 0 offset:64
	buffer_load_dword v111, off, s[0:3], 0 offset:68
	v_mov_b32_e32 v112, 0
	buffer_store_dword v112, off, s[0:3], 0 offset:64
	buffer_store_dword v112, off, s[0:3], 0 offset:68
	s_waitcnt vmcnt(0)
	ds_write_b64 v109, v[110:111]
.LBB117_317:
	s_or_b32 exec_lo, exec_lo, s4
	s_waitcnt lgkmcnt(0)
	s_waitcnt_vscnt null, 0x0
	s_barrier
	buffer_gl0_inv
	s_clause 0x1c
	buffer_load_dword v119, off, s[0:3], 0 offset:72
	buffer_load_dword v120, off, s[0:3], 0 offset:76
	;; [unrolled: 1-line block ×29, first 2 shown]
	v_mov_b32_e32 v110, 0
	buffer_load_dword v144, off, s[0:3], 0 offset:188
	s_mov_b32 s4, exec_lo
	ds_read2_b64 v[111:114], v110 offset0:63 offset1:64
	ds_read2_b64 v[115:118], v110 offset0:65 offset1:66
	s_waitcnt vmcnt(28) lgkmcnt(1)
	v_fma_f64 v[111:112], v[119:120], v[111:112], 0
	s_clause 0x7
	buffer_load_dword v120, off, s[0:3], 0 offset:196
	buffer_load_dword v149, off, s[0:3], 0 offset:216
	buffer_load_dword v151, off, s[0:3], 0 offset:208
	buffer_load_dword v153, off, s[0:3], 0 offset:200
	buffer_load_dword v119, off, s[0:3], 0 offset:192
	buffer_load_dword v154, off, s[0:3], 0 offset:204
	buffer_load_dword v152, off, s[0:3], 0 offset:212
	buffer_load_dword v150, off, s[0:3], 0 offset:220
	s_waitcnt vmcnt(34)
	v_fma_f64 v[111:112], v[121:122], v[113:114], v[111:112]
	s_waitcnt vmcnt(32) lgkmcnt(0)
	v_fma_f64 v[111:112], v[123:124], v[115:116], v[111:112]
	s_waitcnt vmcnt(30)
	v_fma_f64 v[121:122], v[125:126], v[117:118], v[111:112]
	ds_read2_b64 v[111:114], v110 offset0:67 offset1:68
	ds_read2_b64 v[115:118], v110 offset0:69 offset1:70
	s_waitcnt vmcnt(28) lgkmcnt(1)
	v_fma_f64 v[111:112], v[127:128], v[111:112], v[121:122]
	s_clause 0x7
	buffer_load_dword v122, off, s[0:3], 0 offset:228
	buffer_load_dword v123, off, s[0:3], 0 offset:248
	buffer_load_dword v125, off, s[0:3], 0 offset:240
	buffer_load_dword v127, off, s[0:3], 0 offset:232
	buffer_load_dword v121, off, s[0:3], 0 offset:224
	buffer_load_dword v128, off, s[0:3], 0 offset:236
	buffer_load_dword v126, off, s[0:3], 0 offset:244
	buffer_load_dword v124, off, s[0:3], 0 offset:252
	s_waitcnt vmcnt(34)
	v_fma_f64 v[111:112], v[129:130], v[113:114], v[111:112]
	s_waitcnt vmcnt(32) lgkmcnt(0)
	v_fma_f64 v[111:112], v[131:132], v[115:116], v[111:112]
	s_waitcnt vmcnt(27)
	v_fma_f64 v[129:130], v[133:134], v[117:118], v[111:112]
	;; [unrolled: 19-line block ×7, first 2 shown]
	ds_read2_b64 v[111:114], v110 offset0:91 offset1:92
	ds_read2_b64 v[115:118], v110 offset0:93 offset1:94
	s_waitcnt vmcnt(26) lgkmcnt(1)
	v_fma_f64 v[111:112], v[147:148], v[111:112], v[131:132]
	s_clause 0x5
	buffer_load_dword v132, off, s[0:3], 0 offset:420
	buffer_load_dword v133, off, s[0:3], 0 offset:424
	;; [unrolled: 1-line block ×6, first 2 shown]
	s_waitcnt vmcnt(31)
	v_fma_f64 v[111:112], v[141:142], v[113:114], v[111:112]
	s_waitcnt vmcnt(30) lgkmcnt(0)
	v_fma_f64 v[111:112], v[137:138], v[115:116], v[111:112]
	s_waitcnt vmcnt(25)
	v_fma_f64 v[119:120], v[119:120], v[117:118], v[111:112]
	ds_read2_b64 v[111:114], v110 offset0:95 offset1:96
	ds_read2_b64 v[115:118], v110 offset0:97 offset1:98
	s_waitcnt vmcnt(24) lgkmcnt(1)
	v_fma_f64 v[111:112], v[153:154], v[111:112], v[119:120]
	s_waitcnt vmcnt(23)
	v_fma_f64 v[111:112], v[145:146], v[113:114], v[111:112]
	s_waitcnt vmcnt(22) lgkmcnt(0)
	v_fma_f64 v[111:112], v[143:144], v[115:116], v[111:112]
	s_waitcnt vmcnt(17)
	v_fma_f64 v[119:120], v[121:122], v[117:118], v[111:112]
	ds_read2_b64 v[111:114], v110 offset0:99 offset1:100
	ds_read2_b64 v[115:118], v110 offset0:101 offset1:102
	s_waitcnt vmcnt(16) lgkmcnt(1)
	v_fma_f64 v[111:112], v[151:152], v[111:112], v[119:120]
	;; [unrolled: 10-line block ×3, first 2 shown]
	s_waitcnt vmcnt(7)
	v_fma_f64 v[111:112], v[129:130], v[113:114], v[111:112]
	ds_read_b64 v[113:114], v110 offset:856
	s_waitcnt vmcnt(6) lgkmcnt(1)
	v_fma_f64 v[111:112], v[125:126], v[115:116], v[111:112]
	s_waitcnt vmcnt(3)
	v_fma_f64 v[111:112], v[131:132], v[117:118], v[111:112]
	s_waitcnt vmcnt(2) lgkmcnt(0)
	v_fma_f64 v[111:112], v[133:134], v[113:114], v[111:112]
	s_waitcnt vmcnt(0)
	v_add_f64 v[111:112], v[135:136], -v[111:112]
	buffer_store_dword v112, off, s[0:3], 0 offset:68
	buffer_store_dword v111, off, s[0:3], 0 offset:64
	v_cmpx_lt_u32_e32 7, v0
	s_cbranch_execz .LBB117_319
; %bb.318:
	s_clause 0x1
	buffer_load_dword v111, off, s[0:3], 0 offset:56
	buffer_load_dword v112, off, s[0:3], 0 offset:60
	buffer_store_dword v110, off, s[0:3], 0 offset:56
	buffer_store_dword v110, off, s[0:3], 0 offset:60
	s_waitcnt vmcnt(0)
	ds_write_b64 v109, v[111:112]
.LBB117_319:
	s_or_b32 exec_lo, exec_lo, s4
	s_waitcnt lgkmcnt(0)
	s_waitcnt_vscnt null, 0x0
	s_barrier
	buffer_gl0_inv
	s_clause 0x1c
	buffer_load_dword v119, off, s[0:3], 0 offset:64
	buffer_load_dword v120, off, s[0:3], 0 offset:68
	;; [unrolled: 1-line block ×29, first 2 shown]
	ds_read_b128 v[111:114], v110 offset:496
	ds_read_b128 v[115:118], v110 offset:512
	buffer_load_dword v144, off, s[0:3], 0 offset:180
	s_mov_b32 s4, exec_lo
	s_waitcnt vmcnt(28) lgkmcnt(1)
	v_fma_f64 v[111:112], v[119:120], v[111:112], 0
	s_clause 0x7
	buffer_load_dword v120, off, s[0:3], 0 offset:188
	buffer_load_dword v149, off, s[0:3], 0 offset:208
	buffer_load_dword v151, off, s[0:3], 0 offset:200
	buffer_load_dword v153, off, s[0:3], 0 offset:192
	buffer_load_dword v119, off, s[0:3], 0 offset:184
	buffer_load_dword v154, off, s[0:3], 0 offset:196
	buffer_load_dword v152, off, s[0:3], 0 offset:204
	buffer_load_dword v150, off, s[0:3], 0 offset:212
	s_waitcnt vmcnt(34)
	v_fma_f64 v[111:112], v[121:122], v[113:114], v[111:112]
	s_waitcnt vmcnt(32) lgkmcnt(0)
	v_fma_f64 v[111:112], v[123:124], v[115:116], v[111:112]
	s_waitcnt vmcnt(30)
	v_fma_f64 v[121:122], v[125:126], v[117:118], v[111:112]
	ds_read_b128 v[111:114], v110 offset:528
	ds_read_b128 v[115:118], v110 offset:544
	s_waitcnt vmcnt(28) lgkmcnt(1)
	v_fma_f64 v[111:112], v[127:128], v[111:112], v[121:122]
	s_clause 0x7
	buffer_load_dword v122, off, s[0:3], 0 offset:220
	buffer_load_dword v123, off, s[0:3], 0 offset:240
	buffer_load_dword v125, off, s[0:3], 0 offset:232
	buffer_load_dword v127, off, s[0:3], 0 offset:224
	buffer_load_dword v121, off, s[0:3], 0 offset:216
	buffer_load_dword v128, off, s[0:3], 0 offset:228
	buffer_load_dword v126, off, s[0:3], 0 offset:236
	buffer_load_dword v124, off, s[0:3], 0 offset:244
	s_waitcnt vmcnt(34)
	v_fma_f64 v[111:112], v[129:130], v[113:114], v[111:112]
	s_waitcnt vmcnt(32) lgkmcnt(0)
	v_fma_f64 v[111:112], v[131:132], v[115:116], v[111:112]
	s_waitcnt vmcnt(27)
	v_fma_f64 v[129:130], v[133:134], v[117:118], v[111:112]
	ds_read_b128 v[111:114], v110 offset:560
	ds_read_b128 v[115:118], v110 offset:576
	;; [unrolled: 19-line block ×7, first 2 shown]
	s_waitcnt vmcnt(26) lgkmcnt(1)
	v_fma_f64 v[111:112], v[147:148], v[111:112], v[131:132]
	s_clause 0x5
	buffer_load_dword v132, off, s[0:3], 0 offset:412
	buffer_load_dword v133, off, s[0:3], 0 offset:424
	;; [unrolled: 1-line block ×6, first 2 shown]
	s_waitcnt vmcnt(31)
	v_fma_f64 v[111:112], v[141:142], v[113:114], v[111:112]
	s_waitcnt vmcnt(30) lgkmcnt(0)
	v_fma_f64 v[111:112], v[137:138], v[115:116], v[111:112]
	s_waitcnt vmcnt(25)
	v_fma_f64 v[119:120], v[119:120], v[117:118], v[111:112]
	ds_read_b128 v[111:114], v110 offset:752
	s_clause 0x1
	buffer_load_dword v137, off, s[0:3], 0 offset:56
	buffer_load_dword v138, off, s[0:3], 0 offset:60
	ds_read_b128 v[115:118], v110 offset:768
	s_waitcnt vmcnt(26) lgkmcnt(1)
	v_fma_f64 v[111:112], v[153:154], v[111:112], v[119:120]
	s_waitcnt vmcnt(25)
	v_fma_f64 v[111:112], v[145:146], v[113:114], v[111:112]
	s_waitcnt vmcnt(24) lgkmcnt(0)
	v_fma_f64 v[111:112], v[143:144], v[115:116], v[111:112]
	s_waitcnt vmcnt(19)
	v_fma_f64 v[119:120], v[121:122], v[117:118], v[111:112]
	ds_read_b128 v[111:114], v110 offset:784
	ds_read_b128 v[115:118], v110 offset:800
	s_waitcnt vmcnt(18) lgkmcnt(1)
	v_fma_f64 v[111:112], v[151:152], v[111:112], v[119:120]
	s_waitcnt vmcnt(17)
	v_fma_f64 v[111:112], v[149:150], v[113:114], v[111:112]
	s_waitcnt vmcnt(16) lgkmcnt(0)
	v_fma_f64 v[111:112], v[127:128], v[115:116], v[111:112]
	s_waitcnt vmcnt(11)
	v_fma_f64 v[119:120], v[123:124], v[117:118], v[111:112]
	ds_read_b128 v[111:114], v110 offset:816
	;; [unrolled: 10-line block ×3, first 2 shown]
	s_waitcnt vmcnt(3) lgkmcnt(0)
	v_fma_f64 v[110:111], v[135:136], v[110:111], v[114:115]
	s_waitcnt vmcnt(2)
	v_fma_f64 v[110:111], v[133:134], v[112:113], v[110:111]
	s_waitcnt vmcnt(0)
	v_add_f64 v[110:111], v[137:138], -v[110:111]
	buffer_store_dword v111, off, s[0:3], 0 offset:60
	buffer_store_dword v110, off, s[0:3], 0 offset:56
	v_cmpx_lt_u32_e32 6, v0
	s_cbranch_execz .LBB117_321
; %bb.320:
	s_clause 0x1
	buffer_load_dword v110, off, s[0:3], 0 offset:48
	buffer_load_dword v111, off, s[0:3], 0 offset:52
	v_mov_b32_e32 v112, 0
	buffer_store_dword v112, off, s[0:3], 0 offset:48
	buffer_store_dword v112, off, s[0:3], 0 offset:52
	s_waitcnt vmcnt(0)
	ds_write_b64 v109, v[110:111]
.LBB117_321:
	s_or_b32 exec_lo, exec_lo, s4
	s_waitcnt lgkmcnt(0)
	s_waitcnt_vscnt null, 0x0
	s_barrier
	buffer_gl0_inv
	s_clause 0x1c
	buffer_load_dword v119, off, s[0:3], 0 offset:56
	buffer_load_dword v120, off, s[0:3], 0 offset:60
	;; [unrolled: 1-line block ×29, first 2 shown]
	v_mov_b32_e32 v110, 0
	buffer_load_dword v144, off, s[0:3], 0 offset:172
	s_mov_b32 s4, exec_lo
	ds_read2_b64 v[111:114], v110 offset0:61 offset1:62
	ds_read2_b64 v[115:118], v110 offset0:63 offset1:64
	s_waitcnt vmcnt(28) lgkmcnt(1)
	v_fma_f64 v[111:112], v[119:120], v[111:112], 0
	s_clause 0x7
	buffer_load_dword v120, off, s[0:3], 0 offset:180
	buffer_load_dword v149, off, s[0:3], 0 offset:200
	buffer_load_dword v151, off, s[0:3], 0 offset:192
	buffer_load_dword v153, off, s[0:3], 0 offset:184
	buffer_load_dword v119, off, s[0:3], 0 offset:176
	buffer_load_dword v154, off, s[0:3], 0 offset:188
	buffer_load_dword v152, off, s[0:3], 0 offset:196
	buffer_load_dword v150, off, s[0:3], 0 offset:204
	s_waitcnt vmcnt(34)
	v_fma_f64 v[111:112], v[121:122], v[113:114], v[111:112]
	s_waitcnt vmcnt(32) lgkmcnt(0)
	v_fma_f64 v[111:112], v[123:124], v[115:116], v[111:112]
	s_waitcnt vmcnt(30)
	v_fma_f64 v[121:122], v[125:126], v[117:118], v[111:112]
	ds_read2_b64 v[111:114], v110 offset0:65 offset1:66
	ds_read2_b64 v[115:118], v110 offset0:67 offset1:68
	s_waitcnt vmcnt(28) lgkmcnt(1)
	v_fma_f64 v[111:112], v[127:128], v[111:112], v[121:122]
	s_clause 0x7
	buffer_load_dword v122, off, s[0:3], 0 offset:212
	buffer_load_dword v123, off, s[0:3], 0 offset:232
	buffer_load_dword v125, off, s[0:3], 0 offset:224
	buffer_load_dword v127, off, s[0:3], 0 offset:216
	buffer_load_dword v121, off, s[0:3], 0 offset:208
	buffer_load_dword v128, off, s[0:3], 0 offset:220
	buffer_load_dword v126, off, s[0:3], 0 offset:228
	buffer_load_dword v124, off, s[0:3], 0 offset:236
	s_waitcnt vmcnt(34)
	v_fma_f64 v[111:112], v[129:130], v[113:114], v[111:112]
	s_waitcnt vmcnt(32) lgkmcnt(0)
	v_fma_f64 v[111:112], v[131:132], v[115:116], v[111:112]
	s_waitcnt vmcnt(27)
	v_fma_f64 v[129:130], v[133:134], v[117:118], v[111:112]
	;; [unrolled: 19-line block ×8, first 2 shown]
	ds_read2_b64 v[111:114], v110 offset0:93 offset1:94
	ds_read2_b64 v[115:118], v110 offset0:95 offset1:96
	s_waitcnt vmcnt(26) lgkmcnt(1)
	v_fma_f64 v[111:112], v[153:154], v[111:112], v[119:120]
	s_clause 0x1
	buffer_load_dword v119, off, s[0:3], 0 offset:48
	buffer_load_dword v120, off, s[0:3], 0 offset:52
	s_waitcnt vmcnt(27)
	v_fma_f64 v[111:112], v[145:146], v[113:114], v[111:112]
	s_waitcnt vmcnt(26) lgkmcnt(0)
	v_fma_f64 v[111:112], v[143:144], v[115:116], v[111:112]
	s_waitcnt vmcnt(21)
	v_fma_f64 v[121:122], v[121:122], v[117:118], v[111:112]
	ds_read2_b64 v[111:114], v110 offset0:97 offset1:98
	ds_read2_b64 v[115:118], v110 offset0:99 offset1:100
	s_waitcnt vmcnt(20) lgkmcnt(1)
	v_fma_f64 v[111:112], v[151:152], v[111:112], v[121:122]
	s_waitcnt vmcnt(19)
	v_fma_f64 v[111:112], v[149:150], v[113:114], v[111:112]
	s_waitcnt vmcnt(18) lgkmcnt(0)
	v_fma_f64 v[111:112], v[127:128], v[115:116], v[111:112]
	s_waitcnt vmcnt(13)
	v_fma_f64 v[121:122], v[123:124], v[117:118], v[111:112]
	ds_read2_b64 v[111:114], v110 offset0:101 offset1:102
	ds_read2_b64 v[115:118], v110 offset0:103 offset1:104
	s_waitcnt vmcnt(12) lgkmcnt(1)
	v_fma_f64 v[111:112], v[139:140], v[111:112], v[121:122]
	s_waitcnt vmcnt(11)
	v_fma_f64 v[111:112], v[129:130], v[113:114], v[111:112]
	s_waitcnt vmcnt(10) lgkmcnt(0)
	v_fma_f64 v[111:112], v[125:126], v[115:116], v[111:112]
	s_waitcnt vmcnt(5)
	v_fma_f64 v[115:116], v[131:132], v[117:118], v[111:112]
	ds_read2_b64 v[111:114], v110 offset0:105 offset1:106
	ds_read_b64 v[117:118], v110 offset:856
	s_waitcnt vmcnt(4) lgkmcnt(1)
	v_fma_f64 v[111:112], v[147:148], v[111:112], v[115:116]
	s_waitcnt vmcnt(3)
	v_fma_f64 v[111:112], v[135:136], v[113:114], v[111:112]
	s_waitcnt vmcnt(2) lgkmcnt(0)
	v_fma_f64 v[111:112], v[133:134], v[117:118], v[111:112]
	s_waitcnt vmcnt(0)
	v_add_f64 v[111:112], v[119:120], -v[111:112]
	buffer_store_dword v112, off, s[0:3], 0 offset:52
	buffer_store_dword v111, off, s[0:3], 0 offset:48
	v_cmpx_lt_u32_e32 5, v0
	s_cbranch_execz .LBB117_323
; %bb.322:
	s_clause 0x1
	buffer_load_dword v111, off, s[0:3], 0 offset:40
	buffer_load_dword v112, off, s[0:3], 0 offset:44
	buffer_store_dword v110, off, s[0:3], 0 offset:40
	buffer_store_dword v110, off, s[0:3], 0 offset:44
	s_waitcnt vmcnt(0)
	ds_write_b64 v109, v[111:112]
.LBB117_323:
	s_or_b32 exec_lo, exec_lo, s4
	s_waitcnt lgkmcnt(0)
	s_waitcnt_vscnt null, 0x0
	s_barrier
	buffer_gl0_inv
	s_clause 0x1c
	buffer_load_dword v119, off, s[0:3], 0 offset:48
	buffer_load_dword v120, off, s[0:3], 0 offset:52
	;; [unrolled: 1-line block ×29, first 2 shown]
	ds_read_b128 v[111:114], v110 offset:480
	ds_read_b128 v[115:118], v110 offset:496
	buffer_load_dword v144, off, s[0:3], 0 offset:164
	s_mov_b32 s4, exec_lo
	s_waitcnt vmcnt(28) lgkmcnt(1)
	v_fma_f64 v[111:112], v[119:120], v[111:112], 0
	s_clause 0x7
	buffer_load_dword v120, off, s[0:3], 0 offset:172
	buffer_load_dword v149, off, s[0:3], 0 offset:192
	buffer_load_dword v151, off, s[0:3], 0 offset:184
	buffer_load_dword v153, off, s[0:3], 0 offset:176
	buffer_load_dword v119, off, s[0:3], 0 offset:168
	buffer_load_dword v154, off, s[0:3], 0 offset:180
	buffer_load_dword v152, off, s[0:3], 0 offset:188
	buffer_load_dword v150, off, s[0:3], 0 offset:196
	s_waitcnt vmcnt(34)
	v_fma_f64 v[111:112], v[121:122], v[113:114], v[111:112]
	s_waitcnt vmcnt(32) lgkmcnt(0)
	v_fma_f64 v[111:112], v[123:124], v[115:116], v[111:112]
	s_waitcnt vmcnt(30)
	v_fma_f64 v[121:122], v[125:126], v[117:118], v[111:112]
	ds_read_b128 v[111:114], v110 offset:512
	ds_read_b128 v[115:118], v110 offset:528
	s_waitcnt vmcnt(28) lgkmcnt(1)
	v_fma_f64 v[111:112], v[127:128], v[111:112], v[121:122]
	s_clause 0x7
	buffer_load_dword v122, off, s[0:3], 0 offset:204
	buffer_load_dword v123, off, s[0:3], 0 offset:224
	buffer_load_dword v125, off, s[0:3], 0 offset:216
	buffer_load_dword v127, off, s[0:3], 0 offset:208
	buffer_load_dword v121, off, s[0:3], 0 offset:200
	buffer_load_dword v128, off, s[0:3], 0 offset:212
	buffer_load_dword v126, off, s[0:3], 0 offset:220
	buffer_load_dword v124, off, s[0:3], 0 offset:228
	s_waitcnt vmcnt(34)
	v_fma_f64 v[111:112], v[129:130], v[113:114], v[111:112]
	s_waitcnt vmcnt(32) lgkmcnt(0)
	v_fma_f64 v[111:112], v[131:132], v[115:116], v[111:112]
	s_waitcnt vmcnt(27)
	v_fma_f64 v[129:130], v[133:134], v[117:118], v[111:112]
	ds_read_b128 v[111:114], v110 offset:544
	ds_read_b128 v[115:118], v110 offset:560
	;; [unrolled: 19-line block ×8, first 2 shown]
	s_waitcnt vmcnt(26) lgkmcnt(1)
	v_fma_f64 v[111:112], v[153:154], v[111:112], v[119:120]
	s_clause 0x3
	buffer_load_dword v120, off, s[0:3], 0 offset:428
	buffer_load_dword v119, off, s[0:3], 0 offset:424
	;; [unrolled: 1-line block ×4, first 2 shown]
	s_waitcnt vmcnt(29)
	v_fma_f64 v[111:112], v[145:146], v[113:114], v[111:112]
	s_waitcnt vmcnt(28) lgkmcnt(0)
	v_fma_f64 v[111:112], v[143:144], v[115:116], v[111:112]
	s_waitcnt vmcnt(23)
	v_fma_f64 v[121:122], v[121:122], v[117:118], v[111:112]
	ds_read_b128 v[111:114], v110 offset:768
	ds_read_b128 v[115:118], v110 offset:784
	s_waitcnt vmcnt(22) lgkmcnt(1)
	v_fma_f64 v[111:112], v[151:152], v[111:112], v[121:122]
	s_waitcnt vmcnt(21)
	v_fma_f64 v[111:112], v[149:150], v[113:114], v[111:112]
	s_waitcnt vmcnt(20) lgkmcnt(0)
	v_fma_f64 v[111:112], v[127:128], v[115:116], v[111:112]
	s_waitcnt vmcnt(15)
	v_fma_f64 v[121:122], v[123:124], v[117:118], v[111:112]
	ds_read_b128 v[111:114], v110 offset:800
	ds_read_b128 v[115:118], v110 offset:816
	s_waitcnt vmcnt(14) lgkmcnt(1)
	v_fma_f64 v[111:112], v[139:140], v[111:112], v[121:122]
	;; [unrolled: 10-line block ×3, first 2 shown]
	s_waitcnt vmcnt(5)
	v_fma_f64 v[110:111], v[135:136], v[113:114], v[110:111]
	s_waitcnt vmcnt(4) lgkmcnt(0)
	v_fma_f64 v[110:111], v[133:134], v[115:116], v[110:111]
	s_waitcnt vmcnt(2)
	v_fma_f64 v[110:111], v[119:120], v[117:118], v[110:111]
	s_waitcnt vmcnt(0)
	v_add_f64 v[110:111], v[137:138], -v[110:111]
	buffer_store_dword v111, off, s[0:3], 0 offset:44
	buffer_store_dword v110, off, s[0:3], 0 offset:40
	v_cmpx_lt_u32_e32 4, v0
	s_cbranch_execz .LBB117_325
; %bb.324:
	s_clause 0x1
	buffer_load_dword v110, off, s[0:3], 0 offset:32
	buffer_load_dword v111, off, s[0:3], 0 offset:36
	v_mov_b32_e32 v112, 0
	buffer_store_dword v112, off, s[0:3], 0 offset:32
	buffer_store_dword v112, off, s[0:3], 0 offset:36
	s_waitcnt vmcnt(0)
	ds_write_b64 v109, v[110:111]
.LBB117_325:
	s_or_b32 exec_lo, exec_lo, s4
	s_waitcnt lgkmcnt(0)
	s_waitcnt_vscnt null, 0x0
	s_barrier
	buffer_gl0_inv
	s_clause 0x1c
	buffer_load_dword v119, off, s[0:3], 0 offset:40
	buffer_load_dword v120, off, s[0:3], 0 offset:44
	;; [unrolled: 1-line block ×29, first 2 shown]
	v_mov_b32_e32 v110, 0
	buffer_load_dword v144, off, s[0:3], 0 offset:156
	s_mov_b32 s4, exec_lo
	ds_read2_b64 v[111:114], v110 offset0:59 offset1:60
	ds_read2_b64 v[115:118], v110 offset0:61 offset1:62
	s_waitcnt vmcnt(28) lgkmcnt(1)
	v_fma_f64 v[111:112], v[119:120], v[111:112], 0
	s_clause 0x7
	buffer_load_dword v120, off, s[0:3], 0 offset:164
	buffer_load_dword v149, off, s[0:3], 0 offset:184
	buffer_load_dword v151, off, s[0:3], 0 offset:176
	buffer_load_dword v153, off, s[0:3], 0 offset:168
	buffer_load_dword v119, off, s[0:3], 0 offset:160
	buffer_load_dword v154, off, s[0:3], 0 offset:172
	buffer_load_dword v152, off, s[0:3], 0 offset:180
	buffer_load_dword v150, off, s[0:3], 0 offset:188
	s_waitcnt vmcnt(34)
	v_fma_f64 v[111:112], v[121:122], v[113:114], v[111:112]
	s_waitcnt vmcnt(32) lgkmcnt(0)
	v_fma_f64 v[111:112], v[123:124], v[115:116], v[111:112]
	s_waitcnt vmcnt(30)
	v_fma_f64 v[121:122], v[125:126], v[117:118], v[111:112]
	ds_read2_b64 v[111:114], v110 offset0:63 offset1:64
	ds_read2_b64 v[115:118], v110 offset0:65 offset1:66
	s_waitcnt vmcnt(28) lgkmcnt(1)
	v_fma_f64 v[111:112], v[127:128], v[111:112], v[121:122]
	s_clause 0x7
	buffer_load_dword v122, off, s[0:3], 0 offset:196
	buffer_load_dword v123, off, s[0:3], 0 offset:216
	buffer_load_dword v125, off, s[0:3], 0 offset:208
	buffer_load_dword v127, off, s[0:3], 0 offset:200
	buffer_load_dword v121, off, s[0:3], 0 offset:192
	buffer_load_dword v128, off, s[0:3], 0 offset:204
	buffer_load_dword v126, off, s[0:3], 0 offset:212
	buffer_load_dword v124, off, s[0:3], 0 offset:220
	s_waitcnt vmcnt(34)
	v_fma_f64 v[111:112], v[129:130], v[113:114], v[111:112]
	s_waitcnt vmcnt(32) lgkmcnt(0)
	v_fma_f64 v[111:112], v[131:132], v[115:116], v[111:112]
	s_waitcnt vmcnt(27)
	v_fma_f64 v[129:130], v[133:134], v[117:118], v[111:112]
	;; [unrolled: 19-line block ×8, first 2 shown]
	ds_read2_b64 v[111:114], v110 offset0:91 offset1:92
	ds_read2_b64 v[115:118], v110 offset0:93 offset1:94
	s_waitcnt vmcnt(26) lgkmcnt(1)
	v_fma_f64 v[111:112], v[153:154], v[111:112], v[119:120]
	s_clause 0x5
	buffer_load_dword v120, off, s[0:3], 0 offset:420
	buffer_load_dword v137, off, s[0:3], 0 offset:424
	;; [unrolled: 1-line block ×6, first 2 shown]
	s_waitcnt vmcnt(31)
	v_fma_f64 v[111:112], v[145:146], v[113:114], v[111:112]
	s_waitcnt vmcnt(30) lgkmcnt(0)
	v_fma_f64 v[111:112], v[143:144], v[115:116], v[111:112]
	s_waitcnt vmcnt(25)
	v_fma_f64 v[121:122], v[121:122], v[117:118], v[111:112]
	ds_read2_b64 v[111:114], v110 offset0:95 offset1:96
	ds_read2_b64 v[115:118], v110 offset0:97 offset1:98
	s_waitcnt vmcnt(24) lgkmcnt(1)
	v_fma_f64 v[111:112], v[151:152], v[111:112], v[121:122]
	s_waitcnt vmcnt(23)
	v_fma_f64 v[111:112], v[149:150], v[113:114], v[111:112]
	s_waitcnt vmcnt(22) lgkmcnt(0)
	v_fma_f64 v[111:112], v[127:128], v[115:116], v[111:112]
	s_waitcnt vmcnt(17)
	v_fma_f64 v[121:122], v[123:124], v[117:118], v[111:112]
	ds_read2_b64 v[111:114], v110 offset0:99 offset1:100
	ds_read2_b64 v[115:118], v110 offset0:101 offset1:102
	s_waitcnt vmcnt(16) lgkmcnt(1)
	v_fma_f64 v[111:112], v[139:140], v[111:112], v[121:122]
	;; [unrolled: 10-line block ×3, first 2 shown]
	s_waitcnt vmcnt(7)
	v_fma_f64 v[111:112], v[135:136], v[113:114], v[111:112]
	ds_read_b64 v[113:114], v110 offset:856
	s_waitcnt vmcnt(6) lgkmcnt(1)
	v_fma_f64 v[111:112], v[133:134], v[115:116], v[111:112]
	s_waitcnt vmcnt(3)
	v_fma_f64 v[111:112], v[119:120], v[117:118], v[111:112]
	s_waitcnt vmcnt(2) lgkmcnt(0)
	v_fma_f64 v[111:112], v[137:138], v[113:114], v[111:112]
	s_waitcnt vmcnt(0)
	v_add_f64 v[111:112], v[141:142], -v[111:112]
	buffer_store_dword v112, off, s[0:3], 0 offset:36
	buffer_store_dword v111, off, s[0:3], 0 offset:32
	v_cmpx_lt_u32_e32 3, v0
	s_cbranch_execz .LBB117_327
; %bb.326:
	s_clause 0x1
	buffer_load_dword v111, off, s[0:3], 0 offset:24
	buffer_load_dword v112, off, s[0:3], 0 offset:28
	buffer_store_dword v110, off, s[0:3], 0 offset:24
	buffer_store_dword v110, off, s[0:3], 0 offset:28
	s_waitcnt vmcnt(0)
	ds_write_b64 v109, v[111:112]
.LBB117_327:
	s_or_b32 exec_lo, exec_lo, s4
	s_waitcnt lgkmcnt(0)
	s_waitcnt_vscnt null, 0x0
	s_barrier
	buffer_gl0_inv
	s_clause 0x1c
	buffer_load_dword v119, off, s[0:3], 0 offset:32
	buffer_load_dword v120, off, s[0:3], 0 offset:36
	;; [unrolled: 1-line block ×29, first 2 shown]
	ds_read_b128 v[111:114], v110 offset:464
	ds_read_b128 v[115:118], v110 offset:480
	buffer_load_dword v144, off, s[0:3], 0 offset:148
	s_mov_b32 s4, exec_lo
	s_waitcnt vmcnt(28) lgkmcnt(1)
	v_fma_f64 v[111:112], v[119:120], v[111:112], 0
	s_clause 0x7
	buffer_load_dword v120, off, s[0:3], 0 offset:156
	buffer_load_dword v149, off, s[0:3], 0 offset:176
	buffer_load_dword v151, off, s[0:3], 0 offset:168
	buffer_load_dword v153, off, s[0:3], 0 offset:160
	buffer_load_dword v119, off, s[0:3], 0 offset:152
	buffer_load_dword v154, off, s[0:3], 0 offset:164
	buffer_load_dword v152, off, s[0:3], 0 offset:172
	buffer_load_dword v150, off, s[0:3], 0 offset:180
	s_waitcnt vmcnt(34)
	v_fma_f64 v[111:112], v[121:122], v[113:114], v[111:112]
	s_waitcnt vmcnt(32) lgkmcnt(0)
	v_fma_f64 v[111:112], v[123:124], v[115:116], v[111:112]
	s_waitcnt vmcnt(30)
	v_fma_f64 v[121:122], v[125:126], v[117:118], v[111:112]
	ds_read_b128 v[111:114], v110 offset:496
	ds_read_b128 v[115:118], v110 offset:512
	s_waitcnt vmcnt(28) lgkmcnt(1)
	v_fma_f64 v[111:112], v[127:128], v[111:112], v[121:122]
	s_clause 0x7
	buffer_load_dword v122, off, s[0:3], 0 offset:188
	buffer_load_dword v123, off, s[0:3], 0 offset:208
	buffer_load_dword v125, off, s[0:3], 0 offset:200
	buffer_load_dword v127, off, s[0:3], 0 offset:192
	buffer_load_dword v121, off, s[0:3], 0 offset:184
	buffer_load_dword v128, off, s[0:3], 0 offset:196
	buffer_load_dword v126, off, s[0:3], 0 offset:204
	buffer_load_dword v124, off, s[0:3], 0 offset:212
	s_waitcnt vmcnt(34)
	v_fma_f64 v[111:112], v[129:130], v[113:114], v[111:112]
	s_waitcnt vmcnt(32) lgkmcnt(0)
	v_fma_f64 v[111:112], v[131:132], v[115:116], v[111:112]
	s_waitcnt vmcnt(27)
	v_fma_f64 v[129:130], v[133:134], v[117:118], v[111:112]
	ds_read_b128 v[111:114], v110 offset:528
	ds_read_b128 v[115:118], v110 offset:544
	s_waitcnt vmcnt(26) lgkmcnt(1)
	v_fma_f64 v[111:112], v[139:140], v[111:112], v[129:130]
	s_clause 0x7
	buffer_load_dword v130, off, s[0:3], 0 offset:220
	buffer_load_dword v131, off, s[0:3], 0 offset:240
	buffer_load_dword v133, off, s[0:3], 0 offset:232
	buffer_load_dword v139, off, s[0:3], 0 offset:224
	buffer_load_dword v129, off, s[0:3], 0 offset:216
	buffer_load_dword v140, off, s[0:3], 0 offset:228
	buffer_load_dword v134, off, s[0:3], 0 offset:236
	buffer_load_dword v132, off, s[0:3], 0 offset:244
	s_waitcnt vmcnt(33)
	v_fma_f64 v[111:112], v[137:138], v[113:114], v[111:112]
	s_waitcnt vmcnt(32) lgkmcnt(0)
	v_fma_f64 v[111:112], v[135:136], v[115:116], v[111:112]
	s_waitcnt vmcnt(27)
	v_fma_f64 v[135:136], v[141:142], v[117:118], v[111:112]
	ds_read_b128 v[111:114], v110 offset:560
	ds_read_b128 v[115:118], v110 offset:576
	s_waitcnt vmcnt(26) lgkmcnt(1)
	v_fma_f64 v[111:112], v[147:148], v[111:112], v[135:136]
	s_clause 0x7
	buffer_load_dword v136, off, s[0:3], 0 offset:252
	buffer_load_dword v137, off, s[0:3], 0 offset:272
	buffer_load_dword v141, off, s[0:3], 0 offset:264
	buffer_load_dword v147, off, s[0:3], 0 offset:256
	buffer_load_dword v135, off, s[0:3], 0 offset:248
	buffer_load_dword v148, off, s[0:3], 0 offset:260
	buffer_load_dword v142, off, s[0:3], 0 offset:268
	buffer_load_dword v138, off, s[0:3], 0 offset:276
	s_waitcnt vmcnt(33)
	v_fma_f64 v[111:112], v[145:146], v[113:114], v[111:112]
	s_waitcnt vmcnt(32) lgkmcnt(0)
	v_fma_f64 v[111:112], v[143:144], v[115:116], v[111:112]
	s_waitcnt vmcnt(27)
	v_fma_f64 v[119:120], v[119:120], v[117:118], v[111:112]
	ds_read_b128 v[111:114], v110 offset:592
	ds_read_b128 v[115:118], v110 offset:608
	s_waitcnt vmcnt(26) lgkmcnt(1)
	v_fma_f64 v[111:112], v[153:154], v[111:112], v[119:120]
	s_clause 0x7
	buffer_load_dword v120, off, s[0:3], 0 offset:284
	buffer_load_dword v143, off, s[0:3], 0 offset:304
	buffer_load_dword v145, off, s[0:3], 0 offset:296
	buffer_load_dword v153, off, s[0:3], 0 offset:288
	buffer_load_dword v119, off, s[0:3], 0 offset:280
	buffer_load_dword v154, off, s[0:3], 0 offset:292
	buffer_load_dword v146, off, s[0:3], 0 offset:300
	buffer_load_dword v144, off, s[0:3], 0 offset:308
	s_waitcnt vmcnt(33)
	v_fma_f64 v[111:112], v[151:152], v[113:114], v[111:112]
	s_waitcnt vmcnt(32) lgkmcnt(0)
	v_fma_f64 v[111:112], v[149:150], v[115:116], v[111:112]
	s_waitcnt vmcnt(27)
	v_fma_f64 v[121:122], v[121:122], v[117:118], v[111:112]
	ds_read_b128 v[111:114], v110 offset:624
	ds_read_b128 v[115:118], v110 offset:640
	s_waitcnt vmcnt(26) lgkmcnt(1)
	v_fma_f64 v[111:112], v[127:128], v[111:112], v[121:122]
	s_clause 0x7
	buffer_load_dword v122, off, s[0:3], 0 offset:316
	buffer_load_dword v127, off, s[0:3], 0 offset:336
	buffer_load_dword v149, off, s[0:3], 0 offset:328
	buffer_load_dword v151, off, s[0:3], 0 offset:320
	buffer_load_dword v121, off, s[0:3], 0 offset:312
	buffer_load_dword v152, off, s[0:3], 0 offset:324
	buffer_load_dword v150, off, s[0:3], 0 offset:332
	buffer_load_dword v128, off, s[0:3], 0 offset:340
	s_waitcnt vmcnt(33)
	v_fma_f64 v[111:112], v[125:126], v[113:114], v[111:112]
	s_waitcnt vmcnt(32) lgkmcnt(0)
	v_fma_f64 v[111:112], v[123:124], v[115:116], v[111:112]
	s_waitcnt vmcnt(27)
	v_fma_f64 v[123:124], v[129:130], v[117:118], v[111:112]
	ds_read_b128 v[111:114], v110 offset:656
	ds_read_b128 v[115:118], v110 offset:672
	s_waitcnt vmcnt(26) lgkmcnt(1)
	v_fma_f64 v[111:112], v[139:140], v[111:112], v[123:124]
	s_clause 0x7
	buffer_load_dword v124, off, s[0:3], 0 offset:348
	buffer_load_dword v125, off, s[0:3], 0 offset:368
	buffer_load_dword v129, off, s[0:3], 0 offset:360
	buffer_load_dword v139, off, s[0:3], 0 offset:352
	buffer_load_dword v123, off, s[0:3], 0 offset:344
	buffer_load_dword v140, off, s[0:3], 0 offset:356
	buffer_load_dword v130, off, s[0:3], 0 offset:364
	buffer_load_dword v126, off, s[0:3], 0 offset:372
	s_waitcnt vmcnt(33)
	v_fma_f64 v[111:112], v[133:134], v[113:114], v[111:112]
	s_waitcnt vmcnt(32) lgkmcnt(0)
	v_fma_f64 v[111:112], v[131:132], v[115:116], v[111:112]
	s_waitcnt vmcnt(27)
	v_fma_f64 v[131:132], v[135:136], v[117:118], v[111:112]
	ds_read_b128 v[111:114], v110 offset:688
	ds_read_b128 v[115:118], v110 offset:704
	s_waitcnt vmcnt(26) lgkmcnt(1)
	v_fma_f64 v[111:112], v[147:148], v[111:112], v[131:132]
	s_clause 0x7
	buffer_load_dword v132, off, s[0:3], 0 offset:380
	buffer_load_dword v133, off, s[0:3], 0 offset:400
	buffer_load_dword v135, off, s[0:3], 0 offset:392
	buffer_load_dword v147, off, s[0:3], 0 offset:384
	buffer_load_dword v131, off, s[0:3], 0 offset:376
	buffer_load_dword v148, off, s[0:3], 0 offset:388
	buffer_load_dword v136, off, s[0:3], 0 offset:396
	buffer_load_dword v134, off, s[0:3], 0 offset:404
	s_waitcnt vmcnt(33)
	v_fma_f64 v[111:112], v[141:142], v[113:114], v[111:112]
	s_waitcnt vmcnt(32) lgkmcnt(0)
	v_fma_f64 v[111:112], v[137:138], v[115:116], v[111:112]
	s_waitcnt vmcnt(27)
	v_fma_f64 v[119:120], v[119:120], v[117:118], v[111:112]
	ds_read_b128 v[111:114], v110 offset:720
	ds_read_b128 v[115:118], v110 offset:736
	s_waitcnt vmcnt(26) lgkmcnt(1)
	v_fma_f64 v[111:112], v[153:154], v[111:112], v[119:120]
	s_clause 0x5
	buffer_load_dword v120, off, s[0:3], 0 offset:412
	buffer_load_dword v137, off, s[0:3], 0 offset:424
	buffer_load_dword v141, off, s[0:3], 0 offset:416
	buffer_load_dword v119, off, s[0:3], 0 offset:408
	buffer_load_dword v142, off, s[0:3], 0 offset:420
	buffer_load_dword v138, off, s[0:3], 0 offset:428
	s_waitcnt vmcnt(31)
	v_fma_f64 v[111:112], v[145:146], v[113:114], v[111:112]
	s_waitcnt vmcnt(30) lgkmcnt(0)
	v_fma_f64 v[111:112], v[143:144], v[115:116], v[111:112]
	s_waitcnt vmcnt(25)
	v_fma_f64 v[121:122], v[121:122], v[117:118], v[111:112]
	ds_read_b128 v[111:114], v110 offset:752
	s_clause 0x1
	buffer_load_dword v143, off, s[0:3], 0 offset:24
	buffer_load_dword v144, off, s[0:3], 0 offset:28
	ds_read_b128 v[115:118], v110 offset:768
	s_waitcnt vmcnt(26) lgkmcnt(1)
	v_fma_f64 v[111:112], v[151:152], v[111:112], v[121:122]
	s_waitcnt vmcnt(25)
	v_fma_f64 v[111:112], v[149:150], v[113:114], v[111:112]
	s_waitcnt vmcnt(24) lgkmcnt(0)
	v_fma_f64 v[111:112], v[127:128], v[115:116], v[111:112]
	s_waitcnt vmcnt(19)
	v_fma_f64 v[121:122], v[123:124], v[117:118], v[111:112]
	ds_read_b128 v[111:114], v110 offset:784
	ds_read_b128 v[115:118], v110 offset:800
	s_waitcnt vmcnt(18) lgkmcnt(1)
	v_fma_f64 v[111:112], v[139:140], v[111:112], v[121:122]
	s_waitcnt vmcnt(17)
	v_fma_f64 v[111:112], v[129:130], v[113:114], v[111:112]
	s_waitcnt vmcnt(16) lgkmcnt(0)
	v_fma_f64 v[111:112], v[125:126], v[115:116], v[111:112]
	s_waitcnt vmcnt(11)
	v_fma_f64 v[121:122], v[131:132], v[117:118], v[111:112]
	ds_read_b128 v[111:114], v110 offset:816
	;; [unrolled: 10-line block ×3, first 2 shown]
	s_waitcnt vmcnt(3) lgkmcnt(0)
	v_fma_f64 v[110:111], v[141:142], v[110:111], v[114:115]
	s_waitcnt vmcnt(2)
	v_fma_f64 v[110:111], v[137:138], v[112:113], v[110:111]
	s_waitcnt vmcnt(0)
	v_add_f64 v[110:111], v[143:144], -v[110:111]
	buffer_store_dword v111, off, s[0:3], 0 offset:28
	buffer_store_dword v110, off, s[0:3], 0 offset:24
	v_cmpx_lt_u32_e32 2, v0
	s_cbranch_execz .LBB117_329
; %bb.328:
	s_clause 0x1
	buffer_load_dword v110, off, s[0:3], 0 offset:16
	buffer_load_dword v111, off, s[0:3], 0 offset:20
	v_mov_b32_e32 v112, 0
	buffer_store_dword v112, off, s[0:3], 0 offset:16
	buffer_store_dword v112, off, s[0:3], 0 offset:20
	s_waitcnt vmcnt(0)
	ds_write_b64 v109, v[110:111]
.LBB117_329:
	s_or_b32 exec_lo, exec_lo, s4
	s_waitcnt lgkmcnt(0)
	s_waitcnt_vscnt null, 0x0
	s_barrier
	buffer_gl0_inv
	s_clause 0x1c
	buffer_load_dword v119, off, s[0:3], 0 offset:24
	buffer_load_dword v120, off, s[0:3], 0 offset:28
	;; [unrolled: 1-line block ×29, first 2 shown]
	v_mov_b32_e32 v110, 0
	buffer_load_dword v144, off, s[0:3], 0 offset:140
	s_mov_b32 s4, exec_lo
	ds_read2_b64 v[111:114], v110 offset0:57 offset1:58
	ds_read2_b64 v[115:118], v110 offset0:59 offset1:60
	s_waitcnt vmcnt(28) lgkmcnt(1)
	v_fma_f64 v[111:112], v[119:120], v[111:112], 0
	s_clause 0x7
	buffer_load_dword v120, off, s[0:3], 0 offset:148
	buffer_load_dword v149, off, s[0:3], 0 offset:168
	buffer_load_dword v151, off, s[0:3], 0 offset:160
	buffer_load_dword v153, off, s[0:3], 0 offset:152
	buffer_load_dword v119, off, s[0:3], 0 offset:144
	buffer_load_dword v154, off, s[0:3], 0 offset:156
	buffer_load_dword v152, off, s[0:3], 0 offset:164
	buffer_load_dword v150, off, s[0:3], 0 offset:172
	s_waitcnt vmcnt(34)
	v_fma_f64 v[111:112], v[121:122], v[113:114], v[111:112]
	s_waitcnt vmcnt(32) lgkmcnt(0)
	v_fma_f64 v[111:112], v[123:124], v[115:116], v[111:112]
	s_waitcnt vmcnt(30)
	v_fma_f64 v[121:122], v[125:126], v[117:118], v[111:112]
	ds_read2_b64 v[111:114], v110 offset0:61 offset1:62
	ds_read2_b64 v[115:118], v110 offset0:63 offset1:64
	s_waitcnt vmcnt(28) lgkmcnt(1)
	v_fma_f64 v[111:112], v[127:128], v[111:112], v[121:122]
	s_clause 0x7
	buffer_load_dword v122, off, s[0:3], 0 offset:180
	buffer_load_dword v123, off, s[0:3], 0 offset:200
	buffer_load_dword v125, off, s[0:3], 0 offset:192
	buffer_load_dword v127, off, s[0:3], 0 offset:184
	buffer_load_dword v121, off, s[0:3], 0 offset:176
	buffer_load_dword v128, off, s[0:3], 0 offset:188
	buffer_load_dword v126, off, s[0:3], 0 offset:196
	buffer_load_dword v124, off, s[0:3], 0 offset:204
	s_waitcnt vmcnt(34)
	v_fma_f64 v[111:112], v[129:130], v[113:114], v[111:112]
	s_waitcnt vmcnt(32) lgkmcnt(0)
	v_fma_f64 v[111:112], v[131:132], v[115:116], v[111:112]
	s_waitcnt vmcnt(27)
	v_fma_f64 v[129:130], v[133:134], v[117:118], v[111:112]
	;; [unrolled: 19-line block ×9, first 2 shown]
	ds_read2_b64 v[111:114], v110 offset0:93 offset1:94
	ds_read2_b64 v[115:118], v110 offset0:95 offset1:96
	s_waitcnt vmcnt(26) lgkmcnt(1)
	v_fma_f64 v[111:112], v[151:152], v[111:112], v[121:122]
	s_clause 0x1
	buffer_load_dword v121, off, s[0:3], 0 offset:16
	buffer_load_dword v122, off, s[0:3], 0 offset:20
	s_waitcnt vmcnt(27)
	v_fma_f64 v[111:112], v[149:150], v[113:114], v[111:112]
	s_waitcnt vmcnt(26) lgkmcnt(0)
	v_fma_f64 v[111:112], v[127:128], v[115:116], v[111:112]
	s_waitcnt vmcnt(21)
	v_fma_f64 v[123:124], v[123:124], v[117:118], v[111:112]
	ds_read2_b64 v[111:114], v110 offset0:97 offset1:98
	ds_read2_b64 v[115:118], v110 offset0:99 offset1:100
	s_waitcnt vmcnt(20) lgkmcnt(1)
	v_fma_f64 v[111:112], v[139:140], v[111:112], v[123:124]
	s_waitcnt vmcnt(19)
	v_fma_f64 v[111:112], v[129:130], v[113:114], v[111:112]
	s_waitcnt vmcnt(18) lgkmcnt(0)
	v_fma_f64 v[111:112], v[125:126], v[115:116], v[111:112]
	s_waitcnt vmcnt(13)
	v_fma_f64 v[123:124], v[131:132], v[117:118], v[111:112]
	ds_read2_b64 v[111:114], v110 offset0:101 offset1:102
	ds_read2_b64 v[115:118], v110 offset0:103 offset1:104
	s_waitcnt vmcnt(12) lgkmcnt(1)
	v_fma_f64 v[111:112], v[147:148], v[111:112], v[123:124]
	s_waitcnt vmcnt(11)
	v_fma_f64 v[111:112], v[135:136], v[113:114], v[111:112]
	s_waitcnt vmcnt(10) lgkmcnt(0)
	v_fma_f64 v[111:112], v[133:134], v[115:116], v[111:112]
	s_waitcnt vmcnt(5)
	v_fma_f64 v[115:116], v[119:120], v[117:118], v[111:112]
	ds_read2_b64 v[111:114], v110 offset0:105 offset1:106
	ds_read_b64 v[117:118], v110 offset:856
	s_waitcnt vmcnt(4) lgkmcnt(1)
	v_fma_f64 v[111:112], v[153:154], v[111:112], v[115:116]
	s_waitcnt vmcnt(3)
	v_fma_f64 v[111:112], v[141:142], v[113:114], v[111:112]
	s_waitcnt vmcnt(2) lgkmcnt(0)
	v_fma_f64 v[111:112], v[137:138], v[117:118], v[111:112]
	s_waitcnt vmcnt(0)
	v_add_f64 v[111:112], v[121:122], -v[111:112]
	buffer_store_dword v112, off, s[0:3], 0 offset:20
	buffer_store_dword v111, off, s[0:3], 0 offset:16
	v_cmpx_lt_u32_e32 1, v0
	s_cbranch_execz .LBB117_331
; %bb.330:
	s_clause 0x1
	buffer_load_dword v111, off, s[0:3], 0 offset:8
	buffer_load_dword v112, off, s[0:3], 0 offset:12
	buffer_store_dword v110, off, s[0:3], 0 offset:8
	buffer_store_dword v110, off, s[0:3], 0 offset:12
	s_waitcnt vmcnt(0)
	ds_write_b64 v109, v[111:112]
.LBB117_331:
	s_or_b32 exec_lo, exec_lo, s4
	s_waitcnt lgkmcnt(0)
	s_waitcnt_vscnt null, 0x0
	s_barrier
	buffer_gl0_inv
	s_clause 0x1c
	buffer_load_dword v119, off, s[0:3], 0 offset:16
	buffer_load_dword v120, off, s[0:3], 0 offset:20
	;; [unrolled: 1-line block ×29, first 2 shown]
	ds_read_b128 v[111:114], v110 offset:448
	ds_read_b128 v[115:118], v110 offset:464
	buffer_load_dword v144, off, s[0:3], 0 offset:132
	s_mov_b32 s4, exec_lo
	s_waitcnt vmcnt(28) lgkmcnt(1)
	v_fma_f64 v[111:112], v[119:120], v[111:112], 0
	s_clause 0x7
	buffer_load_dword v120, off, s[0:3], 0 offset:140
	buffer_load_dword v149, off, s[0:3], 0 offset:160
	buffer_load_dword v151, off, s[0:3], 0 offset:152
	buffer_load_dword v153, off, s[0:3], 0 offset:144
	buffer_load_dword v119, off, s[0:3], 0 offset:136
	buffer_load_dword v154, off, s[0:3], 0 offset:148
	buffer_load_dword v152, off, s[0:3], 0 offset:156
	buffer_load_dword v150, off, s[0:3], 0 offset:164
	s_waitcnt vmcnt(34)
	v_fma_f64 v[111:112], v[121:122], v[113:114], v[111:112]
	s_waitcnt vmcnt(32) lgkmcnt(0)
	v_fma_f64 v[111:112], v[123:124], v[115:116], v[111:112]
	s_waitcnt vmcnt(30)
	v_fma_f64 v[121:122], v[125:126], v[117:118], v[111:112]
	ds_read_b128 v[111:114], v110 offset:480
	ds_read_b128 v[115:118], v110 offset:496
	s_waitcnt vmcnt(28) lgkmcnt(1)
	v_fma_f64 v[111:112], v[127:128], v[111:112], v[121:122]
	s_clause 0x7
	buffer_load_dword v122, off, s[0:3], 0 offset:172
	buffer_load_dword v123, off, s[0:3], 0 offset:192
	buffer_load_dword v125, off, s[0:3], 0 offset:184
	buffer_load_dword v127, off, s[0:3], 0 offset:176
	buffer_load_dword v121, off, s[0:3], 0 offset:168
	buffer_load_dword v128, off, s[0:3], 0 offset:180
	buffer_load_dword v126, off, s[0:3], 0 offset:188
	buffer_load_dword v124, off, s[0:3], 0 offset:196
	s_waitcnt vmcnt(34)
	v_fma_f64 v[111:112], v[129:130], v[113:114], v[111:112]
	s_waitcnt vmcnt(32) lgkmcnt(0)
	v_fma_f64 v[111:112], v[131:132], v[115:116], v[111:112]
	s_waitcnt vmcnt(27)
	v_fma_f64 v[129:130], v[133:134], v[117:118], v[111:112]
	ds_read_b128 v[111:114], v110 offset:512
	ds_read_b128 v[115:118], v110 offset:528
	;; [unrolled: 19-line block ×9, first 2 shown]
	s_waitcnt vmcnt(26) lgkmcnt(1)
	v_fma_f64 v[111:112], v[151:152], v[111:112], v[121:122]
	s_clause 0x3
	buffer_load_dword v122, off, s[0:3], 0 offset:428
	buffer_load_dword v121, off, s[0:3], 0 offset:424
	;; [unrolled: 1-line block ×4, first 2 shown]
	s_waitcnt vmcnt(29)
	v_fma_f64 v[111:112], v[149:150], v[113:114], v[111:112]
	s_waitcnt vmcnt(28) lgkmcnt(0)
	v_fma_f64 v[111:112], v[127:128], v[115:116], v[111:112]
	s_waitcnt vmcnt(23)
	v_fma_f64 v[123:124], v[123:124], v[117:118], v[111:112]
	ds_read_b128 v[111:114], v110 offset:768
	ds_read_b128 v[115:118], v110 offset:784
	s_waitcnt vmcnt(22) lgkmcnt(1)
	v_fma_f64 v[111:112], v[139:140], v[111:112], v[123:124]
	s_waitcnt vmcnt(21)
	v_fma_f64 v[111:112], v[129:130], v[113:114], v[111:112]
	s_waitcnt vmcnt(20) lgkmcnt(0)
	v_fma_f64 v[111:112], v[125:126], v[115:116], v[111:112]
	s_waitcnt vmcnt(15)
	v_fma_f64 v[123:124], v[131:132], v[117:118], v[111:112]
	ds_read_b128 v[111:114], v110 offset:800
	ds_read_b128 v[115:118], v110 offset:816
	s_waitcnt vmcnt(14) lgkmcnt(1)
	v_fma_f64 v[111:112], v[147:148], v[111:112], v[123:124]
	;; [unrolled: 10-line block ×3, first 2 shown]
	s_waitcnt vmcnt(5)
	v_fma_f64 v[110:111], v[141:142], v[113:114], v[110:111]
	s_waitcnt vmcnt(4) lgkmcnt(0)
	v_fma_f64 v[110:111], v[137:138], v[115:116], v[110:111]
	s_waitcnt vmcnt(2)
	v_fma_f64 v[110:111], v[121:122], v[117:118], v[110:111]
	s_waitcnt vmcnt(0)
	v_add_f64 v[110:111], v[143:144], -v[110:111]
	buffer_store_dword v111, off, s[0:3], 0 offset:12
	buffer_store_dword v110, off, s[0:3], 0 offset:8
	v_cmpx_ne_u32_e32 0, v0
	s_cbranch_execz .LBB117_333
; %bb.332:
	s_clause 0x1
	buffer_load_dword v110, off, s[0:3], 0
	buffer_load_dword v111, off, s[0:3], 0 offset:4
	v_mov_b32_e32 v0, 0
	buffer_store_dword v0, off, s[0:3], 0
	buffer_store_dword v0, off, s[0:3], 0 offset:4
	s_waitcnt vmcnt(0)
	ds_write_b64 v109, v[110:111]
.LBB117_333:
	s_or_b32 exec_lo, exec_lo, s4
	s_waitcnt lgkmcnt(0)
	s_waitcnt_vscnt null, 0x0
	s_barrier
	buffer_gl0_inv
	s_clause 0x1c
	buffer_load_dword v117, off, s[0:3], 0 offset:8
	buffer_load_dword v118, off, s[0:3], 0 offset:12
	;; [unrolled: 1-line block ×29, first 2 shown]
	v_mov_b32_e32 v0, 0
	buffer_load_dword v142, off, s[0:3], 0 offset:124
	s_and_b32 vcc_lo, exec_lo, s16
	ds_read2_b64 v[109:112], v0 offset0:55 offset1:56
	ds_read2_b64 v[113:116], v0 offset0:57 offset1:58
	s_waitcnt vmcnt(28) lgkmcnt(1)
	v_fma_f64 v[109:110], v[117:118], v[109:110], 0
	s_clause 0x7
	buffer_load_dword v118, off, s[0:3], 0 offset:132
	buffer_load_dword v147, off, s[0:3], 0 offset:152
	buffer_load_dword v149, off, s[0:3], 0 offset:144
	buffer_load_dword v151, off, s[0:3], 0 offset:136
	buffer_load_dword v117, off, s[0:3], 0 offset:128
	buffer_load_dword v152, off, s[0:3], 0 offset:140
	buffer_load_dword v150, off, s[0:3], 0 offset:148
	buffer_load_dword v148, off, s[0:3], 0 offset:156
	s_waitcnt vmcnt(34)
	v_fma_f64 v[109:110], v[119:120], v[111:112], v[109:110]
	s_waitcnt vmcnt(32) lgkmcnt(0)
	v_fma_f64 v[109:110], v[121:122], v[113:114], v[109:110]
	s_waitcnt vmcnt(30)
	v_fma_f64 v[119:120], v[123:124], v[115:116], v[109:110]
	ds_read2_b64 v[109:112], v0 offset0:59 offset1:60
	ds_read2_b64 v[113:116], v0 offset0:61 offset1:62
	s_waitcnt vmcnt(28) lgkmcnt(1)
	v_fma_f64 v[109:110], v[125:126], v[109:110], v[119:120]
	s_clause 0x7
	buffer_load_dword v120, off, s[0:3], 0 offset:164
	buffer_load_dword v121, off, s[0:3], 0 offset:184
	buffer_load_dword v123, off, s[0:3], 0 offset:176
	buffer_load_dword v125, off, s[0:3], 0 offset:168
	buffer_load_dword v119, off, s[0:3], 0 offset:160
	buffer_load_dword v126, off, s[0:3], 0 offset:172
	buffer_load_dword v124, off, s[0:3], 0 offset:180
	buffer_load_dword v122, off, s[0:3], 0 offset:188
	s_waitcnt vmcnt(34)
	v_fma_f64 v[109:110], v[127:128], v[111:112], v[109:110]
	s_waitcnt vmcnt(32) lgkmcnt(0)
	v_fma_f64 v[109:110], v[129:130], v[113:114], v[109:110]
	s_waitcnt vmcnt(27)
	v_fma_f64 v[127:128], v[131:132], v[115:116], v[109:110]
	;; [unrolled: 19-line block ×9, first 2 shown]
	ds_read2_b64 v[109:112], v0 offset0:91 offset1:92
	ds_read2_b64 v[113:116], v0 offset0:93 offset1:94
	s_waitcnt vmcnt(26) lgkmcnt(1)
	v_fma_f64 v[117:118], v[149:150], v[109:110], v[117:118]
	s_clause 0x3
	buffer_load_dword v110, off, s[0:3], 0 offset:420
	buffer_load_dword v119, off, s[0:3], 0 offset:424
	;; [unrolled: 1-line block ×4, first 2 shown]
	s_waitcnt vmcnt(29)
	v_fma_f64 v[111:112], v[147:148], v[111:112], v[117:118]
	s_waitcnt vmcnt(28) lgkmcnt(0)
	v_fma_f64 v[111:112], v[125:126], v[113:114], v[111:112]
	s_clause 0x1
	buffer_load_dword v125, off, s[0:3], 0
	buffer_load_dword v126, off, s[0:3], 0 offset:4
	s_waitcnt vmcnt(25)
	v_fma_f64 v[121:122], v[121:122], v[115:116], v[111:112]
	ds_read2_b64 v[111:114], v0 offset0:95 offset1:96
	ds_read2_b64 v[115:118], v0 offset0:97 offset1:98
	s_waitcnt vmcnt(24) lgkmcnt(1)
	v_fma_f64 v[111:112], v[137:138], v[111:112], v[121:122]
	s_waitcnt vmcnt(23)
	v_fma_f64 v[111:112], v[127:128], v[113:114], v[111:112]
	s_waitcnt vmcnt(22) lgkmcnt(0)
	v_fma_f64 v[111:112], v[123:124], v[115:116], v[111:112]
	s_waitcnt vmcnt(17)
	v_fma_f64 v[121:122], v[129:130], v[117:118], v[111:112]
	ds_read2_b64 v[111:114], v0 offset0:99 offset1:100
	ds_read2_b64 v[115:118], v0 offset0:101 offset1:102
	s_waitcnt vmcnt(16) lgkmcnt(1)
	v_fma_f64 v[111:112], v[145:146], v[111:112], v[121:122]
	s_waitcnt vmcnt(15)
	v_fma_f64 v[111:112], v[133:134], v[113:114], v[111:112]
	s_waitcnt vmcnt(14) lgkmcnt(0)
	v_fma_f64 v[111:112], v[131:132], v[115:116], v[111:112]
	s_waitcnt vmcnt(9)
	v_fma_f64 v[121:122], v[135:136], v[117:118], v[111:112]
	ds_read2_b64 v[111:114], v0 offset0:103 offset1:104
	ds_read2_b64 v[115:118], v0 offset0:105 offset1:106
	s_waitcnt vmcnt(8) lgkmcnt(1)
	v_fma_f64 v[111:112], v[153:154], v[111:112], v[121:122]
	s_waitcnt vmcnt(7)
	v_fma_f64 v[111:112], v[151:152], v[113:114], v[111:112]
	ds_read_b64 v[113:114], v0 offset:856
	s_waitcnt vmcnt(6) lgkmcnt(1)
	v_fma_f64 v[111:112], v[139:140], v[115:116], v[111:112]
	s_waitcnt vmcnt(3)
	v_fma_f64 v[111:112], v[109:110], v[117:118], v[111:112]
	s_waitcnt vmcnt(2) lgkmcnt(0)
	v_fma_f64 v[111:112], v[119:120], v[113:114], v[111:112]
	s_waitcnt vmcnt(0)
	v_add_f64 v[111:112], v[125:126], -v[111:112]
	buffer_store_dword v112, off, s[0:3], 0 offset:4
	buffer_store_dword v111, off, s[0:3], 0
	s_cbranch_vccz .LBB117_440
; %bb.334:
	global_load_dword v0, v0, s[12:13] offset:208
	s_waitcnt vmcnt(0)
	v_add_nc_u32_e32 v0, -1, v0
	v_cmp_ne_u32_e32 vcc_lo, 52, v0
	s_cbranch_vccz .LBB117_336
; %bb.335:
	v_lshlrev_b32_e32 v0, 3, v0
	s_clause 0x1
	buffer_load_dword v111, v0, s[0:3], 0 offen offset:4
	buffer_load_dword v112, v0, s[0:3], 0 offen
	s_waitcnt vmcnt(1)
	buffer_store_dword v111, off, s[0:3], 0 offset:420
	s_waitcnt vmcnt(0)
	buffer_store_dword v112, off, s[0:3], 0 offset:416
	buffer_store_dword v110, v0, s[0:3], 0 offen offset:4
	buffer_store_dword v109, v0, s[0:3], 0 offen
.LBB117_336:
	v_mov_b32_e32 v0, 0
	global_load_dword v109, v0, s[12:13] offset:204
	s_waitcnt vmcnt(0)
	v_add_nc_u32_e32 v109, -1, v109
	v_cmp_eq_u32_e32 vcc_lo, 51, v109
	s_cbranch_vccnz .LBB117_338
; %bb.337:
	v_lshlrev_b32_e32 v109, 3, v109
	s_clause 0x3
	buffer_load_dword v110, v109, s[0:3], 0 offen
	buffer_load_dword v111, v109, s[0:3], 0 offen offset:4
	buffer_load_dword v112, off, s[0:3], 0 offset:408
	buffer_load_dword v113, off, s[0:3], 0 offset:412
	s_waitcnt vmcnt(3)
	buffer_store_dword v110, off, s[0:3], 0 offset:408
	s_waitcnt vmcnt(2)
	buffer_store_dword v111, off, s[0:3], 0 offset:412
	s_waitcnt vmcnt(1)
	buffer_store_dword v112, v109, s[0:3], 0 offen
	s_waitcnt vmcnt(0)
	buffer_store_dword v113, v109, s[0:3], 0 offen offset:4
.LBB117_338:
	global_load_dword v0, v0, s[12:13] offset:200
	s_waitcnt vmcnt(0)
	v_add_nc_u32_e32 v0, -1, v0
	v_cmp_eq_u32_e32 vcc_lo, 50, v0
	s_cbranch_vccnz .LBB117_340
; %bb.339:
	v_lshlrev_b32_e32 v0, 3, v0
	s_clause 0x3
	buffer_load_dword v109, v0, s[0:3], 0 offen
	buffer_load_dword v110, v0, s[0:3], 0 offen offset:4
	buffer_load_dword v111, off, s[0:3], 0 offset:404
	buffer_load_dword v112, off, s[0:3], 0 offset:400
	s_waitcnt vmcnt(3)
	buffer_store_dword v109, off, s[0:3], 0 offset:400
	s_waitcnt vmcnt(2)
	buffer_store_dword v110, off, s[0:3], 0 offset:404
	s_waitcnt vmcnt(1)
	buffer_store_dword v111, v0, s[0:3], 0 offen offset:4
	s_waitcnt vmcnt(0)
	buffer_store_dword v112, v0, s[0:3], 0 offen
.LBB117_340:
	v_mov_b32_e32 v0, 0
	global_load_dword v109, v0, s[12:13] offset:196
	s_waitcnt vmcnt(0)
	v_add_nc_u32_e32 v109, -1, v109
	v_cmp_eq_u32_e32 vcc_lo, 49, v109
	s_cbranch_vccnz .LBB117_342
; %bb.341:
	v_lshlrev_b32_e32 v109, 3, v109
	s_clause 0x3
	buffer_load_dword v110, v109, s[0:3], 0 offen
	buffer_load_dword v111, v109, s[0:3], 0 offen offset:4
	buffer_load_dword v112, off, s[0:3], 0 offset:392
	buffer_load_dword v113, off, s[0:3], 0 offset:396
	s_waitcnt vmcnt(3)
	buffer_store_dword v110, off, s[0:3], 0 offset:392
	s_waitcnt vmcnt(2)
	buffer_store_dword v111, off, s[0:3], 0 offset:396
	s_waitcnt vmcnt(1)
	buffer_store_dword v112, v109, s[0:3], 0 offen
	s_waitcnt vmcnt(0)
	buffer_store_dword v113, v109, s[0:3], 0 offen offset:4
.LBB117_342:
	global_load_dword v0, v0, s[12:13] offset:192
	s_waitcnt vmcnt(0)
	v_add_nc_u32_e32 v0, -1, v0
	v_cmp_eq_u32_e32 vcc_lo, 48, v0
	s_cbranch_vccnz .LBB117_344
; %bb.343:
	v_lshlrev_b32_e32 v0, 3, v0
	s_clause 0x3
	buffer_load_dword v109, v0, s[0:3], 0 offen
	buffer_load_dword v110, v0, s[0:3], 0 offen offset:4
	buffer_load_dword v111, off, s[0:3], 0 offset:388
	buffer_load_dword v112, off, s[0:3], 0 offset:384
	s_waitcnt vmcnt(3)
	buffer_store_dword v109, off, s[0:3], 0 offset:384
	s_waitcnt vmcnt(2)
	buffer_store_dword v110, off, s[0:3], 0 offset:388
	s_waitcnt vmcnt(1)
	buffer_store_dword v111, v0, s[0:3], 0 offen offset:4
	s_waitcnt vmcnt(0)
	buffer_store_dword v112, v0, s[0:3], 0 offen
.LBB117_344:
	;; [unrolled: 43-line block ×25, first 2 shown]
	v_mov_b32_e32 v0, 0
	global_load_dword v109, v0, s[12:13] offset:4
	s_waitcnt vmcnt(0)
	v_add_nc_u32_e32 v109, -1, v109
	v_cmp_eq_u32_e32 vcc_lo, 1, v109
	s_cbranch_vccnz .LBB117_438
; %bb.437:
	v_lshlrev_b32_e32 v109, 3, v109
	s_clause 0x3
	buffer_load_dword v110, v109, s[0:3], 0 offen
	buffer_load_dword v111, v109, s[0:3], 0 offen offset:4
	buffer_load_dword v112, off, s[0:3], 0 offset:8
	buffer_load_dword v113, off, s[0:3], 0 offset:12
	s_waitcnt vmcnt(3)
	buffer_store_dword v110, off, s[0:3], 0 offset:8
	s_waitcnt vmcnt(2)
	buffer_store_dword v111, off, s[0:3], 0 offset:12
	s_waitcnt vmcnt(1)
	buffer_store_dword v112, v109, s[0:3], 0 offen
	s_waitcnt vmcnt(0)
	buffer_store_dword v113, v109, s[0:3], 0 offen offset:4
.LBB117_438:
	global_load_dword v0, v0, s[12:13]
	s_clause 0x1
	buffer_load_dword v111, off, s[0:3], 0
	buffer_load_dword v112, off, s[0:3], 0 offset:4
	s_waitcnt vmcnt(2)
	v_add_nc_u32_e32 v0, -1, v0
	v_cmp_eq_u32_e32 vcc_lo, 0, v0
	s_cbranch_vccnz .LBB117_440
; %bb.439:
	v_lshlrev_b32_e32 v0, 3, v0
	s_clause 0x1
	buffer_load_dword v109, v0, s[0:3], 0 offen offset:4
	buffer_load_dword v110, v0, s[0:3], 0 offen
	s_waitcnt vmcnt(1)
	buffer_store_dword v109, off, s[0:3], 0 offset:4
	s_waitcnt vmcnt(0)
	buffer_store_dword v110, off, s[0:3], 0
	buffer_store_dword v112, v0, s[0:3], 0 offen offset:4
	buffer_store_dword v111, v0, s[0:3], 0 offen
	s_clause 0x1
	buffer_load_dword v111, off, s[0:3], 0
	buffer_load_dword v112, off, s[0:3], 0 offset:4
.LBB117_440:
	s_waitcnt vmcnt(0)
	flat_store_dwordx2 v[1:2], v[111:112]
	s_clause 0x1
	buffer_load_dword v0, off, s[0:3], 0 offset:8
	buffer_load_dword v1, off, s[0:3], 0 offset:12
	s_waitcnt vmcnt(0)
	flat_store_dwordx2 v[3:4], v[0:1]
	s_clause 0x1
	buffer_load_dword v0, off, s[0:3], 0 offset:16
	buffer_load_dword v1, off, s[0:3], 0 offset:20
	;; [unrolled: 5-line block ×53, first 2 shown]
	s_waitcnt vmcnt(0)
	flat_store_dwordx2 v[107:108], v[0:1]
	s_endpgm
	.section	.rodata,"a",@progbits
	.p2align	6, 0x0
	.amdhsa_kernel _ZN9rocsolver6v33100L18getri_kernel_smallILi54EdPKPdEEvT1_iilPiilS6_bb
		.amdhsa_group_segment_fixed_size 872
		.amdhsa_private_segment_fixed_size 448
		.amdhsa_kernarg_size 60
		.amdhsa_user_sgpr_count 6
		.amdhsa_user_sgpr_private_segment_buffer 1
		.amdhsa_user_sgpr_dispatch_ptr 0
		.amdhsa_user_sgpr_queue_ptr 0
		.amdhsa_user_sgpr_kernarg_segment_ptr 1
		.amdhsa_user_sgpr_dispatch_id 0
		.amdhsa_user_sgpr_flat_scratch_init 0
		.amdhsa_user_sgpr_private_segment_size 0
		.amdhsa_wavefront_size32 1
		.amdhsa_uses_dynamic_stack 0
		.amdhsa_system_sgpr_private_segment_wavefront_offset 1
		.amdhsa_system_sgpr_workgroup_id_x 1
		.amdhsa_system_sgpr_workgroup_id_y 0
		.amdhsa_system_sgpr_workgroup_id_z 0
		.amdhsa_system_sgpr_workgroup_info 0
		.amdhsa_system_vgpr_workitem_id 0
		.amdhsa_next_free_vgpr 155
		.amdhsa_next_free_sgpr 20
		.amdhsa_reserve_vcc 1
		.amdhsa_reserve_flat_scratch 0
		.amdhsa_float_round_mode_32 0
		.amdhsa_float_round_mode_16_64 0
		.amdhsa_float_denorm_mode_32 3
		.amdhsa_float_denorm_mode_16_64 3
		.amdhsa_dx10_clamp 1
		.amdhsa_ieee_mode 1
		.amdhsa_fp16_overflow 0
		.amdhsa_workgroup_processor_mode 1
		.amdhsa_memory_ordered 1
		.amdhsa_forward_progress 1
		.amdhsa_shared_vgpr_count 0
		.amdhsa_exception_fp_ieee_invalid_op 0
		.amdhsa_exception_fp_denorm_src 0
		.amdhsa_exception_fp_ieee_div_zero 0
		.amdhsa_exception_fp_ieee_overflow 0
		.amdhsa_exception_fp_ieee_underflow 0
		.amdhsa_exception_fp_ieee_inexact 0
		.amdhsa_exception_int_div_zero 0
	.end_amdhsa_kernel
	.section	.text._ZN9rocsolver6v33100L18getri_kernel_smallILi54EdPKPdEEvT1_iilPiilS6_bb,"axG",@progbits,_ZN9rocsolver6v33100L18getri_kernel_smallILi54EdPKPdEEvT1_iilPiilS6_bb,comdat
.Lfunc_end117:
	.size	_ZN9rocsolver6v33100L18getri_kernel_smallILi54EdPKPdEEvT1_iilPiilS6_bb, .Lfunc_end117-_ZN9rocsolver6v33100L18getri_kernel_smallILi54EdPKPdEEvT1_iilPiilS6_bb
                                        ; -- End function
	.set _ZN9rocsolver6v33100L18getri_kernel_smallILi54EdPKPdEEvT1_iilPiilS6_bb.num_vgpr, 155
	.set _ZN9rocsolver6v33100L18getri_kernel_smallILi54EdPKPdEEvT1_iilPiilS6_bb.num_agpr, 0
	.set _ZN9rocsolver6v33100L18getri_kernel_smallILi54EdPKPdEEvT1_iilPiilS6_bb.numbered_sgpr, 20
	.set _ZN9rocsolver6v33100L18getri_kernel_smallILi54EdPKPdEEvT1_iilPiilS6_bb.num_named_barrier, 0
	.set _ZN9rocsolver6v33100L18getri_kernel_smallILi54EdPKPdEEvT1_iilPiilS6_bb.private_seg_size, 448
	.set _ZN9rocsolver6v33100L18getri_kernel_smallILi54EdPKPdEEvT1_iilPiilS6_bb.uses_vcc, 1
	.set _ZN9rocsolver6v33100L18getri_kernel_smallILi54EdPKPdEEvT1_iilPiilS6_bb.uses_flat_scratch, 0
	.set _ZN9rocsolver6v33100L18getri_kernel_smallILi54EdPKPdEEvT1_iilPiilS6_bb.has_dyn_sized_stack, 0
	.set _ZN9rocsolver6v33100L18getri_kernel_smallILi54EdPKPdEEvT1_iilPiilS6_bb.has_recursion, 0
	.set _ZN9rocsolver6v33100L18getri_kernel_smallILi54EdPKPdEEvT1_iilPiilS6_bb.has_indirect_call, 0
	.section	.AMDGPU.csdata,"",@progbits
; Kernel info:
; codeLenInByte = 77284
; TotalNumSgprs: 22
; NumVgprs: 155
; ScratchSize: 448
; MemoryBound: 1
; FloatMode: 240
; IeeeMode: 1
; LDSByteSize: 872 bytes/workgroup (compile time only)
; SGPRBlocks: 0
; VGPRBlocks: 19
; NumSGPRsForWavesPerEU: 22
; NumVGPRsForWavesPerEU: 155
; Occupancy: 6
; WaveLimiterHint : 1
; COMPUTE_PGM_RSRC2:SCRATCH_EN: 1
; COMPUTE_PGM_RSRC2:USER_SGPR: 6
; COMPUTE_PGM_RSRC2:TRAP_HANDLER: 0
; COMPUTE_PGM_RSRC2:TGID_X_EN: 1
; COMPUTE_PGM_RSRC2:TGID_Y_EN: 0
; COMPUTE_PGM_RSRC2:TGID_Z_EN: 0
; COMPUTE_PGM_RSRC2:TIDIG_COMP_CNT: 0
	.section	.text._ZN9rocsolver6v33100L18getri_kernel_smallILi55EdPKPdEEvT1_iilPiilS6_bb,"axG",@progbits,_ZN9rocsolver6v33100L18getri_kernel_smallILi55EdPKPdEEvT1_iilPiilS6_bb,comdat
	.globl	_ZN9rocsolver6v33100L18getri_kernel_smallILi55EdPKPdEEvT1_iilPiilS6_bb ; -- Begin function _ZN9rocsolver6v33100L18getri_kernel_smallILi55EdPKPdEEvT1_iilPiilS6_bb
	.p2align	8
	.type	_ZN9rocsolver6v33100L18getri_kernel_smallILi55EdPKPdEEvT1_iilPiilS6_bb,@function
_ZN9rocsolver6v33100L18getri_kernel_smallILi55EdPKPdEEvT1_iilPiilS6_bb: ; @_ZN9rocsolver6v33100L18getri_kernel_smallILi55EdPKPdEEvT1_iilPiilS6_bb
; %bb.0:
	s_add_u32 s0, s0, s7
	s_addc_u32 s1, s1, 0
	s_mov_b32 s7, exec_lo
	v_cmpx_gt_u32_e32 55, v0
	s_cbranch_execz .LBB118_230
; %bb.1:
	s_clause 0x2
	s_load_dword s17, s[4:5], 0x38
	s_load_dwordx2 s[12:13], s[4:5], 0x0
	s_load_dwordx4 s[8:11], s[4:5], 0x28
	s_waitcnt lgkmcnt(0)
	s_bitcmp1_b32 s17, 8
	s_cselect_b32 s16, -1, 0
	s_ashr_i32 s7, s6, 31
	s_lshl_b64 s[14:15], s[6:7], 3
	s_add_u32 s12, s12, s14
	s_addc_u32 s13, s13, s15
	s_load_dwordx2 s[14:15], s[12:13], 0x0
	s_bfe_u32 s12, s17, 0x10008
	s_cmp_eq_u32 s12, 0
                                        ; implicit-def: $sgpr12_sgpr13
	s_cbranch_scc1 .LBB118_3
; %bb.2:
	s_clause 0x1
	s_load_dword s12, s[4:5], 0x20
	s_load_dwordx2 s[18:19], s[4:5], 0x18
	s_mul_i32 s13, s8, s7
	s_mul_hi_u32 s17, s8, s6
	s_mul_i32 s9, s9, s6
	s_add_i32 s13, s17, s13
	s_mul_i32 s8, s8, s6
	s_add_i32 s9, s13, s9
	s_lshl_b64 s[8:9], s[8:9], 2
	s_waitcnt lgkmcnt(0)
	s_ashr_i32 s13, s12, 31
	s_add_u32 s17, s18, s8
	s_addc_u32 s18, s19, s9
	s_lshl_b64 s[8:9], s[12:13], 2
	s_add_u32 s12, s17, s8
	s_addc_u32 s13, s18, s9
.LBB118_3:
	s_clause 0x1
	s_load_dwordx2 s[8:9], s[4:5], 0x8
	s_load_dword s17, s[4:5], 0x38
	v_lshlrev_b32_e32 v113, 3, v0
	s_waitcnt lgkmcnt(0)
	s_ashr_i32 s5, s8, 31
	s_mov_b32 s4, s8
	v_add3_u32 v9, s9, s9, v0
	s_lshl_b64 s[4:5], s[4:5], 3
	s_add_u32 s4, s14, s4
	s_addc_u32 s5, s15, s5
	v_add_co_u32 v1, s8, s4, v113
	v_add_co_ci_u32_e64 v2, null, s5, 0, s8
	s_mov_b32 s14, s9
	s_ashr_i32 s15, s9, 31
	v_ashrrev_i32_e32 v10, 31, v9
	flat_load_dwordx2 v[5:6], v[1:2]
	s_lshl_b64 s[14:15], s[14:15], 3
	v_add_nc_u32_e32 v12, s9, v9
	v_add_co_u32 v3, vcc_lo, v1, s14
	v_add_co_ci_u32_e64 v4, null, s15, v2, vcc_lo
	v_ashrrev_i32_e32 v13, 31, v12
	s_bitcmp0_b32 s17, 0
	s_waitcnt vmcnt(0) lgkmcnt(0)
	buffer_store_dword v6, off, s[0:3], 0 offset:4
	buffer_store_dword v5, off, s[0:3], 0
	flat_load_dwordx2 v[7:8], v[3:4]
	v_lshlrev_b64 v[5:6], 3, v[9:10]
	s_waitcnt vmcnt(0) lgkmcnt(0)
	buffer_store_dword v8, off, s[0:3], 0 offset:12
	buffer_store_dword v7, off, s[0:3], 0 offset:8
	v_add_co_u32 v5, vcc_lo, s4, v5
	v_add_co_ci_u32_e64 v6, null, s5, v6, vcc_lo
	v_lshlrev_b64 v[7:8], 3, v[12:13]
	flat_load_dwordx2 v[10:11], v[5:6]
	s_waitcnt vmcnt(0) lgkmcnt(0)
	buffer_store_dword v11, off, s[0:3], 0 offset:20
	buffer_store_dword v10, off, s[0:3], 0 offset:16
	v_add_co_u32 v7, vcc_lo, s4, v7
	v_add_co_ci_u32_e64 v8, null, s5, v8, vcc_lo
	v_add_nc_u32_e32 v11, s9, v12
	flat_load_dwordx2 v[13:14], v[7:8]
	s_waitcnt vmcnt(0) lgkmcnt(0)
	buffer_store_dword v14, off, s[0:3], 0 offset:28
	buffer_store_dword v13, off, s[0:3], 0 offset:24
	v_ashrrev_i32_e32 v12, 31, v11
	v_add_nc_u32_e32 v15, s9, v11
	v_lshlrev_b64 v[9:10], 3, v[11:12]
	v_ashrrev_i32_e32 v16, 31, v15
	v_add_nc_u32_e32 v18, s9, v15
	v_add_co_u32 v9, vcc_lo, s4, v9
	v_add_co_ci_u32_e64 v10, null, s5, v10, vcc_lo
	v_lshlrev_b64 v[11:12], 3, v[15:16]
	v_ashrrev_i32_e32 v19, 31, v18
	flat_load_dwordx2 v[13:14], v[9:10]
	s_waitcnt vmcnt(0) lgkmcnt(0)
	buffer_store_dword v14, off, s[0:3], 0 offset:36
	buffer_store_dword v13, off, s[0:3], 0 offset:32
	v_add_co_u32 v11, vcc_lo, s4, v11
	v_add_co_ci_u32_e64 v12, null, s5, v12, vcc_lo
	v_lshlrev_b64 v[13:14], 3, v[18:19]
	flat_load_dwordx2 v[16:17], v[11:12]
	s_waitcnt vmcnt(0) lgkmcnt(0)
	buffer_store_dword v17, off, s[0:3], 0 offset:44
	buffer_store_dword v16, off, s[0:3], 0 offset:40
	v_add_co_u32 v13, vcc_lo, s4, v13
	v_add_co_ci_u32_e64 v14, null, s5, v14, vcc_lo
	v_add_nc_u32_e32 v17, s9, v18
	flat_load_dwordx2 v[19:20], v[13:14]
	s_waitcnt vmcnt(0) lgkmcnt(0)
	buffer_store_dword v20, off, s[0:3], 0 offset:52
	buffer_store_dword v19, off, s[0:3], 0 offset:48
	v_ashrrev_i32_e32 v18, 31, v17
	v_add_nc_u32_e32 v21, s9, v17
	v_lshlrev_b64 v[15:16], 3, v[17:18]
	v_ashrrev_i32_e32 v22, 31, v21
	v_add_nc_u32_e32 v24, s9, v21
	v_add_co_u32 v15, vcc_lo, s4, v15
	v_add_co_ci_u32_e64 v16, null, s5, v16, vcc_lo
	v_lshlrev_b64 v[17:18], 3, v[21:22]
	v_ashrrev_i32_e32 v25, 31, v24
	flat_load_dwordx2 v[19:20], v[15:16]
	;; [unrolled: 27-line block ×16, first 2 shown]
	s_waitcnt vmcnt(0) lgkmcnt(0)
	buffer_store_dword v104, off, s[0:3], 0 offset:396
	buffer_store_dword v103, off, s[0:3], 0 offset:392
	v_add_co_u32 v101, vcc_lo, s4, v101
	v_add_co_ci_u32_e64 v102, null, s5, v102, vcc_lo
	v_lshlrev_b64 v[103:104], 3, v[108:109]
	flat_load_dwordx2 v[106:107], v[101:102]
	s_waitcnt vmcnt(0) lgkmcnt(0)
	buffer_store_dword v107, off, s[0:3], 0 offset:404
	buffer_store_dword v106, off, s[0:3], 0 offset:400
	v_add_co_u32 v103, vcc_lo, s4, v103
	v_add_co_ci_u32_e64 v104, null, s5, v104, vcc_lo
	v_add_nc_u32_e32 v107, s9, v108
	flat_load_dwordx2 v[109:110], v[103:104]
	s_waitcnt vmcnt(0) lgkmcnt(0)
	buffer_store_dword v110, off, s[0:3], 0 offset:412
	buffer_store_dword v109, off, s[0:3], 0 offset:408
	v_ashrrev_i32_e32 v108, 31, v107
	v_add_nc_u32_e32 v111, s9, v107
	v_lshlrev_b64 v[105:106], 3, v[107:108]
	v_ashrrev_i32_e32 v112, 31, v111
	v_add_co_u32 v105, vcc_lo, s4, v105
	v_add_co_ci_u32_e64 v106, null, s5, v106, vcc_lo
	v_lshlrev_b64 v[107:108], 3, v[111:112]
	flat_load_dwordx2 v[109:110], v[105:106]
	s_waitcnt vmcnt(0) lgkmcnt(0)
	buffer_store_dword v110, off, s[0:3], 0 offset:420
	buffer_store_dword v109, off, s[0:3], 0 offset:416
	v_add_co_u32 v107, vcc_lo, s4, v107
	v_add_co_ci_u32_e64 v108, null, s5, v108, vcc_lo
	v_add_nc_u32_e32 v109, s9, v111
	flat_load_dwordx2 v[114:115], v[107:108]
	s_waitcnt vmcnt(0) lgkmcnt(0)
	buffer_store_dword v115, off, s[0:3], 0 offset:428
	buffer_store_dword v114, off, s[0:3], 0 offset:424
	v_ashrrev_i32_e32 v110, 31, v109
	v_lshlrev_b64 v[109:110], 3, v[109:110]
	v_add_co_u32 v109, vcc_lo, s4, v109
	v_add_co_ci_u32_e64 v110, null, s5, v110, vcc_lo
	s_mov_b32 s5, -1
	flat_load_dwordx2 v[111:112], v[109:110]
	s_waitcnt vmcnt(0) lgkmcnt(0)
	buffer_store_dword v112, off, s[0:3], 0 offset:436
	buffer_store_dword v111, off, s[0:3], 0 offset:432
	s_cbranch_scc1 .LBB118_228
; %bb.4:
	v_cmp_eq_u32_e64 s4, 0, v0
	s_and_saveexec_b32 s5, s4
; %bb.5:
	v_mov_b32_e32 v111, 0
	ds_write_b32 v111, v111 offset:440
; %bb.6:
	s_or_b32 exec_lo, exec_lo, s5
	v_lshl_add_u32 v111, v0, 3, 0
	s_waitcnt lgkmcnt(0)
	s_waitcnt_vscnt null, 0x0
	s_barrier
	buffer_gl0_inv
	s_mov_b32 s8, exec_lo
	s_clause 0x1
	buffer_load_dword v114, v111, s[0:3], 0 offen
	buffer_load_dword v115, v111, s[0:3], 0 offen offset:4
	s_waitcnt vmcnt(0)
	v_cmpx_eq_f64_e32 0, v[114:115]
	s_cbranch_execz .LBB118_10
; %bb.7:
	v_mov_b32_e32 v112, 0
	s_mov_b32 s9, 0
	ds_read_b32 v114, v112 offset:440
	s_waitcnt lgkmcnt(0)
	v_readfirstlane_b32 s5, v114
	v_add_nc_u32_e32 v114, 1, v0
	s_cmp_eq_u32 s5, 0
	v_cmp_gt_i32_e32 vcc_lo, s5, v114
	s_cselect_b32 s14, -1, 0
	s_or_b32 s14, s14, vcc_lo
	s_and_b32 exec_lo, exec_lo, s14
	s_cbranch_execz .LBB118_10
; %bb.8:
	v_mov_b32_e32 v115, s5
.LBB118_9:                              ; =>This Inner Loop Header: Depth=1
	ds_cmpst_rtn_b32 v115, v112, v115, v114 offset:440
	s_waitcnt lgkmcnt(0)
	v_cmp_ne_u32_e32 vcc_lo, 0, v115
	v_cmp_le_i32_e64 s5, v115, v114
	s_and_b32 s5, vcc_lo, s5
	s_and_b32 s5, exec_lo, s5
	s_or_b32 s9, s5, s9
	s_andn2_b32 exec_lo, exec_lo, s9
	s_cbranch_execnz .LBB118_9
.LBB118_10:
	s_or_b32 exec_lo, exec_lo, s8
	v_mov_b32_e32 v112, 0
	s_barrier
	buffer_gl0_inv
	ds_read_b32 v114, v112 offset:440
	s_and_saveexec_b32 s5, s4
	s_cbranch_execz .LBB118_12
; %bb.11:
	s_lshl_b64 s[8:9], s[6:7], 2
	s_add_u32 s8, s10, s8
	s_addc_u32 s9, s11, s9
	s_waitcnt lgkmcnt(0)
	global_store_dword v112, v114, s[8:9]
.LBB118_12:
	s_or_b32 exec_lo, exec_lo, s5
	s_waitcnt lgkmcnt(0)
	v_cmp_ne_u32_e32 vcc_lo, 0, v114
	s_mov_b32 s5, 0
	s_cbranch_vccnz .LBB118_228
; %bb.13:
	s_clause 0x1
	buffer_load_dword v114, v111, s[0:3], 0 offen
	buffer_load_dword v115, v111, s[0:3], 0 offen offset:4
	s_waitcnt vmcnt(0)
	v_div_scale_f64 v[116:117], null, v[114:115], v[114:115], 1.0
	v_div_scale_f64 v[122:123], vcc_lo, 1.0, v[114:115], 1.0
	v_rcp_f64_e32 v[118:119], v[116:117]
	v_fma_f64 v[120:121], -v[116:117], v[118:119], 1.0
	v_fma_f64 v[118:119], v[118:119], v[120:121], v[118:119]
	v_fma_f64 v[120:121], -v[116:117], v[118:119], 1.0
	v_fma_f64 v[118:119], v[118:119], v[120:121], v[118:119]
	v_mul_f64 v[120:121], v[122:123], v[118:119]
	v_fma_f64 v[116:117], -v[116:117], v[120:121], v[122:123]
	v_div_fmas_f64 v[116:117], v[116:117], v[118:119], v[120:121]
	v_div_fixup_f64 v[115:116], v[116:117], v[114:115], 1.0
	v_add_nc_u32_e32 v114, 0x1c0, v113
	buffer_store_dword v116, v111, s[0:3], 0 offen offset:4
	buffer_store_dword v115, v111, s[0:3], 0 offen
	s_clause 0x1
	buffer_load_dword v118, off, s[0:3], 0 offset:12
	buffer_load_dword v117, off, s[0:3], 0 offset:8
	v_xor_b32_e32 v116, 0x80000000, v116
	s_waitcnt vmcnt(0)
	ds_write2_b64 v113, v[115:116], v[117:118] offset1:56
	s_waitcnt lgkmcnt(0)
	s_waitcnt_vscnt null, 0x0
	s_barrier
	buffer_gl0_inv
	s_and_saveexec_b32 s5, s4
	s_cbranch_execz .LBB118_15
; %bb.14:
	s_clause 0x1
	buffer_load_dword v115, v111, s[0:3], 0 offen
	buffer_load_dword v116, v111, s[0:3], 0 offen offset:4
	ds_read_b64 v[117:118], v114
	v_mov_b32_e32 v112, 0
	ds_read_b64 v[119:120], v112 offset:8
	s_waitcnt vmcnt(0) lgkmcnt(1)
	v_fma_f64 v[115:116], v[115:116], v[117:118], 0
	s_waitcnt lgkmcnt(0)
	v_mul_f64 v[115:116], v[115:116], v[119:120]
	buffer_store_dword v115, off, s[0:3], 0 offset:8
	buffer_store_dword v116, off, s[0:3], 0 offset:12
.LBB118_15:
	s_or_b32 exec_lo, exec_lo, s5
	s_waitcnt_vscnt null, 0x0
	s_barrier
	buffer_gl0_inv
	s_clause 0x1
	buffer_load_dword v115, off, s[0:3], 0 offset:16
	buffer_load_dword v116, off, s[0:3], 0 offset:20
	s_mov_b32 s5, exec_lo
	s_waitcnt vmcnt(0)
	ds_write_b64 v114, v[115:116]
	s_waitcnt lgkmcnt(0)
	s_barrier
	buffer_gl0_inv
	v_cmpx_gt_u32_e32 2, v0
	s_cbranch_execz .LBB118_19
; %bb.16:
	s_clause 0x1
	buffer_load_dword v115, v111, s[0:3], 0 offen
	buffer_load_dword v116, v111, s[0:3], 0 offen offset:4
	ds_read_b64 v[111:112], v114
	s_waitcnt vmcnt(0) lgkmcnt(0)
	v_fma_f64 v[111:112], v[115:116], v[111:112], 0
	s_and_saveexec_b32 s8, s4
	s_cbranch_execz .LBB118_18
; %bb.17:
	s_clause 0x1
	buffer_load_dword v115, off, s[0:3], 0 offset:8
	buffer_load_dword v116, off, s[0:3], 0 offset:12
	v_mov_b32_e32 v117, 0
	ds_read_b64 v[117:118], v117 offset:456
	s_waitcnt vmcnt(0) lgkmcnt(0)
	v_fma_f64 v[111:112], v[115:116], v[117:118], v[111:112]
.LBB118_18:
	s_or_b32 exec_lo, exec_lo, s8
	v_mov_b32_e32 v115, 0
	ds_read_b64 v[115:116], v115 offset:16
	s_waitcnt lgkmcnt(0)
	v_mul_f64 v[111:112], v[111:112], v[115:116]
	buffer_store_dword v112, off, s[0:3], 0 offset:20
	buffer_store_dword v111, off, s[0:3], 0 offset:16
.LBB118_19:
	s_or_b32 exec_lo, exec_lo, s5
	s_waitcnt_vscnt null, 0x0
	s_barrier
	buffer_gl0_inv
	s_clause 0x1
	buffer_load_dword v111, off, s[0:3], 0 offset:24
	buffer_load_dword v112, off, s[0:3], 0 offset:28
	v_add_nc_u32_e32 v115, -1, v0
	s_mov_b32 s4, exec_lo
	s_waitcnt vmcnt(0)
	ds_write_b64 v114, v[111:112]
	s_waitcnt lgkmcnt(0)
	s_barrier
	buffer_gl0_inv
	v_cmpx_gt_u32_e32 3, v0
	s_cbranch_execz .LBB118_23
; %bb.20:
	v_mov_b32_e32 v111, 0
	v_add_nc_u32_e32 v116, -1, v0
	v_add_nc_u32_e32 v117, 0x1c0, v113
	v_mov_b32_e32 v112, 0
	v_mov_b32_e32 v118, v113
	s_mov_b32 s5, 0
.LBB118_21:                             ; =>This Inner Loop Header: Depth=1
	s_clause 0x1
	buffer_load_dword v119, v118, s[0:3], 0 offen
	buffer_load_dword v120, v118, s[0:3], 0 offen offset:4
	ds_read_b64 v[121:122], v117
	v_add_nc_u32_e32 v116, 1, v116
	v_add_nc_u32_e32 v117, 8, v117
	v_add_nc_u32_e32 v118, 8, v118
	v_cmp_lt_u32_e32 vcc_lo, 1, v116
	s_or_b32 s5, vcc_lo, s5
	s_waitcnt vmcnt(0) lgkmcnt(0)
	v_fma_f64 v[111:112], v[119:120], v[121:122], v[111:112]
	s_andn2_b32 exec_lo, exec_lo, s5
	s_cbranch_execnz .LBB118_21
; %bb.22:
	s_or_b32 exec_lo, exec_lo, s5
	v_mov_b32_e32 v116, 0
	ds_read_b64 v[116:117], v116 offset:24
	s_waitcnt lgkmcnt(0)
	v_mul_f64 v[111:112], v[111:112], v[116:117]
	buffer_store_dword v112, off, s[0:3], 0 offset:28
	buffer_store_dword v111, off, s[0:3], 0 offset:24
.LBB118_23:
	s_or_b32 exec_lo, exec_lo, s4
	s_waitcnt_vscnt null, 0x0
	s_barrier
	buffer_gl0_inv
	s_clause 0x1
	buffer_load_dword v111, off, s[0:3], 0 offset:32
	buffer_load_dword v112, off, s[0:3], 0 offset:36
	s_mov_b32 s4, exec_lo
	s_waitcnt vmcnt(0)
	ds_write_b64 v114, v[111:112]
	s_waitcnt lgkmcnt(0)
	s_barrier
	buffer_gl0_inv
	v_cmpx_gt_u32_e32 4, v0
	s_cbranch_execz .LBB118_27
; %bb.24:
	v_mov_b32_e32 v111, 0
	v_add_nc_u32_e32 v116, -1, v0
	v_add_nc_u32_e32 v117, 0x1c0, v113
	v_mov_b32_e32 v112, 0
	v_mov_b32_e32 v118, v113
	s_mov_b32 s5, 0
.LBB118_25:                             ; =>This Inner Loop Header: Depth=1
	s_clause 0x1
	buffer_load_dword v119, v118, s[0:3], 0 offen
	buffer_load_dword v120, v118, s[0:3], 0 offen offset:4
	ds_read_b64 v[121:122], v117
	v_add_nc_u32_e32 v116, 1, v116
	v_add_nc_u32_e32 v117, 8, v117
	v_add_nc_u32_e32 v118, 8, v118
	v_cmp_lt_u32_e32 vcc_lo, 2, v116
	s_or_b32 s5, vcc_lo, s5
	s_waitcnt vmcnt(0) lgkmcnt(0)
	v_fma_f64 v[111:112], v[119:120], v[121:122], v[111:112]
	s_andn2_b32 exec_lo, exec_lo, s5
	s_cbranch_execnz .LBB118_25
; %bb.26:
	s_or_b32 exec_lo, exec_lo, s5
	v_mov_b32_e32 v116, 0
	ds_read_b64 v[116:117], v116 offset:32
	s_waitcnt lgkmcnt(0)
	v_mul_f64 v[111:112], v[111:112], v[116:117]
	buffer_store_dword v112, off, s[0:3], 0 offset:36
	buffer_store_dword v111, off, s[0:3], 0 offset:32
.LBB118_27:
	s_or_b32 exec_lo, exec_lo, s4
	s_waitcnt_vscnt null, 0x0
	s_barrier
	buffer_gl0_inv
	s_clause 0x1
	buffer_load_dword v111, off, s[0:3], 0 offset:40
	buffer_load_dword v112, off, s[0:3], 0 offset:44
	;; [unrolled: 45-line block ×20, first 2 shown]
	s_mov_b32 s4, exec_lo
	s_waitcnt vmcnt(0)
	ds_write_b64 v114, v[111:112]
	s_waitcnt lgkmcnt(0)
	s_barrier
	buffer_gl0_inv
	v_cmpx_gt_u32_e32 23, v0
	s_cbranch_execz .LBB118_103
; %bb.100:
	v_mov_b32_e32 v111, 0
	v_add_nc_u32_e32 v116, -1, v0
	v_add_nc_u32_e32 v117, 0x1c0, v113
	v_mov_b32_e32 v112, 0
	v_mov_b32_e32 v118, v113
	s_mov_b32 s5, 0
.LBB118_101:                            ; =>This Inner Loop Header: Depth=1
	s_clause 0x1
	buffer_load_dword v119, v118, s[0:3], 0 offen
	buffer_load_dword v120, v118, s[0:3], 0 offen offset:4
	ds_read_b64 v[121:122], v117
	v_add_nc_u32_e32 v116, 1, v116
	v_add_nc_u32_e32 v117, 8, v117
	v_add_nc_u32_e32 v118, 8, v118
	v_cmp_lt_u32_e32 vcc_lo, 21, v116
	s_or_b32 s5, vcc_lo, s5
	s_waitcnt vmcnt(0) lgkmcnt(0)
	v_fma_f64 v[111:112], v[119:120], v[121:122], v[111:112]
	s_andn2_b32 exec_lo, exec_lo, s5
	s_cbranch_execnz .LBB118_101
; %bb.102:
	s_or_b32 exec_lo, exec_lo, s5
	v_mov_b32_e32 v116, 0
	ds_read_b64 v[116:117], v116 offset:184
	s_waitcnt lgkmcnt(0)
	v_mul_f64 v[111:112], v[111:112], v[116:117]
	buffer_store_dword v112, off, s[0:3], 0 offset:188
	buffer_store_dword v111, off, s[0:3], 0 offset:184
.LBB118_103:
	s_or_b32 exec_lo, exec_lo, s4
	s_waitcnt_vscnt null, 0x0
	s_barrier
	buffer_gl0_inv
	s_clause 0x1
	buffer_load_dword v111, off, s[0:3], 0 offset:192
	buffer_load_dword v112, off, s[0:3], 0 offset:196
	s_mov_b32 s4, exec_lo
	s_waitcnt vmcnt(0)
	ds_write_b64 v114, v[111:112]
	s_waitcnt lgkmcnt(0)
	s_barrier
	buffer_gl0_inv
	v_cmpx_gt_u32_e32 24, v0
	s_cbranch_execz .LBB118_107
; %bb.104:
	v_mov_b32_e32 v111, 0
	v_add_nc_u32_e32 v116, -1, v0
	v_add_nc_u32_e32 v117, 0x1c0, v113
	v_mov_b32_e32 v112, 0
	v_mov_b32_e32 v118, v113
	s_mov_b32 s5, 0
.LBB118_105:                            ; =>This Inner Loop Header: Depth=1
	s_clause 0x1
	buffer_load_dword v119, v118, s[0:3], 0 offen
	buffer_load_dword v120, v118, s[0:3], 0 offen offset:4
	ds_read_b64 v[121:122], v117
	v_add_nc_u32_e32 v116, 1, v116
	v_add_nc_u32_e32 v117, 8, v117
	v_add_nc_u32_e32 v118, 8, v118
	v_cmp_lt_u32_e32 vcc_lo, 22, v116
	s_or_b32 s5, vcc_lo, s5
	s_waitcnt vmcnt(0) lgkmcnt(0)
	v_fma_f64 v[111:112], v[119:120], v[121:122], v[111:112]
	s_andn2_b32 exec_lo, exec_lo, s5
	s_cbranch_execnz .LBB118_105
; %bb.106:
	s_or_b32 exec_lo, exec_lo, s5
	v_mov_b32_e32 v116, 0
	ds_read_b64 v[116:117], v116 offset:192
	s_waitcnt lgkmcnt(0)
	v_mul_f64 v[111:112], v[111:112], v[116:117]
	buffer_store_dword v112, off, s[0:3], 0 offset:196
	buffer_store_dword v111, off, s[0:3], 0 offset:192
.LBB118_107:
	s_or_b32 exec_lo, exec_lo, s4
	s_waitcnt_vscnt null, 0x0
	s_barrier
	buffer_gl0_inv
	s_clause 0x1
	buffer_load_dword v111, off, s[0:3], 0 offset:200
	buffer_load_dword v112, off, s[0:3], 0 offset:204
	;; [unrolled: 45-line block ×31, first 2 shown]
	s_mov_b32 s4, exec_lo
	s_waitcnt vmcnt(0)
	ds_write_b64 v114, v[111:112]
	s_waitcnt lgkmcnt(0)
	s_barrier
	buffer_gl0_inv
	v_cmpx_ne_u32_e32 54, v0
	s_cbranch_execz .LBB118_227
; %bb.224:
	v_mov_b32_e32 v111, 0
	v_mov_b32_e32 v112, 0
	s_mov_b32 s5, 0
.LBB118_225:                            ; =>This Inner Loop Header: Depth=1
	s_clause 0x1
	buffer_load_dword v116, v113, s[0:3], 0 offen
	buffer_load_dword v117, v113, s[0:3], 0 offen offset:4
	ds_read_b64 v[118:119], v114
	v_add_nc_u32_e32 v115, 1, v115
	v_add_nc_u32_e32 v114, 8, v114
	;; [unrolled: 1-line block ×3, first 2 shown]
	v_cmp_lt_u32_e32 vcc_lo, 52, v115
	s_or_b32 s5, vcc_lo, s5
	s_waitcnt vmcnt(0) lgkmcnt(0)
	v_fma_f64 v[111:112], v[116:117], v[118:119], v[111:112]
	s_andn2_b32 exec_lo, exec_lo, s5
	s_cbranch_execnz .LBB118_225
; %bb.226:
	s_or_b32 exec_lo, exec_lo, s5
	v_mov_b32_e32 v113, 0
	ds_read_b64 v[113:114], v113 offset:432
	s_waitcnt lgkmcnt(0)
	v_mul_f64 v[111:112], v[111:112], v[113:114]
	buffer_store_dword v112, off, s[0:3], 0 offset:436
	buffer_store_dword v111, off, s[0:3], 0 offset:432
.LBB118_227:
	s_or_b32 exec_lo, exec_lo, s4
	s_mov_b32 s5, -1
	s_waitcnt_vscnt null, 0x0
	s_barrier
	buffer_gl0_inv
.LBB118_228:
	s_and_b32 vcc_lo, exec_lo, s5
	s_cbranch_vccz .LBB118_230
; %bb.229:
	s_lshl_b64 s[4:5], s[6:7], 2
	v_mov_b32_e32 v111, 0
	s_add_u32 s4, s10, s4
	s_addc_u32 s5, s11, s5
	global_load_dword v111, v111, s[4:5]
	s_waitcnt vmcnt(0)
	v_cmp_ne_u32_e32 vcc_lo, 0, v111
	s_cbranch_vccz .LBB118_231
.LBB118_230:
	s_endpgm
.LBB118_231:
	v_lshl_add_u32 v111, v0, 3, 0x1c0
	s_mov_b32 s4, exec_lo
	v_cmpx_eq_u32_e32 54, v0
	s_cbranch_execz .LBB118_233
; %bb.232:
	s_clause 0x1
	buffer_load_dword v112, off, s[0:3], 0 offset:424
	buffer_load_dword v113, off, s[0:3], 0 offset:428
	v_mov_b32_e32 v114, 0
	buffer_store_dword v114, off, s[0:3], 0 offset:424
	buffer_store_dword v114, off, s[0:3], 0 offset:428
	s_waitcnt vmcnt(0)
	ds_write_b64 v111, v[112:113]
.LBB118_233:
	s_or_b32 exec_lo, exec_lo, s4
	s_waitcnt lgkmcnt(0)
	s_waitcnt_vscnt null, 0x0
	s_barrier
	buffer_gl0_inv
	s_clause 0x3
	buffer_load_dword v113, off, s[0:3], 0 offset:432
	buffer_load_dword v114, off, s[0:3], 0 offset:436
	;; [unrolled: 1-line block ×4, first 2 shown]
	v_mov_b32_e32 v112, 0
	s_mov_b32 s4, exec_lo
	ds_read_b64 v[117:118], v112 offset:880
	s_waitcnt vmcnt(2) lgkmcnt(0)
	v_fma_f64 v[113:114], v[113:114], v[117:118], 0
	s_waitcnt vmcnt(0)
	v_add_f64 v[113:114], v[115:116], -v[113:114]
	buffer_store_dword v113, off, s[0:3], 0 offset:424
	buffer_store_dword v114, off, s[0:3], 0 offset:428
	v_cmpx_lt_u32_e32 52, v0
	s_cbranch_execz .LBB118_235
; %bb.234:
	s_clause 0x1
	buffer_load_dword v113, off, s[0:3], 0 offset:416
	buffer_load_dword v114, off, s[0:3], 0 offset:420
	buffer_store_dword v112, off, s[0:3], 0 offset:416
	buffer_store_dword v112, off, s[0:3], 0 offset:420
	s_waitcnt vmcnt(0)
	ds_write_b64 v111, v[113:114]
.LBB118_235:
	s_or_b32 exec_lo, exec_lo, s4
	s_waitcnt lgkmcnt(0)
	s_waitcnt_vscnt null, 0x0
	s_barrier
	buffer_gl0_inv
	s_clause 0x5
	buffer_load_dword v116, off, s[0:3], 0 offset:424
	buffer_load_dword v117, off, s[0:3], 0 offset:428
	buffer_load_dword v118, off, s[0:3], 0 offset:432
	buffer_load_dword v119, off, s[0:3], 0 offset:436
	buffer_load_dword v120, off, s[0:3], 0 offset:416
	buffer_load_dword v121, off, s[0:3], 0 offset:420
	ds_read2_b64 v[112:115], v112 offset0:109 offset1:110
	s_mov_b32 s4, exec_lo
	s_waitcnt vmcnt(4) lgkmcnt(0)
	v_fma_f64 v[112:113], v[116:117], v[112:113], 0
	s_waitcnt vmcnt(2)
	v_fma_f64 v[112:113], v[118:119], v[114:115], v[112:113]
	s_waitcnt vmcnt(0)
	v_add_f64 v[112:113], v[120:121], -v[112:113]
	buffer_store_dword v112, off, s[0:3], 0 offset:416
	buffer_store_dword v113, off, s[0:3], 0 offset:420
	v_cmpx_lt_u32_e32 51, v0
	s_cbranch_execz .LBB118_237
; %bb.236:
	s_clause 0x1
	buffer_load_dword v112, off, s[0:3], 0 offset:408
	buffer_load_dword v113, off, s[0:3], 0 offset:412
	v_mov_b32_e32 v114, 0
	buffer_store_dword v114, off, s[0:3], 0 offset:408
	buffer_store_dword v114, off, s[0:3], 0 offset:412
	s_waitcnt vmcnt(0)
	ds_write_b64 v111, v[112:113]
.LBB118_237:
	s_or_b32 exec_lo, exec_lo, s4
	s_waitcnt lgkmcnt(0)
	s_waitcnt_vscnt null, 0x0
	s_barrier
	buffer_gl0_inv
	s_clause 0x7
	buffer_load_dword v117, off, s[0:3], 0 offset:416
	buffer_load_dword v118, off, s[0:3], 0 offset:420
	;; [unrolled: 1-line block ×8, first 2 shown]
	v_mov_b32_e32 v112, 0
	ds_read_b128 v[113:116], v112 offset:864
	ds_read_b64 v[125:126], v112 offset:880
	s_mov_b32 s4, exec_lo
	s_waitcnt vmcnt(6) lgkmcnt(1)
	v_fma_f64 v[113:114], v[117:118], v[113:114], 0
	s_waitcnt vmcnt(4)
	v_fma_f64 v[113:114], v[119:120], v[115:116], v[113:114]
	s_waitcnt vmcnt(2) lgkmcnt(0)
	v_fma_f64 v[113:114], v[121:122], v[125:126], v[113:114]
	s_waitcnt vmcnt(0)
	v_add_f64 v[113:114], v[123:124], -v[113:114]
	buffer_store_dword v113, off, s[0:3], 0 offset:408
	buffer_store_dword v114, off, s[0:3], 0 offset:412
	v_cmpx_lt_u32_e32 50, v0
	s_cbranch_execz .LBB118_239
; %bb.238:
	s_clause 0x1
	buffer_load_dword v113, off, s[0:3], 0 offset:400
	buffer_load_dword v114, off, s[0:3], 0 offset:404
	buffer_store_dword v112, off, s[0:3], 0 offset:400
	buffer_store_dword v112, off, s[0:3], 0 offset:404
	s_waitcnt vmcnt(0)
	ds_write_b64 v111, v[113:114]
.LBB118_239:
	s_or_b32 exec_lo, exec_lo, s4
	s_waitcnt lgkmcnt(0)
	s_waitcnt_vscnt null, 0x0
	s_barrier
	buffer_gl0_inv
	s_clause 0x9
	buffer_load_dword v121, off, s[0:3], 0 offset:408
	buffer_load_dword v122, off, s[0:3], 0 offset:412
	;; [unrolled: 1-line block ×10, first 2 shown]
	ds_read2_b64 v[113:116], v112 offset0:107 offset1:108
	ds_read2_b64 v[117:120], v112 offset0:109 offset1:110
	s_mov_b32 s4, exec_lo
	s_waitcnt vmcnt(8) lgkmcnt(1)
	v_fma_f64 v[112:113], v[121:122], v[113:114], 0
	s_waitcnt vmcnt(6)
	v_fma_f64 v[112:113], v[123:124], v[115:116], v[112:113]
	s_waitcnt vmcnt(4) lgkmcnt(0)
	v_fma_f64 v[112:113], v[125:126], v[117:118], v[112:113]
	s_waitcnt vmcnt(2)
	v_fma_f64 v[112:113], v[127:128], v[119:120], v[112:113]
	s_waitcnt vmcnt(0)
	v_add_f64 v[112:113], v[129:130], -v[112:113]
	buffer_store_dword v112, off, s[0:3], 0 offset:400
	buffer_store_dword v113, off, s[0:3], 0 offset:404
	v_cmpx_lt_u32_e32 49, v0
	s_cbranch_execz .LBB118_241
; %bb.240:
	s_clause 0x1
	buffer_load_dword v112, off, s[0:3], 0 offset:392
	buffer_load_dword v113, off, s[0:3], 0 offset:396
	v_mov_b32_e32 v114, 0
	buffer_store_dword v114, off, s[0:3], 0 offset:392
	buffer_store_dword v114, off, s[0:3], 0 offset:396
	s_waitcnt vmcnt(0)
	ds_write_b64 v111, v[112:113]
.LBB118_241:
	s_or_b32 exec_lo, exec_lo, s4
	s_waitcnt lgkmcnt(0)
	s_waitcnt_vscnt null, 0x0
	s_barrier
	buffer_gl0_inv
	s_clause 0xb
	buffer_load_dword v121, off, s[0:3], 0 offset:400
	buffer_load_dword v122, off, s[0:3], 0 offset:404
	buffer_load_dword v123, off, s[0:3], 0 offset:408
	buffer_load_dword v124, off, s[0:3], 0 offset:412
	buffer_load_dword v125, off, s[0:3], 0 offset:416
	buffer_load_dword v126, off, s[0:3], 0 offset:420
	buffer_load_dword v127, off, s[0:3], 0 offset:424
	buffer_load_dword v128, off, s[0:3], 0 offset:428
	buffer_load_dword v129, off, s[0:3], 0 offset:432
	buffer_load_dword v130, off, s[0:3], 0 offset:436
	buffer_load_dword v131, off, s[0:3], 0 offset:392
	buffer_load_dword v132, off, s[0:3], 0 offset:396
	v_mov_b32_e32 v112, 0
	ds_read_b128 v[113:116], v112 offset:848
	ds_read_b128 v[117:120], v112 offset:864
	s_mov_b32 s4, exec_lo
	s_waitcnt vmcnt(10) lgkmcnt(1)
	v_fma_f64 v[113:114], v[121:122], v[113:114], 0
	s_waitcnt vmcnt(8)
	v_fma_f64 v[113:114], v[123:124], v[115:116], v[113:114]
	ds_read_b64 v[115:116], v112 offset:880
	s_waitcnt vmcnt(6) lgkmcnt(1)
	v_fma_f64 v[113:114], v[125:126], v[117:118], v[113:114]
	s_waitcnt vmcnt(4)
	v_fma_f64 v[113:114], v[127:128], v[119:120], v[113:114]
	s_waitcnt vmcnt(2) lgkmcnt(0)
	v_fma_f64 v[113:114], v[129:130], v[115:116], v[113:114]
	s_waitcnt vmcnt(0)
	v_add_f64 v[113:114], v[131:132], -v[113:114]
	buffer_store_dword v113, off, s[0:3], 0 offset:392
	buffer_store_dword v114, off, s[0:3], 0 offset:396
	v_cmpx_lt_u32_e32 48, v0
	s_cbranch_execz .LBB118_243
; %bb.242:
	s_clause 0x1
	buffer_load_dword v113, off, s[0:3], 0 offset:384
	buffer_load_dword v114, off, s[0:3], 0 offset:388
	buffer_store_dword v112, off, s[0:3], 0 offset:384
	buffer_store_dword v112, off, s[0:3], 0 offset:388
	s_waitcnt vmcnt(0)
	ds_write_b64 v111, v[113:114]
.LBB118_243:
	s_or_b32 exec_lo, exec_lo, s4
	s_waitcnt lgkmcnt(0)
	s_waitcnt_vscnt null, 0x0
	s_barrier
	buffer_gl0_inv
	s_clause 0xd
	buffer_load_dword v121, off, s[0:3], 0 offset:392
	buffer_load_dword v122, off, s[0:3], 0 offset:396
	;; [unrolled: 1-line block ×14, first 2 shown]
	ds_read2_b64 v[113:116], v112 offset0:105 offset1:106
	ds_read2_b64 v[117:120], v112 offset0:107 offset1:108
	s_mov_b32 s4, exec_lo
	s_waitcnt vmcnt(12) lgkmcnt(1)
	v_fma_f64 v[113:114], v[121:122], v[113:114], 0
	s_waitcnt vmcnt(10)
	v_fma_f64 v[113:114], v[123:124], v[115:116], v[113:114]
	s_waitcnt vmcnt(8) lgkmcnt(0)
	v_fma_f64 v[113:114], v[125:126], v[117:118], v[113:114]
	s_waitcnt vmcnt(6)
	v_fma_f64 v[116:117], v[127:128], v[119:120], v[113:114]
	ds_read2_b64 v[112:115], v112 offset0:109 offset1:110
	s_waitcnt vmcnt(4) lgkmcnt(0)
	v_fma_f64 v[112:113], v[129:130], v[112:113], v[116:117]
	s_waitcnt vmcnt(2)
	v_fma_f64 v[112:113], v[131:132], v[114:115], v[112:113]
	s_waitcnt vmcnt(0)
	v_add_f64 v[112:113], v[133:134], -v[112:113]
	buffer_store_dword v112, off, s[0:3], 0 offset:384
	buffer_store_dword v113, off, s[0:3], 0 offset:388
	v_cmpx_lt_u32_e32 47, v0
	s_cbranch_execz .LBB118_245
; %bb.244:
	s_clause 0x1
	buffer_load_dword v112, off, s[0:3], 0 offset:376
	buffer_load_dword v113, off, s[0:3], 0 offset:380
	v_mov_b32_e32 v114, 0
	buffer_store_dword v114, off, s[0:3], 0 offset:376
	buffer_store_dword v114, off, s[0:3], 0 offset:380
	s_waitcnt vmcnt(0)
	ds_write_b64 v111, v[112:113]
.LBB118_245:
	s_or_b32 exec_lo, exec_lo, s4
	s_waitcnt lgkmcnt(0)
	s_waitcnt_vscnt null, 0x0
	s_barrier
	buffer_gl0_inv
	s_clause 0xf
	buffer_load_dword v121, off, s[0:3], 0 offset:384
	buffer_load_dword v122, off, s[0:3], 0 offset:388
	;; [unrolled: 1-line block ×16, first 2 shown]
	v_mov_b32_e32 v112, 0
	ds_read_b128 v[113:116], v112 offset:832
	ds_read_b128 v[117:120], v112 offset:848
	s_mov_b32 s4, exec_lo
	s_waitcnt vmcnt(14) lgkmcnt(1)
	v_fma_f64 v[113:114], v[121:122], v[113:114], 0
	s_waitcnt vmcnt(12)
	v_fma_f64 v[113:114], v[123:124], v[115:116], v[113:114]
	s_waitcnt vmcnt(10) lgkmcnt(0)
	v_fma_f64 v[113:114], v[125:126], v[117:118], v[113:114]
	s_waitcnt vmcnt(8)
	v_fma_f64 v[117:118], v[127:128], v[119:120], v[113:114]
	ds_read_b128 v[113:116], v112 offset:864
	ds_read_b64 v[119:120], v112 offset:880
	s_waitcnt vmcnt(6) lgkmcnt(1)
	v_fma_f64 v[113:114], v[129:130], v[113:114], v[117:118]
	s_waitcnt vmcnt(4)
	v_fma_f64 v[113:114], v[131:132], v[115:116], v[113:114]
	s_waitcnt vmcnt(2) lgkmcnt(0)
	v_fma_f64 v[113:114], v[133:134], v[119:120], v[113:114]
	s_waitcnt vmcnt(0)
	v_add_f64 v[113:114], v[135:136], -v[113:114]
	buffer_store_dword v113, off, s[0:3], 0 offset:376
	buffer_store_dword v114, off, s[0:3], 0 offset:380
	v_cmpx_lt_u32_e32 46, v0
	s_cbranch_execz .LBB118_247
; %bb.246:
	s_clause 0x1
	buffer_load_dword v113, off, s[0:3], 0 offset:368
	buffer_load_dword v114, off, s[0:3], 0 offset:372
	buffer_store_dword v112, off, s[0:3], 0 offset:368
	buffer_store_dword v112, off, s[0:3], 0 offset:372
	s_waitcnt vmcnt(0)
	ds_write_b64 v111, v[113:114]
.LBB118_247:
	s_or_b32 exec_lo, exec_lo, s4
	s_waitcnt lgkmcnt(0)
	s_waitcnt_vscnt null, 0x0
	s_barrier
	buffer_gl0_inv
	s_clause 0x11
	buffer_load_dword v121, off, s[0:3], 0 offset:376
	buffer_load_dword v122, off, s[0:3], 0 offset:380
	;; [unrolled: 1-line block ×18, first 2 shown]
	ds_read2_b64 v[113:116], v112 offset0:103 offset1:104
	ds_read2_b64 v[117:120], v112 offset0:105 offset1:106
	s_mov_b32 s4, exec_lo
	s_waitcnt vmcnt(16) lgkmcnt(1)
	v_fma_f64 v[113:114], v[121:122], v[113:114], 0
	s_waitcnt vmcnt(14)
	v_fma_f64 v[113:114], v[123:124], v[115:116], v[113:114]
	s_waitcnt vmcnt(12) lgkmcnt(0)
	v_fma_f64 v[113:114], v[125:126], v[117:118], v[113:114]
	s_waitcnt vmcnt(10)
	v_fma_f64 v[121:122], v[127:128], v[119:120], v[113:114]
	ds_read2_b64 v[113:116], v112 offset0:107 offset1:108
	ds_read2_b64 v[117:120], v112 offset0:109 offset1:110
	s_waitcnt vmcnt(8) lgkmcnt(1)
	v_fma_f64 v[112:113], v[129:130], v[113:114], v[121:122]
	s_waitcnt vmcnt(6)
	v_fma_f64 v[112:113], v[131:132], v[115:116], v[112:113]
	s_waitcnt vmcnt(4) lgkmcnt(0)
	v_fma_f64 v[112:113], v[133:134], v[117:118], v[112:113]
	s_waitcnt vmcnt(2)
	v_fma_f64 v[112:113], v[135:136], v[119:120], v[112:113]
	s_waitcnt vmcnt(0)
	v_add_f64 v[112:113], v[137:138], -v[112:113]
	buffer_store_dword v112, off, s[0:3], 0 offset:368
	buffer_store_dword v113, off, s[0:3], 0 offset:372
	v_cmpx_lt_u32_e32 45, v0
	s_cbranch_execz .LBB118_249
; %bb.248:
	s_clause 0x1
	buffer_load_dword v112, off, s[0:3], 0 offset:360
	buffer_load_dword v113, off, s[0:3], 0 offset:364
	v_mov_b32_e32 v114, 0
	buffer_store_dword v114, off, s[0:3], 0 offset:360
	buffer_store_dword v114, off, s[0:3], 0 offset:364
	s_waitcnt vmcnt(0)
	ds_write_b64 v111, v[112:113]
.LBB118_249:
	s_or_b32 exec_lo, exec_lo, s4
	s_waitcnt lgkmcnt(0)
	s_waitcnt_vscnt null, 0x0
	s_barrier
	buffer_gl0_inv
	s_clause 0x13
	buffer_load_dword v121, off, s[0:3], 0 offset:368
	buffer_load_dword v122, off, s[0:3], 0 offset:372
	;; [unrolled: 1-line block ×20, first 2 shown]
	v_mov_b32_e32 v112, 0
	ds_read_b128 v[113:116], v112 offset:816
	ds_read_b128 v[117:120], v112 offset:832
	s_mov_b32 s4, exec_lo
	s_waitcnt vmcnt(18) lgkmcnt(1)
	v_fma_f64 v[113:114], v[121:122], v[113:114], 0
	s_waitcnt vmcnt(16)
	v_fma_f64 v[113:114], v[123:124], v[115:116], v[113:114]
	s_waitcnt vmcnt(14) lgkmcnt(0)
	v_fma_f64 v[113:114], v[125:126], v[117:118], v[113:114]
	s_waitcnt vmcnt(12)
	v_fma_f64 v[121:122], v[127:128], v[119:120], v[113:114]
	ds_read_b128 v[113:116], v112 offset:848
	ds_read_b128 v[117:120], v112 offset:864
	s_waitcnt vmcnt(10) lgkmcnt(1)
	v_fma_f64 v[113:114], v[129:130], v[113:114], v[121:122]
	s_waitcnt vmcnt(8)
	v_fma_f64 v[113:114], v[131:132], v[115:116], v[113:114]
	ds_read_b64 v[115:116], v112 offset:880
	s_waitcnt vmcnt(6) lgkmcnt(1)
	v_fma_f64 v[113:114], v[133:134], v[117:118], v[113:114]
	s_waitcnt vmcnt(3)
	v_fma_f64 v[113:114], v[135:136], v[119:120], v[113:114]
	s_waitcnt vmcnt(2) lgkmcnt(0)
	v_fma_f64 v[113:114], v[137:138], v[115:116], v[113:114]
	s_waitcnt vmcnt(0)
	v_add_f64 v[113:114], v[139:140], -v[113:114]
	buffer_store_dword v113, off, s[0:3], 0 offset:360
	buffer_store_dword v114, off, s[0:3], 0 offset:364
	v_cmpx_lt_u32_e32 44, v0
	s_cbranch_execz .LBB118_251
; %bb.250:
	s_clause 0x1
	buffer_load_dword v113, off, s[0:3], 0 offset:352
	buffer_load_dword v114, off, s[0:3], 0 offset:356
	buffer_store_dword v112, off, s[0:3], 0 offset:352
	buffer_store_dword v112, off, s[0:3], 0 offset:356
	s_waitcnt vmcnt(0)
	ds_write_b64 v111, v[113:114]
.LBB118_251:
	s_or_b32 exec_lo, exec_lo, s4
	s_waitcnt lgkmcnt(0)
	s_waitcnt_vscnt null, 0x0
	s_barrier
	buffer_gl0_inv
	s_clause 0x15
	buffer_load_dword v117, off, s[0:3], 0 offset:360
	buffer_load_dword v118, off, s[0:3], 0 offset:364
	buffer_load_dword v119, off, s[0:3], 0 offset:368
	buffer_load_dword v120, off, s[0:3], 0 offset:372
	buffer_load_dword v121, off, s[0:3], 0 offset:376
	buffer_load_dword v122, off, s[0:3], 0 offset:380
	buffer_load_dword v123, off, s[0:3], 0 offset:384
	buffer_load_dword v124, off, s[0:3], 0 offset:388
	buffer_load_dword v125, off, s[0:3], 0 offset:392
	buffer_load_dword v126, off, s[0:3], 0 offset:396
	buffer_load_dword v127, off, s[0:3], 0 offset:400
	buffer_load_dword v128, off, s[0:3], 0 offset:404
	buffer_load_dword v129, off, s[0:3], 0 offset:408
	buffer_load_dword v130, off, s[0:3], 0 offset:412
	buffer_load_dword v132, off, s[0:3], 0 offset:420
	buffer_load_dword v131, off, s[0:3], 0 offset:416
	buffer_load_dword v133, off, s[0:3], 0 offset:424
	buffer_load_dword v134, off, s[0:3], 0 offset:428
	buffer_load_dword v135, off, s[0:3], 0 offset:432
	buffer_load_dword v136, off, s[0:3], 0 offset:436
	buffer_load_dword v137, off, s[0:3], 0 offset:352
	buffer_load_dword v138, off, s[0:3], 0 offset:356
	ds_read2_b64 v[113:116], v112 offset0:101 offset1:102
	s_mov_b32 s4, exec_lo
	s_waitcnt vmcnt(20) lgkmcnt(0)
	v_fma_f64 v[113:114], v[117:118], v[113:114], 0
	s_waitcnt vmcnt(18)
	v_fma_f64 v[117:118], v[119:120], v[115:116], v[113:114]
	ds_read2_b64 v[113:116], v112 offset0:103 offset1:104
	s_waitcnt vmcnt(16) lgkmcnt(0)
	v_fma_f64 v[113:114], v[121:122], v[113:114], v[117:118]
	s_waitcnt vmcnt(14)
	v_fma_f64 v[117:118], v[123:124], v[115:116], v[113:114]
	ds_read2_b64 v[113:116], v112 offset0:105 offset1:106
	;; [unrolled: 5-line block ×4, first 2 shown]
	s_waitcnt vmcnt(4) lgkmcnt(0)
	v_fma_f64 v[112:113], v[133:134], v[112:113], v[116:117]
	s_waitcnt vmcnt(2)
	v_fma_f64 v[112:113], v[135:136], v[114:115], v[112:113]
	s_waitcnt vmcnt(0)
	v_add_f64 v[112:113], v[137:138], -v[112:113]
	buffer_store_dword v112, off, s[0:3], 0 offset:352
	buffer_store_dword v113, off, s[0:3], 0 offset:356
	v_cmpx_lt_u32_e32 43, v0
	s_cbranch_execz .LBB118_253
; %bb.252:
	s_clause 0x1
	buffer_load_dword v112, off, s[0:3], 0 offset:344
	buffer_load_dword v113, off, s[0:3], 0 offset:348
	v_mov_b32_e32 v114, 0
	buffer_store_dword v114, off, s[0:3], 0 offset:344
	buffer_store_dword v114, off, s[0:3], 0 offset:348
	s_waitcnt vmcnt(0)
	ds_write_b64 v111, v[112:113]
.LBB118_253:
	s_or_b32 exec_lo, exec_lo, s4
	s_waitcnt lgkmcnt(0)
	s_waitcnt_vscnt null, 0x0
	s_barrier
	buffer_gl0_inv
	s_clause 0x17
	buffer_load_dword v117, off, s[0:3], 0 offset:352
	buffer_load_dword v118, off, s[0:3], 0 offset:356
	;; [unrolled: 1-line block ×24, first 2 shown]
	v_mov_b32_e32 v112, 0
	s_mov_b32 s4, exec_lo
	ds_read_b128 v[113:116], v112 offset:800
	s_waitcnt vmcnt(22) lgkmcnt(0)
	v_fma_f64 v[113:114], v[117:118], v[113:114], 0
	s_waitcnt vmcnt(20)
	v_fma_f64 v[117:118], v[119:120], v[115:116], v[113:114]
	ds_read_b128 v[113:116], v112 offset:816
	s_waitcnt vmcnt(18) lgkmcnt(0)
	v_fma_f64 v[113:114], v[121:122], v[113:114], v[117:118]
	s_waitcnt vmcnt(16)
	v_fma_f64 v[117:118], v[123:124], v[115:116], v[113:114]
	;; [unrolled: 5-line block ×5, first 2 shown]
	ds_read_b64 v[115:116], v112 offset:880
	s_waitcnt vmcnt(2) lgkmcnt(0)
	v_fma_f64 v[113:114], v[137:138], v[115:116], v[113:114]
	s_waitcnt vmcnt(0)
	v_add_f64 v[113:114], v[139:140], -v[113:114]
	buffer_store_dword v114, off, s[0:3], 0 offset:348
	buffer_store_dword v113, off, s[0:3], 0 offset:344
	v_cmpx_lt_u32_e32 42, v0
	s_cbranch_execz .LBB118_255
; %bb.254:
	s_clause 0x1
	buffer_load_dword v113, off, s[0:3], 0 offset:336
	buffer_load_dword v114, off, s[0:3], 0 offset:340
	buffer_store_dword v112, off, s[0:3], 0 offset:336
	buffer_store_dword v112, off, s[0:3], 0 offset:340
	s_waitcnt vmcnt(0)
	ds_write_b64 v111, v[113:114]
.LBB118_255:
	s_or_b32 exec_lo, exec_lo, s4
	s_waitcnt lgkmcnt(0)
	s_waitcnt_vscnt null, 0x0
	s_barrier
	buffer_gl0_inv
	s_clause 0x19
	buffer_load_dword v117, off, s[0:3], 0 offset:344
	buffer_load_dword v118, off, s[0:3], 0 offset:348
	buffer_load_dword v119, off, s[0:3], 0 offset:352
	buffer_load_dword v120, off, s[0:3], 0 offset:356
	buffer_load_dword v121, off, s[0:3], 0 offset:360
	buffer_load_dword v122, off, s[0:3], 0 offset:364
	buffer_load_dword v123, off, s[0:3], 0 offset:368
	buffer_load_dword v124, off, s[0:3], 0 offset:372
	buffer_load_dword v125, off, s[0:3], 0 offset:376
	buffer_load_dword v126, off, s[0:3], 0 offset:380
	buffer_load_dword v127, off, s[0:3], 0 offset:384
	buffer_load_dword v128, off, s[0:3], 0 offset:388
	buffer_load_dword v129, off, s[0:3], 0 offset:392
	buffer_load_dword v130, off, s[0:3], 0 offset:396
	buffer_load_dword v132, off, s[0:3], 0 offset:404
	buffer_load_dword v131, off, s[0:3], 0 offset:400
	buffer_load_dword v133, off, s[0:3], 0 offset:408
	buffer_load_dword v134, off, s[0:3], 0 offset:412
	buffer_load_dword v135, off, s[0:3], 0 offset:416
	buffer_load_dword v136, off, s[0:3], 0 offset:420
	buffer_load_dword v137, off, s[0:3], 0 offset:424
	buffer_load_dword v138, off, s[0:3], 0 offset:428
	buffer_load_dword v140, off, s[0:3], 0 offset:436
	buffer_load_dword v139, off, s[0:3], 0 offset:432
	buffer_load_dword v141, off, s[0:3], 0 offset:336
	buffer_load_dword v142, off, s[0:3], 0 offset:340
	ds_read2_b64 v[113:116], v112 offset0:99 offset1:100
	s_mov_b32 s4, exec_lo
	s_waitcnt vmcnt(24) lgkmcnt(0)
	v_fma_f64 v[113:114], v[117:118], v[113:114], 0
	s_waitcnt vmcnt(22)
	v_fma_f64 v[117:118], v[119:120], v[115:116], v[113:114]
	ds_read2_b64 v[113:116], v112 offset0:101 offset1:102
	s_waitcnt vmcnt(20) lgkmcnt(0)
	v_fma_f64 v[113:114], v[121:122], v[113:114], v[117:118]
	s_waitcnt vmcnt(18)
	v_fma_f64 v[117:118], v[123:124], v[115:116], v[113:114]
	ds_read2_b64 v[113:116], v112 offset0:103 offset1:104
	;; [unrolled: 5-line block ×5, first 2 shown]
	s_waitcnt vmcnt(4) lgkmcnt(0)
	v_fma_f64 v[112:113], v[137:138], v[112:113], v[116:117]
	s_waitcnt vmcnt(2)
	v_fma_f64 v[112:113], v[139:140], v[114:115], v[112:113]
	s_waitcnt vmcnt(0)
	v_add_f64 v[112:113], v[141:142], -v[112:113]
	buffer_store_dword v113, off, s[0:3], 0 offset:340
	buffer_store_dword v112, off, s[0:3], 0 offset:336
	v_cmpx_lt_u32_e32 41, v0
	s_cbranch_execz .LBB118_257
; %bb.256:
	s_clause 0x1
	buffer_load_dword v112, off, s[0:3], 0 offset:328
	buffer_load_dword v113, off, s[0:3], 0 offset:332
	v_mov_b32_e32 v114, 0
	buffer_store_dword v114, off, s[0:3], 0 offset:328
	buffer_store_dword v114, off, s[0:3], 0 offset:332
	s_waitcnt vmcnt(0)
	ds_write_b64 v111, v[112:113]
.LBB118_257:
	s_or_b32 exec_lo, exec_lo, s4
	s_waitcnt lgkmcnt(0)
	s_waitcnt_vscnt null, 0x0
	s_barrier
	buffer_gl0_inv
	s_clause 0x1b
	buffer_load_dword v121, off, s[0:3], 0 offset:336
	buffer_load_dword v122, off, s[0:3], 0 offset:340
	;; [unrolled: 1-line block ×28, first 2 shown]
	v_mov_b32_e32 v112, 0
	ds_read_b128 v[113:116], v112 offset:784
	ds_read_b128 v[117:120], v112 offset:800
	s_mov_b32 s4, exec_lo
	s_waitcnt vmcnt(26) lgkmcnt(1)
	v_fma_f64 v[113:114], v[121:122], v[113:114], 0
	s_waitcnt vmcnt(24)
	v_fma_f64 v[113:114], v[123:124], v[115:116], v[113:114]
	s_waitcnt vmcnt(22) lgkmcnt(0)
	v_fma_f64 v[113:114], v[125:126], v[117:118], v[113:114]
	s_waitcnt vmcnt(20)
	v_fma_f64 v[121:122], v[127:128], v[119:120], v[113:114]
	ds_read_b128 v[113:116], v112 offset:816
	ds_read_b128 v[117:120], v112 offset:832
	s_waitcnt vmcnt(18) lgkmcnt(1)
	v_fma_f64 v[113:114], v[129:130], v[113:114], v[121:122]
	s_waitcnt vmcnt(16)
	v_fma_f64 v[113:114], v[131:132], v[115:116], v[113:114]
	s_waitcnt vmcnt(14) lgkmcnt(0)
	v_fma_f64 v[113:114], v[133:134], v[117:118], v[113:114]
	s_waitcnt vmcnt(9)
	v_fma_f64 v[121:122], v[135:136], v[119:120], v[113:114]
	ds_read_b128 v[113:116], v112 offset:848
	ds_read_b128 v[117:120], v112 offset:864
	s_waitcnt vmcnt(8) lgkmcnt(1)
	v_fma_f64 v[113:114], v[141:142], v[113:114], v[121:122]
	s_waitcnt vmcnt(7)
	v_fma_f64 v[113:114], v[139:140], v[115:116], v[113:114]
	ds_read_b64 v[115:116], v112 offset:880
	s_waitcnt vmcnt(6) lgkmcnt(1)
	v_fma_f64 v[113:114], v[137:138], v[117:118], v[113:114]
	s_waitcnt vmcnt(3)
	v_fma_f64 v[113:114], v[143:144], v[119:120], v[113:114]
	s_waitcnt vmcnt(2) lgkmcnt(0)
	v_fma_f64 v[113:114], v[145:146], v[115:116], v[113:114]
	s_waitcnt vmcnt(0)
	v_add_f64 v[113:114], v[147:148], -v[113:114]
	buffer_store_dword v114, off, s[0:3], 0 offset:332
	buffer_store_dword v113, off, s[0:3], 0 offset:328
	v_cmpx_lt_u32_e32 40, v0
	s_cbranch_execz .LBB118_259
; %bb.258:
	s_clause 0x1
	buffer_load_dword v113, off, s[0:3], 0 offset:320
	buffer_load_dword v114, off, s[0:3], 0 offset:324
	buffer_store_dword v112, off, s[0:3], 0 offset:320
	buffer_store_dword v112, off, s[0:3], 0 offset:324
	s_waitcnt vmcnt(0)
	ds_write_b64 v111, v[113:114]
.LBB118_259:
	s_or_b32 exec_lo, exec_lo, s4
	s_waitcnt lgkmcnt(0)
	s_waitcnt_vscnt null, 0x0
	s_barrier
	buffer_gl0_inv
	s_clause 0x1b
	buffer_load_dword v121, off, s[0:3], 0 offset:328
	buffer_load_dword v122, off, s[0:3], 0 offset:332
	;; [unrolled: 1-line block ×28, first 2 shown]
	ds_read2_b64 v[113:116], v112 offset0:97 offset1:98
	s_clause 0x1
	buffer_load_dword v149, off, s[0:3], 0 offset:320
	buffer_load_dword v150, off, s[0:3], 0 offset:324
	ds_read2_b64 v[117:120], v112 offset0:99 offset1:100
	s_mov_b32 s4, exec_lo
	s_waitcnt vmcnt(28) lgkmcnt(1)
	v_fma_f64 v[113:114], v[121:122], v[113:114], 0
	s_waitcnt vmcnt(26)
	v_fma_f64 v[113:114], v[123:124], v[115:116], v[113:114]
	s_waitcnt vmcnt(24) lgkmcnt(0)
	v_fma_f64 v[113:114], v[125:126], v[117:118], v[113:114]
	s_waitcnt vmcnt(22)
	v_fma_f64 v[121:122], v[127:128], v[119:120], v[113:114]
	ds_read2_b64 v[113:116], v112 offset0:101 offset1:102
	ds_read2_b64 v[117:120], v112 offset0:103 offset1:104
	s_waitcnt vmcnt(20) lgkmcnt(1)
	v_fma_f64 v[113:114], v[129:130], v[113:114], v[121:122]
	s_waitcnt vmcnt(18)
	v_fma_f64 v[113:114], v[131:132], v[115:116], v[113:114]
	s_waitcnt vmcnt(16) lgkmcnt(0)
	v_fma_f64 v[113:114], v[133:134], v[117:118], v[113:114]
	s_waitcnt vmcnt(11)
	v_fma_f64 v[121:122], v[135:136], v[119:120], v[113:114]
	ds_read2_b64 v[113:116], v112 offset0:105 offset1:106
	ds_read2_b64 v[117:120], v112 offset0:107 offset1:108
	s_waitcnt vmcnt(10) lgkmcnt(1)
	v_fma_f64 v[113:114], v[141:142], v[113:114], v[121:122]
	s_waitcnt vmcnt(9)
	v_fma_f64 v[113:114], v[139:140], v[115:116], v[113:114]
	s_waitcnt vmcnt(8) lgkmcnt(0)
	v_fma_f64 v[113:114], v[137:138], v[117:118], v[113:114]
	s_waitcnt vmcnt(4)
	v_fma_f64 v[116:117], v[143:144], v[119:120], v[113:114]
	ds_read2_b64 v[112:115], v112 offset0:109 offset1:110
	s_waitcnt vmcnt(3) lgkmcnt(0)
	v_fma_f64 v[112:113], v[147:148], v[112:113], v[116:117]
	s_waitcnt vmcnt(2)
	v_fma_f64 v[112:113], v[145:146], v[114:115], v[112:113]
	s_waitcnt vmcnt(0)
	v_add_f64 v[112:113], v[149:150], -v[112:113]
	buffer_store_dword v113, off, s[0:3], 0 offset:324
	buffer_store_dword v112, off, s[0:3], 0 offset:320
	v_cmpx_lt_u32_e32 39, v0
	s_cbranch_execz .LBB118_261
; %bb.260:
	s_clause 0x1
	buffer_load_dword v112, off, s[0:3], 0 offset:312
	buffer_load_dword v113, off, s[0:3], 0 offset:316
	v_mov_b32_e32 v114, 0
	buffer_store_dword v114, off, s[0:3], 0 offset:312
	buffer_store_dword v114, off, s[0:3], 0 offset:316
	s_waitcnt vmcnt(0)
	ds_write_b64 v111, v[112:113]
.LBB118_261:
	s_or_b32 exec_lo, exec_lo, s4
	s_waitcnt lgkmcnt(0)
	s_waitcnt_vscnt null, 0x0
	s_barrier
	buffer_gl0_inv
	s_clause 0x1c
	buffer_load_dword v121, off, s[0:3], 0 offset:320
	buffer_load_dword v122, off, s[0:3], 0 offset:324
	;; [unrolled: 1-line block ×29, first 2 shown]
	v_mov_b32_e32 v112, 0
	buffer_load_dword v146, off, s[0:3], 0 offset:436
	s_mov_b32 s4, exec_lo
	ds_read_b128 v[113:116], v112 offset:768
	ds_read_b128 v[117:120], v112 offset:784
	s_waitcnt vmcnt(28) lgkmcnt(1)
	v_fma_f64 v[113:114], v[121:122], v[113:114], 0
	s_clause 0x1
	buffer_load_dword v121, off, s[0:3], 0 offset:312
	buffer_load_dword v122, off, s[0:3], 0 offset:316
	s_waitcnt vmcnt(28)
	v_fma_f64 v[113:114], v[123:124], v[115:116], v[113:114]
	s_waitcnt vmcnt(26) lgkmcnt(0)
	v_fma_f64 v[113:114], v[125:126], v[117:118], v[113:114]
	s_waitcnt vmcnt(24)
	v_fma_f64 v[123:124], v[127:128], v[119:120], v[113:114]
	ds_read_b128 v[113:116], v112 offset:800
	ds_read_b128 v[117:120], v112 offset:816
	s_waitcnt vmcnt(22) lgkmcnt(1)
	v_fma_f64 v[113:114], v[129:130], v[113:114], v[123:124]
	s_waitcnt vmcnt(20)
	v_fma_f64 v[113:114], v[131:132], v[115:116], v[113:114]
	s_waitcnt vmcnt(18) lgkmcnt(0)
	v_fma_f64 v[113:114], v[133:134], v[117:118], v[113:114]
	s_waitcnt vmcnt(13)
	v_fma_f64 v[123:124], v[135:136], v[119:120], v[113:114]
	ds_read_b128 v[113:116], v112 offset:832
	ds_read_b128 v[117:120], v112 offset:848
	s_waitcnt vmcnt(12) lgkmcnt(1)
	v_fma_f64 v[113:114], v[141:142], v[113:114], v[123:124]
	s_waitcnt vmcnt(11)
	v_fma_f64 v[113:114], v[139:140], v[115:116], v[113:114]
	s_waitcnt vmcnt(10) lgkmcnt(0)
	v_fma_f64 v[113:114], v[137:138], v[117:118], v[113:114]
	s_waitcnt vmcnt(5)
	v_fma_f64 v[117:118], v[143:144], v[119:120], v[113:114]
	ds_read_b128 v[113:116], v112 offset:864
	ds_read_b64 v[119:120], v112 offset:880
	s_waitcnt vmcnt(4) lgkmcnt(1)
	v_fma_f64 v[113:114], v[149:150], v[113:114], v[117:118]
	s_waitcnt vmcnt(3)
	v_fma_f64 v[113:114], v[147:148], v[115:116], v[113:114]
	s_waitcnt vmcnt(2) lgkmcnt(0)
	v_fma_f64 v[113:114], v[145:146], v[119:120], v[113:114]
	s_waitcnt vmcnt(0)
	v_add_f64 v[113:114], v[121:122], -v[113:114]
	buffer_store_dword v114, off, s[0:3], 0 offset:316
	buffer_store_dword v113, off, s[0:3], 0 offset:312
	v_cmpx_lt_u32_e32 38, v0
	s_cbranch_execz .LBB118_263
; %bb.262:
	s_clause 0x1
	buffer_load_dword v113, off, s[0:3], 0 offset:304
	buffer_load_dword v114, off, s[0:3], 0 offset:308
	buffer_store_dword v112, off, s[0:3], 0 offset:304
	buffer_store_dword v112, off, s[0:3], 0 offset:308
	s_waitcnt vmcnt(0)
	ds_write_b64 v111, v[113:114]
.LBB118_263:
	s_or_b32 exec_lo, exec_lo, s4
	s_waitcnt lgkmcnt(0)
	s_waitcnt_vscnt null, 0x0
	s_barrier
	buffer_gl0_inv
	s_clause 0x1c
	buffer_load_dword v121, off, s[0:3], 0 offset:312
	buffer_load_dword v122, off, s[0:3], 0 offset:316
	;; [unrolled: 1-line block ×29, first 2 shown]
	ds_read2_b64 v[113:116], v112 offset0:95 offset1:96
	ds_read2_b64 v[117:120], v112 offset0:97 offset1:98
	buffer_load_dword v146, off, s[0:3], 0 offset:428
	s_mov_b32 s4, exec_lo
	s_waitcnt vmcnt(28) lgkmcnt(1)
	v_fma_f64 v[113:114], v[121:122], v[113:114], 0
	s_clause 0x1
	buffer_load_dword v122, off, s[0:3], 0 offset:436
	buffer_load_dword v121, off, s[0:3], 0 offset:432
	s_waitcnt vmcnt(28)
	v_fma_f64 v[113:114], v[123:124], v[115:116], v[113:114]
	s_clause 0x1
	buffer_load_dword v123, off, s[0:3], 0 offset:304
	buffer_load_dword v124, off, s[0:3], 0 offset:308
	s_waitcnt vmcnt(28) lgkmcnt(0)
	v_fma_f64 v[113:114], v[125:126], v[117:118], v[113:114]
	s_waitcnt vmcnt(26)
	v_fma_f64 v[125:126], v[127:128], v[119:120], v[113:114]
	ds_read2_b64 v[113:116], v112 offset0:99 offset1:100
	ds_read2_b64 v[117:120], v112 offset0:101 offset1:102
	s_waitcnt vmcnt(24) lgkmcnt(1)
	v_fma_f64 v[113:114], v[129:130], v[113:114], v[125:126]
	s_waitcnt vmcnt(22)
	v_fma_f64 v[113:114], v[131:132], v[115:116], v[113:114]
	s_waitcnt vmcnt(20) lgkmcnt(0)
	v_fma_f64 v[113:114], v[133:134], v[117:118], v[113:114]
	s_waitcnt vmcnt(15)
	v_fma_f64 v[125:126], v[135:136], v[119:120], v[113:114]
	ds_read2_b64 v[113:116], v112 offset0:103 offset1:104
	ds_read2_b64 v[117:120], v112 offset0:105 offset1:106
	s_waitcnt vmcnt(14) lgkmcnt(1)
	v_fma_f64 v[113:114], v[141:142], v[113:114], v[125:126]
	s_waitcnt vmcnt(13)
	v_fma_f64 v[113:114], v[139:140], v[115:116], v[113:114]
	s_waitcnt vmcnt(12) lgkmcnt(0)
	v_fma_f64 v[113:114], v[137:138], v[117:118], v[113:114]
	s_waitcnt vmcnt(7)
	v_fma_f64 v[125:126], v[143:144], v[119:120], v[113:114]
	ds_read2_b64 v[113:116], v112 offset0:107 offset1:108
	ds_read2_b64 v[117:120], v112 offset0:109 offset1:110
	s_waitcnt vmcnt(6) lgkmcnt(1)
	v_fma_f64 v[112:113], v[149:150], v[113:114], v[125:126]
	s_waitcnt vmcnt(5)
	v_fma_f64 v[112:113], v[147:148], v[115:116], v[112:113]
	s_waitcnt vmcnt(4) lgkmcnt(0)
	v_fma_f64 v[112:113], v[145:146], v[117:118], v[112:113]
	s_waitcnt vmcnt(2)
	v_fma_f64 v[112:113], v[121:122], v[119:120], v[112:113]
	s_waitcnt vmcnt(0)
	v_add_f64 v[112:113], v[123:124], -v[112:113]
	buffer_store_dword v113, off, s[0:3], 0 offset:308
	buffer_store_dword v112, off, s[0:3], 0 offset:304
	v_cmpx_lt_u32_e32 37, v0
	s_cbranch_execz .LBB118_265
; %bb.264:
	s_clause 0x1
	buffer_load_dword v112, off, s[0:3], 0 offset:296
	buffer_load_dword v113, off, s[0:3], 0 offset:300
	v_mov_b32_e32 v114, 0
	buffer_store_dword v114, off, s[0:3], 0 offset:296
	buffer_store_dword v114, off, s[0:3], 0 offset:300
	s_waitcnt vmcnt(0)
	ds_write_b64 v111, v[112:113]
.LBB118_265:
	s_or_b32 exec_lo, exec_lo, s4
	s_waitcnt lgkmcnt(0)
	s_waitcnt_vscnt null, 0x0
	s_barrier
	buffer_gl0_inv
	s_clause 0x1c
	buffer_load_dword v121, off, s[0:3], 0 offset:304
	buffer_load_dword v122, off, s[0:3], 0 offset:308
	;; [unrolled: 1-line block ×29, first 2 shown]
	v_mov_b32_e32 v112, 0
	buffer_load_dword v146, off, s[0:3], 0 offset:420
	s_mov_b32 s4, exec_lo
	ds_read_b128 v[113:116], v112 offset:752
	ds_read_b128 v[117:120], v112 offset:768
	s_waitcnt vmcnt(28) lgkmcnt(1)
	v_fma_f64 v[113:114], v[121:122], v[113:114], 0
	s_clause 0x3
	buffer_load_dword v122, off, s[0:3], 0 offset:428
	buffer_load_dword v151, off, s[0:3], 0 offset:432
	;; [unrolled: 1-line block ×4, first 2 shown]
	s_waitcnt vmcnt(30)
	v_fma_f64 v[113:114], v[123:124], v[115:116], v[113:114]
	s_clause 0x1
	buffer_load_dword v123, off, s[0:3], 0 offset:296
	buffer_load_dword v124, off, s[0:3], 0 offset:300
	s_waitcnt vmcnt(30) lgkmcnt(0)
	v_fma_f64 v[113:114], v[125:126], v[117:118], v[113:114]
	s_waitcnt vmcnt(28)
	v_fma_f64 v[125:126], v[127:128], v[119:120], v[113:114]
	ds_read_b128 v[113:116], v112 offset:784
	ds_read_b128 v[117:120], v112 offset:800
	s_waitcnt vmcnt(26) lgkmcnt(1)
	v_fma_f64 v[113:114], v[129:130], v[113:114], v[125:126]
	s_waitcnt vmcnt(24)
	v_fma_f64 v[113:114], v[131:132], v[115:116], v[113:114]
	s_waitcnt vmcnt(22) lgkmcnt(0)
	v_fma_f64 v[113:114], v[133:134], v[117:118], v[113:114]
	s_waitcnt vmcnt(17)
	v_fma_f64 v[125:126], v[135:136], v[119:120], v[113:114]
	ds_read_b128 v[113:116], v112 offset:816
	ds_read_b128 v[117:120], v112 offset:832
	s_waitcnt vmcnt(16) lgkmcnt(1)
	v_fma_f64 v[113:114], v[141:142], v[113:114], v[125:126]
	s_waitcnt vmcnt(15)
	v_fma_f64 v[113:114], v[139:140], v[115:116], v[113:114]
	;; [unrolled: 10-line block ×3, first 2 shown]
	ds_read_b64 v[115:116], v112 offset:880
	s_waitcnt vmcnt(6) lgkmcnt(1)
	v_fma_f64 v[113:114], v[145:146], v[117:118], v[113:114]
	s_waitcnt vmcnt(3)
	v_fma_f64 v[113:114], v[121:122], v[119:120], v[113:114]
	s_waitcnt vmcnt(2) lgkmcnt(0)
	v_fma_f64 v[113:114], v[151:152], v[115:116], v[113:114]
	s_waitcnt vmcnt(0)
	v_add_f64 v[113:114], v[123:124], -v[113:114]
	buffer_store_dword v114, off, s[0:3], 0 offset:300
	buffer_store_dword v113, off, s[0:3], 0 offset:296
	v_cmpx_lt_u32_e32 36, v0
	s_cbranch_execz .LBB118_267
; %bb.266:
	s_clause 0x1
	buffer_load_dword v113, off, s[0:3], 0 offset:288
	buffer_load_dword v114, off, s[0:3], 0 offset:292
	buffer_store_dword v112, off, s[0:3], 0 offset:288
	buffer_store_dword v112, off, s[0:3], 0 offset:292
	s_waitcnt vmcnt(0)
	ds_write_b64 v111, v[113:114]
.LBB118_267:
	s_or_b32 exec_lo, exec_lo, s4
	s_waitcnt lgkmcnt(0)
	s_waitcnt_vscnt null, 0x0
	s_barrier
	buffer_gl0_inv
	s_clause 0x1c
	buffer_load_dword v121, off, s[0:3], 0 offset:296
	buffer_load_dword v122, off, s[0:3], 0 offset:300
	;; [unrolled: 1-line block ×29, first 2 shown]
	ds_read2_b64 v[113:116], v112 offset0:93 offset1:94
	ds_read2_b64 v[117:120], v112 offset0:95 offset1:96
	buffer_load_dword v146, off, s[0:3], 0 offset:412
	s_mov_b32 s4, exec_lo
	s_waitcnt vmcnt(28) lgkmcnt(1)
	v_fma_f64 v[113:114], v[121:122], v[113:114], 0
	s_clause 0x5
	buffer_load_dword v122, off, s[0:3], 0 offset:420
	buffer_load_dword v151, off, s[0:3], 0 offset:432
	;; [unrolled: 1-line block ×6, first 2 shown]
	s_waitcnt vmcnt(32)
	v_fma_f64 v[113:114], v[123:124], v[115:116], v[113:114]
	s_waitcnt vmcnt(30) lgkmcnt(0)
	v_fma_f64 v[113:114], v[125:126], v[117:118], v[113:114]
	s_waitcnt vmcnt(28)
	v_fma_f64 v[123:124], v[127:128], v[119:120], v[113:114]
	ds_read2_b64 v[113:116], v112 offset0:97 offset1:98
	s_clause 0x1
	buffer_load_dword v125, off, s[0:3], 0 offset:288
	buffer_load_dword v126, off, s[0:3], 0 offset:292
	ds_read2_b64 v[117:120], v112 offset0:99 offset1:100
	s_waitcnt vmcnt(28) lgkmcnt(1)
	v_fma_f64 v[113:114], v[129:130], v[113:114], v[123:124]
	s_waitcnt vmcnt(26)
	v_fma_f64 v[113:114], v[131:132], v[115:116], v[113:114]
	s_waitcnt vmcnt(24) lgkmcnt(0)
	v_fma_f64 v[113:114], v[133:134], v[117:118], v[113:114]
	s_waitcnt vmcnt(19)
	v_fma_f64 v[123:124], v[135:136], v[119:120], v[113:114]
	ds_read2_b64 v[113:116], v112 offset0:101 offset1:102
	ds_read2_b64 v[117:120], v112 offset0:103 offset1:104
	s_waitcnt vmcnt(18) lgkmcnt(1)
	v_fma_f64 v[113:114], v[141:142], v[113:114], v[123:124]
	s_waitcnt vmcnt(17)
	v_fma_f64 v[113:114], v[139:140], v[115:116], v[113:114]
	s_waitcnt vmcnt(16) lgkmcnt(0)
	v_fma_f64 v[113:114], v[137:138], v[117:118], v[113:114]
	s_waitcnt vmcnt(11)
	v_fma_f64 v[123:124], v[143:144], v[119:120], v[113:114]
	ds_read2_b64 v[113:116], v112 offset0:105 offset1:106
	;; [unrolled: 10-line block ×3, first 2 shown]
	s_waitcnt vmcnt(3) lgkmcnt(0)
	v_fma_f64 v[112:113], v[153:154], v[112:113], v[116:117]
	s_waitcnt vmcnt(2)
	v_fma_f64 v[112:113], v[151:152], v[114:115], v[112:113]
	s_waitcnt vmcnt(0)
	v_add_f64 v[112:113], v[125:126], -v[112:113]
	buffer_store_dword v113, off, s[0:3], 0 offset:292
	buffer_store_dword v112, off, s[0:3], 0 offset:288
	v_cmpx_lt_u32_e32 35, v0
	s_cbranch_execz .LBB118_269
; %bb.268:
	s_clause 0x1
	buffer_load_dword v112, off, s[0:3], 0 offset:280
	buffer_load_dword v113, off, s[0:3], 0 offset:284
	v_mov_b32_e32 v114, 0
	buffer_store_dword v114, off, s[0:3], 0 offset:280
	buffer_store_dword v114, off, s[0:3], 0 offset:284
	s_waitcnt vmcnt(0)
	ds_write_b64 v111, v[112:113]
.LBB118_269:
	s_or_b32 exec_lo, exec_lo, s4
	s_waitcnt lgkmcnt(0)
	s_waitcnt_vscnt null, 0x0
	s_barrier
	buffer_gl0_inv
	s_clause 0x1c
	buffer_load_dword v121, off, s[0:3], 0 offset:288
	buffer_load_dword v122, off, s[0:3], 0 offset:292
	buffer_load_dword v123, off, s[0:3], 0 offset:296
	buffer_load_dword v124, off, s[0:3], 0 offset:300
	buffer_load_dword v125, off, s[0:3], 0 offset:304
	buffer_load_dword v126, off, s[0:3], 0 offset:308
	buffer_load_dword v127, off, s[0:3], 0 offset:312
	buffer_load_dword v128, off, s[0:3], 0 offset:316
	buffer_load_dword v129, off, s[0:3], 0 offset:320
	buffer_load_dword v130, off, s[0:3], 0 offset:324
	buffer_load_dword v131, off, s[0:3], 0 offset:328
	buffer_load_dword v132, off, s[0:3], 0 offset:332
	buffer_load_dword v133, off, s[0:3], 0 offset:336
	buffer_load_dword v134, off, s[0:3], 0 offset:340
	buffer_load_dword v136, off, s[0:3], 0 offset:348
	buffer_load_dword v137, off, s[0:3], 0 offset:368
	buffer_load_dword v139, off, s[0:3], 0 offset:360
	buffer_load_dword v141, off, s[0:3], 0 offset:352
	buffer_load_dword v135, off, s[0:3], 0 offset:344
	buffer_load_dword v142, off, s[0:3], 0 offset:356
	buffer_load_dword v140, off, s[0:3], 0 offset:364
	buffer_load_dword v138, off, s[0:3], 0 offset:372
	buffer_load_dword v144, off, s[0:3], 0 offset:380
	buffer_load_dword v145, off, s[0:3], 0 offset:400
	buffer_load_dword v147, off, s[0:3], 0 offset:392
	buffer_load_dword v149, off, s[0:3], 0 offset:384
	buffer_load_dword v143, off, s[0:3], 0 offset:376
	buffer_load_dword v150, off, s[0:3], 0 offset:388
	buffer_load_dword v148, off, s[0:3], 0 offset:396
	v_mov_b32_e32 v112, 0
	buffer_load_dword v146, off, s[0:3], 0 offset:404
	s_mov_b32 s4, exec_lo
	ds_read_b128 v[113:116], v112 offset:736
	ds_read_b128 v[117:120], v112 offset:752
	s_waitcnt vmcnt(28) lgkmcnt(1)
	v_fma_f64 v[113:114], v[121:122], v[113:114], 0
	s_clause 0x7
	buffer_load_dword v122, off, s[0:3], 0 offset:412
	buffer_load_dword v151, off, s[0:3], 0 offset:432
	;; [unrolled: 1-line block ×8, first 2 shown]
	s_waitcnt vmcnt(34)
	v_fma_f64 v[113:114], v[123:124], v[115:116], v[113:114]
	s_waitcnt vmcnt(32) lgkmcnt(0)
	v_fma_f64 v[113:114], v[125:126], v[117:118], v[113:114]
	s_waitcnt vmcnt(30)
	v_fma_f64 v[123:124], v[127:128], v[119:120], v[113:114]
	ds_read_b128 v[113:116], v112 offset:768
	ds_read_b128 v[117:120], v112 offset:784
	s_waitcnt vmcnt(28) lgkmcnt(1)
	v_fma_f64 v[113:114], v[129:130], v[113:114], v[123:124]
	s_clause 0x1
	buffer_load_dword v123, off, s[0:3], 0 offset:280
	buffer_load_dword v124, off, s[0:3], 0 offset:284
	s_waitcnt vmcnt(28)
	v_fma_f64 v[113:114], v[131:132], v[115:116], v[113:114]
	s_waitcnt vmcnt(26) lgkmcnt(0)
	v_fma_f64 v[113:114], v[133:134], v[117:118], v[113:114]
	s_waitcnt vmcnt(21)
	v_fma_f64 v[125:126], v[135:136], v[119:120], v[113:114]
	ds_read_b128 v[113:116], v112 offset:800
	ds_read_b128 v[117:120], v112 offset:816
	s_waitcnt vmcnt(20) lgkmcnt(1)
	v_fma_f64 v[113:114], v[141:142], v[113:114], v[125:126]
	s_waitcnt vmcnt(19)
	v_fma_f64 v[113:114], v[139:140], v[115:116], v[113:114]
	s_waitcnt vmcnt(18) lgkmcnt(0)
	v_fma_f64 v[113:114], v[137:138], v[117:118], v[113:114]
	s_waitcnt vmcnt(13)
	v_fma_f64 v[125:126], v[143:144], v[119:120], v[113:114]
	ds_read_b128 v[113:116], v112 offset:832
	ds_read_b128 v[117:120], v112 offset:848
	s_waitcnt vmcnt(12) lgkmcnt(1)
	v_fma_f64 v[113:114], v[149:150], v[113:114], v[125:126]
	s_waitcnt vmcnt(11)
	v_fma_f64 v[113:114], v[147:148], v[115:116], v[113:114]
	s_waitcnt vmcnt(10) lgkmcnt(0)
	v_fma_f64 v[113:114], v[145:146], v[117:118], v[113:114]
	s_waitcnt vmcnt(5)
	v_fma_f64 v[117:118], v[121:122], v[119:120], v[113:114]
	ds_read_b128 v[113:116], v112 offset:864
	ds_read_b64 v[119:120], v112 offset:880
	s_waitcnt vmcnt(4) lgkmcnt(1)
	v_fma_f64 v[113:114], v[155:156], v[113:114], v[117:118]
	s_waitcnt vmcnt(3)
	v_fma_f64 v[113:114], v[153:154], v[115:116], v[113:114]
	s_waitcnt vmcnt(2) lgkmcnt(0)
	v_fma_f64 v[113:114], v[151:152], v[119:120], v[113:114]
	s_waitcnt vmcnt(0)
	v_add_f64 v[113:114], v[123:124], -v[113:114]
	buffer_store_dword v114, off, s[0:3], 0 offset:284
	buffer_store_dword v113, off, s[0:3], 0 offset:280
	v_cmpx_lt_u32_e32 34, v0
	s_cbranch_execz .LBB118_271
; %bb.270:
	s_clause 0x1
	buffer_load_dword v113, off, s[0:3], 0 offset:272
	buffer_load_dword v114, off, s[0:3], 0 offset:276
	buffer_store_dword v112, off, s[0:3], 0 offset:272
	buffer_store_dword v112, off, s[0:3], 0 offset:276
	s_waitcnt vmcnt(0)
	ds_write_b64 v111, v[113:114]
.LBB118_271:
	s_or_b32 exec_lo, exec_lo, s4
	s_waitcnt lgkmcnt(0)
	s_waitcnt_vscnt null, 0x0
	s_barrier
	buffer_gl0_inv
	s_clause 0x1c
	buffer_load_dword v121, off, s[0:3], 0 offset:280
	buffer_load_dword v122, off, s[0:3], 0 offset:284
	;; [unrolled: 1-line block ×29, first 2 shown]
	ds_read2_b64 v[113:116], v112 offset0:91 offset1:92
	ds_read2_b64 v[117:120], v112 offset0:93 offset1:94
	buffer_load_dword v146, off, s[0:3], 0 offset:396
	s_mov_b32 s4, exec_lo
	s_waitcnt vmcnt(28) lgkmcnt(1)
	v_fma_f64 v[113:114], v[121:122], v[113:114], 0
	s_clause 0x7
	buffer_load_dword v122, off, s[0:3], 0 offset:404
	buffer_load_dword v151, off, s[0:3], 0 offset:424
	;; [unrolled: 1-line block ×8, first 2 shown]
	s_waitcnt vmcnt(34)
	v_fma_f64 v[113:114], v[123:124], v[115:116], v[113:114]
	s_waitcnt vmcnt(32) lgkmcnt(0)
	v_fma_f64 v[113:114], v[125:126], v[117:118], v[113:114]
	s_waitcnt vmcnt(30)
	v_fma_f64 v[123:124], v[127:128], v[119:120], v[113:114]
	ds_read2_b64 v[113:116], v112 offset0:95 offset1:96
	ds_read2_b64 v[117:120], v112 offset0:97 offset1:98
	s_waitcnt vmcnt(28) lgkmcnt(1)
	v_fma_f64 v[113:114], v[129:130], v[113:114], v[123:124]
	s_clause 0x3
	buffer_load_dword v124, off, s[0:3], 0 offset:436
	buffer_load_dword v123, off, s[0:3], 0 offset:432
	;; [unrolled: 1-line block ×4, first 2 shown]
	s_waitcnt vmcnt(30)
	v_fma_f64 v[113:114], v[131:132], v[115:116], v[113:114]
	s_waitcnt vmcnt(28) lgkmcnt(0)
	v_fma_f64 v[113:114], v[133:134], v[117:118], v[113:114]
	s_waitcnt vmcnt(23)
	v_fma_f64 v[127:128], v[135:136], v[119:120], v[113:114]
	ds_read2_b64 v[113:116], v112 offset0:99 offset1:100
	ds_read2_b64 v[117:120], v112 offset0:101 offset1:102
	s_waitcnt vmcnt(22) lgkmcnt(1)
	v_fma_f64 v[113:114], v[141:142], v[113:114], v[127:128]
	s_waitcnt vmcnt(21)
	v_fma_f64 v[113:114], v[139:140], v[115:116], v[113:114]
	s_waitcnt vmcnt(20) lgkmcnt(0)
	v_fma_f64 v[113:114], v[137:138], v[117:118], v[113:114]
	s_waitcnt vmcnt(15)
	v_fma_f64 v[127:128], v[143:144], v[119:120], v[113:114]
	ds_read2_b64 v[113:116], v112 offset0:103 offset1:104
	ds_read2_b64 v[117:120], v112 offset0:105 offset1:106
	s_waitcnt vmcnt(14) lgkmcnt(1)
	v_fma_f64 v[113:114], v[149:150], v[113:114], v[127:128]
	;; [unrolled: 10-line block ×3, first 2 shown]
	s_waitcnt vmcnt(5)
	v_fma_f64 v[112:113], v[153:154], v[115:116], v[112:113]
	s_waitcnt vmcnt(4) lgkmcnt(0)
	v_fma_f64 v[112:113], v[151:152], v[117:118], v[112:113]
	s_waitcnt vmcnt(2)
	v_fma_f64 v[112:113], v[123:124], v[119:120], v[112:113]
	s_waitcnt vmcnt(0)
	v_add_f64 v[112:113], v[125:126], -v[112:113]
	buffer_store_dword v113, off, s[0:3], 0 offset:276
	buffer_store_dword v112, off, s[0:3], 0 offset:272
	v_cmpx_lt_u32_e32 33, v0
	s_cbranch_execz .LBB118_273
; %bb.272:
	s_clause 0x1
	buffer_load_dword v112, off, s[0:3], 0 offset:264
	buffer_load_dword v113, off, s[0:3], 0 offset:268
	v_mov_b32_e32 v114, 0
	buffer_store_dword v114, off, s[0:3], 0 offset:264
	buffer_store_dword v114, off, s[0:3], 0 offset:268
	s_waitcnt vmcnt(0)
	ds_write_b64 v111, v[112:113]
.LBB118_273:
	s_or_b32 exec_lo, exec_lo, s4
	s_waitcnt lgkmcnt(0)
	s_waitcnt_vscnt null, 0x0
	s_barrier
	buffer_gl0_inv
	s_clause 0x1c
	buffer_load_dword v121, off, s[0:3], 0 offset:272
	buffer_load_dword v122, off, s[0:3], 0 offset:276
	;; [unrolled: 1-line block ×29, first 2 shown]
	v_mov_b32_e32 v112, 0
	buffer_load_dword v146, off, s[0:3], 0 offset:388
	s_mov_b32 s4, exec_lo
	ds_read_b128 v[113:116], v112 offset:720
	ds_read_b128 v[117:120], v112 offset:736
	s_waitcnt vmcnt(28) lgkmcnt(1)
	v_fma_f64 v[113:114], v[121:122], v[113:114], 0
	s_clause 0x7
	buffer_load_dword v122, off, s[0:3], 0 offset:396
	buffer_load_dword v151, off, s[0:3], 0 offset:416
	;; [unrolled: 1-line block ×8, first 2 shown]
	s_waitcnt vmcnt(34)
	v_fma_f64 v[113:114], v[123:124], v[115:116], v[113:114]
	s_waitcnt vmcnt(32) lgkmcnt(0)
	v_fma_f64 v[113:114], v[125:126], v[117:118], v[113:114]
	s_waitcnt vmcnt(30)
	v_fma_f64 v[123:124], v[127:128], v[119:120], v[113:114]
	ds_read_b128 v[113:116], v112 offset:752
	ds_read_b128 v[117:120], v112 offset:768
	s_waitcnt vmcnt(28) lgkmcnt(1)
	v_fma_f64 v[113:114], v[129:130], v[113:114], v[123:124]
	s_clause 0x5
	buffer_load_dword v124, off, s[0:3], 0 offset:428
	buffer_load_dword v125, off, s[0:3], 0 offset:432
	;; [unrolled: 1-line block ×6, first 2 shown]
	s_waitcnt vmcnt(32)
	v_fma_f64 v[113:114], v[131:132], v[115:116], v[113:114]
	s_waitcnt vmcnt(30) lgkmcnt(0)
	v_fma_f64 v[113:114], v[133:134], v[117:118], v[113:114]
	s_waitcnt vmcnt(25)
	v_fma_f64 v[129:130], v[135:136], v[119:120], v[113:114]
	ds_read_b128 v[113:116], v112 offset:784
	ds_read_b128 v[117:120], v112 offset:800
	s_waitcnt vmcnt(24) lgkmcnt(1)
	v_fma_f64 v[113:114], v[141:142], v[113:114], v[129:130]
	s_waitcnt vmcnt(23)
	v_fma_f64 v[113:114], v[139:140], v[115:116], v[113:114]
	s_waitcnt vmcnt(22) lgkmcnt(0)
	v_fma_f64 v[113:114], v[137:138], v[117:118], v[113:114]
	s_waitcnt vmcnt(17)
	v_fma_f64 v[129:130], v[143:144], v[119:120], v[113:114]
	ds_read_b128 v[113:116], v112 offset:816
	ds_read_b128 v[117:120], v112 offset:832
	s_waitcnt vmcnt(16) lgkmcnt(1)
	v_fma_f64 v[113:114], v[149:150], v[113:114], v[129:130]
	;; [unrolled: 10-line block ×3, first 2 shown]
	s_waitcnt vmcnt(7)
	v_fma_f64 v[113:114], v[153:154], v[115:116], v[113:114]
	ds_read_b64 v[115:116], v112 offset:880
	s_waitcnt vmcnt(6) lgkmcnt(1)
	v_fma_f64 v[113:114], v[151:152], v[117:118], v[113:114]
	s_waitcnt vmcnt(3)
	v_fma_f64 v[113:114], v[123:124], v[119:120], v[113:114]
	s_waitcnt vmcnt(2) lgkmcnt(0)
	v_fma_f64 v[113:114], v[125:126], v[115:116], v[113:114]
	s_waitcnt vmcnt(0)
	v_add_f64 v[113:114], v[127:128], -v[113:114]
	buffer_store_dword v114, off, s[0:3], 0 offset:268
	buffer_store_dword v113, off, s[0:3], 0 offset:264
	v_cmpx_lt_u32_e32 32, v0
	s_cbranch_execz .LBB118_275
; %bb.274:
	s_clause 0x1
	buffer_load_dword v113, off, s[0:3], 0 offset:256
	buffer_load_dword v114, off, s[0:3], 0 offset:260
	buffer_store_dword v112, off, s[0:3], 0 offset:256
	buffer_store_dword v112, off, s[0:3], 0 offset:260
	s_waitcnt vmcnt(0)
	ds_write_b64 v111, v[113:114]
.LBB118_275:
	s_or_b32 exec_lo, exec_lo, s4
	s_waitcnt lgkmcnt(0)
	s_waitcnt_vscnt null, 0x0
	s_barrier
	buffer_gl0_inv
	s_clause 0x1c
	buffer_load_dword v121, off, s[0:3], 0 offset:264
	buffer_load_dword v122, off, s[0:3], 0 offset:268
	;; [unrolled: 1-line block ×29, first 2 shown]
	ds_read2_b64 v[113:116], v112 offset0:89 offset1:90
	ds_read2_b64 v[117:120], v112 offset0:91 offset1:92
	buffer_load_dword v146, off, s[0:3], 0 offset:380
	s_mov_b32 s4, exec_lo
	s_waitcnt vmcnt(28) lgkmcnt(1)
	v_fma_f64 v[113:114], v[121:122], v[113:114], 0
	s_clause 0x7
	buffer_load_dword v122, off, s[0:3], 0 offset:388
	buffer_load_dword v151, off, s[0:3], 0 offset:408
	;; [unrolled: 1-line block ×8, first 2 shown]
	s_waitcnt vmcnt(34)
	v_fma_f64 v[113:114], v[123:124], v[115:116], v[113:114]
	s_waitcnt vmcnt(32) lgkmcnt(0)
	v_fma_f64 v[113:114], v[125:126], v[117:118], v[113:114]
	s_waitcnt vmcnt(30)
	v_fma_f64 v[123:124], v[127:128], v[119:120], v[113:114]
	ds_read2_b64 v[113:116], v112 offset0:93 offset1:94
	ds_read2_b64 v[117:120], v112 offset0:95 offset1:96
	s_waitcnt vmcnt(28) lgkmcnt(1)
	v_fma_f64 v[113:114], v[129:130], v[113:114], v[123:124]
	s_clause 0x5
	buffer_load_dword v124, off, s[0:3], 0 offset:420
	buffer_load_dword v125, off, s[0:3], 0 offset:432
	;; [unrolled: 1-line block ×6, first 2 shown]
	s_waitcnt vmcnt(32)
	v_fma_f64 v[113:114], v[131:132], v[115:116], v[113:114]
	s_waitcnt vmcnt(30) lgkmcnt(0)
	v_fma_f64 v[113:114], v[133:134], v[117:118], v[113:114]
	s_waitcnt vmcnt(25)
	v_fma_f64 v[129:130], v[135:136], v[119:120], v[113:114]
	ds_read2_b64 v[113:116], v112 offset0:97 offset1:98
	s_clause 0x1
	buffer_load_dword v131, off, s[0:3], 0 offset:256
	buffer_load_dword v132, off, s[0:3], 0 offset:260
	ds_read2_b64 v[117:120], v112 offset0:99 offset1:100
	s_waitcnt vmcnt(26) lgkmcnt(1)
	v_fma_f64 v[113:114], v[141:142], v[113:114], v[129:130]
	s_waitcnt vmcnt(25)
	v_fma_f64 v[113:114], v[139:140], v[115:116], v[113:114]
	s_waitcnt vmcnt(24) lgkmcnt(0)
	v_fma_f64 v[113:114], v[137:138], v[117:118], v[113:114]
	s_waitcnt vmcnt(19)
	v_fma_f64 v[129:130], v[143:144], v[119:120], v[113:114]
	ds_read2_b64 v[113:116], v112 offset0:101 offset1:102
	ds_read2_b64 v[117:120], v112 offset0:103 offset1:104
	s_waitcnt vmcnt(18) lgkmcnt(1)
	v_fma_f64 v[113:114], v[149:150], v[113:114], v[129:130]
	s_waitcnt vmcnt(17)
	v_fma_f64 v[113:114], v[147:148], v[115:116], v[113:114]
	s_waitcnt vmcnt(16) lgkmcnt(0)
	v_fma_f64 v[113:114], v[145:146], v[117:118], v[113:114]
	s_waitcnt vmcnt(11)
	v_fma_f64 v[121:122], v[121:122], v[119:120], v[113:114]
	ds_read2_b64 v[113:116], v112 offset0:105 offset1:106
	ds_read2_b64 v[117:120], v112 offset0:107 offset1:108
	s_waitcnt vmcnt(10) lgkmcnt(1)
	v_fma_f64 v[113:114], v[155:156], v[113:114], v[121:122]
	s_waitcnt vmcnt(9)
	v_fma_f64 v[113:114], v[153:154], v[115:116], v[113:114]
	s_waitcnt vmcnt(8) lgkmcnt(0)
	v_fma_f64 v[113:114], v[151:152], v[117:118], v[113:114]
	s_waitcnt vmcnt(4)
	v_fma_f64 v[116:117], v[123:124], v[119:120], v[113:114]
	ds_read2_b64 v[112:115], v112 offset0:109 offset1:110
	s_waitcnt vmcnt(3) lgkmcnt(0)
	v_fma_f64 v[112:113], v[127:128], v[112:113], v[116:117]
	s_waitcnt vmcnt(2)
	v_fma_f64 v[112:113], v[125:126], v[114:115], v[112:113]
	s_waitcnt vmcnt(0)
	v_add_f64 v[112:113], v[131:132], -v[112:113]
	buffer_store_dword v113, off, s[0:3], 0 offset:260
	buffer_store_dword v112, off, s[0:3], 0 offset:256
	v_cmpx_lt_u32_e32 31, v0
	s_cbranch_execz .LBB118_277
; %bb.276:
	s_clause 0x1
	buffer_load_dword v112, off, s[0:3], 0 offset:248
	buffer_load_dword v113, off, s[0:3], 0 offset:252
	v_mov_b32_e32 v114, 0
	buffer_store_dword v114, off, s[0:3], 0 offset:248
	buffer_store_dword v114, off, s[0:3], 0 offset:252
	s_waitcnt vmcnt(0)
	ds_write_b64 v111, v[112:113]
.LBB118_277:
	s_or_b32 exec_lo, exec_lo, s4
	s_waitcnt lgkmcnt(0)
	s_waitcnt_vscnt null, 0x0
	s_barrier
	buffer_gl0_inv
	s_clause 0x1c
	buffer_load_dword v121, off, s[0:3], 0 offset:256
	buffer_load_dword v122, off, s[0:3], 0 offset:260
	;; [unrolled: 1-line block ×29, first 2 shown]
	v_mov_b32_e32 v112, 0
	buffer_load_dword v146, off, s[0:3], 0 offset:372
	s_mov_b32 s4, exec_lo
	ds_read_b128 v[113:116], v112 offset:704
	ds_read_b128 v[117:120], v112 offset:720
	s_waitcnt vmcnt(28) lgkmcnt(1)
	v_fma_f64 v[113:114], v[121:122], v[113:114], 0
	s_clause 0x7
	buffer_load_dword v122, off, s[0:3], 0 offset:380
	buffer_load_dword v151, off, s[0:3], 0 offset:400
	;; [unrolled: 1-line block ×8, first 2 shown]
	s_waitcnt vmcnt(34)
	v_fma_f64 v[113:114], v[123:124], v[115:116], v[113:114]
	s_waitcnt vmcnt(32) lgkmcnt(0)
	v_fma_f64 v[113:114], v[125:126], v[117:118], v[113:114]
	s_waitcnt vmcnt(30)
	v_fma_f64 v[123:124], v[127:128], v[119:120], v[113:114]
	ds_read_b128 v[113:116], v112 offset:736
	ds_read_b128 v[117:120], v112 offset:752
	s_waitcnt vmcnt(28) lgkmcnt(1)
	v_fma_f64 v[113:114], v[129:130], v[113:114], v[123:124]
	s_clause 0x7
	buffer_load_dword v124, off, s[0:3], 0 offset:412
	buffer_load_dword v125, off, s[0:3], 0 offset:432
	buffer_load_dword v127, off, s[0:3], 0 offset:424
	buffer_load_dword v129, off, s[0:3], 0 offset:416
	buffer_load_dword v123, off, s[0:3], 0 offset:408
	buffer_load_dword v130, off, s[0:3], 0 offset:420
	buffer_load_dword v128, off, s[0:3], 0 offset:428
	buffer_load_dword v126, off, s[0:3], 0 offset:436
	s_waitcnt vmcnt(34)
	v_fma_f64 v[113:114], v[131:132], v[115:116], v[113:114]
	s_waitcnt vmcnt(32) lgkmcnt(0)
	v_fma_f64 v[113:114], v[133:134], v[117:118], v[113:114]
	s_waitcnt vmcnt(27)
	v_fma_f64 v[131:132], v[135:136], v[119:120], v[113:114]
	ds_read_b128 v[113:116], v112 offset:768
	ds_read_b128 v[117:120], v112 offset:784
	s_waitcnt vmcnt(26) lgkmcnt(1)
	v_fma_f64 v[113:114], v[141:142], v[113:114], v[131:132]
	s_clause 0x1
	buffer_load_dword v131, off, s[0:3], 0 offset:248
	buffer_load_dword v132, off, s[0:3], 0 offset:252
	s_waitcnt vmcnt(27)
	v_fma_f64 v[113:114], v[139:140], v[115:116], v[113:114]
	s_waitcnt vmcnt(26) lgkmcnt(0)
	v_fma_f64 v[113:114], v[137:138], v[117:118], v[113:114]
	s_waitcnt vmcnt(21)
	v_fma_f64 v[133:134], v[143:144], v[119:120], v[113:114]
	ds_read_b128 v[113:116], v112 offset:800
	ds_read_b128 v[117:120], v112 offset:816
	s_waitcnt vmcnt(20) lgkmcnt(1)
	v_fma_f64 v[113:114], v[149:150], v[113:114], v[133:134]
	s_waitcnt vmcnt(19)
	v_fma_f64 v[113:114], v[147:148], v[115:116], v[113:114]
	s_waitcnt vmcnt(18) lgkmcnt(0)
	v_fma_f64 v[113:114], v[145:146], v[117:118], v[113:114]
	s_waitcnt vmcnt(13)
	v_fma_f64 v[121:122], v[121:122], v[119:120], v[113:114]
	ds_read_b128 v[113:116], v112 offset:832
	ds_read_b128 v[117:120], v112 offset:848
	s_waitcnt vmcnt(12) lgkmcnt(1)
	v_fma_f64 v[113:114], v[155:156], v[113:114], v[121:122]
	s_waitcnt vmcnt(11)
	v_fma_f64 v[113:114], v[153:154], v[115:116], v[113:114]
	s_waitcnt vmcnt(10) lgkmcnt(0)
	v_fma_f64 v[113:114], v[151:152], v[117:118], v[113:114]
	s_waitcnt vmcnt(5)
	v_fma_f64 v[117:118], v[123:124], v[119:120], v[113:114]
	ds_read_b128 v[113:116], v112 offset:864
	ds_read_b64 v[119:120], v112 offset:880
	s_waitcnt vmcnt(4) lgkmcnt(1)
	v_fma_f64 v[113:114], v[129:130], v[113:114], v[117:118]
	s_waitcnt vmcnt(3)
	v_fma_f64 v[113:114], v[127:128], v[115:116], v[113:114]
	s_waitcnt vmcnt(2) lgkmcnt(0)
	v_fma_f64 v[113:114], v[125:126], v[119:120], v[113:114]
	s_waitcnt vmcnt(0)
	v_add_f64 v[113:114], v[131:132], -v[113:114]
	buffer_store_dword v114, off, s[0:3], 0 offset:252
	buffer_store_dword v113, off, s[0:3], 0 offset:248
	v_cmpx_lt_u32_e32 30, v0
	s_cbranch_execz .LBB118_279
; %bb.278:
	s_clause 0x1
	buffer_load_dword v113, off, s[0:3], 0 offset:240
	buffer_load_dword v114, off, s[0:3], 0 offset:244
	buffer_store_dword v112, off, s[0:3], 0 offset:240
	buffer_store_dword v112, off, s[0:3], 0 offset:244
	s_waitcnt vmcnt(0)
	ds_write_b64 v111, v[113:114]
.LBB118_279:
	s_or_b32 exec_lo, exec_lo, s4
	s_waitcnt lgkmcnt(0)
	s_waitcnt_vscnt null, 0x0
	s_barrier
	buffer_gl0_inv
	s_clause 0x1c
	buffer_load_dword v121, off, s[0:3], 0 offset:248
	buffer_load_dword v122, off, s[0:3], 0 offset:252
	;; [unrolled: 1-line block ×29, first 2 shown]
	ds_read2_b64 v[113:116], v112 offset0:87 offset1:88
	ds_read2_b64 v[117:120], v112 offset0:89 offset1:90
	buffer_load_dword v146, off, s[0:3], 0 offset:364
	s_mov_b32 s4, exec_lo
	s_waitcnt vmcnt(28) lgkmcnt(1)
	v_fma_f64 v[113:114], v[121:122], v[113:114], 0
	s_clause 0x7
	buffer_load_dword v122, off, s[0:3], 0 offset:372
	buffer_load_dword v151, off, s[0:3], 0 offset:392
	;; [unrolled: 1-line block ×8, first 2 shown]
	s_waitcnt vmcnt(34)
	v_fma_f64 v[113:114], v[123:124], v[115:116], v[113:114]
	s_waitcnt vmcnt(32) lgkmcnt(0)
	v_fma_f64 v[113:114], v[125:126], v[117:118], v[113:114]
	s_waitcnt vmcnt(30)
	v_fma_f64 v[123:124], v[127:128], v[119:120], v[113:114]
	ds_read2_b64 v[113:116], v112 offset0:91 offset1:92
	ds_read2_b64 v[117:120], v112 offset0:93 offset1:94
	s_waitcnt vmcnt(28) lgkmcnt(1)
	v_fma_f64 v[113:114], v[129:130], v[113:114], v[123:124]
	s_clause 0x7
	buffer_load_dword v124, off, s[0:3], 0 offset:404
	buffer_load_dword v125, off, s[0:3], 0 offset:424
	;; [unrolled: 1-line block ×8, first 2 shown]
	s_waitcnt vmcnt(34)
	v_fma_f64 v[113:114], v[131:132], v[115:116], v[113:114]
	s_waitcnt vmcnt(32) lgkmcnt(0)
	v_fma_f64 v[113:114], v[133:134], v[117:118], v[113:114]
	s_waitcnt vmcnt(27)
	v_fma_f64 v[131:132], v[135:136], v[119:120], v[113:114]
	ds_read2_b64 v[113:116], v112 offset0:95 offset1:96
	ds_read2_b64 v[117:120], v112 offset0:97 offset1:98
	s_waitcnt vmcnt(26) lgkmcnt(1)
	v_fma_f64 v[113:114], v[141:142], v[113:114], v[131:132]
	s_clause 0x3
	buffer_load_dword v132, off, s[0:3], 0 offset:436
	buffer_load_dword v131, off, s[0:3], 0 offset:432
	;; [unrolled: 1-line block ×4, first 2 shown]
	s_waitcnt vmcnt(29)
	v_fma_f64 v[113:114], v[139:140], v[115:116], v[113:114]
	s_waitcnt vmcnt(28) lgkmcnt(0)
	v_fma_f64 v[113:114], v[137:138], v[117:118], v[113:114]
	s_waitcnt vmcnt(23)
	v_fma_f64 v[135:136], v[143:144], v[119:120], v[113:114]
	ds_read2_b64 v[113:116], v112 offset0:99 offset1:100
	ds_read2_b64 v[117:120], v112 offset0:101 offset1:102
	s_waitcnt vmcnt(22) lgkmcnt(1)
	v_fma_f64 v[113:114], v[149:150], v[113:114], v[135:136]
	s_waitcnt vmcnt(21)
	v_fma_f64 v[113:114], v[147:148], v[115:116], v[113:114]
	s_waitcnt vmcnt(20) lgkmcnt(0)
	v_fma_f64 v[113:114], v[145:146], v[117:118], v[113:114]
	s_waitcnt vmcnt(15)
	v_fma_f64 v[121:122], v[121:122], v[119:120], v[113:114]
	ds_read2_b64 v[113:116], v112 offset0:103 offset1:104
	ds_read2_b64 v[117:120], v112 offset0:105 offset1:106
	s_waitcnt vmcnt(14) lgkmcnt(1)
	v_fma_f64 v[113:114], v[155:156], v[113:114], v[121:122]
	;; [unrolled: 10-line block ×3, first 2 shown]
	s_waitcnt vmcnt(5)
	v_fma_f64 v[112:113], v[127:128], v[115:116], v[112:113]
	s_waitcnt vmcnt(4) lgkmcnt(0)
	v_fma_f64 v[112:113], v[125:126], v[117:118], v[112:113]
	s_waitcnt vmcnt(2)
	v_fma_f64 v[112:113], v[131:132], v[119:120], v[112:113]
	s_waitcnt vmcnt(0)
	v_add_f64 v[112:113], v[133:134], -v[112:113]
	buffer_store_dword v113, off, s[0:3], 0 offset:244
	buffer_store_dword v112, off, s[0:3], 0 offset:240
	v_cmpx_lt_u32_e32 29, v0
	s_cbranch_execz .LBB118_281
; %bb.280:
	s_clause 0x1
	buffer_load_dword v112, off, s[0:3], 0 offset:232
	buffer_load_dword v113, off, s[0:3], 0 offset:236
	v_mov_b32_e32 v114, 0
	buffer_store_dword v114, off, s[0:3], 0 offset:232
	buffer_store_dword v114, off, s[0:3], 0 offset:236
	s_waitcnt vmcnt(0)
	ds_write_b64 v111, v[112:113]
.LBB118_281:
	s_or_b32 exec_lo, exec_lo, s4
	s_waitcnt lgkmcnt(0)
	s_waitcnt_vscnt null, 0x0
	s_barrier
	buffer_gl0_inv
	s_clause 0x1c
	buffer_load_dword v121, off, s[0:3], 0 offset:240
	buffer_load_dword v122, off, s[0:3], 0 offset:244
	;; [unrolled: 1-line block ×29, first 2 shown]
	v_mov_b32_e32 v112, 0
	buffer_load_dword v146, off, s[0:3], 0 offset:356
	s_mov_b32 s4, exec_lo
	ds_read_b128 v[113:116], v112 offset:688
	ds_read_b128 v[117:120], v112 offset:704
	s_waitcnt vmcnt(28) lgkmcnt(1)
	v_fma_f64 v[113:114], v[121:122], v[113:114], 0
	s_clause 0x7
	buffer_load_dword v122, off, s[0:3], 0 offset:364
	buffer_load_dword v151, off, s[0:3], 0 offset:384
	;; [unrolled: 1-line block ×8, first 2 shown]
	s_waitcnt vmcnt(34)
	v_fma_f64 v[113:114], v[123:124], v[115:116], v[113:114]
	s_waitcnt vmcnt(32) lgkmcnt(0)
	v_fma_f64 v[113:114], v[125:126], v[117:118], v[113:114]
	s_waitcnt vmcnt(30)
	v_fma_f64 v[123:124], v[127:128], v[119:120], v[113:114]
	ds_read_b128 v[113:116], v112 offset:720
	ds_read_b128 v[117:120], v112 offset:736
	s_waitcnt vmcnt(28) lgkmcnt(1)
	v_fma_f64 v[113:114], v[129:130], v[113:114], v[123:124]
	s_clause 0x7
	buffer_load_dword v124, off, s[0:3], 0 offset:396
	buffer_load_dword v125, off, s[0:3], 0 offset:416
	;; [unrolled: 1-line block ×8, first 2 shown]
	s_waitcnt vmcnt(34)
	v_fma_f64 v[113:114], v[131:132], v[115:116], v[113:114]
	s_waitcnt vmcnt(32) lgkmcnt(0)
	v_fma_f64 v[113:114], v[133:134], v[117:118], v[113:114]
	s_waitcnt vmcnt(27)
	v_fma_f64 v[131:132], v[135:136], v[119:120], v[113:114]
	ds_read_b128 v[113:116], v112 offset:752
	ds_read_b128 v[117:120], v112 offset:768
	s_waitcnt vmcnt(26) lgkmcnt(1)
	v_fma_f64 v[113:114], v[141:142], v[113:114], v[131:132]
	s_clause 0x5
	buffer_load_dword v132, off, s[0:3], 0 offset:428
	buffer_load_dword v133, off, s[0:3], 0 offset:432
	;; [unrolled: 1-line block ×6, first 2 shown]
	s_waitcnt vmcnt(31)
	v_fma_f64 v[113:114], v[139:140], v[115:116], v[113:114]
	s_waitcnt vmcnt(30) lgkmcnt(0)
	v_fma_f64 v[113:114], v[137:138], v[117:118], v[113:114]
	s_waitcnt vmcnt(25)
	v_fma_f64 v[137:138], v[143:144], v[119:120], v[113:114]
	ds_read_b128 v[113:116], v112 offset:784
	ds_read_b128 v[117:120], v112 offset:800
	s_waitcnt vmcnt(24) lgkmcnt(1)
	v_fma_f64 v[113:114], v[149:150], v[113:114], v[137:138]
	s_waitcnt vmcnt(23)
	v_fma_f64 v[113:114], v[147:148], v[115:116], v[113:114]
	s_waitcnt vmcnt(22) lgkmcnt(0)
	v_fma_f64 v[113:114], v[145:146], v[117:118], v[113:114]
	s_waitcnt vmcnt(17)
	v_fma_f64 v[121:122], v[121:122], v[119:120], v[113:114]
	ds_read_b128 v[113:116], v112 offset:816
	ds_read_b128 v[117:120], v112 offset:832
	s_waitcnt vmcnt(16) lgkmcnt(1)
	v_fma_f64 v[113:114], v[155:156], v[113:114], v[121:122]
	;; [unrolled: 10-line block ×3, first 2 shown]
	s_waitcnt vmcnt(7)
	v_fma_f64 v[113:114], v[127:128], v[115:116], v[113:114]
	ds_read_b64 v[115:116], v112 offset:880
	s_waitcnt vmcnt(6) lgkmcnt(1)
	v_fma_f64 v[113:114], v[125:126], v[117:118], v[113:114]
	s_waitcnt vmcnt(3)
	v_fma_f64 v[113:114], v[131:132], v[119:120], v[113:114]
	s_waitcnt vmcnt(2) lgkmcnt(0)
	v_fma_f64 v[113:114], v[133:134], v[115:116], v[113:114]
	s_waitcnt vmcnt(0)
	v_add_f64 v[113:114], v[135:136], -v[113:114]
	buffer_store_dword v114, off, s[0:3], 0 offset:236
	buffer_store_dword v113, off, s[0:3], 0 offset:232
	v_cmpx_lt_u32_e32 28, v0
	s_cbranch_execz .LBB118_283
; %bb.282:
	s_clause 0x1
	buffer_load_dword v113, off, s[0:3], 0 offset:224
	buffer_load_dword v114, off, s[0:3], 0 offset:228
	buffer_store_dword v112, off, s[0:3], 0 offset:224
	buffer_store_dword v112, off, s[0:3], 0 offset:228
	s_waitcnt vmcnt(0)
	ds_write_b64 v111, v[113:114]
.LBB118_283:
	s_or_b32 exec_lo, exec_lo, s4
	s_waitcnt lgkmcnt(0)
	s_waitcnt_vscnt null, 0x0
	s_barrier
	buffer_gl0_inv
	s_clause 0x1c
	buffer_load_dword v121, off, s[0:3], 0 offset:232
	buffer_load_dword v122, off, s[0:3], 0 offset:236
	;; [unrolled: 1-line block ×29, first 2 shown]
	ds_read2_b64 v[113:116], v112 offset0:85 offset1:86
	ds_read2_b64 v[117:120], v112 offset0:87 offset1:88
	buffer_load_dword v146, off, s[0:3], 0 offset:348
	s_mov_b32 s4, exec_lo
	s_waitcnt vmcnt(28) lgkmcnt(1)
	v_fma_f64 v[113:114], v[121:122], v[113:114], 0
	s_clause 0x7
	buffer_load_dword v122, off, s[0:3], 0 offset:356
	buffer_load_dword v151, off, s[0:3], 0 offset:376
	;; [unrolled: 1-line block ×8, first 2 shown]
	s_waitcnt vmcnt(34)
	v_fma_f64 v[113:114], v[123:124], v[115:116], v[113:114]
	s_waitcnt vmcnt(32) lgkmcnt(0)
	v_fma_f64 v[113:114], v[125:126], v[117:118], v[113:114]
	s_waitcnt vmcnt(30)
	v_fma_f64 v[123:124], v[127:128], v[119:120], v[113:114]
	ds_read2_b64 v[113:116], v112 offset0:89 offset1:90
	ds_read2_b64 v[117:120], v112 offset0:91 offset1:92
	s_waitcnt vmcnt(28) lgkmcnt(1)
	v_fma_f64 v[113:114], v[129:130], v[113:114], v[123:124]
	s_clause 0x7
	buffer_load_dword v124, off, s[0:3], 0 offset:388
	buffer_load_dword v125, off, s[0:3], 0 offset:408
	;; [unrolled: 1-line block ×8, first 2 shown]
	s_waitcnt vmcnt(34)
	v_fma_f64 v[113:114], v[131:132], v[115:116], v[113:114]
	s_waitcnt vmcnt(32) lgkmcnt(0)
	v_fma_f64 v[113:114], v[133:134], v[117:118], v[113:114]
	s_waitcnt vmcnt(27)
	v_fma_f64 v[131:132], v[135:136], v[119:120], v[113:114]
	ds_read2_b64 v[113:116], v112 offset0:93 offset1:94
	ds_read2_b64 v[117:120], v112 offset0:95 offset1:96
	s_waitcnt vmcnt(26) lgkmcnt(1)
	v_fma_f64 v[113:114], v[141:142], v[113:114], v[131:132]
	s_clause 0x5
	buffer_load_dword v132, off, s[0:3], 0 offset:420
	buffer_load_dword v133, off, s[0:3], 0 offset:432
	;; [unrolled: 1-line block ×6, first 2 shown]
	s_waitcnt vmcnt(31)
	v_fma_f64 v[113:114], v[139:140], v[115:116], v[113:114]
	s_waitcnt vmcnt(30) lgkmcnt(0)
	v_fma_f64 v[113:114], v[137:138], v[117:118], v[113:114]
	s_waitcnt vmcnt(25)
	v_fma_f64 v[137:138], v[143:144], v[119:120], v[113:114]
	ds_read2_b64 v[113:116], v112 offset0:97 offset1:98
	s_clause 0x1
	buffer_load_dword v139, off, s[0:3], 0 offset:224
	buffer_load_dword v140, off, s[0:3], 0 offset:228
	ds_read2_b64 v[117:120], v112 offset0:99 offset1:100
	s_waitcnt vmcnt(26) lgkmcnt(1)
	v_fma_f64 v[113:114], v[149:150], v[113:114], v[137:138]
	s_waitcnt vmcnt(25)
	v_fma_f64 v[113:114], v[147:148], v[115:116], v[113:114]
	s_waitcnt vmcnt(24) lgkmcnt(0)
	v_fma_f64 v[113:114], v[145:146], v[117:118], v[113:114]
	s_waitcnt vmcnt(19)
	v_fma_f64 v[121:122], v[121:122], v[119:120], v[113:114]
	ds_read2_b64 v[113:116], v112 offset0:101 offset1:102
	ds_read2_b64 v[117:120], v112 offset0:103 offset1:104
	s_waitcnt vmcnt(18) lgkmcnt(1)
	v_fma_f64 v[113:114], v[155:156], v[113:114], v[121:122]
	s_waitcnt vmcnt(17)
	v_fma_f64 v[113:114], v[153:154], v[115:116], v[113:114]
	s_waitcnt vmcnt(16) lgkmcnt(0)
	v_fma_f64 v[113:114], v[151:152], v[117:118], v[113:114]
	s_waitcnt vmcnt(11)
	v_fma_f64 v[121:122], v[123:124], v[119:120], v[113:114]
	ds_read2_b64 v[113:116], v112 offset0:105 offset1:106
	;; [unrolled: 10-line block ×3, first 2 shown]
	s_waitcnt vmcnt(3) lgkmcnt(0)
	v_fma_f64 v[112:113], v[135:136], v[112:113], v[116:117]
	s_waitcnt vmcnt(2)
	v_fma_f64 v[112:113], v[133:134], v[114:115], v[112:113]
	s_waitcnt vmcnt(0)
	v_add_f64 v[112:113], v[139:140], -v[112:113]
	buffer_store_dword v113, off, s[0:3], 0 offset:228
	buffer_store_dword v112, off, s[0:3], 0 offset:224
	v_cmpx_lt_u32_e32 27, v0
	s_cbranch_execz .LBB118_285
; %bb.284:
	s_clause 0x1
	buffer_load_dword v112, off, s[0:3], 0 offset:216
	buffer_load_dword v113, off, s[0:3], 0 offset:220
	v_mov_b32_e32 v114, 0
	buffer_store_dword v114, off, s[0:3], 0 offset:216
	buffer_store_dword v114, off, s[0:3], 0 offset:220
	s_waitcnt vmcnt(0)
	ds_write_b64 v111, v[112:113]
.LBB118_285:
	s_or_b32 exec_lo, exec_lo, s4
	s_waitcnt lgkmcnt(0)
	s_waitcnt_vscnt null, 0x0
	s_barrier
	buffer_gl0_inv
	s_clause 0x1c
	buffer_load_dword v121, off, s[0:3], 0 offset:224
	buffer_load_dword v122, off, s[0:3], 0 offset:228
	;; [unrolled: 1-line block ×29, first 2 shown]
	v_mov_b32_e32 v112, 0
	buffer_load_dword v146, off, s[0:3], 0 offset:340
	s_mov_b32 s4, exec_lo
	ds_read_b128 v[113:116], v112 offset:672
	ds_read_b128 v[117:120], v112 offset:688
	s_waitcnt vmcnt(28) lgkmcnt(1)
	v_fma_f64 v[113:114], v[121:122], v[113:114], 0
	s_clause 0x7
	buffer_load_dword v122, off, s[0:3], 0 offset:348
	buffer_load_dword v151, off, s[0:3], 0 offset:368
	buffer_load_dword v153, off, s[0:3], 0 offset:360
	buffer_load_dword v155, off, s[0:3], 0 offset:352
	buffer_load_dword v121, off, s[0:3], 0 offset:344
	buffer_load_dword v156, off, s[0:3], 0 offset:356
	buffer_load_dword v154, off, s[0:3], 0 offset:364
	buffer_load_dword v152, off, s[0:3], 0 offset:372
	s_waitcnt vmcnt(34)
	v_fma_f64 v[113:114], v[123:124], v[115:116], v[113:114]
	s_waitcnt vmcnt(32) lgkmcnt(0)
	v_fma_f64 v[113:114], v[125:126], v[117:118], v[113:114]
	s_waitcnt vmcnt(30)
	v_fma_f64 v[123:124], v[127:128], v[119:120], v[113:114]
	ds_read_b128 v[113:116], v112 offset:704
	ds_read_b128 v[117:120], v112 offset:720
	s_waitcnt vmcnt(28) lgkmcnt(1)
	v_fma_f64 v[113:114], v[129:130], v[113:114], v[123:124]
	s_clause 0x7
	buffer_load_dword v124, off, s[0:3], 0 offset:380
	buffer_load_dword v125, off, s[0:3], 0 offset:400
	buffer_load_dword v127, off, s[0:3], 0 offset:392
	buffer_load_dword v129, off, s[0:3], 0 offset:384
	buffer_load_dword v123, off, s[0:3], 0 offset:376
	buffer_load_dword v130, off, s[0:3], 0 offset:388
	buffer_load_dword v128, off, s[0:3], 0 offset:396
	buffer_load_dword v126, off, s[0:3], 0 offset:404
	s_waitcnt vmcnt(34)
	v_fma_f64 v[113:114], v[131:132], v[115:116], v[113:114]
	s_waitcnt vmcnt(32) lgkmcnt(0)
	v_fma_f64 v[113:114], v[133:134], v[117:118], v[113:114]
	s_waitcnt vmcnt(27)
	v_fma_f64 v[131:132], v[135:136], v[119:120], v[113:114]
	;; [unrolled: 19-line block ×3, first 2 shown]
	ds_read_b128 v[113:116], v112 offset:768
	ds_read_b128 v[117:120], v112 offset:784
	s_waitcnt vmcnt(26) lgkmcnt(1)
	v_fma_f64 v[113:114], v[149:150], v[113:114], v[137:138]
	s_clause 0x1
	buffer_load_dword v137, off, s[0:3], 0 offset:216
	buffer_load_dword v138, off, s[0:3], 0 offset:220
	s_waitcnt vmcnt(27)
	v_fma_f64 v[113:114], v[147:148], v[115:116], v[113:114]
	s_waitcnt vmcnt(26) lgkmcnt(0)
	v_fma_f64 v[113:114], v[145:146], v[117:118], v[113:114]
	s_waitcnt vmcnt(21)
	v_fma_f64 v[121:122], v[121:122], v[119:120], v[113:114]
	ds_read_b128 v[113:116], v112 offset:800
	ds_read_b128 v[117:120], v112 offset:816
	s_waitcnt vmcnt(20) lgkmcnt(1)
	v_fma_f64 v[113:114], v[155:156], v[113:114], v[121:122]
	s_waitcnt vmcnt(19)
	v_fma_f64 v[113:114], v[153:154], v[115:116], v[113:114]
	s_waitcnt vmcnt(18) lgkmcnt(0)
	v_fma_f64 v[113:114], v[151:152], v[117:118], v[113:114]
	s_waitcnt vmcnt(13)
	v_fma_f64 v[121:122], v[123:124], v[119:120], v[113:114]
	ds_read_b128 v[113:116], v112 offset:832
	ds_read_b128 v[117:120], v112 offset:848
	s_waitcnt vmcnt(12) lgkmcnt(1)
	v_fma_f64 v[113:114], v[129:130], v[113:114], v[121:122]
	s_waitcnt vmcnt(11)
	v_fma_f64 v[113:114], v[127:128], v[115:116], v[113:114]
	s_waitcnt vmcnt(10) lgkmcnt(0)
	v_fma_f64 v[113:114], v[125:126], v[117:118], v[113:114]
	s_waitcnt vmcnt(5)
	v_fma_f64 v[117:118], v[131:132], v[119:120], v[113:114]
	ds_read_b128 v[113:116], v112 offset:864
	ds_read_b64 v[119:120], v112 offset:880
	s_waitcnt vmcnt(4) lgkmcnt(1)
	v_fma_f64 v[113:114], v[141:142], v[113:114], v[117:118]
	s_waitcnt vmcnt(3)
	v_fma_f64 v[113:114], v[135:136], v[115:116], v[113:114]
	s_waitcnt vmcnt(2) lgkmcnt(0)
	v_fma_f64 v[113:114], v[133:134], v[119:120], v[113:114]
	s_waitcnt vmcnt(0)
	v_add_f64 v[113:114], v[137:138], -v[113:114]
	buffer_store_dword v114, off, s[0:3], 0 offset:220
	buffer_store_dword v113, off, s[0:3], 0 offset:216
	v_cmpx_lt_u32_e32 26, v0
	s_cbranch_execz .LBB118_287
; %bb.286:
	s_clause 0x1
	buffer_load_dword v113, off, s[0:3], 0 offset:208
	buffer_load_dword v114, off, s[0:3], 0 offset:212
	buffer_store_dword v112, off, s[0:3], 0 offset:208
	buffer_store_dword v112, off, s[0:3], 0 offset:212
	s_waitcnt vmcnt(0)
	ds_write_b64 v111, v[113:114]
.LBB118_287:
	s_or_b32 exec_lo, exec_lo, s4
	s_waitcnt lgkmcnt(0)
	s_waitcnt_vscnt null, 0x0
	s_barrier
	buffer_gl0_inv
	s_clause 0x1c
	buffer_load_dword v121, off, s[0:3], 0 offset:216
	buffer_load_dword v122, off, s[0:3], 0 offset:220
	;; [unrolled: 1-line block ×29, first 2 shown]
	ds_read2_b64 v[113:116], v112 offset0:83 offset1:84
	ds_read2_b64 v[117:120], v112 offset0:85 offset1:86
	buffer_load_dword v146, off, s[0:3], 0 offset:332
	s_mov_b32 s4, exec_lo
	s_waitcnt vmcnt(28) lgkmcnt(1)
	v_fma_f64 v[113:114], v[121:122], v[113:114], 0
	s_clause 0x7
	buffer_load_dword v122, off, s[0:3], 0 offset:340
	buffer_load_dword v151, off, s[0:3], 0 offset:360
	buffer_load_dword v153, off, s[0:3], 0 offset:352
	buffer_load_dword v155, off, s[0:3], 0 offset:344
	buffer_load_dword v121, off, s[0:3], 0 offset:336
	buffer_load_dword v156, off, s[0:3], 0 offset:348
	buffer_load_dword v154, off, s[0:3], 0 offset:356
	buffer_load_dword v152, off, s[0:3], 0 offset:364
	s_waitcnt vmcnt(34)
	v_fma_f64 v[113:114], v[123:124], v[115:116], v[113:114]
	s_waitcnt vmcnt(32) lgkmcnt(0)
	v_fma_f64 v[113:114], v[125:126], v[117:118], v[113:114]
	s_waitcnt vmcnt(30)
	v_fma_f64 v[123:124], v[127:128], v[119:120], v[113:114]
	ds_read2_b64 v[113:116], v112 offset0:87 offset1:88
	ds_read2_b64 v[117:120], v112 offset0:89 offset1:90
	s_waitcnt vmcnt(28) lgkmcnt(1)
	v_fma_f64 v[113:114], v[129:130], v[113:114], v[123:124]
	s_clause 0x7
	buffer_load_dword v124, off, s[0:3], 0 offset:372
	buffer_load_dword v125, off, s[0:3], 0 offset:392
	buffer_load_dword v127, off, s[0:3], 0 offset:384
	buffer_load_dword v129, off, s[0:3], 0 offset:376
	buffer_load_dword v123, off, s[0:3], 0 offset:368
	buffer_load_dword v130, off, s[0:3], 0 offset:380
	buffer_load_dword v128, off, s[0:3], 0 offset:388
	buffer_load_dword v126, off, s[0:3], 0 offset:396
	s_waitcnt vmcnt(34)
	v_fma_f64 v[113:114], v[131:132], v[115:116], v[113:114]
	s_waitcnt vmcnt(32) lgkmcnt(0)
	v_fma_f64 v[113:114], v[133:134], v[117:118], v[113:114]
	s_waitcnt vmcnt(27)
	v_fma_f64 v[131:132], v[135:136], v[119:120], v[113:114]
	ds_read2_b64 v[113:116], v112 offset0:91 offset1:92
	ds_read2_b64 v[117:120], v112 offset0:93 offset1:94
	;; [unrolled: 19-line block ×3, first 2 shown]
	s_waitcnt vmcnt(26) lgkmcnt(1)
	v_fma_f64 v[113:114], v[149:150], v[113:114], v[137:138]
	s_clause 0x3
	buffer_load_dword v138, off, s[0:3], 0 offset:436
	buffer_load_dword v137, off, s[0:3], 0 offset:432
	;; [unrolled: 1-line block ×4, first 2 shown]
	s_waitcnt vmcnt(29)
	v_fma_f64 v[113:114], v[147:148], v[115:116], v[113:114]
	s_waitcnt vmcnt(28) lgkmcnt(0)
	v_fma_f64 v[113:114], v[145:146], v[117:118], v[113:114]
	s_waitcnt vmcnt(23)
	v_fma_f64 v[121:122], v[121:122], v[119:120], v[113:114]
	ds_read2_b64 v[113:116], v112 offset0:99 offset1:100
	ds_read2_b64 v[117:120], v112 offset0:101 offset1:102
	s_waitcnt vmcnt(22) lgkmcnt(1)
	v_fma_f64 v[113:114], v[155:156], v[113:114], v[121:122]
	s_waitcnt vmcnt(21)
	v_fma_f64 v[113:114], v[153:154], v[115:116], v[113:114]
	s_waitcnt vmcnt(20) lgkmcnt(0)
	v_fma_f64 v[113:114], v[151:152], v[117:118], v[113:114]
	s_waitcnt vmcnt(15)
	v_fma_f64 v[121:122], v[123:124], v[119:120], v[113:114]
	ds_read2_b64 v[113:116], v112 offset0:103 offset1:104
	ds_read2_b64 v[117:120], v112 offset0:105 offset1:106
	s_waitcnt vmcnt(14) lgkmcnt(1)
	v_fma_f64 v[113:114], v[129:130], v[113:114], v[121:122]
	;; [unrolled: 10-line block ×3, first 2 shown]
	s_waitcnt vmcnt(5)
	v_fma_f64 v[112:113], v[135:136], v[115:116], v[112:113]
	s_waitcnt vmcnt(4) lgkmcnt(0)
	v_fma_f64 v[112:113], v[133:134], v[117:118], v[112:113]
	s_waitcnt vmcnt(2)
	v_fma_f64 v[112:113], v[137:138], v[119:120], v[112:113]
	s_waitcnt vmcnt(0)
	v_add_f64 v[112:113], v[139:140], -v[112:113]
	buffer_store_dword v113, off, s[0:3], 0 offset:212
	buffer_store_dword v112, off, s[0:3], 0 offset:208
	v_cmpx_lt_u32_e32 25, v0
	s_cbranch_execz .LBB118_289
; %bb.288:
	s_clause 0x1
	buffer_load_dword v112, off, s[0:3], 0 offset:200
	buffer_load_dword v113, off, s[0:3], 0 offset:204
	v_mov_b32_e32 v114, 0
	buffer_store_dword v114, off, s[0:3], 0 offset:200
	buffer_store_dword v114, off, s[0:3], 0 offset:204
	s_waitcnt vmcnt(0)
	ds_write_b64 v111, v[112:113]
.LBB118_289:
	s_or_b32 exec_lo, exec_lo, s4
	s_waitcnt lgkmcnt(0)
	s_waitcnt_vscnt null, 0x0
	s_barrier
	buffer_gl0_inv
	s_clause 0x1c
	buffer_load_dword v121, off, s[0:3], 0 offset:208
	buffer_load_dword v122, off, s[0:3], 0 offset:212
	;; [unrolled: 1-line block ×29, first 2 shown]
	v_mov_b32_e32 v112, 0
	buffer_load_dword v146, off, s[0:3], 0 offset:324
	s_mov_b32 s4, exec_lo
	ds_read_b128 v[113:116], v112 offset:656
	ds_read_b128 v[117:120], v112 offset:672
	s_waitcnt vmcnt(28) lgkmcnt(1)
	v_fma_f64 v[113:114], v[121:122], v[113:114], 0
	s_clause 0x7
	buffer_load_dword v122, off, s[0:3], 0 offset:332
	buffer_load_dword v151, off, s[0:3], 0 offset:352
	buffer_load_dword v153, off, s[0:3], 0 offset:344
	buffer_load_dword v155, off, s[0:3], 0 offset:336
	buffer_load_dword v121, off, s[0:3], 0 offset:328
	buffer_load_dword v156, off, s[0:3], 0 offset:340
	buffer_load_dword v154, off, s[0:3], 0 offset:348
	buffer_load_dword v152, off, s[0:3], 0 offset:356
	s_waitcnt vmcnt(34)
	v_fma_f64 v[113:114], v[123:124], v[115:116], v[113:114]
	s_waitcnt vmcnt(32) lgkmcnt(0)
	v_fma_f64 v[113:114], v[125:126], v[117:118], v[113:114]
	s_waitcnt vmcnt(30)
	v_fma_f64 v[123:124], v[127:128], v[119:120], v[113:114]
	ds_read_b128 v[113:116], v112 offset:688
	ds_read_b128 v[117:120], v112 offset:704
	s_waitcnt vmcnt(28) lgkmcnt(1)
	v_fma_f64 v[113:114], v[129:130], v[113:114], v[123:124]
	s_clause 0x7
	buffer_load_dword v124, off, s[0:3], 0 offset:364
	buffer_load_dword v125, off, s[0:3], 0 offset:384
	buffer_load_dword v127, off, s[0:3], 0 offset:376
	buffer_load_dword v129, off, s[0:3], 0 offset:368
	buffer_load_dword v123, off, s[0:3], 0 offset:360
	buffer_load_dword v130, off, s[0:3], 0 offset:372
	buffer_load_dword v128, off, s[0:3], 0 offset:380
	buffer_load_dword v126, off, s[0:3], 0 offset:388
	s_waitcnt vmcnt(34)
	v_fma_f64 v[113:114], v[131:132], v[115:116], v[113:114]
	s_waitcnt vmcnt(32) lgkmcnt(0)
	v_fma_f64 v[113:114], v[133:134], v[117:118], v[113:114]
	s_waitcnt vmcnt(27)
	v_fma_f64 v[131:132], v[135:136], v[119:120], v[113:114]
	;; [unrolled: 19-line block ×3, first 2 shown]
	ds_read_b128 v[113:116], v112 offset:752
	ds_read_b128 v[117:120], v112 offset:768
	s_waitcnt vmcnt(26) lgkmcnt(1)
	v_fma_f64 v[113:114], v[149:150], v[113:114], v[137:138]
	s_clause 0x5
	buffer_load_dword v138, off, s[0:3], 0 offset:428
	buffer_load_dword v139, off, s[0:3], 0 offset:432
	;; [unrolled: 1-line block ×6, first 2 shown]
	s_waitcnt vmcnt(31)
	v_fma_f64 v[113:114], v[147:148], v[115:116], v[113:114]
	s_waitcnt vmcnt(30) lgkmcnt(0)
	v_fma_f64 v[113:114], v[145:146], v[117:118], v[113:114]
	s_waitcnt vmcnt(25)
	v_fma_f64 v[121:122], v[121:122], v[119:120], v[113:114]
	ds_read_b128 v[113:116], v112 offset:784
	ds_read_b128 v[117:120], v112 offset:800
	s_waitcnt vmcnt(24) lgkmcnt(1)
	v_fma_f64 v[113:114], v[155:156], v[113:114], v[121:122]
	s_waitcnt vmcnt(23)
	v_fma_f64 v[113:114], v[153:154], v[115:116], v[113:114]
	s_waitcnt vmcnt(22) lgkmcnt(0)
	v_fma_f64 v[113:114], v[151:152], v[117:118], v[113:114]
	s_waitcnt vmcnt(17)
	v_fma_f64 v[121:122], v[123:124], v[119:120], v[113:114]
	ds_read_b128 v[113:116], v112 offset:816
	ds_read_b128 v[117:120], v112 offset:832
	s_waitcnt vmcnt(16) lgkmcnt(1)
	v_fma_f64 v[113:114], v[129:130], v[113:114], v[121:122]
	;; [unrolled: 10-line block ×3, first 2 shown]
	s_waitcnt vmcnt(7)
	v_fma_f64 v[113:114], v[135:136], v[115:116], v[113:114]
	ds_read_b64 v[115:116], v112 offset:880
	s_waitcnt vmcnt(6) lgkmcnt(1)
	v_fma_f64 v[113:114], v[133:134], v[117:118], v[113:114]
	s_waitcnt vmcnt(3)
	v_fma_f64 v[113:114], v[137:138], v[119:120], v[113:114]
	s_waitcnt vmcnt(2) lgkmcnt(0)
	v_fma_f64 v[113:114], v[139:140], v[115:116], v[113:114]
	s_waitcnt vmcnt(0)
	v_add_f64 v[113:114], v[143:144], -v[113:114]
	buffer_store_dword v114, off, s[0:3], 0 offset:204
	buffer_store_dword v113, off, s[0:3], 0 offset:200
	v_cmpx_lt_u32_e32 24, v0
	s_cbranch_execz .LBB118_291
; %bb.290:
	s_clause 0x1
	buffer_load_dword v113, off, s[0:3], 0 offset:192
	buffer_load_dword v114, off, s[0:3], 0 offset:196
	buffer_store_dword v112, off, s[0:3], 0 offset:192
	buffer_store_dword v112, off, s[0:3], 0 offset:196
	s_waitcnt vmcnt(0)
	ds_write_b64 v111, v[113:114]
.LBB118_291:
	s_or_b32 exec_lo, exec_lo, s4
	s_waitcnt lgkmcnt(0)
	s_waitcnt_vscnt null, 0x0
	s_barrier
	buffer_gl0_inv
	s_clause 0x1c
	buffer_load_dword v121, off, s[0:3], 0 offset:200
	buffer_load_dword v122, off, s[0:3], 0 offset:204
	;; [unrolled: 1-line block ×29, first 2 shown]
	ds_read2_b64 v[113:116], v112 offset0:81 offset1:82
	ds_read2_b64 v[117:120], v112 offset0:83 offset1:84
	buffer_load_dword v146, off, s[0:3], 0 offset:316
	s_mov_b32 s4, exec_lo
	s_waitcnt vmcnt(28) lgkmcnt(1)
	v_fma_f64 v[113:114], v[121:122], v[113:114], 0
	s_clause 0x7
	buffer_load_dword v122, off, s[0:3], 0 offset:324
	buffer_load_dword v151, off, s[0:3], 0 offset:344
	buffer_load_dword v153, off, s[0:3], 0 offset:336
	buffer_load_dword v155, off, s[0:3], 0 offset:328
	buffer_load_dword v121, off, s[0:3], 0 offset:320
	buffer_load_dword v156, off, s[0:3], 0 offset:332
	buffer_load_dword v154, off, s[0:3], 0 offset:340
	buffer_load_dword v152, off, s[0:3], 0 offset:348
	s_waitcnt vmcnt(34)
	v_fma_f64 v[113:114], v[123:124], v[115:116], v[113:114]
	s_waitcnt vmcnt(32) lgkmcnt(0)
	v_fma_f64 v[113:114], v[125:126], v[117:118], v[113:114]
	s_waitcnt vmcnt(30)
	v_fma_f64 v[123:124], v[127:128], v[119:120], v[113:114]
	ds_read2_b64 v[113:116], v112 offset0:85 offset1:86
	ds_read2_b64 v[117:120], v112 offset0:87 offset1:88
	s_waitcnt vmcnt(28) lgkmcnt(1)
	v_fma_f64 v[113:114], v[129:130], v[113:114], v[123:124]
	s_clause 0x7
	buffer_load_dword v124, off, s[0:3], 0 offset:356
	buffer_load_dword v125, off, s[0:3], 0 offset:376
	buffer_load_dword v127, off, s[0:3], 0 offset:368
	buffer_load_dword v129, off, s[0:3], 0 offset:360
	buffer_load_dword v123, off, s[0:3], 0 offset:352
	buffer_load_dword v130, off, s[0:3], 0 offset:364
	buffer_load_dword v128, off, s[0:3], 0 offset:372
	buffer_load_dword v126, off, s[0:3], 0 offset:380
	s_waitcnt vmcnt(34)
	v_fma_f64 v[113:114], v[131:132], v[115:116], v[113:114]
	s_waitcnt vmcnt(32) lgkmcnt(0)
	v_fma_f64 v[113:114], v[133:134], v[117:118], v[113:114]
	s_waitcnt vmcnt(27)
	v_fma_f64 v[131:132], v[135:136], v[119:120], v[113:114]
	ds_read2_b64 v[113:116], v112 offset0:89 offset1:90
	ds_read2_b64 v[117:120], v112 offset0:91 offset1:92
	;; [unrolled: 19-line block ×3, first 2 shown]
	s_waitcnt vmcnt(26) lgkmcnt(1)
	v_fma_f64 v[113:114], v[149:150], v[113:114], v[137:138]
	s_clause 0x5
	buffer_load_dword v138, off, s[0:3], 0 offset:420
	buffer_load_dword v139, off, s[0:3], 0 offset:432
	;; [unrolled: 1-line block ×6, first 2 shown]
	s_waitcnt vmcnt(31)
	v_fma_f64 v[113:114], v[147:148], v[115:116], v[113:114]
	s_waitcnt vmcnt(30) lgkmcnt(0)
	v_fma_f64 v[113:114], v[145:146], v[117:118], v[113:114]
	s_waitcnt vmcnt(25)
	v_fma_f64 v[121:122], v[121:122], v[119:120], v[113:114]
	ds_read2_b64 v[113:116], v112 offset0:97 offset1:98
	s_clause 0x1
	buffer_load_dword v145, off, s[0:3], 0 offset:192
	buffer_load_dword v146, off, s[0:3], 0 offset:196
	ds_read2_b64 v[117:120], v112 offset0:99 offset1:100
	s_waitcnt vmcnt(26) lgkmcnt(1)
	v_fma_f64 v[113:114], v[155:156], v[113:114], v[121:122]
	s_waitcnt vmcnt(25)
	v_fma_f64 v[113:114], v[153:154], v[115:116], v[113:114]
	s_waitcnt vmcnt(24) lgkmcnt(0)
	v_fma_f64 v[113:114], v[151:152], v[117:118], v[113:114]
	s_waitcnt vmcnt(19)
	v_fma_f64 v[121:122], v[123:124], v[119:120], v[113:114]
	ds_read2_b64 v[113:116], v112 offset0:101 offset1:102
	ds_read2_b64 v[117:120], v112 offset0:103 offset1:104
	s_waitcnt vmcnt(18) lgkmcnt(1)
	v_fma_f64 v[113:114], v[129:130], v[113:114], v[121:122]
	s_waitcnt vmcnt(17)
	v_fma_f64 v[113:114], v[127:128], v[115:116], v[113:114]
	s_waitcnt vmcnt(16) lgkmcnt(0)
	v_fma_f64 v[113:114], v[125:126], v[117:118], v[113:114]
	s_waitcnt vmcnt(11)
	v_fma_f64 v[121:122], v[131:132], v[119:120], v[113:114]
	ds_read2_b64 v[113:116], v112 offset0:105 offset1:106
	;; [unrolled: 10-line block ×3, first 2 shown]
	s_waitcnt vmcnt(3) lgkmcnt(0)
	v_fma_f64 v[112:113], v[143:144], v[112:113], v[116:117]
	s_waitcnt vmcnt(2)
	v_fma_f64 v[112:113], v[139:140], v[114:115], v[112:113]
	s_waitcnt vmcnt(0)
	v_add_f64 v[112:113], v[145:146], -v[112:113]
	buffer_store_dword v113, off, s[0:3], 0 offset:196
	buffer_store_dword v112, off, s[0:3], 0 offset:192
	v_cmpx_lt_u32_e32 23, v0
	s_cbranch_execz .LBB118_293
; %bb.292:
	s_clause 0x1
	buffer_load_dword v112, off, s[0:3], 0 offset:184
	buffer_load_dword v113, off, s[0:3], 0 offset:188
	v_mov_b32_e32 v114, 0
	buffer_store_dword v114, off, s[0:3], 0 offset:184
	buffer_store_dword v114, off, s[0:3], 0 offset:188
	s_waitcnt vmcnt(0)
	ds_write_b64 v111, v[112:113]
.LBB118_293:
	s_or_b32 exec_lo, exec_lo, s4
	s_waitcnt lgkmcnt(0)
	s_waitcnt_vscnt null, 0x0
	s_barrier
	buffer_gl0_inv
	s_clause 0x1c
	buffer_load_dword v121, off, s[0:3], 0 offset:192
	buffer_load_dword v122, off, s[0:3], 0 offset:196
	;; [unrolled: 1-line block ×29, first 2 shown]
	v_mov_b32_e32 v112, 0
	buffer_load_dword v146, off, s[0:3], 0 offset:308
	s_mov_b32 s4, exec_lo
	ds_read_b128 v[113:116], v112 offset:640
	ds_read_b128 v[117:120], v112 offset:656
	s_waitcnt vmcnt(28) lgkmcnt(1)
	v_fma_f64 v[113:114], v[121:122], v[113:114], 0
	s_clause 0x7
	buffer_load_dword v122, off, s[0:3], 0 offset:316
	buffer_load_dword v151, off, s[0:3], 0 offset:336
	buffer_load_dword v153, off, s[0:3], 0 offset:328
	buffer_load_dword v155, off, s[0:3], 0 offset:320
	buffer_load_dword v121, off, s[0:3], 0 offset:312
	buffer_load_dword v156, off, s[0:3], 0 offset:324
	buffer_load_dword v154, off, s[0:3], 0 offset:332
	buffer_load_dword v152, off, s[0:3], 0 offset:340
	s_waitcnt vmcnt(34)
	v_fma_f64 v[113:114], v[123:124], v[115:116], v[113:114]
	s_waitcnt vmcnt(32) lgkmcnt(0)
	v_fma_f64 v[113:114], v[125:126], v[117:118], v[113:114]
	s_waitcnt vmcnt(30)
	v_fma_f64 v[123:124], v[127:128], v[119:120], v[113:114]
	ds_read_b128 v[113:116], v112 offset:672
	ds_read_b128 v[117:120], v112 offset:688
	s_waitcnt vmcnt(28) lgkmcnt(1)
	v_fma_f64 v[113:114], v[129:130], v[113:114], v[123:124]
	s_clause 0x7
	buffer_load_dword v124, off, s[0:3], 0 offset:348
	buffer_load_dword v125, off, s[0:3], 0 offset:368
	buffer_load_dword v127, off, s[0:3], 0 offset:360
	buffer_load_dword v129, off, s[0:3], 0 offset:352
	buffer_load_dword v123, off, s[0:3], 0 offset:344
	buffer_load_dword v130, off, s[0:3], 0 offset:356
	buffer_load_dword v128, off, s[0:3], 0 offset:364
	buffer_load_dword v126, off, s[0:3], 0 offset:372
	s_waitcnt vmcnt(34)
	v_fma_f64 v[113:114], v[131:132], v[115:116], v[113:114]
	s_waitcnt vmcnt(32) lgkmcnt(0)
	v_fma_f64 v[113:114], v[133:134], v[117:118], v[113:114]
	s_waitcnt vmcnt(27)
	v_fma_f64 v[131:132], v[135:136], v[119:120], v[113:114]
	;; [unrolled: 19-line block ×4, first 2 shown]
	ds_read_b128 v[113:116], v112 offset:768
	ds_read_b128 v[117:120], v112 offset:784
	s_waitcnt vmcnt(26) lgkmcnt(1)
	v_fma_f64 v[113:114], v[155:156], v[113:114], v[121:122]
	s_clause 0x1
	buffer_load_dword v121, off, s[0:3], 0 offset:184
	buffer_load_dword v122, off, s[0:3], 0 offset:188
	s_waitcnt vmcnt(27)
	v_fma_f64 v[113:114], v[153:154], v[115:116], v[113:114]
	s_waitcnt vmcnt(26) lgkmcnt(0)
	v_fma_f64 v[113:114], v[151:152], v[117:118], v[113:114]
	s_waitcnt vmcnt(21)
	v_fma_f64 v[123:124], v[123:124], v[119:120], v[113:114]
	ds_read_b128 v[113:116], v112 offset:800
	ds_read_b128 v[117:120], v112 offset:816
	s_waitcnt vmcnt(20) lgkmcnt(1)
	v_fma_f64 v[113:114], v[129:130], v[113:114], v[123:124]
	s_waitcnt vmcnt(19)
	v_fma_f64 v[113:114], v[127:128], v[115:116], v[113:114]
	s_waitcnt vmcnt(18) lgkmcnt(0)
	v_fma_f64 v[113:114], v[125:126], v[117:118], v[113:114]
	s_waitcnt vmcnt(13)
	v_fma_f64 v[123:124], v[131:132], v[119:120], v[113:114]
	ds_read_b128 v[113:116], v112 offset:832
	ds_read_b128 v[117:120], v112 offset:848
	s_waitcnt vmcnt(12) lgkmcnt(1)
	v_fma_f64 v[113:114], v[141:142], v[113:114], v[123:124]
	s_waitcnt vmcnt(11)
	v_fma_f64 v[113:114], v[135:136], v[115:116], v[113:114]
	s_waitcnt vmcnt(10) lgkmcnt(0)
	v_fma_f64 v[113:114], v[133:134], v[117:118], v[113:114]
	s_waitcnt vmcnt(5)
	v_fma_f64 v[117:118], v[137:138], v[119:120], v[113:114]
	ds_read_b128 v[113:116], v112 offset:864
	ds_read_b64 v[119:120], v112 offset:880
	s_waitcnt vmcnt(4) lgkmcnt(1)
	v_fma_f64 v[113:114], v[149:150], v[113:114], v[117:118]
	s_waitcnt vmcnt(3)
	v_fma_f64 v[113:114], v[143:144], v[115:116], v[113:114]
	s_waitcnt vmcnt(2) lgkmcnt(0)
	v_fma_f64 v[113:114], v[139:140], v[119:120], v[113:114]
	s_waitcnt vmcnt(0)
	v_add_f64 v[113:114], v[121:122], -v[113:114]
	buffer_store_dword v114, off, s[0:3], 0 offset:188
	buffer_store_dword v113, off, s[0:3], 0 offset:184
	v_cmpx_lt_u32_e32 22, v0
	s_cbranch_execz .LBB118_295
; %bb.294:
	s_clause 0x1
	buffer_load_dword v113, off, s[0:3], 0 offset:176
	buffer_load_dword v114, off, s[0:3], 0 offset:180
	buffer_store_dword v112, off, s[0:3], 0 offset:176
	buffer_store_dword v112, off, s[0:3], 0 offset:180
	s_waitcnt vmcnt(0)
	ds_write_b64 v111, v[113:114]
.LBB118_295:
	s_or_b32 exec_lo, exec_lo, s4
	s_waitcnt lgkmcnt(0)
	s_waitcnt_vscnt null, 0x0
	s_barrier
	buffer_gl0_inv
	s_clause 0x1c
	buffer_load_dword v121, off, s[0:3], 0 offset:184
	buffer_load_dword v122, off, s[0:3], 0 offset:188
	;; [unrolled: 1-line block ×29, first 2 shown]
	ds_read2_b64 v[113:116], v112 offset0:79 offset1:80
	ds_read2_b64 v[117:120], v112 offset0:81 offset1:82
	buffer_load_dword v146, off, s[0:3], 0 offset:300
	s_mov_b32 s4, exec_lo
	s_waitcnt vmcnt(28) lgkmcnt(1)
	v_fma_f64 v[113:114], v[121:122], v[113:114], 0
	s_clause 0x7
	buffer_load_dword v122, off, s[0:3], 0 offset:308
	buffer_load_dword v151, off, s[0:3], 0 offset:328
	buffer_load_dword v153, off, s[0:3], 0 offset:320
	buffer_load_dword v155, off, s[0:3], 0 offset:312
	buffer_load_dword v121, off, s[0:3], 0 offset:304
	buffer_load_dword v156, off, s[0:3], 0 offset:316
	buffer_load_dword v154, off, s[0:3], 0 offset:324
	buffer_load_dword v152, off, s[0:3], 0 offset:332
	s_waitcnt vmcnt(34)
	v_fma_f64 v[113:114], v[123:124], v[115:116], v[113:114]
	s_waitcnt vmcnt(32) lgkmcnt(0)
	v_fma_f64 v[113:114], v[125:126], v[117:118], v[113:114]
	s_waitcnt vmcnt(30)
	v_fma_f64 v[123:124], v[127:128], v[119:120], v[113:114]
	ds_read2_b64 v[113:116], v112 offset0:83 offset1:84
	ds_read2_b64 v[117:120], v112 offset0:85 offset1:86
	s_waitcnt vmcnt(28) lgkmcnt(1)
	v_fma_f64 v[113:114], v[129:130], v[113:114], v[123:124]
	s_clause 0x7
	buffer_load_dword v124, off, s[0:3], 0 offset:340
	buffer_load_dword v125, off, s[0:3], 0 offset:360
	buffer_load_dword v127, off, s[0:3], 0 offset:352
	buffer_load_dword v129, off, s[0:3], 0 offset:344
	buffer_load_dword v123, off, s[0:3], 0 offset:336
	buffer_load_dword v130, off, s[0:3], 0 offset:348
	buffer_load_dword v128, off, s[0:3], 0 offset:356
	buffer_load_dword v126, off, s[0:3], 0 offset:364
	s_waitcnt vmcnt(34)
	v_fma_f64 v[113:114], v[131:132], v[115:116], v[113:114]
	s_waitcnt vmcnt(32) lgkmcnt(0)
	v_fma_f64 v[113:114], v[133:134], v[117:118], v[113:114]
	s_waitcnt vmcnt(27)
	v_fma_f64 v[131:132], v[135:136], v[119:120], v[113:114]
	ds_read2_b64 v[113:116], v112 offset0:87 offset1:88
	ds_read2_b64 v[117:120], v112 offset0:89 offset1:90
	;; [unrolled: 19-line block ×4, first 2 shown]
	s_waitcnt vmcnt(26) lgkmcnt(1)
	v_fma_f64 v[113:114], v[155:156], v[113:114], v[121:122]
	s_clause 0x3
	buffer_load_dword v122, off, s[0:3], 0 offset:436
	buffer_load_dword v121, off, s[0:3], 0 offset:432
	;; [unrolled: 1-line block ×4, first 2 shown]
	s_waitcnt vmcnt(29)
	v_fma_f64 v[113:114], v[153:154], v[115:116], v[113:114]
	s_waitcnt vmcnt(28) lgkmcnt(0)
	v_fma_f64 v[113:114], v[151:152], v[117:118], v[113:114]
	s_waitcnt vmcnt(23)
	v_fma_f64 v[123:124], v[123:124], v[119:120], v[113:114]
	ds_read2_b64 v[113:116], v112 offset0:99 offset1:100
	ds_read2_b64 v[117:120], v112 offset0:101 offset1:102
	s_waitcnt vmcnt(22) lgkmcnt(1)
	v_fma_f64 v[113:114], v[129:130], v[113:114], v[123:124]
	s_waitcnt vmcnt(21)
	v_fma_f64 v[113:114], v[127:128], v[115:116], v[113:114]
	s_waitcnt vmcnt(20) lgkmcnt(0)
	v_fma_f64 v[113:114], v[125:126], v[117:118], v[113:114]
	s_waitcnt vmcnt(15)
	v_fma_f64 v[123:124], v[131:132], v[119:120], v[113:114]
	ds_read2_b64 v[113:116], v112 offset0:103 offset1:104
	ds_read2_b64 v[117:120], v112 offset0:105 offset1:106
	s_waitcnt vmcnt(14) lgkmcnt(1)
	v_fma_f64 v[113:114], v[141:142], v[113:114], v[123:124]
	;; [unrolled: 10-line block ×3, first 2 shown]
	s_waitcnt vmcnt(5)
	v_fma_f64 v[112:113], v[143:144], v[115:116], v[112:113]
	s_waitcnt vmcnt(4) lgkmcnt(0)
	v_fma_f64 v[112:113], v[139:140], v[117:118], v[112:113]
	s_waitcnt vmcnt(2)
	v_fma_f64 v[112:113], v[121:122], v[119:120], v[112:113]
	s_waitcnt vmcnt(0)
	v_add_f64 v[112:113], v[145:146], -v[112:113]
	buffer_store_dword v113, off, s[0:3], 0 offset:180
	buffer_store_dword v112, off, s[0:3], 0 offset:176
	v_cmpx_lt_u32_e32 21, v0
	s_cbranch_execz .LBB118_297
; %bb.296:
	s_clause 0x1
	buffer_load_dword v112, off, s[0:3], 0 offset:168
	buffer_load_dword v113, off, s[0:3], 0 offset:172
	v_mov_b32_e32 v114, 0
	buffer_store_dword v114, off, s[0:3], 0 offset:168
	buffer_store_dword v114, off, s[0:3], 0 offset:172
	s_waitcnt vmcnt(0)
	ds_write_b64 v111, v[112:113]
.LBB118_297:
	s_or_b32 exec_lo, exec_lo, s4
	s_waitcnt lgkmcnt(0)
	s_waitcnt_vscnt null, 0x0
	s_barrier
	buffer_gl0_inv
	s_clause 0x1c
	buffer_load_dword v121, off, s[0:3], 0 offset:176
	buffer_load_dword v122, off, s[0:3], 0 offset:180
	;; [unrolled: 1-line block ×29, first 2 shown]
	v_mov_b32_e32 v112, 0
	buffer_load_dword v146, off, s[0:3], 0 offset:292
	s_mov_b32 s4, exec_lo
	ds_read_b128 v[113:116], v112 offset:624
	ds_read_b128 v[117:120], v112 offset:640
	s_waitcnt vmcnt(28) lgkmcnt(1)
	v_fma_f64 v[113:114], v[121:122], v[113:114], 0
	s_clause 0x7
	buffer_load_dword v122, off, s[0:3], 0 offset:300
	buffer_load_dword v151, off, s[0:3], 0 offset:320
	buffer_load_dword v153, off, s[0:3], 0 offset:312
	buffer_load_dword v155, off, s[0:3], 0 offset:304
	buffer_load_dword v121, off, s[0:3], 0 offset:296
	buffer_load_dword v156, off, s[0:3], 0 offset:308
	buffer_load_dword v154, off, s[0:3], 0 offset:316
	buffer_load_dword v152, off, s[0:3], 0 offset:324
	s_waitcnt vmcnt(34)
	v_fma_f64 v[113:114], v[123:124], v[115:116], v[113:114]
	s_waitcnt vmcnt(32) lgkmcnt(0)
	v_fma_f64 v[113:114], v[125:126], v[117:118], v[113:114]
	s_waitcnt vmcnt(30)
	v_fma_f64 v[123:124], v[127:128], v[119:120], v[113:114]
	ds_read_b128 v[113:116], v112 offset:656
	ds_read_b128 v[117:120], v112 offset:672
	s_waitcnt vmcnt(28) lgkmcnt(1)
	v_fma_f64 v[113:114], v[129:130], v[113:114], v[123:124]
	s_clause 0x7
	buffer_load_dword v124, off, s[0:3], 0 offset:332
	buffer_load_dword v125, off, s[0:3], 0 offset:352
	buffer_load_dword v127, off, s[0:3], 0 offset:344
	buffer_load_dword v129, off, s[0:3], 0 offset:336
	buffer_load_dword v123, off, s[0:3], 0 offset:328
	buffer_load_dword v130, off, s[0:3], 0 offset:340
	buffer_load_dword v128, off, s[0:3], 0 offset:348
	buffer_load_dword v126, off, s[0:3], 0 offset:356
	s_waitcnt vmcnt(34)
	v_fma_f64 v[113:114], v[131:132], v[115:116], v[113:114]
	s_waitcnt vmcnt(32) lgkmcnt(0)
	v_fma_f64 v[113:114], v[133:134], v[117:118], v[113:114]
	s_waitcnt vmcnt(27)
	v_fma_f64 v[131:132], v[135:136], v[119:120], v[113:114]
	;; [unrolled: 19-line block ×4, first 2 shown]
	ds_read_b128 v[113:116], v112 offset:752
	ds_read_b128 v[117:120], v112 offset:768
	s_waitcnt vmcnt(26) lgkmcnt(1)
	v_fma_f64 v[113:114], v[155:156], v[113:114], v[121:122]
	s_clause 0x5
	buffer_load_dword v122, off, s[0:3], 0 offset:428
	buffer_load_dword v145, off, s[0:3], 0 offset:432
	;; [unrolled: 1-line block ×6, first 2 shown]
	s_waitcnt vmcnt(31)
	v_fma_f64 v[113:114], v[153:154], v[115:116], v[113:114]
	s_waitcnt vmcnt(30) lgkmcnt(0)
	v_fma_f64 v[113:114], v[151:152], v[117:118], v[113:114]
	s_waitcnt vmcnt(25)
	v_fma_f64 v[123:124], v[123:124], v[119:120], v[113:114]
	ds_read_b128 v[113:116], v112 offset:784
	ds_read_b128 v[117:120], v112 offset:800
	s_waitcnt vmcnt(24) lgkmcnt(1)
	v_fma_f64 v[113:114], v[129:130], v[113:114], v[123:124]
	s_waitcnt vmcnt(23)
	v_fma_f64 v[113:114], v[127:128], v[115:116], v[113:114]
	s_waitcnt vmcnt(22) lgkmcnt(0)
	v_fma_f64 v[113:114], v[125:126], v[117:118], v[113:114]
	s_waitcnt vmcnt(17)
	v_fma_f64 v[123:124], v[131:132], v[119:120], v[113:114]
	ds_read_b128 v[113:116], v112 offset:816
	ds_read_b128 v[117:120], v112 offset:832
	s_waitcnt vmcnt(16) lgkmcnt(1)
	v_fma_f64 v[113:114], v[141:142], v[113:114], v[123:124]
	s_waitcnt vmcnt(15)
	v_fma_f64 v[113:114], v[135:136], v[115:116], v[113:114]
	s_waitcnt vmcnt(14) lgkmcnt(0)
	v_fma_f64 v[113:114], v[133:134], v[117:118], v[113:114]
	s_waitcnt vmcnt(9)
	v_fma_f64 v[123:124], v[137:138], v[119:120], v[113:114]
	ds_read_b128 v[113:116], v112 offset:848
	ds_read_b128 v[117:120], v112 offset:864
	s_waitcnt vmcnt(8) lgkmcnt(1)
	v_fma_f64 v[113:114], v[149:150], v[113:114], v[123:124]
	s_waitcnt vmcnt(7)
	v_fma_f64 v[113:114], v[143:144], v[115:116], v[113:114]
	ds_read_b64 v[115:116], v112 offset:880
	s_waitcnt vmcnt(6) lgkmcnt(1)
	v_fma_f64 v[113:114], v[139:140], v[117:118], v[113:114]
	s_waitcnt vmcnt(3)
	v_fma_f64 v[113:114], v[121:122], v[119:120], v[113:114]
	s_waitcnt vmcnt(2) lgkmcnt(0)
	v_fma_f64 v[113:114], v[145:146], v[115:116], v[113:114]
	s_waitcnt vmcnt(0)
	v_add_f64 v[113:114], v[147:148], -v[113:114]
	buffer_store_dword v114, off, s[0:3], 0 offset:172
	buffer_store_dword v113, off, s[0:3], 0 offset:168
	v_cmpx_lt_u32_e32 20, v0
	s_cbranch_execz .LBB118_299
; %bb.298:
	s_clause 0x1
	buffer_load_dword v113, off, s[0:3], 0 offset:160
	buffer_load_dword v114, off, s[0:3], 0 offset:164
	buffer_store_dword v112, off, s[0:3], 0 offset:160
	buffer_store_dword v112, off, s[0:3], 0 offset:164
	s_waitcnt vmcnt(0)
	ds_write_b64 v111, v[113:114]
.LBB118_299:
	s_or_b32 exec_lo, exec_lo, s4
	s_waitcnt lgkmcnt(0)
	s_waitcnt_vscnt null, 0x0
	s_barrier
	buffer_gl0_inv
	s_clause 0x1c
	buffer_load_dword v121, off, s[0:3], 0 offset:168
	buffer_load_dword v122, off, s[0:3], 0 offset:172
	;; [unrolled: 1-line block ×29, first 2 shown]
	ds_read2_b64 v[113:116], v112 offset0:77 offset1:78
	ds_read2_b64 v[117:120], v112 offset0:79 offset1:80
	buffer_load_dword v146, off, s[0:3], 0 offset:284
	s_mov_b32 s4, exec_lo
	s_waitcnt vmcnt(28) lgkmcnt(1)
	v_fma_f64 v[113:114], v[121:122], v[113:114], 0
	s_clause 0x7
	buffer_load_dword v122, off, s[0:3], 0 offset:292
	buffer_load_dword v151, off, s[0:3], 0 offset:312
	buffer_load_dword v153, off, s[0:3], 0 offset:304
	buffer_load_dword v155, off, s[0:3], 0 offset:296
	buffer_load_dword v121, off, s[0:3], 0 offset:288
	buffer_load_dword v156, off, s[0:3], 0 offset:300
	buffer_load_dword v154, off, s[0:3], 0 offset:308
	buffer_load_dword v152, off, s[0:3], 0 offset:316
	s_waitcnt vmcnt(34)
	v_fma_f64 v[113:114], v[123:124], v[115:116], v[113:114]
	s_waitcnt vmcnt(32) lgkmcnt(0)
	v_fma_f64 v[113:114], v[125:126], v[117:118], v[113:114]
	s_waitcnt vmcnt(30)
	v_fma_f64 v[123:124], v[127:128], v[119:120], v[113:114]
	ds_read2_b64 v[113:116], v112 offset0:81 offset1:82
	ds_read2_b64 v[117:120], v112 offset0:83 offset1:84
	s_waitcnt vmcnt(28) lgkmcnt(1)
	v_fma_f64 v[113:114], v[129:130], v[113:114], v[123:124]
	s_clause 0x7
	buffer_load_dword v124, off, s[0:3], 0 offset:324
	buffer_load_dword v125, off, s[0:3], 0 offset:344
	buffer_load_dword v127, off, s[0:3], 0 offset:336
	buffer_load_dword v129, off, s[0:3], 0 offset:328
	buffer_load_dword v123, off, s[0:3], 0 offset:320
	buffer_load_dword v130, off, s[0:3], 0 offset:332
	buffer_load_dword v128, off, s[0:3], 0 offset:340
	buffer_load_dword v126, off, s[0:3], 0 offset:348
	s_waitcnt vmcnt(34)
	v_fma_f64 v[113:114], v[131:132], v[115:116], v[113:114]
	s_waitcnt vmcnt(32) lgkmcnt(0)
	v_fma_f64 v[113:114], v[133:134], v[117:118], v[113:114]
	s_waitcnt vmcnt(27)
	v_fma_f64 v[131:132], v[135:136], v[119:120], v[113:114]
	ds_read2_b64 v[113:116], v112 offset0:85 offset1:86
	ds_read2_b64 v[117:120], v112 offset0:87 offset1:88
	;; [unrolled: 19-line block ×4, first 2 shown]
	s_waitcnt vmcnt(26) lgkmcnt(1)
	v_fma_f64 v[113:114], v[155:156], v[113:114], v[121:122]
	s_clause 0x5
	buffer_load_dword v122, off, s[0:3], 0 offset:420
	buffer_load_dword v145, off, s[0:3], 0 offset:432
	;; [unrolled: 1-line block ×6, first 2 shown]
	s_waitcnt vmcnt(31)
	v_fma_f64 v[113:114], v[153:154], v[115:116], v[113:114]
	s_waitcnt vmcnt(30) lgkmcnt(0)
	v_fma_f64 v[113:114], v[151:152], v[117:118], v[113:114]
	s_waitcnt vmcnt(25)
	v_fma_f64 v[123:124], v[123:124], v[119:120], v[113:114]
	ds_read2_b64 v[113:116], v112 offset0:97 offset1:98
	s_clause 0x1
	buffer_load_dword v151, off, s[0:3], 0 offset:160
	buffer_load_dword v152, off, s[0:3], 0 offset:164
	ds_read2_b64 v[117:120], v112 offset0:99 offset1:100
	s_waitcnt vmcnt(26) lgkmcnt(1)
	v_fma_f64 v[113:114], v[129:130], v[113:114], v[123:124]
	s_waitcnt vmcnt(25)
	v_fma_f64 v[113:114], v[127:128], v[115:116], v[113:114]
	s_waitcnt vmcnt(24) lgkmcnt(0)
	v_fma_f64 v[113:114], v[125:126], v[117:118], v[113:114]
	s_waitcnt vmcnt(19)
	v_fma_f64 v[123:124], v[131:132], v[119:120], v[113:114]
	ds_read2_b64 v[113:116], v112 offset0:101 offset1:102
	ds_read2_b64 v[117:120], v112 offset0:103 offset1:104
	s_waitcnt vmcnt(18) lgkmcnt(1)
	v_fma_f64 v[113:114], v[141:142], v[113:114], v[123:124]
	s_waitcnt vmcnt(17)
	v_fma_f64 v[113:114], v[135:136], v[115:116], v[113:114]
	s_waitcnt vmcnt(16) lgkmcnt(0)
	v_fma_f64 v[113:114], v[133:134], v[117:118], v[113:114]
	s_waitcnt vmcnt(11)
	v_fma_f64 v[123:124], v[137:138], v[119:120], v[113:114]
	ds_read2_b64 v[113:116], v112 offset0:105 offset1:106
	;; [unrolled: 10-line block ×3, first 2 shown]
	s_waitcnt vmcnt(3) lgkmcnt(0)
	v_fma_f64 v[112:113], v[147:148], v[112:113], v[116:117]
	s_waitcnt vmcnt(2)
	v_fma_f64 v[112:113], v[145:146], v[114:115], v[112:113]
	s_waitcnt vmcnt(0)
	v_add_f64 v[112:113], v[151:152], -v[112:113]
	buffer_store_dword v113, off, s[0:3], 0 offset:164
	buffer_store_dword v112, off, s[0:3], 0 offset:160
	v_cmpx_lt_u32_e32 19, v0
	s_cbranch_execz .LBB118_301
; %bb.300:
	s_clause 0x1
	buffer_load_dword v112, off, s[0:3], 0 offset:152
	buffer_load_dword v113, off, s[0:3], 0 offset:156
	v_mov_b32_e32 v114, 0
	buffer_store_dword v114, off, s[0:3], 0 offset:152
	buffer_store_dword v114, off, s[0:3], 0 offset:156
	s_waitcnt vmcnt(0)
	ds_write_b64 v111, v[112:113]
.LBB118_301:
	s_or_b32 exec_lo, exec_lo, s4
	s_waitcnt lgkmcnt(0)
	s_waitcnt_vscnt null, 0x0
	s_barrier
	buffer_gl0_inv
	s_clause 0x1c
	buffer_load_dword v121, off, s[0:3], 0 offset:160
	buffer_load_dword v122, off, s[0:3], 0 offset:164
	;; [unrolled: 1-line block ×29, first 2 shown]
	v_mov_b32_e32 v112, 0
	buffer_load_dword v146, off, s[0:3], 0 offset:276
	s_mov_b32 s4, exec_lo
	ds_read_b128 v[113:116], v112 offset:608
	ds_read_b128 v[117:120], v112 offset:624
	s_waitcnt vmcnt(28) lgkmcnt(1)
	v_fma_f64 v[113:114], v[121:122], v[113:114], 0
	s_clause 0x7
	buffer_load_dword v122, off, s[0:3], 0 offset:284
	buffer_load_dword v151, off, s[0:3], 0 offset:304
	buffer_load_dword v153, off, s[0:3], 0 offset:296
	buffer_load_dword v155, off, s[0:3], 0 offset:288
	buffer_load_dword v121, off, s[0:3], 0 offset:280
	buffer_load_dword v156, off, s[0:3], 0 offset:292
	buffer_load_dword v154, off, s[0:3], 0 offset:300
	buffer_load_dword v152, off, s[0:3], 0 offset:308
	s_waitcnt vmcnt(34)
	v_fma_f64 v[113:114], v[123:124], v[115:116], v[113:114]
	s_waitcnt vmcnt(32) lgkmcnt(0)
	v_fma_f64 v[113:114], v[125:126], v[117:118], v[113:114]
	s_waitcnt vmcnt(30)
	v_fma_f64 v[123:124], v[127:128], v[119:120], v[113:114]
	ds_read_b128 v[113:116], v112 offset:640
	ds_read_b128 v[117:120], v112 offset:656
	s_waitcnt vmcnt(28) lgkmcnt(1)
	v_fma_f64 v[113:114], v[129:130], v[113:114], v[123:124]
	s_clause 0x7
	buffer_load_dword v124, off, s[0:3], 0 offset:316
	buffer_load_dword v125, off, s[0:3], 0 offset:336
	buffer_load_dword v127, off, s[0:3], 0 offset:328
	buffer_load_dword v129, off, s[0:3], 0 offset:320
	buffer_load_dword v123, off, s[0:3], 0 offset:312
	buffer_load_dword v130, off, s[0:3], 0 offset:324
	buffer_load_dword v128, off, s[0:3], 0 offset:332
	buffer_load_dword v126, off, s[0:3], 0 offset:340
	s_waitcnt vmcnt(34)
	v_fma_f64 v[113:114], v[131:132], v[115:116], v[113:114]
	s_waitcnt vmcnt(32) lgkmcnt(0)
	v_fma_f64 v[113:114], v[133:134], v[117:118], v[113:114]
	s_waitcnt vmcnt(27)
	v_fma_f64 v[131:132], v[135:136], v[119:120], v[113:114]
	;; [unrolled: 19-line block ×5, first 2 shown]
	ds_read_b128 v[113:116], v112 offset:768
	ds_read_b128 v[117:120], v112 offset:784
	s_waitcnt vmcnt(26) lgkmcnt(1)
	v_fma_f64 v[113:114], v[129:130], v[113:114], v[123:124]
	s_clause 0x1
	buffer_load_dword v123, off, s[0:3], 0 offset:152
	buffer_load_dword v124, off, s[0:3], 0 offset:156
	s_waitcnt vmcnt(27)
	v_fma_f64 v[113:114], v[127:128], v[115:116], v[113:114]
	s_waitcnt vmcnt(26) lgkmcnt(0)
	v_fma_f64 v[113:114], v[125:126], v[117:118], v[113:114]
	s_waitcnt vmcnt(21)
	v_fma_f64 v[125:126], v[131:132], v[119:120], v[113:114]
	ds_read_b128 v[113:116], v112 offset:800
	ds_read_b128 v[117:120], v112 offset:816
	s_waitcnt vmcnt(20) lgkmcnt(1)
	v_fma_f64 v[113:114], v[141:142], v[113:114], v[125:126]
	s_waitcnt vmcnt(19)
	v_fma_f64 v[113:114], v[135:136], v[115:116], v[113:114]
	s_waitcnt vmcnt(18) lgkmcnt(0)
	v_fma_f64 v[113:114], v[133:134], v[117:118], v[113:114]
	s_waitcnt vmcnt(13)
	v_fma_f64 v[125:126], v[137:138], v[119:120], v[113:114]
	ds_read_b128 v[113:116], v112 offset:832
	ds_read_b128 v[117:120], v112 offset:848
	s_waitcnt vmcnt(12) lgkmcnt(1)
	v_fma_f64 v[113:114], v[149:150], v[113:114], v[125:126]
	s_waitcnt vmcnt(11)
	v_fma_f64 v[113:114], v[143:144], v[115:116], v[113:114]
	s_waitcnt vmcnt(10) lgkmcnt(0)
	v_fma_f64 v[113:114], v[139:140], v[117:118], v[113:114]
	s_waitcnt vmcnt(5)
	v_fma_f64 v[117:118], v[121:122], v[119:120], v[113:114]
	ds_read_b128 v[113:116], v112 offset:864
	ds_read_b64 v[119:120], v112 offset:880
	s_waitcnt vmcnt(4) lgkmcnt(1)
	v_fma_f64 v[113:114], v[155:156], v[113:114], v[117:118]
	s_waitcnt vmcnt(3)
	v_fma_f64 v[113:114], v[147:148], v[115:116], v[113:114]
	s_waitcnt vmcnt(2) lgkmcnt(0)
	v_fma_f64 v[113:114], v[145:146], v[119:120], v[113:114]
	s_waitcnt vmcnt(0)
	v_add_f64 v[113:114], v[123:124], -v[113:114]
	buffer_store_dword v114, off, s[0:3], 0 offset:156
	buffer_store_dword v113, off, s[0:3], 0 offset:152
	v_cmpx_lt_u32_e32 18, v0
	s_cbranch_execz .LBB118_303
; %bb.302:
	s_clause 0x1
	buffer_load_dword v113, off, s[0:3], 0 offset:144
	buffer_load_dword v114, off, s[0:3], 0 offset:148
	buffer_store_dword v112, off, s[0:3], 0 offset:144
	buffer_store_dword v112, off, s[0:3], 0 offset:148
	s_waitcnt vmcnt(0)
	ds_write_b64 v111, v[113:114]
.LBB118_303:
	s_or_b32 exec_lo, exec_lo, s4
	s_waitcnt lgkmcnt(0)
	s_waitcnt_vscnt null, 0x0
	s_barrier
	buffer_gl0_inv
	s_clause 0x1c
	buffer_load_dword v121, off, s[0:3], 0 offset:152
	buffer_load_dword v122, off, s[0:3], 0 offset:156
	;; [unrolled: 1-line block ×29, first 2 shown]
	ds_read2_b64 v[113:116], v112 offset0:75 offset1:76
	ds_read2_b64 v[117:120], v112 offset0:77 offset1:78
	buffer_load_dword v146, off, s[0:3], 0 offset:268
	s_mov_b32 s4, exec_lo
	s_waitcnt vmcnt(28) lgkmcnt(1)
	v_fma_f64 v[113:114], v[121:122], v[113:114], 0
	s_clause 0x7
	buffer_load_dword v122, off, s[0:3], 0 offset:276
	buffer_load_dword v151, off, s[0:3], 0 offset:296
	buffer_load_dword v153, off, s[0:3], 0 offset:288
	buffer_load_dword v155, off, s[0:3], 0 offset:280
	buffer_load_dword v121, off, s[0:3], 0 offset:272
	buffer_load_dword v156, off, s[0:3], 0 offset:284
	buffer_load_dword v154, off, s[0:3], 0 offset:292
	buffer_load_dword v152, off, s[0:3], 0 offset:300
	s_waitcnt vmcnt(34)
	v_fma_f64 v[113:114], v[123:124], v[115:116], v[113:114]
	s_waitcnt vmcnt(32) lgkmcnt(0)
	v_fma_f64 v[113:114], v[125:126], v[117:118], v[113:114]
	s_waitcnt vmcnt(30)
	v_fma_f64 v[123:124], v[127:128], v[119:120], v[113:114]
	ds_read2_b64 v[113:116], v112 offset0:79 offset1:80
	ds_read2_b64 v[117:120], v112 offset0:81 offset1:82
	s_waitcnt vmcnt(28) lgkmcnt(1)
	v_fma_f64 v[113:114], v[129:130], v[113:114], v[123:124]
	s_clause 0x7
	buffer_load_dword v124, off, s[0:3], 0 offset:308
	buffer_load_dword v125, off, s[0:3], 0 offset:328
	buffer_load_dword v127, off, s[0:3], 0 offset:320
	buffer_load_dword v129, off, s[0:3], 0 offset:312
	buffer_load_dword v123, off, s[0:3], 0 offset:304
	buffer_load_dword v130, off, s[0:3], 0 offset:316
	buffer_load_dword v128, off, s[0:3], 0 offset:324
	buffer_load_dword v126, off, s[0:3], 0 offset:332
	s_waitcnt vmcnt(34)
	v_fma_f64 v[113:114], v[131:132], v[115:116], v[113:114]
	s_waitcnt vmcnt(32) lgkmcnt(0)
	v_fma_f64 v[113:114], v[133:134], v[117:118], v[113:114]
	s_waitcnt vmcnt(27)
	v_fma_f64 v[131:132], v[135:136], v[119:120], v[113:114]
	ds_read2_b64 v[113:116], v112 offset0:83 offset1:84
	ds_read2_b64 v[117:120], v112 offset0:85 offset1:86
	;; [unrolled: 19-line block ×5, first 2 shown]
	s_waitcnt vmcnt(26) lgkmcnt(1)
	v_fma_f64 v[113:114], v[129:130], v[113:114], v[123:124]
	s_clause 0x1
	buffer_load_dword v124, off, s[0:3], 0 offset:436
	buffer_load_dword v123, off, s[0:3], 0 offset:432
	s_waitcnt vmcnt(27)
	v_fma_f64 v[113:114], v[127:128], v[115:116], v[113:114]
	s_clause 0x1
	buffer_load_dword v127, off, s[0:3], 0 offset:144
	buffer_load_dword v128, off, s[0:3], 0 offset:148
	s_waitcnt vmcnt(28) lgkmcnt(0)
	v_fma_f64 v[113:114], v[125:126], v[117:118], v[113:114]
	s_waitcnt vmcnt(23)
	v_fma_f64 v[125:126], v[131:132], v[119:120], v[113:114]
	ds_read2_b64 v[113:116], v112 offset0:99 offset1:100
	ds_read2_b64 v[117:120], v112 offset0:101 offset1:102
	s_waitcnt vmcnt(22) lgkmcnt(1)
	v_fma_f64 v[113:114], v[141:142], v[113:114], v[125:126]
	s_waitcnt vmcnt(21)
	v_fma_f64 v[113:114], v[135:136], v[115:116], v[113:114]
	s_waitcnt vmcnt(20) lgkmcnt(0)
	v_fma_f64 v[113:114], v[133:134], v[117:118], v[113:114]
	s_waitcnt vmcnt(15)
	v_fma_f64 v[125:126], v[137:138], v[119:120], v[113:114]
	ds_read2_b64 v[113:116], v112 offset0:103 offset1:104
	ds_read2_b64 v[117:120], v112 offset0:105 offset1:106
	s_waitcnt vmcnt(14) lgkmcnt(1)
	v_fma_f64 v[113:114], v[149:150], v[113:114], v[125:126]
	s_waitcnt vmcnt(13)
	v_fma_f64 v[113:114], v[143:144], v[115:116], v[113:114]
	s_waitcnt vmcnt(12) lgkmcnt(0)
	v_fma_f64 v[113:114], v[139:140], v[117:118], v[113:114]
	s_waitcnt vmcnt(7)
	v_fma_f64 v[121:122], v[121:122], v[119:120], v[113:114]
	ds_read2_b64 v[113:116], v112 offset0:107 offset1:108
	ds_read2_b64 v[117:120], v112 offset0:109 offset1:110
	s_waitcnt vmcnt(6) lgkmcnt(1)
	v_fma_f64 v[112:113], v[155:156], v[113:114], v[121:122]
	s_waitcnt vmcnt(5)
	v_fma_f64 v[112:113], v[147:148], v[115:116], v[112:113]
	s_waitcnt vmcnt(4) lgkmcnt(0)
	v_fma_f64 v[112:113], v[145:146], v[117:118], v[112:113]
	s_waitcnt vmcnt(2)
	v_fma_f64 v[112:113], v[123:124], v[119:120], v[112:113]
	s_waitcnt vmcnt(0)
	v_add_f64 v[112:113], v[127:128], -v[112:113]
	buffer_store_dword v113, off, s[0:3], 0 offset:148
	buffer_store_dword v112, off, s[0:3], 0 offset:144
	v_cmpx_lt_u32_e32 17, v0
	s_cbranch_execz .LBB118_305
; %bb.304:
	s_clause 0x1
	buffer_load_dword v112, off, s[0:3], 0 offset:136
	buffer_load_dword v113, off, s[0:3], 0 offset:140
	v_mov_b32_e32 v114, 0
	buffer_store_dword v114, off, s[0:3], 0 offset:136
	buffer_store_dword v114, off, s[0:3], 0 offset:140
	s_waitcnt vmcnt(0)
	ds_write_b64 v111, v[112:113]
.LBB118_305:
	s_or_b32 exec_lo, exec_lo, s4
	s_waitcnt lgkmcnt(0)
	s_waitcnt_vscnt null, 0x0
	s_barrier
	buffer_gl0_inv
	s_clause 0x1c
	buffer_load_dword v121, off, s[0:3], 0 offset:144
	buffer_load_dword v122, off, s[0:3], 0 offset:148
	;; [unrolled: 1-line block ×29, first 2 shown]
	v_mov_b32_e32 v112, 0
	buffer_load_dword v146, off, s[0:3], 0 offset:260
	s_mov_b32 s4, exec_lo
	ds_read_b128 v[113:116], v112 offset:592
	ds_read_b128 v[117:120], v112 offset:608
	s_waitcnt vmcnt(28) lgkmcnt(1)
	v_fma_f64 v[113:114], v[121:122], v[113:114], 0
	s_clause 0x7
	buffer_load_dword v122, off, s[0:3], 0 offset:268
	buffer_load_dword v151, off, s[0:3], 0 offset:288
	buffer_load_dword v153, off, s[0:3], 0 offset:280
	buffer_load_dword v155, off, s[0:3], 0 offset:272
	buffer_load_dword v121, off, s[0:3], 0 offset:264
	buffer_load_dword v156, off, s[0:3], 0 offset:276
	buffer_load_dword v154, off, s[0:3], 0 offset:284
	buffer_load_dword v152, off, s[0:3], 0 offset:292
	s_waitcnt vmcnt(34)
	v_fma_f64 v[113:114], v[123:124], v[115:116], v[113:114]
	s_waitcnt vmcnt(32) lgkmcnt(0)
	v_fma_f64 v[113:114], v[125:126], v[117:118], v[113:114]
	s_waitcnt vmcnt(30)
	v_fma_f64 v[123:124], v[127:128], v[119:120], v[113:114]
	ds_read_b128 v[113:116], v112 offset:624
	ds_read_b128 v[117:120], v112 offset:640
	s_waitcnt vmcnt(28) lgkmcnt(1)
	v_fma_f64 v[113:114], v[129:130], v[113:114], v[123:124]
	s_clause 0x7
	buffer_load_dword v124, off, s[0:3], 0 offset:300
	buffer_load_dword v125, off, s[0:3], 0 offset:320
	buffer_load_dword v127, off, s[0:3], 0 offset:312
	buffer_load_dword v129, off, s[0:3], 0 offset:304
	buffer_load_dword v123, off, s[0:3], 0 offset:296
	buffer_load_dword v130, off, s[0:3], 0 offset:308
	buffer_load_dword v128, off, s[0:3], 0 offset:316
	buffer_load_dword v126, off, s[0:3], 0 offset:324
	s_waitcnt vmcnt(34)
	v_fma_f64 v[113:114], v[131:132], v[115:116], v[113:114]
	s_waitcnt vmcnt(32) lgkmcnt(0)
	v_fma_f64 v[113:114], v[133:134], v[117:118], v[113:114]
	s_waitcnt vmcnt(27)
	v_fma_f64 v[131:132], v[135:136], v[119:120], v[113:114]
	;; [unrolled: 19-line block ×5, first 2 shown]
	ds_read_b128 v[113:116], v112 offset:752
	ds_read_b128 v[117:120], v112 offset:768
	s_waitcnt vmcnt(26) lgkmcnt(1)
	v_fma_f64 v[113:114], v[129:130], v[113:114], v[123:124]
	s_clause 0x3
	buffer_load_dword v124, off, s[0:3], 0 offset:428
	buffer_load_dword v129, off, s[0:3], 0 offset:432
	;; [unrolled: 1-line block ×4, first 2 shown]
	s_waitcnt vmcnt(29)
	v_fma_f64 v[113:114], v[127:128], v[115:116], v[113:114]
	s_waitcnt vmcnt(28) lgkmcnt(0)
	v_fma_f64 v[113:114], v[125:126], v[117:118], v[113:114]
	s_clause 0x1
	buffer_load_dword v125, off, s[0:3], 0 offset:136
	buffer_load_dword v126, off, s[0:3], 0 offset:140
	s_waitcnt vmcnt(25)
	v_fma_f64 v[127:128], v[131:132], v[119:120], v[113:114]
	ds_read_b128 v[113:116], v112 offset:784
	ds_read_b128 v[117:120], v112 offset:800
	s_waitcnt vmcnt(24) lgkmcnt(1)
	v_fma_f64 v[113:114], v[141:142], v[113:114], v[127:128]
	s_waitcnt vmcnt(23)
	v_fma_f64 v[113:114], v[135:136], v[115:116], v[113:114]
	s_waitcnt vmcnt(22) lgkmcnt(0)
	v_fma_f64 v[113:114], v[133:134], v[117:118], v[113:114]
	s_waitcnt vmcnt(17)
	v_fma_f64 v[127:128], v[137:138], v[119:120], v[113:114]
	ds_read_b128 v[113:116], v112 offset:816
	ds_read_b128 v[117:120], v112 offset:832
	s_waitcnt vmcnt(16) lgkmcnt(1)
	v_fma_f64 v[113:114], v[149:150], v[113:114], v[127:128]
	s_waitcnt vmcnt(15)
	v_fma_f64 v[113:114], v[143:144], v[115:116], v[113:114]
	s_waitcnt vmcnt(14) lgkmcnt(0)
	v_fma_f64 v[113:114], v[139:140], v[117:118], v[113:114]
	s_waitcnt vmcnt(9)
	v_fma_f64 v[121:122], v[121:122], v[119:120], v[113:114]
	ds_read_b128 v[113:116], v112 offset:848
	ds_read_b128 v[117:120], v112 offset:864
	s_waitcnt vmcnt(8) lgkmcnt(1)
	v_fma_f64 v[113:114], v[155:156], v[113:114], v[121:122]
	s_waitcnt vmcnt(7)
	v_fma_f64 v[113:114], v[147:148], v[115:116], v[113:114]
	ds_read_b64 v[115:116], v112 offset:880
	s_waitcnt vmcnt(6) lgkmcnt(1)
	v_fma_f64 v[113:114], v[145:146], v[117:118], v[113:114]
	s_waitcnt vmcnt(3)
	v_fma_f64 v[113:114], v[123:124], v[119:120], v[113:114]
	s_waitcnt vmcnt(2) lgkmcnt(0)
	v_fma_f64 v[113:114], v[129:130], v[115:116], v[113:114]
	s_waitcnt vmcnt(0)
	v_add_f64 v[113:114], v[125:126], -v[113:114]
	buffer_store_dword v114, off, s[0:3], 0 offset:140
	buffer_store_dword v113, off, s[0:3], 0 offset:136
	v_cmpx_lt_u32_e32 16, v0
	s_cbranch_execz .LBB118_307
; %bb.306:
	s_clause 0x1
	buffer_load_dword v113, off, s[0:3], 0 offset:128
	buffer_load_dword v114, off, s[0:3], 0 offset:132
	buffer_store_dword v112, off, s[0:3], 0 offset:128
	buffer_store_dword v112, off, s[0:3], 0 offset:132
	s_waitcnt vmcnt(0)
	ds_write_b64 v111, v[113:114]
.LBB118_307:
	s_or_b32 exec_lo, exec_lo, s4
	s_waitcnt lgkmcnt(0)
	s_waitcnt_vscnt null, 0x0
	s_barrier
	buffer_gl0_inv
	s_clause 0x1c
	buffer_load_dword v121, off, s[0:3], 0 offset:136
	buffer_load_dword v122, off, s[0:3], 0 offset:140
	;; [unrolled: 1-line block ×29, first 2 shown]
	ds_read2_b64 v[113:116], v112 offset0:73 offset1:74
	ds_read2_b64 v[117:120], v112 offset0:75 offset1:76
	buffer_load_dword v146, off, s[0:3], 0 offset:252
	s_mov_b32 s4, exec_lo
	s_waitcnt vmcnt(28) lgkmcnt(1)
	v_fma_f64 v[113:114], v[121:122], v[113:114], 0
	s_clause 0x7
	buffer_load_dword v122, off, s[0:3], 0 offset:260
	buffer_load_dword v151, off, s[0:3], 0 offset:280
	buffer_load_dword v153, off, s[0:3], 0 offset:272
	buffer_load_dword v155, off, s[0:3], 0 offset:264
	buffer_load_dword v121, off, s[0:3], 0 offset:256
	buffer_load_dword v156, off, s[0:3], 0 offset:268
	buffer_load_dword v154, off, s[0:3], 0 offset:276
	buffer_load_dword v152, off, s[0:3], 0 offset:284
	s_waitcnt vmcnt(34)
	v_fma_f64 v[113:114], v[123:124], v[115:116], v[113:114]
	s_waitcnt vmcnt(32) lgkmcnt(0)
	v_fma_f64 v[113:114], v[125:126], v[117:118], v[113:114]
	s_waitcnt vmcnt(30)
	v_fma_f64 v[123:124], v[127:128], v[119:120], v[113:114]
	ds_read2_b64 v[113:116], v112 offset0:77 offset1:78
	ds_read2_b64 v[117:120], v112 offset0:79 offset1:80
	s_waitcnt vmcnt(28) lgkmcnt(1)
	v_fma_f64 v[113:114], v[129:130], v[113:114], v[123:124]
	s_clause 0x7
	buffer_load_dword v124, off, s[0:3], 0 offset:292
	buffer_load_dword v125, off, s[0:3], 0 offset:312
	buffer_load_dword v127, off, s[0:3], 0 offset:304
	buffer_load_dword v129, off, s[0:3], 0 offset:296
	buffer_load_dword v123, off, s[0:3], 0 offset:288
	buffer_load_dword v130, off, s[0:3], 0 offset:300
	buffer_load_dword v128, off, s[0:3], 0 offset:308
	buffer_load_dword v126, off, s[0:3], 0 offset:316
	s_waitcnt vmcnt(34)
	v_fma_f64 v[113:114], v[131:132], v[115:116], v[113:114]
	s_waitcnt vmcnt(32) lgkmcnt(0)
	v_fma_f64 v[113:114], v[133:134], v[117:118], v[113:114]
	s_waitcnt vmcnt(27)
	v_fma_f64 v[131:132], v[135:136], v[119:120], v[113:114]
	ds_read2_b64 v[113:116], v112 offset0:81 offset1:82
	ds_read2_b64 v[117:120], v112 offset0:83 offset1:84
	;; [unrolled: 19-line block ×5, first 2 shown]
	s_waitcnt vmcnt(26) lgkmcnt(1)
	v_fma_f64 v[113:114], v[129:130], v[113:114], v[123:124]
	s_clause 0x5
	buffer_load_dword v124, off, s[0:3], 0 offset:420
	buffer_load_dword v129, off, s[0:3], 0 offset:432
	;; [unrolled: 1-line block ×6, first 2 shown]
	s_waitcnt vmcnt(31)
	v_fma_f64 v[113:114], v[127:128], v[115:116], v[113:114]
	s_waitcnt vmcnt(30) lgkmcnt(0)
	v_fma_f64 v[113:114], v[125:126], v[117:118], v[113:114]
	s_waitcnt vmcnt(25)
	v_fma_f64 v[125:126], v[131:132], v[119:120], v[113:114]
	ds_read2_b64 v[113:116], v112 offset0:97 offset1:98
	s_clause 0x1
	buffer_load_dword v127, off, s[0:3], 0 offset:128
	buffer_load_dword v128, off, s[0:3], 0 offset:132
	ds_read2_b64 v[117:120], v112 offset0:99 offset1:100
	s_waitcnt vmcnt(26) lgkmcnt(1)
	v_fma_f64 v[113:114], v[141:142], v[113:114], v[125:126]
	s_waitcnt vmcnt(25)
	v_fma_f64 v[113:114], v[135:136], v[115:116], v[113:114]
	s_waitcnt vmcnt(24) lgkmcnt(0)
	v_fma_f64 v[113:114], v[133:134], v[117:118], v[113:114]
	s_waitcnt vmcnt(19)
	v_fma_f64 v[125:126], v[137:138], v[119:120], v[113:114]
	ds_read2_b64 v[113:116], v112 offset0:101 offset1:102
	ds_read2_b64 v[117:120], v112 offset0:103 offset1:104
	s_waitcnt vmcnt(18) lgkmcnt(1)
	v_fma_f64 v[113:114], v[149:150], v[113:114], v[125:126]
	s_waitcnt vmcnt(17)
	v_fma_f64 v[113:114], v[143:144], v[115:116], v[113:114]
	s_waitcnt vmcnt(16) lgkmcnt(0)
	v_fma_f64 v[113:114], v[139:140], v[117:118], v[113:114]
	s_waitcnt vmcnt(11)
	v_fma_f64 v[121:122], v[121:122], v[119:120], v[113:114]
	ds_read2_b64 v[113:116], v112 offset0:105 offset1:106
	;; [unrolled: 10-line block ×3, first 2 shown]
	s_waitcnt vmcnt(3) lgkmcnt(0)
	v_fma_f64 v[112:113], v[151:152], v[112:113], v[116:117]
	s_waitcnt vmcnt(2)
	v_fma_f64 v[112:113], v[129:130], v[114:115], v[112:113]
	s_waitcnt vmcnt(0)
	v_add_f64 v[112:113], v[127:128], -v[112:113]
	buffer_store_dword v113, off, s[0:3], 0 offset:132
	buffer_store_dword v112, off, s[0:3], 0 offset:128
	v_cmpx_lt_u32_e32 15, v0
	s_cbranch_execz .LBB118_309
; %bb.308:
	s_clause 0x1
	buffer_load_dword v112, off, s[0:3], 0 offset:120
	buffer_load_dword v113, off, s[0:3], 0 offset:124
	v_mov_b32_e32 v114, 0
	buffer_store_dword v114, off, s[0:3], 0 offset:120
	buffer_store_dword v114, off, s[0:3], 0 offset:124
	s_waitcnt vmcnt(0)
	ds_write_b64 v111, v[112:113]
.LBB118_309:
	s_or_b32 exec_lo, exec_lo, s4
	s_waitcnt lgkmcnt(0)
	s_waitcnt_vscnt null, 0x0
	s_barrier
	buffer_gl0_inv
	s_clause 0x1c
	buffer_load_dword v121, off, s[0:3], 0 offset:128
	buffer_load_dword v122, off, s[0:3], 0 offset:132
	;; [unrolled: 1-line block ×29, first 2 shown]
	v_mov_b32_e32 v112, 0
	buffer_load_dword v146, off, s[0:3], 0 offset:244
	s_mov_b32 s4, exec_lo
	ds_read_b128 v[113:116], v112 offset:576
	ds_read_b128 v[117:120], v112 offset:592
	s_waitcnt vmcnt(28) lgkmcnt(1)
	v_fma_f64 v[113:114], v[121:122], v[113:114], 0
	s_clause 0x7
	buffer_load_dword v122, off, s[0:3], 0 offset:252
	buffer_load_dword v151, off, s[0:3], 0 offset:272
	buffer_load_dword v153, off, s[0:3], 0 offset:264
	buffer_load_dword v155, off, s[0:3], 0 offset:256
	buffer_load_dword v121, off, s[0:3], 0 offset:248
	buffer_load_dword v156, off, s[0:3], 0 offset:260
	buffer_load_dword v154, off, s[0:3], 0 offset:268
	buffer_load_dword v152, off, s[0:3], 0 offset:276
	s_waitcnt vmcnt(34)
	v_fma_f64 v[113:114], v[123:124], v[115:116], v[113:114]
	s_waitcnt vmcnt(32) lgkmcnt(0)
	v_fma_f64 v[113:114], v[125:126], v[117:118], v[113:114]
	s_waitcnt vmcnt(30)
	v_fma_f64 v[123:124], v[127:128], v[119:120], v[113:114]
	ds_read_b128 v[113:116], v112 offset:608
	ds_read_b128 v[117:120], v112 offset:624
	s_waitcnt vmcnt(28) lgkmcnt(1)
	v_fma_f64 v[113:114], v[129:130], v[113:114], v[123:124]
	s_clause 0x7
	buffer_load_dword v124, off, s[0:3], 0 offset:284
	buffer_load_dword v125, off, s[0:3], 0 offset:304
	buffer_load_dword v127, off, s[0:3], 0 offset:296
	buffer_load_dword v129, off, s[0:3], 0 offset:288
	buffer_load_dword v123, off, s[0:3], 0 offset:280
	buffer_load_dword v130, off, s[0:3], 0 offset:292
	buffer_load_dword v128, off, s[0:3], 0 offset:300
	buffer_load_dword v126, off, s[0:3], 0 offset:308
	s_waitcnt vmcnt(34)
	v_fma_f64 v[113:114], v[131:132], v[115:116], v[113:114]
	s_waitcnt vmcnt(32) lgkmcnt(0)
	v_fma_f64 v[113:114], v[133:134], v[117:118], v[113:114]
	s_waitcnt vmcnt(27)
	v_fma_f64 v[131:132], v[135:136], v[119:120], v[113:114]
	;; [unrolled: 19-line block ×6, first 2 shown]
	ds_read_b128 v[113:116], v112 offset:768
	ds_read_b128 v[117:120], v112 offset:784
	s_waitcnt vmcnt(26) lgkmcnt(1)
	v_fma_f64 v[113:114], v[141:142], v[113:114], v[125:126]
	s_clause 0x1
	buffer_load_dword v125, off, s[0:3], 0 offset:120
	buffer_load_dword v126, off, s[0:3], 0 offset:124
	s_waitcnt vmcnt(27)
	v_fma_f64 v[113:114], v[135:136], v[115:116], v[113:114]
	s_waitcnt vmcnt(26) lgkmcnt(0)
	v_fma_f64 v[113:114], v[133:134], v[117:118], v[113:114]
	s_waitcnt vmcnt(21)
	v_fma_f64 v[127:128], v[137:138], v[119:120], v[113:114]
	ds_read_b128 v[113:116], v112 offset:800
	ds_read_b128 v[117:120], v112 offset:816
	s_waitcnt vmcnt(20) lgkmcnt(1)
	v_fma_f64 v[113:114], v[149:150], v[113:114], v[127:128]
	s_waitcnt vmcnt(19)
	v_fma_f64 v[113:114], v[143:144], v[115:116], v[113:114]
	s_waitcnt vmcnt(18) lgkmcnt(0)
	v_fma_f64 v[113:114], v[139:140], v[117:118], v[113:114]
	s_waitcnt vmcnt(13)
	v_fma_f64 v[121:122], v[121:122], v[119:120], v[113:114]
	ds_read_b128 v[113:116], v112 offset:832
	ds_read_b128 v[117:120], v112 offset:848
	s_waitcnt vmcnt(12) lgkmcnt(1)
	v_fma_f64 v[113:114], v[155:156], v[113:114], v[121:122]
	s_waitcnt vmcnt(11)
	v_fma_f64 v[113:114], v[147:148], v[115:116], v[113:114]
	s_waitcnt vmcnt(10) lgkmcnt(0)
	v_fma_f64 v[113:114], v[145:146], v[117:118], v[113:114]
	s_waitcnt vmcnt(5)
	v_fma_f64 v[117:118], v[123:124], v[119:120], v[113:114]
	ds_read_b128 v[113:116], v112 offset:864
	ds_read_b64 v[119:120], v112 offset:880
	s_waitcnt vmcnt(4) lgkmcnt(1)
	v_fma_f64 v[113:114], v[153:154], v[113:114], v[117:118]
	s_waitcnt vmcnt(3)
	v_fma_f64 v[113:114], v[151:152], v[115:116], v[113:114]
	s_waitcnt vmcnt(2) lgkmcnt(0)
	v_fma_f64 v[113:114], v[129:130], v[119:120], v[113:114]
	s_waitcnt vmcnt(0)
	v_add_f64 v[113:114], v[125:126], -v[113:114]
	buffer_store_dword v114, off, s[0:3], 0 offset:124
	buffer_store_dword v113, off, s[0:3], 0 offset:120
	v_cmpx_lt_u32_e32 14, v0
	s_cbranch_execz .LBB118_311
; %bb.310:
	s_clause 0x1
	buffer_load_dword v113, off, s[0:3], 0 offset:112
	buffer_load_dword v114, off, s[0:3], 0 offset:116
	buffer_store_dword v112, off, s[0:3], 0 offset:112
	buffer_store_dword v112, off, s[0:3], 0 offset:116
	s_waitcnt vmcnt(0)
	ds_write_b64 v111, v[113:114]
.LBB118_311:
	s_or_b32 exec_lo, exec_lo, s4
	s_waitcnt lgkmcnt(0)
	s_waitcnt_vscnt null, 0x0
	s_barrier
	buffer_gl0_inv
	s_clause 0x1c
	buffer_load_dword v121, off, s[0:3], 0 offset:120
	buffer_load_dword v122, off, s[0:3], 0 offset:124
	;; [unrolled: 1-line block ×29, first 2 shown]
	ds_read2_b64 v[113:116], v112 offset0:71 offset1:72
	ds_read2_b64 v[117:120], v112 offset0:73 offset1:74
	buffer_load_dword v146, off, s[0:3], 0 offset:236
	s_mov_b32 s4, exec_lo
	s_waitcnt vmcnt(28) lgkmcnt(1)
	v_fma_f64 v[113:114], v[121:122], v[113:114], 0
	s_clause 0x7
	buffer_load_dword v122, off, s[0:3], 0 offset:244
	buffer_load_dword v151, off, s[0:3], 0 offset:264
	buffer_load_dword v153, off, s[0:3], 0 offset:256
	buffer_load_dword v155, off, s[0:3], 0 offset:248
	buffer_load_dword v121, off, s[0:3], 0 offset:240
	buffer_load_dword v156, off, s[0:3], 0 offset:252
	buffer_load_dword v154, off, s[0:3], 0 offset:260
	buffer_load_dword v152, off, s[0:3], 0 offset:268
	s_waitcnt vmcnt(34)
	v_fma_f64 v[113:114], v[123:124], v[115:116], v[113:114]
	s_waitcnt vmcnt(32) lgkmcnt(0)
	v_fma_f64 v[113:114], v[125:126], v[117:118], v[113:114]
	s_waitcnt vmcnt(30)
	v_fma_f64 v[123:124], v[127:128], v[119:120], v[113:114]
	ds_read2_b64 v[113:116], v112 offset0:75 offset1:76
	ds_read2_b64 v[117:120], v112 offset0:77 offset1:78
	s_waitcnt vmcnt(28) lgkmcnt(1)
	v_fma_f64 v[113:114], v[129:130], v[113:114], v[123:124]
	s_clause 0x7
	buffer_load_dword v124, off, s[0:3], 0 offset:276
	buffer_load_dword v125, off, s[0:3], 0 offset:296
	buffer_load_dword v127, off, s[0:3], 0 offset:288
	buffer_load_dword v129, off, s[0:3], 0 offset:280
	buffer_load_dword v123, off, s[0:3], 0 offset:272
	buffer_load_dword v130, off, s[0:3], 0 offset:284
	buffer_load_dword v128, off, s[0:3], 0 offset:292
	buffer_load_dword v126, off, s[0:3], 0 offset:300
	s_waitcnt vmcnt(34)
	v_fma_f64 v[113:114], v[131:132], v[115:116], v[113:114]
	s_waitcnt vmcnt(32) lgkmcnt(0)
	v_fma_f64 v[113:114], v[133:134], v[117:118], v[113:114]
	s_waitcnt vmcnt(27)
	v_fma_f64 v[131:132], v[135:136], v[119:120], v[113:114]
	ds_read2_b64 v[113:116], v112 offset0:79 offset1:80
	ds_read2_b64 v[117:120], v112 offset0:81 offset1:82
	;; [unrolled: 19-line block ×6, first 2 shown]
	s_waitcnt vmcnt(26) lgkmcnt(1)
	v_fma_f64 v[113:114], v[141:142], v[113:114], v[125:126]
	s_clause 0x3
	buffer_load_dword v126, off, s[0:3], 0 offset:436
	buffer_load_dword v125, off, s[0:3], 0 offset:432
	;; [unrolled: 1-line block ×4, first 2 shown]
	s_waitcnt vmcnt(29)
	v_fma_f64 v[113:114], v[135:136], v[115:116], v[113:114]
	s_waitcnt vmcnt(28) lgkmcnt(0)
	v_fma_f64 v[113:114], v[133:134], v[117:118], v[113:114]
	s_waitcnt vmcnt(23)
	v_fma_f64 v[131:132], v[137:138], v[119:120], v[113:114]
	ds_read2_b64 v[113:116], v112 offset0:99 offset1:100
	ds_read2_b64 v[117:120], v112 offset0:101 offset1:102
	s_waitcnt vmcnt(22) lgkmcnt(1)
	v_fma_f64 v[113:114], v[149:150], v[113:114], v[131:132]
	s_waitcnt vmcnt(21)
	v_fma_f64 v[113:114], v[143:144], v[115:116], v[113:114]
	s_waitcnt vmcnt(20) lgkmcnt(0)
	v_fma_f64 v[113:114], v[139:140], v[117:118], v[113:114]
	s_waitcnt vmcnt(15)
	v_fma_f64 v[121:122], v[121:122], v[119:120], v[113:114]
	ds_read2_b64 v[113:116], v112 offset0:103 offset1:104
	ds_read2_b64 v[117:120], v112 offset0:105 offset1:106
	s_waitcnt vmcnt(14) lgkmcnt(1)
	v_fma_f64 v[113:114], v[155:156], v[113:114], v[121:122]
	;; [unrolled: 10-line block ×3, first 2 shown]
	s_waitcnt vmcnt(5)
	v_fma_f64 v[112:113], v[151:152], v[115:116], v[112:113]
	s_waitcnt vmcnt(4) lgkmcnt(0)
	v_fma_f64 v[112:113], v[129:130], v[117:118], v[112:113]
	s_waitcnt vmcnt(2)
	v_fma_f64 v[112:113], v[125:126], v[119:120], v[112:113]
	s_waitcnt vmcnt(0)
	v_add_f64 v[112:113], v[127:128], -v[112:113]
	buffer_store_dword v113, off, s[0:3], 0 offset:116
	buffer_store_dword v112, off, s[0:3], 0 offset:112
	v_cmpx_lt_u32_e32 13, v0
	s_cbranch_execz .LBB118_313
; %bb.312:
	s_clause 0x1
	buffer_load_dword v112, off, s[0:3], 0 offset:104
	buffer_load_dword v113, off, s[0:3], 0 offset:108
	v_mov_b32_e32 v114, 0
	buffer_store_dword v114, off, s[0:3], 0 offset:104
	buffer_store_dword v114, off, s[0:3], 0 offset:108
	s_waitcnt vmcnt(0)
	ds_write_b64 v111, v[112:113]
.LBB118_313:
	s_or_b32 exec_lo, exec_lo, s4
	s_waitcnt lgkmcnt(0)
	s_waitcnt_vscnt null, 0x0
	s_barrier
	buffer_gl0_inv
	s_clause 0x1c
	buffer_load_dword v121, off, s[0:3], 0 offset:112
	buffer_load_dword v122, off, s[0:3], 0 offset:116
	;; [unrolled: 1-line block ×29, first 2 shown]
	v_mov_b32_e32 v112, 0
	buffer_load_dword v146, off, s[0:3], 0 offset:228
	s_mov_b32 s4, exec_lo
	ds_read_b128 v[113:116], v112 offset:560
	ds_read_b128 v[117:120], v112 offset:576
	s_waitcnt vmcnt(28) lgkmcnt(1)
	v_fma_f64 v[113:114], v[121:122], v[113:114], 0
	s_clause 0x7
	buffer_load_dword v122, off, s[0:3], 0 offset:236
	buffer_load_dword v151, off, s[0:3], 0 offset:256
	buffer_load_dword v153, off, s[0:3], 0 offset:248
	buffer_load_dword v155, off, s[0:3], 0 offset:240
	buffer_load_dword v121, off, s[0:3], 0 offset:232
	buffer_load_dword v156, off, s[0:3], 0 offset:244
	buffer_load_dword v154, off, s[0:3], 0 offset:252
	buffer_load_dword v152, off, s[0:3], 0 offset:260
	s_waitcnt vmcnt(34)
	v_fma_f64 v[113:114], v[123:124], v[115:116], v[113:114]
	s_waitcnt vmcnt(32) lgkmcnt(0)
	v_fma_f64 v[113:114], v[125:126], v[117:118], v[113:114]
	s_waitcnt vmcnt(30)
	v_fma_f64 v[123:124], v[127:128], v[119:120], v[113:114]
	ds_read_b128 v[113:116], v112 offset:592
	ds_read_b128 v[117:120], v112 offset:608
	s_waitcnt vmcnt(28) lgkmcnt(1)
	v_fma_f64 v[113:114], v[129:130], v[113:114], v[123:124]
	s_clause 0x7
	buffer_load_dword v124, off, s[0:3], 0 offset:268
	buffer_load_dword v125, off, s[0:3], 0 offset:288
	buffer_load_dword v127, off, s[0:3], 0 offset:280
	buffer_load_dword v129, off, s[0:3], 0 offset:272
	buffer_load_dword v123, off, s[0:3], 0 offset:264
	buffer_load_dword v130, off, s[0:3], 0 offset:276
	buffer_load_dword v128, off, s[0:3], 0 offset:284
	buffer_load_dword v126, off, s[0:3], 0 offset:292
	s_waitcnt vmcnt(34)
	v_fma_f64 v[113:114], v[131:132], v[115:116], v[113:114]
	s_waitcnt vmcnt(32) lgkmcnt(0)
	v_fma_f64 v[113:114], v[133:134], v[117:118], v[113:114]
	s_waitcnt vmcnt(27)
	v_fma_f64 v[131:132], v[135:136], v[119:120], v[113:114]
	;; [unrolled: 19-line block ×6, first 2 shown]
	ds_read_b128 v[113:116], v112 offset:752
	ds_read_b128 v[117:120], v112 offset:768
	s_waitcnt vmcnt(26) lgkmcnt(1)
	v_fma_f64 v[113:114], v[141:142], v[113:114], v[125:126]
	s_clause 0x5
	buffer_load_dword v126, off, s[0:3], 0 offset:428
	buffer_load_dword v127, off, s[0:3], 0 offset:432
	;; [unrolled: 1-line block ×6, first 2 shown]
	s_waitcnt vmcnt(31)
	v_fma_f64 v[113:114], v[135:136], v[115:116], v[113:114]
	s_waitcnt vmcnt(30) lgkmcnt(0)
	v_fma_f64 v[113:114], v[133:134], v[117:118], v[113:114]
	s_waitcnt vmcnt(25)
	v_fma_f64 v[133:134], v[137:138], v[119:120], v[113:114]
	ds_read_b128 v[113:116], v112 offset:784
	ds_read_b128 v[117:120], v112 offset:800
	s_waitcnt vmcnt(24) lgkmcnt(1)
	v_fma_f64 v[113:114], v[149:150], v[113:114], v[133:134]
	s_waitcnt vmcnt(23)
	v_fma_f64 v[113:114], v[143:144], v[115:116], v[113:114]
	s_waitcnt vmcnt(22) lgkmcnt(0)
	v_fma_f64 v[113:114], v[139:140], v[117:118], v[113:114]
	s_waitcnt vmcnt(17)
	v_fma_f64 v[121:122], v[121:122], v[119:120], v[113:114]
	ds_read_b128 v[113:116], v112 offset:816
	ds_read_b128 v[117:120], v112 offset:832
	s_waitcnt vmcnt(16) lgkmcnt(1)
	v_fma_f64 v[113:114], v[155:156], v[113:114], v[121:122]
	;; [unrolled: 10-line block ×3, first 2 shown]
	s_waitcnt vmcnt(7)
	v_fma_f64 v[113:114], v[151:152], v[115:116], v[113:114]
	ds_read_b64 v[115:116], v112 offset:880
	s_waitcnt vmcnt(6) lgkmcnt(1)
	v_fma_f64 v[113:114], v[129:130], v[117:118], v[113:114]
	s_waitcnt vmcnt(3)
	v_fma_f64 v[113:114], v[125:126], v[119:120], v[113:114]
	s_waitcnt vmcnt(2) lgkmcnt(0)
	v_fma_f64 v[113:114], v[127:128], v[115:116], v[113:114]
	s_waitcnt vmcnt(0)
	v_add_f64 v[113:114], v[131:132], -v[113:114]
	buffer_store_dword v114, off, s[0:3], 0 offset:108
	buffer_store_dword v113, off, s[0:3], 0 offset:104
	v_cmpx_lt_u32_e32 12, v0
	s_cbranch_execz .LBB118_315
; %bb.314:
	s_clause 0x1
	buffer_load_dword v113, off, s[0:3], 0 offset:96
	buffer_load_dword v114, off, s[0:3], 0 offset:100
	buffer_store_dword v112, off, s[0:3], 0 offset:96
	buffer_store_dword v112, off, s[0:3], 0 offset:100
	s_waitcnt vmcnt(0)
	ds_write_b64 v111, v[113:114]
.LBB118_315:
	s_or_b32 exec_lo, exec_lo, s4
	s_waitcnt lgkmcnt(0)
	s_waitcnt_vscnt null, 0x0
	s_barrier
	buffer_gl0_inv
	s_clause 0x1c
	buffer_load_dword v121, off, s[0:3], 0 offset:104
	buffer_load_dword v122, off, s[0:3], 0 offset:108
	;; [unrolled: 1-line block ×29, first 2 shown]
	ds_read2_b64 v[113:116], v112 offset0:69 offset1:70
	ds_read2_b64 v[117:120], v112 offset0:71 offset1:72
	buffer_load_dword v146, off, s[0:3], 0 offset:220
	s_mov_b32 s4, exec_lo
	s_waitcnt vmcnt(28) lgkmcnt(1)
	v_fma_f64 v[113:114], v[121:122], v[113:114], 0
	s_clause 0x7
	buffer_load_dword v122, off, s[0:3], 0 offset:228
	buffer_load_dword v151, off, s[0:3], 0 offset:248
	buffer_load_dword v153, off, s[0:3], 0 offset:240
	buffer_load_dword v155, off, s[0:3], 0 offset:232
	buffer_load_dword v121, off, s[0:3], 0 offset:224
	buffer_load_dword v156, off, s[0:3], 0 offset:236
	buffer_load_dword v154, off, s[0:3], 0 offset:244
	buffer_load_dword v152, off, s[0:3], 0 offset:252
	s_waitcnt vmcnt(34)
	v_fma_f64 v[113:114], v[123:124], v[115:116], v[113:114]
	s_waitcnt vmcnt(32) lgkmcnt(0)
	v_fma_f64 v[113:114], v[125:126], v[117:118], v[113:114]
	s_waitcnt vmcnt(30)
	v_fma_f64 v[123:124], v[127:128], v[119:120], v[113:114]
	ds_read2_b64 v[113:116], v112 offset0:73 offset1:74
	ds_read2_b64 v[117:120], v112 offset0:75 offset1:76
	s_waitcnt vmcnt(28) lgkmcnt(1)
	v_fma_f64 v[113:114], v[129:130], v[113:114], v[123:124]
	s_clause 0x7
	buffer_load_dword v124, off, s[0:3], 0 offset:260
	buffer_load_dword v125, off, s[0:3], 0 offset:280
	buffer_load_dword v127, off, s[0:3], 0 offset:272
	buffer_load_dword v129, off, s[0:3], 0 offset:264
	buffer_load_dword v123, off, s[0:3], 0 offset:256
	buffer_load_dword v130, off, s[0:3], 0 offset:268
	buffer_load_dword v128, off, s[0:3], 0 offset:276
	buffer_load_dword v126, off, s[0:3], 0 offset:284
	s_waitcnt vmcnt(34)
	v_fma_f64 v[113:114], v[131:132], v[115:116], v[113:114]
	s_waitcnt vmcnt(32) lgkmcnt(0)
	v_fma_f64 v[113:114], v[133:134], v[117:118], v[113:114]
	s_waitcnt vmcnt(27)
	v_fma_f64 v[131:132], v[135:136], v[119:120], v[113:114]
	ds_read2_b64 v[113:116], v112 offset0:77 offset1:78
	ds_read2_b64 v[117:120], v112 offset0:79 offset1:80
	;; [unrolled: 19-line block ×6, first 2 shown]
	s_waitcnt vmcnt(26) lgkmcnt(1)
	v_fma_f64 v[113:114], v[141:142], v[113:114], v[125:126]
	s_clause 0x5
	buffer_load_dword v126, off, s[0:3], 0 offset:420
	buffer_load_dword v127, off, s[0:3], 0 offset:432
	;; [unrolled: 1-line block ×6, first 2 shown]
	s_waitcnt vmcnt(31)
	v_fma_f64 v[113:114], v[135:136], v[115:116], v[113:114]
	s_waitcnt vmcnt(30) lgkmcnt(0)
	v_fma_f64 v[113:114], v[133:134], v[117:118], v[113:114]
	s_waitcnt vmcnt(25)
	v_fma_f64 v[133:134], v[137:138], v[119:120], v[113:114]
	ds_read2_b64 v[113:116], v112 offset0:97 offset1:98
	s_clause 0x1
	buffer_load_dword v135, off, s[0:3], 0 offset:96
	buffer_load_dword v136, off, s[0:3], 0 offset:100
	ds_read2_b64 v[117:120], v112 offset0:99 offset1:100
	s_waitcnt vmcnt(26) lgkmcnt(1)
	v_fma_f64 v[113:114], v[149:150], v[113:114], v[133:134]
	s_waitcnt vmcnt(25)
	v_fma_f64 v[113:114], v[143:144], v[115:116], v[113:114]
	s_waitcnt vmcnt(24) lgkmcnt(0)
	v_fma_f64 v[113:114], v[139:140], v[117:118], v[113:114]
	s_waitcnt vmcnt(19)
	v_fma_f64 v[121:122], v[121:122], v[119:120], v[113:114]
	ds_read2_b64 v[113:116], v112 offset0:101 offset1:102
	ds_read2_b64 v[117:120], v112 offset0:103 offset1:104
	s_waitcnt vmcnt(18) lgkmcnt(1)
	v_fma_f64 v[113:114], v[155:156], v[113:114], v[121:122]
	s_waitcnt vmcnt(17)
	v_fma_f64 v[113:114], v[147:148], v[115:116], v[113:114]
	s_waitcnt vmcnt(16) lgkmcnt(0)
	v_fma_f64 v[113:114], v[145:146], v[117:118], v[113:114]
	s_waitcnt vmcnt(11)
	v_fma_f64 v[121:122], v[123:124], v[119:120], v[113:114]
	ds_read2_b64 v[113:116], v112 offset0:105 offset1:106
	;; [unrolled: 10-line block ×3, first 2 shown]
	s_waitcnt vmcnt(3) lgkmcnt(0)
	v_fma_f64 v[112:113], v[131:132], v[112:113], v[116:117]
	s_waitcnt vmcnt(2)
	v_fma_f64 v[112:113], v[127:128], v[114:115], v[112:113]
	s_waitcnt vmcnt(0)
	v_add_f64 v[112:113], v[135:136], -v[112:113]
	buffer_store_dword v113, off, s[0:3], 0 offset:100
	buffer_store_dword v112, off, s[0:3], 0 offset:96
	v_cmpx_lt_u32_e32 11, v0
	s_cbranch_execz .LBB118_317
; %bb.316:
	s_clause 0x1
	buffer_load_dword v112, off, s[0:3], 0 offset:88
	buffer_load_dword v113, off, s[0:3], 0 offset:92
	v_mov_b32_e32 v114, 0
	buffer_store_dword v114, off, s[0:3], 0 offset:88
	buffer_store_dword v114, off, s[0:3], 0 offset:92
	s_waitcnt vmcnt(0)
	ds_write_b64 v111, v[112:113]
.LBB118_317:
	s_or_b32 exec_lo, exec_lo, s4
	s_waitcnt lgkmcnt(0)
	s_waitcnt_vscnt null, 0x0
	s_barrier
	buffer_gl0_inv
	s_clause 0x1c
	buffer_load_dword v121, off, s[0:3], 0 offset:96
	buffer_load_dword v122, off, s[0:3], 0 offset:100
	;; [unrolled: 1-line block ×29, first 2 shown]
	v_mov_b32_e32 v112, 0
	buffer_load_dword v146, off, s[0:3], 0 offset:212
	s_mov_b32 s4, exec_lo
	ds_read_b128 v[113:116], v112 offset:544
	ds_read_b128 v[117:120], v112 offset:560
	s_waitcnt vmcnt(28) lgkmcnt(1)
	v_fma_f64 v[113:114], v[121:122], v[113:114], 0
	s_clause 0x7
	buffer_load_dword v122, off, s[0:3], 0 offset:220
	buffer_load_dword v151, off, s[0:3], 0 offset:240
	buffer_load_dword v153, off, s[0:3], 0 offset:232
	buffer_load_dword v155, off, s[0:3], 0 offset:224
	buffer_load_dword v121, off, s[0:3], 0 offset:216
	buffer_load_dword v156, off, s[0:3], 0 offset:228
	buffer_load_dword v154, off, s[0:3], 0 offset:236
	buffer_load_dword v152, off, s[0:3], 0 offset:244
	s_waitcnt vmcnt(34)
	v_fma_f64 v[113:114], v[123:124], v[115:116], v[113:114]
	s_waitcnt vmcnt(32) lgkmcnt(0)
	v_fma_f64 v[113:114], v[125:126], v[117:118], v[113:114]
	s_waitcnt vmcnt(30)
	v_fma_f64 v[123:124], v[127:128], v[119:120], v[113:114]
	ds_read_b128 v[113:116], v112 offset:576
	ds_read_b128 v[117:120], v112 offset:592
	s_waitcnt vmcnt(28) lgkmcnt(1)
	v_fma_f64 v[113:114], v[129:130], v[113:114], v[123:124]
	s_clause 0x7
	buffer_load_dword v124, off, s[0:3], 0 offset:252
	buffer_load_dword v125, off, s[0:3], 0 offset:272
	buffer_load_dword v127, off, s[0:3], 0 offset:264
	buffer_load_dword v129, off, s[0:3], 0 offset:256
	buffer_load_dword v123, off, s[0:3], 0 offset:248
	buffer_load_dword v130, off, s[0:3], 0 offset:260
	buffer_load_dword v128, off, s[0:3], 0 offset:268
	buffer_load_dword v126, off, s[0:3], 0 offset:276
	s_waitcnt vmcnt(34)
	v_fma_f64 v[113:114], v[131:132], v[115:116], v[113:114]
	s_waitcnt vmcnt(32) lgkmcnt(0)
	v_fma_f64 v[113:114], v[133:134], v[117:118], v[113:114]
	s_waitcnt vmcnt(27)
	v_fma_f64 v[131:132], v[135:136], v[119:120], v[113:114]
	ds_read_b128 v[113:116], v112 offset:608
	ds_read_b128 v[117:120], v112 offset:624
	s_waitcnt vmcnt(26) lgkmcnt(1)
	v_fma_f64 v[113:114], v[141:142], v[113:114], v[131:132]
	s_clause 0x7
	buffer_load_dword v132, off, s[0:3], 0 offset:284
	buffer_load_dword v133, off, s[0:3], 0 offset:304
	buffer_load_dword v135, off, s[0:3], 0 offset:296
	buffer_load_dword v141, off, s[0:3], 0 offset:288
	buffer_load_dword v131, off, s[0:3], 0 offset:280
	buffer_load_dword v142, off, s[0:3], 0 offset:292
	buffer_load_dword v136, off, s[0:3], 0 offset:300
	buffer_load_dword v134, off, s[0:3], 0 offset:308
	s_waitcnt vmcnt(33)
	v_fma_f64 v[113:114], v[139:140], v[115:116], v[113:114]
	s_waitcnt vmcnt(32) lgkmcnt(0)
	v_fma_f64 v[113:114], v[137:138], v[117:118], v[113:114]
	s_waitcnt vmcnt(27)
	v_fma_f64 v[137:138], v[143:144], v[119:120], v[113:114]
	ds_read_b128 v[113:116], v112 offset:640
	ds_read_b128 v[117:120], v112 offset:656
	s_waitcnt vmcnt(26) lgkmcnt(1)
	v_fma_f64 v[113:114], v[149:150], v[113:114], v[137:138]
	s_clause 0x7
	buffer_load_dword v138, off, s[0:3], 0 offset:316
	buffer_load_dword v139, off, s[0:3], 0 offset:336
	buffer_load_dword v143, off, s[0:3], 0 offset:328
	buffer_load_dword v149, off, s[0:3], 0 offset:320
	buffer_load_dword v137, off, s[0:3], 0 offset:312
	buffer_load_dword v150, off, s[0:3], 0 offset:324
	buffer_load_dword v144, off, s[0:3], 0 offset:332
	buffer_load_dword v140, off, s[0:3], 0 offset:340
	s_waitcnt vmcnt(33)
	v_fma_f64 v[113:114], v[147:148], v[115:116], v[113:114]
	s_waitcnt vmcnt(32) lgkmcnt(0)
	v_fma_f64 v[113:114], v[145:146], v[117:118], v[113:114]
	s_waitcnt vmcnt(27)
	v_fma_f64 v[121:122], v[121:122], v[119:120], v[113:114]
	ds_read_b128 v[113:116], v112 offset:672
	ds_read_b128 v[117:120], v112 offset:688
	s_waitcnt vmcnt(26) lgkmcnt(1)
	v_fma_f64 v[113:114], v[155:156], v[113:114], v[121:122]
	s_clause 0x7
	buffer_load_dword v122, off, s[0:3], 0 offset:348
	buffer_load_dword v145, off, s[0:3], 0 offset:368
	buffer_load_dword v147, off, s[0:3], 0 offset:360
	buffer_load_dword v155, off, s[0:3], 0 offset:352
	buffer_load_dword v121, off, s[0:3], 0 offset:344
	buffer_load_dword v156, off, s[0:3], 0 offset:356
	buffer_load_dword v148, off, s[0:3], 0 offset:364
	buffer_load_dword v146, off, s[0:3], 0 offset:372
	s_waitcnt vmcnt(33)
	v_fma_f64 v[113:114], v[153:154], v[115:116], v[113:114]
	s_waitcnt vmcnt(32) lgkmcnt(0)
	v_fma_f64 v[113:114], v[151:152], v[117:118], v[113:114]
	s_waitcnt vmcnt(27)
	v_fma_f64 v[123:124], v[123:124], v[119:120], v[113:114]
	ds_read_b128 v[113:116], v112 offset:704
	ds_read_b128 v[117:120], v112 offset:720
	s_waitcnt vmcnt(26) lgkmcnt(1)
	v_fma_f64 v[113:114], v[129:130], v[113:114], v[123:124]
	s_clause 0x7
	buffer_load_dword v124, off, s[0:3], 0 offset:380
	buffer_load_dword v129, off, s[0:3], 0 offset:400
	buffer_load_dword v151, off, s[0:3], 0 offset:392
	buffer_load_dword v153, off, s[0:3], 0 offset:384
	buffer_load_dword v123, off, s[0:3], 0 offset:376
	buffer_load_dword v154, off, s[0:3], 0 offset:388
	buffer_load_dword v152, off, s[0:3], 0 offset:396
	buffer_load_dword v130, off, s[0:3], 0 offset:404
	s_waitcnt vmcnt(33)
	v_fma_f64 v[113:114], v[127:128], v[115:116], v[113:114]
	s_waitcnt vmcnt(32) lgkmcnt(0)
	v_fma_f64 v[113:114], v[125:126], v[117:118], v[113:114]
	s_waitcnt vmcnt(27)
	v_fma_f64 v[125:126], v[131:132], v[119:120], v[113:114]
	ds_read_b128 v[113:116], v112 offset:736
	ds_read_b128 v[117:120], v112 offset:752
	s_waitcnt vmcnt(26) lgkmcnt(1)
	v_fma_f64 v[113:114], v[141:142], v[113:114], v[125:126]
	s_clause 0x7
	buffer_load_dword v126, off, s[0:3], 0 offset:412
	buffer_load_dword v127, off, s[0:3], 0 offset:432
	buffer_load_dword v131, off, s[0:3], 0 offset:424
	buffer_load_dword v141, off, s[0:3], 0 offset:416
	buffer_load_dword v125, off, s[0:3], 0 offset:408
	buffer_load_dword v142, off, s[0:3], 0 offset:420
	buffer_load_dword v132, off, s[0:3], 0 offset:428
	buffer_load_dword v128, off, s[0:3], 0 offset:436
	s_waitcnt vmcnt(33)
	v_fma_f64 v[113:114], v[135:136], v[115:116], v[113:114]
	s_waitcnt vmcnt(32) lgkmcnt(0)
	v_fma_f64 v[113:114], v[133:134], v[117:118], v[113:114]
	s_waitcnt vmcnt(27)
	v_fma_f64 v[133:134], v[137:138], v[119:120], v[113:114]
	ds_read_b128 v[113:116], v112 offset:768
	ds_read_b128 v[117:120], v112 offset:784
	s_waitcnt vmcnt(26) lgkmcnt(1)
	v_fma_f64 v[113:114], v[149:150], v[113:114], v[133:134]
	s_clause 0x1
	buffer_load_dword v133, off, s[0:3], 0 offset:88
	buffer_load_dword v134, off, s[0:3], 0 offset:92
	s_waitcnt vmcnt(27)
	v_fma_f64 v[113:114], v[143:144], v[115:116], v[113:114]
	s_waitcnt vmcnt(26) lgkmcnt(0)
	v_fma_f64 v[113:114], v[139:140], v[117:118], v[113:114]
	s_waitcnt vmcnt(21)
	v_fma_f64 v[121:122], v[121:122], v[119:120], v[113:114]
	ds_read_b128 v[113:116], v112 offset:800
	ds_read_b128 v[117:120], v112 offset:816
	s_waitcnt vmcnt(20) lgkmcnt(1)
	v_fma_f64 v[113:114], v[155:156], v[113:114], v[121:122]
	s_waitcnt vmcnt(19)
	v_fma_f64 v[113:114], v[147:148], v[115:116], v[113:114]
	s_waitcnt vmcnt(18) lgkmcnt(0)
	v_fma_f64 v[113:114], v[145:146], v[117:118], v[113:114]
	s_waitcnt vmcnt(13)
	v_fma_f64 v[121:122], v[123:124], v[119:120], v[113:114]
	ds_read_b128 v[113:116], v112 offset:832
	ds_read_b128 v[117:120], v112 offset:848
	s_waitcnt vmcnt(12) lgkmcnt(1)
	v_fma_f64 v[113:114], v[153:154], v[113:114], v[121:122]
	s_waitcnt vmcnt(11)
	v_fma_f64 v[113:114], v[151:152], v[115:116], v[113:114]
	s_waitcnt vmcnt(10) lgkmcnt(0)
	v_fma_f64 v[113:114], v[129:130], v[117:118], v[113:114]
	s_waitcnt vmcnt(5)
	v_fma_f64 v[117:118], v[125:126], v[119:120], v[113:114]
	ds_read_b128 v[113:116], v112 offset:864
	ds_read_b64 v[119:120], v112 offset:880
	s_waitcnt vmcnt(4) lgkmcnt(1)
	v_fma_f64 v[113:114], v[141:142], v[113:114], v[117:118]
	s_waitcnt vmcnt(3)
	v_fma_f64 v[113:114], v[131:132], v[115:116], v[113:114]
	s_waitcnt vmcnt(2) lgkmcnt(0)
	v_fma_f64 v[113:114], v[127:128], v[119:120], v[113:114]
	s_waitcnt vmcnt(0)
	v_add_f64 v[113:114], v[133:134], -v[113:114]
	buffer_store_dword v114, off, s[0:3], 0 offset:92
	buffer_store_dword v113, off, s[0:3], 0 offset:88
	v_cmpx_lt_u32_e32 10, v0
	s_cbranch_execz .LBB118_319
; %bb.318:
	s_clause 0x1
	buffer_load_dword v113, off, s[0:3], 0 offset:80
	buffer_load_dword v114, off, s[0:3], 0 offset:84
	buffer_store_dword v112, off, s[0:3], 0 offset:80
	buffer_store_dword v112, off, s[0:3], 0 offset:84
	s_waitcnt vmcnt(0)
	ds_write_b64 v111, v[113:114]
.LBB118_319:
	s_or_b32 exec_lo, exec_lo, s4
	s_waitcnt lgkmcnt(0)
	s_waitcnt_vscnt null, 0x0
	s_barrier
	buffer_gl0_inv
	s_clause 0x1c
	buffer_load_dword v121, off, s[0:3], 0 offset:88
	buffer_load_dword v122, off, s[0:3], 0 offset:92
	;; [unrolled: 1-line block ×29, first 2 shown]
	ds_read2_b64 v[113:116], v112 offset0:67 offset1:68
	ds_read2_b64 v[117:120], v112 offset0:69 offset1:70
	buffer_load_dword v146, off, s[0:3], 0 offset:204
	s_mov_b32 s4, exec_lo
	s_waitcnt vmcnt(28) lgkmcnt(1)
	v_fma_f64 v[113:114], v[121:122], v[113:114], 0
	s_clause 0x7
	buffer_load_dword v122, off, s[0:3], 0 offset:212
	buffer_load_dword v151, off, s[0:3], 0 offset:232
	buffer_load_dword v153, off, s[0:3], 0 offset:224
	buffer_load_dword v155, off, s[0:3], 0 offset:216
	buffer_load_dword v121, off, s[0:3], 0 offset:208
	buffer_load_dword v156, off, s[0:3], 0 offset:220
	buffer_load_dword v154, off, s[0:3], 0 offset:228
	buffer_load_dword v152, off, s[0:3], 0 offset:236
	s_waitcnt vmcnt(34)
	v_fma_f64 v[113:114], v[123:124], v[115:116], v[113:114]
	s_waitcnt vmcnt(32) lgkmcnt(0)
	v_fma_f64 v[113:114], v[125:126], v[117:118], v[113:114]
	s_waitcnt vmcnt(30)
	v_fma_f64 v[123:124], v[127:128], v[119:120], v[113:114]
	ds_read2_b64 v[113:116], v112 offset0:71 offset1:72
	ds_read2_b64 v[117:120], v112 offset0:73 offset1:74
	s_waitcnt vmcnt(28) lgkmcnt(1)
	v_fma_f64 v[113:114], v[129:130], v[113:114], v[123:124]
	s_clause 0x7
	buffer_load_dword v124, off, s[0:3], 0 offset:244
	buffer_load_dword v125, off, s[0:3], 0 offset:264
	buffer_load_dword v127, off, s[0:3], 0 offset:256
	buffer_load_dword v129, off, s[0:3], 0 offset:248
	buffer_load_dword v123, off, s[0:3], 0 offset:240
	buffer_load_dword v130, off, s[0:3], 0 offset:252
	buffer_load_dword v128, off, s[0:3], 0 offset:260
	buffer_load_dword v126, off, s[0:3], 0 offset:268
	s_waitcnt vmcnt(34)
	v_fma_f64 v[113:114], v[131:132], v[115:116], v[113:114]
	s_waitcnt vmcnt(32) lgkmcnt(0)
	v_fma_f64 v[113:114], v[133:134], v[117:118], v[113:114]
	s_waitcnt vmcnt(27)
	v_fma_f64 v[131:132], v[135:136], v[119:120], v[113:114]
	ds_read2_b64 v[113:116], v112 offset0:75 offset1:76
	ds_read2_b64 v[117:120], v112 offset0:77 offset1:78
	;; [unrolled: 19-line block ×7, first 2 shown]
	s_waitcnt vmcnt(26) lgkmcnt(1)
	v_fma_f64 v[113:114], v[149:150], v[113:114], v[133:134]
	s_clause 0x3
	buffer_load_dword v134, off, s[0:3], 0 offset:436
	buffer_load_dword v133, off, s[0:3], 0 offset:432
	;; [unrolled: 1-line block ×4, first 2 shown]
	s_waitcnt vmcnt(29)
	v_fma_f64 v[113:114], v[143:144], v[115:116], v[113:114]
	s_waitcnt vmcnt(28) lgkmcnt(0)
	v_fma_f64 v[113:114], v[139:140], v[117:118], v[113:114]
	s_waitcnt vmcnt(23)
	v_fma_f64 v[121:122], v[121:122], v[119:120], v[113:114]
	ds_read2_b64 v[113:116], v112 offset0:99 offset1:100
	ds_read2_b64 v[117:120], v112 offset0:101 offset1:102
	s_waitcnt vmcnt(22) lgkmcnt(1)
	v_fma_f64 v[113:114], v[155:156], v[113:114], v[121:122]
	s_waitcnt vmcnt(21)
	v_fma_f64 v[113:114], v[147:148], v[115:116], v[113:114]
	s_waitcnt vmcnt(20) lgkmcnt(0)
	v_fma_f64 v[113:114], v[145:146], v[117:118], v[113:114]
	s_waitcnt vmcnt(15)
	v_fma_f64 v[121:122], v[123:124], v[119:120], v[113:114]
	ds_read2_b64 v[113:116], v112 offset0:103 offset1:104
	ds_read2_b64 v[117:120], v112 offset0:105 offset1:106
	s_waitcnt vmcnt(14) lgkmcnt(1)
	v_fma_f64 v[113:114], v[153:154], v[113:114], v[121:122]
	;; [unrolled: 10-line block ×3, first 2 shown]
	s_waitcnt vmcnt(5)
	v_fma_f64 v[112:113], v[131:132], v[115:116], v[112:113]
	s_waitcnt vmcnt(4) lgkmcnt(0)
	v_fma_f64 v[112:113], v[127:128], v[117:118], v[112:113]
	s_waitcnt vmcnt(2)
	v_fma_f64 v[112:113], v[133:134], v[119:120], v[112:113]
	s_waitcnt vmcnt(0)
	v_add_f64 v[112:113], v[135:136], -v[112:113]
	buffer_store_dword v113, off, s[0:3], 0 offset:84
	buffer_store_dword v112, off, s[0:3], 0 offset:80
	v_cmpx_lt_u32_e32 9, v0
	s_cbranch_execz .LBB118_321
; %bb.320:
	s_clause 0x1
	buffer_load_dword v112, off, s[0:3], 0 offset:72
	buffer_load_dword v113, off, s[0:3], 0 offset:76
	v_mov_b32_e32 v114, 0
	buffer_store_dword v114, off, s[0:3], 0 offset:72
	buffer_store_dword v114, off, s[0:3], 0 offset:76
	s_waitcnt vmcnt(0)
	ds_write_b64 v111, v[112:113]
.LBB118_321:
	s_or_b32 exec_lo, exec_lo, s4
	s_waitcnt lgkmcnt(0)
	s_waitcnt_vscnt null, 0x0
	s_barrier
	buffer_gl0_inv
	s_clause 0x1c
	buffer_load_dword v121, off, s[0:3], 0 offset:80
	buffer_load_dword v122, off, s[0:3], 0 offset:84
	;; [unrolled: 1-line block ×29, first 2 shown]
	v_mov_b32_e32 v112, 0
	buffer_load_dword v146, off, s[0:3], 0 offset:196
	s_mov_b32 s4, exec_lo
	ds_read_b128 v[113:116], v112 offset:528
	ds_read_b128 v[117:120], v112 offset:544
	s_waitcnt vmcnt(28) lgkmcnt(1)
	v_fma_f64 v[113:114], v[121:122], v[113:114], 0
	s_clause 0x7
	buffer_load_dword v122, off, s[0:3], 0 offset:204
	buffer_load_dword v151, off, s[0:3], 0 offset:224
	buffer_load_dword v153, off, s[0:3], 0 offset:216
	buffer_load_dword v155, off, s[0:3], 0 offset:208
	buffer_load_dword v121, off, s[0:3], 0 offset:200
	buffer_load_dword v156, off, s[0:3], 0 offset:212
	buffer_load_dword v154, off, s[0:3], 0 offset:220
	buffer_load_dword v152, off, s[0:3], 0 offset:228
	s_waitcnt vmcnt(34)
	v_fma_f64 v[113:114], v[123:124], v[115:116], v[113:114]
	s_waitcnt vmcnt(32) lgkmcnt(0)
	v_fma_f64 v[113:114], v[125:126], v[117:118], v[113:114]
	s_waitcnt vmcnt(30)
	v_fma_f64 v[123:124], v[127:128], v[119:120], v[113:114]
	ds_read_b128 v[113:116], v112 offset:560
	ds_read_b128 v[117:120], v112 offset:576
	s_waitcnt vmcnt(28) lgkmcnt(1)
	v_fma_f64 v[113:114], v[129:130], v[113:114], v[123:124]
	s_clause 0x7
	buffer_load_dword v124, off, s[0:3], 0 offset:236
	buffer_load_dword v125, off, s[0:3], 0 offset:256
	buffer_load_dword v127, off, s[0:3], 0 offset:248
	buffer_load_dword v129, off, s[0:3], 0 offset:240
	buffer_load_dword v123, off, s[0:3], 0 offset:232
	buffer_load_dword v130, off, s[0:3], 0 offset:244
	buffer_load_dword v128, off, s[0:3], 0 offset:252
	buffer_load_dword v126, off, s[0:3], 0 offset:260
	s_waitcnt vmcnt(34)
	v_fma_f64 v[113:114], v[131:132], v[115:116], v[113:114]
	s_waitcnt vmcnt(32) lgkmcnt(0)
	v_fma_f64 v[113:114], v[133:134], v[117:118], v[113:114]
	s_waitcnt vmcnt(27)
	v_fma_f64 v[131:132], v[135:136], v[119:120], v[113:114]
	;; [unrolled: 19-line block ×7, first 2 shown]
	ds_read_b128 v[113:116], v112 offset:752
	ds_read_b128 v[117:120], v112 offset:768
	s_waitcnt vmcnt(26) lgkmcnt(1)
	v_fma_f64 v[113:114], v[149:150], v[113:114], v[133:134]
	s_clause 0x5
	buffer_load_dword v134, off, s[0:3], 0 offset:428
	buffer_load_dword v135, off, s[0:3], 0 offset:432
	;; [unrolled: 1-line block ×6, first 2 shown]
	s_waitcnt vmcnt(31)
	v_fma_f64 v[113:114], v[143:144], v[115:116], v[113:114]
	s_waitcnt vmcnt(30) lgkmcnt(0)
	v_fma_f64 v[113:114], v[139:140], v[117:118], v[113:114]
	s_waitcnt vmcnt(25)
	v_fma_f64 v[121:122], v[121:122], v[119:120], v[113:114]
	ds_read_b128 v[113:116], v112 offset:784
	ds_read_b128 v[117:120], v112 offset:800
	s_waitcnt vmcnt(24) lgkmcnt(1)
	v_fma_f64 v[113:114], v[155:156], v[113:114], v[121:122]
	s_waitcnt vmcnt(23)
	v_fma_f64 v[113:114], v[147:148], v[115:116], v[113:114]
	s_waitcnt vmcnt(22) lgkmcnt(0)
	v_fma_f64 v[113:114], v[145:146], v[117:118], v[113:114]
	s_waitcnt vmcnt(17)
	v_fma_f64 v[121:122], v[123:124], v[119:120], v[113:114]
	ds_read_b128 v[113:116], v112 offset:816
	ds_read_b128 v[117:120], v112 offset:832
	s_waitcnt vmcnt(16) lgkmcnt(1)
	v_fma_f64 v[113:114], v[153:154], v[113:114], v[121:122]
	;; [unrolled: 10-line block ×3, first 2 shown]
	s_waitcnt vmcnt(7)
	v_fma_f64 v[113:114], v[131:132], v[115:116], v[113:114]
	ds_read_b64 v[115:116], v112 offset:880
	s_waitcnt vmcnt(6) lgkmcnt(1)
	v_fma_f64 v[113:114], v[127:128], v[117:118], v[113:114]
	s_waitcnt vmcnt(3)
	v_fma_f64 v[113:114], v[133:134], v[119:120], v[113:114]
	s_waitcnt vmcnt(2) lgkmcnt(0)
	v_fma_f64 v[113:114], v[135:136], v[115:116], v[113:114]
	s_waitcnt vmcnt(0)
	v_add_f64 v[113:114], v[137:138], -v[113:114]
	buffer_store_dword v114, off, s[0:3], 0 offset:76
	buffer_store_dword v113, off, s[0:3], 0 offset:72
	v_cmpx_lt_u32_e32 8, v0
	s_cbranch_execz .LBB118_323
; %bb.322:
	s_clause 0x1
	buffer_load_dword v113, off, s[0:3], 0 offset:64
	buffer_load_dword v114, off, s[0:3], 0 offset:68
	buffer_store_dword v112, off, s[0:3], 0 offset:64
	buffer_store_dword v112, off, s[0:3], 0 offset:68
	s_waitcnt vmcnt(0)
	ds_write_b64 v111, v[113:114]
.LBB118_323:
	s_or_b32 exec_lo, exec_lo, s4
	s_waitcnt lgkmcnt(0)
	s_waitcnt_vscnt null, 0x0
	s_barrier
	buffer_gl0_inv
	s_clause 0x1c
	buffer_load_dword v121, off, s[0:3], 0 offset:72
	buffer_load_dword v122, off, s[0:3], 0 offset:76
	;; [unrolled: 1-line block ×29, first 2 shown]
	ds_read2_b64 v[113:116], v112 offset0:65 offset1:66
	ds_read2_b64 v[117:120], v112 offset0:67 offset1:68
	buffer_load_dword v146, off, s[0:3], 0 offset:188
	s_mov_b32 s4, exec_lo
	s_waitcnt vmcnt(28) lgkmcnt(1)
	v_fma_f64 v[113:114], v[121:122], v[113:114], 0
	s_clause 0x7
	buffer_load_dword v122, off, s[0:3], 0 offset:196
	buffer_load_dword v151, off, s[0:3], 0 offset:216
	buffer_load_dword v153, off, s[0:3], 0 offset:208
	buffer_load_dword v155, off, s[0:3], 0 offset:200
	buffer_load_dword v121, off, s[0:3], 0 offset:192
	buffer_load_dword v156, off, s[0:3], 0 offset:204
	buffer_load_dword v154, off, s[0:3], 0 offset:212
	buffer_load_dword v152, off, s[0:3], 0 offset:220
	s_waitcnt vmcnt(34)
	v_fma_f64 v[113:114], v[123:124], v[115:116], v[113:114]
	s_waitcnt vmcnt(32) lgkmcnt(0)
	v_fma_f64 v[113:114], v[125:126], v[117:118], v[113:114]
	s_waitcnt vmcnt(30)
	v_fma_f64 v[123:124], v[127:128], v[119:120], v[113:114]
	ds_read2_b64 v[113:116], v112 offset0:69 offset1:70
	ds_read2_b64 v[117:120], v112 offset0:71 offset1:72
	s_waitcnt vmcnt(28) lgkmcnt(1)
	v_fma_f64 v[113:114], v[129:130], v[113:114], v[123:124]
	s_clause 0x7
	buffer_load_dword v124, off, s[0:3], 0 offset:228
	buffer_load_dword v125, off, s[0:3], 0 offset:248
	buffer_load_dword v127, off, s[0:3], 0 offset:240
	buffer_load_dword v129, off, s[0:3], 0 offset:232
	buffer_load_dword v123, off, s[0:3], 0 offset:224
	buffer_load_dword v130, off, s[0:3], 0 offset:236
	buffer_load_dword v128, off, s[0:3], 0 offset:244
	buffer_load_dword v126, off, s[0:3], 0 offset:252
	s_waitcnt vmcnt(34)
	v_fma_f64 v[113:114], v[131:132], v[115:116], v[113:114]
	s_waitcnt vmcnt(32) lgkmcnt(0)
	v_fma_f64 v[113:114], v[133:134], v[117:118], v[113:114]
	s_waitcnt vmcnt(27)
	v_fma_f64 v[131:132], v[135:136], v[119:120], v[113:114]
	ds_read2_b64 v[113:116], v112 offset0:73 offset1:74
	ds_read2_b64 v[117:120], v112 offset0:75 offset1:76
	;; [unrolled: 19-line block ×7, first 2 shown]
	s_waitcnt vmcnt(26) lgkmcnt(1)
	v_fma_f64 v[113:114], v[149:150], v[113:114], v[133:134]
	s_clause 0x5
	buffer_load_dword v134, off, s[0:3], 0 offset:420
	buffer_load_dword v135, off, s[0:3], 0 offset:432
	;; [unrolled: 1-line block ×6, first 2 shown]
	s_waitcnt vmcnt(31)
	v_fma_f64 v[113:114], v[143:144], v[115:116], v[113:114]
	s_waitcnt vmcnt(30) lgkmcnt(0)
	v_fma_f64 v[113:114], v[139:140], v[117:118], v[113:114]
	s_waitcnt vmcnt(25)
	v_fma_f64 v[121:122], v[121:122], v[119:120], v[113:114]
	ds_read2_b64 v[113:116], v112 offset0:97 offset1:98
	s_clause 0x1
	buffer_load_dword v139, off, s[0:3], 0 offset:64
	buffer_load_dword v140, off, s[0:3], 0 offset:68
	ds_read2_b64 v[117:120], v112 offset0:99 offset1:100
	s_waitcnt vmcnt(26) lgkmcnt(1)
	v_fma_f64 v[113:114], v[155:156], v[113:114], v[121:122]
	s_waitcnt vmcnt(25)
	v_fma_f64 v[113:114], v[147:148], v[115:116], v[113:114]
	s_waitcnt vmcnt(24) lgkmcnt(0)
	v_fma_f64 v[113:114], v[145:146], v[117:118], v[113:114]
	s_waitcnt vmcnt(19)
	v_fma_f64 v[121:122], v[123:124], v[119:120], v[113:114]
	ds_read2_b64 v[113:116], v112 offset0:101 offset1:102
	ds_read2_b64 v[117:120], v112 offset0:103 offset1:104
	s_waitcnt vmcnt(18) lgkmcnt(1)
	v_fma_f64 v[113:114], v[153:154], v[113:114], v[121:122]
	s_waitcnt vmcnt(17)
	v_fma_f64 v[113:114], v[151:152], v[115:116], v[113:114]
	s_waitcnt vmcnt(16) lgkmcnt(0)
	v_fma_f64 v[113:114], v[129:130], v[117:118], v[113:114]
	s_waitcnt vmcnt(11)
	v_fma_f64 v[121:122], v[125:126], v[119:120], v[113:114]
	ds_read2_b64 v[113:116], v112 offset0:105 offset1:106
	;; [unrolled: 10-line block ×3, first 2 shown]
	s_waitcnt vmcnt(3) lgkmcnt(0)
	v_fma_f64 v[112:113], v[137:138], v[112:113], v[116:117]
	s_waitcnt vmcnt(2)
	v_fma_f64 v[112:113], v[135:136], v[114:115], v[112:113]
	s_waitcnt vmcnt(0)
	v_add_f64 v[112:113], v[139:140], -v[112:113]
	buffer_store_dword v113, off, s[0:3], 0 offset:68
	buffer_store_dword v112, off, s[0:3], 0 offset:64
	v_cmpx_lt_u32_e32 7, v0
	s_cbranch_execz .LBB118_325
; %bb.324:
	s_clause 0x1
	buffer_load_dword v112, off, s[0:3], 0 offset:56
	buffer_load_dword v113, off, s[0:3], 0 offset:60
	v_mov_b32_e32 v114, 0
	buffer_store_dword v114, off, s[0:3], 0 offset:56
	buffer_store_dword v114, off, s[0:3], 0 offset:60
	s_waitcnt vmcnt(0)
	ds_write_b64 v111, v[112:113]
.LBB118_325:
	s_or_b32 exec_lo, exec_lo, s4
	s_waitcnt lgkmcnt(0)
	s_waitcnt_vscnt null, 0x0
	s_barrier
	buffer_gl0_inv
	s_clause 0x1c
	buffer_load_dword v121, off, s[0:3], 0 offset:64
	buffer_load_dword v122, off, s[0:3], 0 offset:68
	;; [unrolled: 1-line block ×29, first 2 shown]
	v_mov_b32_e32 v112, 0
	buffer_load_dword v146, off, s[0:3], 0 offset:180
	s_mov_b32 s4, exec_lo
	ds_read_b128 v[113:116], v112 offset:512
	ds_read_b128 v[117:120], v112 offset:528
	s_waitcnt vmcnt(28) lgkmcnt(1)
	v_fma_f64 v[113:114], v[121:122], v[113:114], 0
	s_clause 0x7
	buffer_load_dword v122, off, s[0:3], 0 offset:188
	buffer_load_dword v151, off, s[0:3], 0 offset:208
	buffer_load_dword v153, off, s[0:3], 0 offset:200
	buffer_load_dword v155, off, s[0:3], 0 offset:192
	buffer_load_dword v121, off, s[0:3], 0 offset:184
	buffer_load_dword v156, off, s[0:3], 0 offset:196
	buffer_load_dword v154, off, s[0:3], 0 offset:204
	buffer_load_dword v152, off, s[0:3], 0 offset:212
	s_waitcnt vmcnt(34)
	v_fma_f64 v[113:114], v[123:124], v[115:116], v[113:114]
	s_waitcnt vmcnt(32) lgkmcnt(0)
	v_fma_f64 v[113:114], v[125:126], v[117:118], v[113:114]
	s_waitcnt vmcnt(30)
	v_fma_f64 v[123:124], v[127:128], v[119:120], v[113:114]
	ds_read_b128 v[113:116], v112 offset:544
	ds_read_b128 v[117:120], v112 offset:560
	s_waitcnt vmcnt(28) lgkmcnt(1)
	v_fma_f64 v[113:114], v[129:130], v[113:114], v[123:124]
	s_clause 0x7
	buffer_load_dword v124, off, s[0:3], 0 offset:220
	buffer_load_dword v125, off, s[0:3], 0 offset:240
	buffer_load_dword v127, off, s[0:3], 0 offset:232
	buffer_load_dword v129, off, s[0:3], 0 offset:224
	buffer_load_dword v123, off, s[0:3], 0 offset:216
	buffer_load_dword v130, off, s[0:3], 0 offset:228
	buffer_load_dword v128, off, s[0:3], 0 offset:236
	buffer_load_dword v126, off, s[0:3], 0 offset:244
	s_waitcnt vmcnt(34)
	v_fma_f64 v[113:114], v[131:132], v[115:116], v[113:114]
	s_waitcnt vmcnt(32) lgkmcnt(0)
	v_fma_f64 v[113:114], v[133:134], v[117:118], v[113:114]
	s_waitcnt vmcnt(27)
	v_fma_f64 v[131:132], v[135:136], v[119:120], v[113:114]
	ds_read_b128 v[113:116], v112 offset:576
	ds_read_b128 v[117:120], v112 offset:592
	s_waitcnt vmcnt(26) lgkmcnt(1)
	v_fma_f64 v[113:114], v[141:142], v[113:114], v[131:132]
	s_clause 0x7
	buffer_load_dword v132, off, s[0:3], 0 offset:252
	buffer_load_dword v133, off, s[0:3], 0 offset:272
	buffer_load_dword v135, off, s[0:3], 0 offset:264
	buffer_load_dword v141, off, s[0:3], 0 offset:256
	buffer_load_dword v131, off, s[0:3], 0 offset:248
	buffer_load_dword v142, off, s[0:3], 0 offset:260
	buffer_load_dword v136, off, s[0:3], 0 offset:268
	buffer_load_dword v134, off, s[0:3], 0 offset:276
	s_waitcnt vmcnt(33)
	v_fma_f64 v[113:114], v[139:140], v[115:116], v[113:114]
	s_waitcnt vmcnt(32) lgkmcnt(0)
	v_fma_f64 v[113:114], v[137:138], v[117:118], v[113:114]
	s_waitcnt vmcnt(27)
	v_fma_f64 v[137:138], v[143:144], v[119:120], v[113:114]
	ds_read_b128 v[113:116], v112 offset:608
	ds_read_b128 v[117:120], v112 offset:624
	s_waitcnt vmcnt(26) lgkmcnt(1)
	v_fma_f64 v[113:114], v[149:150], v[113:114], v[137:138]
	s_clause 0x7
	buffer_load_dword v138, off, s[0:3], 0 offset:284
	buffer_load_dword v139, off, s[0:3], 0 offset:304
	buffer_load_dword v143, off, s[0:3], 0 offset:296
	buffer_load_dword v149, off, s[0:3], 0 offset:288
	buffer_load_dword v137, off, s[0:3], 0 offset:280
	buffer_load_dword v150, off, s[0:3], 0 offset:292
	buffer_load_dword v144, off, s[0:3], 0 offset:300
	buffer_load_dword v140, off, s[0:3], 0 offset:308
	s_waitcnt vmcnt(33)
	v_fma_f64 v[113:114], v[147:148], v[115:116], v[113:114]
	s_waitcnt vmcnt(32) lgkmcnt(0)
	v_fma_f64 v[113:114], v[145:146], v[117:118], v[113:114]
	s_waitcnt vmcnt(27)
	v_fma_f64 v[121:122], v[121:122], v[119:120], v[113:114]
	ds_read_b128 v[113:116], v112 offset:640
	ds_read_b128 v[117:120], v112 offset:656
	s_waitcnt vmcnt(26) lgkmcnt(1)
	v_fma_f64 v[113:114], v[155:156], v[113:114], v[121:122]
	s_clause 0x7
	buffer_load_dword v122, off, s[0:3], 0 offset:316
	buffer_load_dword v145, off, s[0:3], 0 offset:336
	buffer_load_dword v147, off, s[0:3], 0 offset:328
	buffer_load_dword v155, off, s[0:3], 0 offset:320
	buffer_load_dword v121, off, s[0:3], 0 offset:312
	buffer_load_dword v156, off, s[0:3], 0 offset:324
	buffer_load_dword v148, off, s[0:3], 0 offset:332
	buffer_load_dword v146, off, s[0:3], 0 offset:340
	s_waitcnt vmcnt(33)
	v_fma_f64 v[113:114], v[153:154], v[115:116], v[113:114]
	s_waitcnt vmcnt(32) lgkmcnt(0)
	v_fma_f64 v[113:114], v[151:152], v[117:118], v[113:114]
	s_waitcnt vmcnt(27)
	v_fma_f64 v[123:124], v[123:124], v[119:120], v[113:114]
	ds_read_b128 v[113:116], v112 offset:672
	ds_read_b128 v[117:120], v112 offset:688
	s_waitcnt vmcnt(26) lgkmcnt(1)
	v_fma_f64 v[113:114], v[129:130], v[113:114], v[123:124]
	s_clause 0x7
	buffer_load_dword v124, off, s[0:3], 0 offset:348
	buffer_load_dword v129, off, s[0:3], 0 offset:368
	buffer_load_dword v151, off, s[0:3], 0 offset:360
	buffer_load_dword v153, off, s[0:3], 0 offset:352
	buffer_load_dword v123, off, s[0:3], 0 offset:344
	buffer_load_dword v154, off, s[0:3], 0 offset:356
	buffer_load_dword v152, off, s[0:3], 0 offset:364
	buffer_load_dword v130, off, s[0:3], 0 offset:372
	s_waitcnt vmcnt(33)
	v_fma_f64 v[113:114], v[127:128], v[115:116], v[113:114]
	s_waitcnt vmcnt(32) lgkmcnt(0)
	v_fma_f64 v[113:114], v[125:126], v[117:118], v[113:114]
	s_waitcnt vmcnt(27)
	v_fma_f64 v[125:126], v[131:132], v[119:120], v[113:114]
	ds_read_b128 v[113:116], v112 offset:704
	ds_read_b128 v[117:120], v112 offset:720
	s_waitcnt vmcnt(26) lgkmcnt(1)
	v_fma_f64 v[113:114], v[141:142], v[113:114], v[125:126]
	s_clause 0x7
	buffer_load_dword v126, off, s[0:3], 0 offset:380
	buffer_load_dword v127, off, s[0:3], 0 offset:400
	buffer_load_dword v131, off, s[0:3], 0 offset:392
	buffer_load_dword v141, off, s[0:3], 0 offset:384
	buffer_load_dword v125, off, s[0:3], 0 offset:376
	buffer_load_dword v142, off, s[0:3], 0 offset:388
	buffer_load_dword v132, off, s[0:3], 0 offset:396
	buffer_load_dword v128, off, s[0:3], 0 offset:404
	s_waitcnt vmcnt(33)
	v_fma_f64 v[113:114], v[135:136], v[115:116], v[113:114]
	s_waitcnt vmcnt(32) lgkmcnt(0)
	v_fma_f64 v[113:114], v[133:134], v[117:118], v[113:114]
	s_waitcnt vmcnt(27)
	v_fma_f64 v[133:134], v[137:138], v[119:120], v[113:114]
	ds_read_b128 v[113:116], v112 offset:736
	ds_read_b128 v[117:120], v112 offset:752
	s_waitcnt vmcnt(26) lgkmcnt(1)
	v_fma_f64 v[113:114], v[149:150], v[113:114], v[133:134]
	s_clause 0x7
	buffer_load_dword v134, off, s[0:3], 0 offset:412
	buffer_load_dword v135, off, s[0:3], 0 offset:432
	buffer_load_dword v137, off, s[0:3], 0 offset:424
	buffer_load_dword v149, off, s[0:3], 0 offset:416
	buffer_load_dword v133, off, s[0:3], 0 offset:408
	buffer_load_dword v150, off, s[0:3], 0 offset:420
	buffer_load_dword v138, off, s[0:3], 0 offset:428
	buffer_load_dword v136, off, s[0:3], 0 offset:436
	s_waitcnt vmcnt(33)
	v_fma_f64 v[113:114], v[143:144], v[115:116], v[113:114]
	s_waitcnt vmcnt(32) lgkmcnt(0)
	v_fma_f64 v[113:114], v[139:140], v[117:118], v[113:114]
	s_waitcnt vmcnt(27)
	v_fma_f64 v[121:122], v[121:122], v[119:120], v[113:114]
	ds_read_b128 v[113:116], v112 offset:768
	ds_read_b128 v[117:120], v112 offset:784
	s_waitcnt vmcnt(26) lgkmcnt(1)
	v_fma_f64 v[113:114], v[155:156], v[113:114], v[121:122]
	s_clause 0x1
	buffer_load_dword v121, off, s[0:3], 0 offset:56
	buffer_load_dword v122, off, s[0:3], 0 offset:60
	s_waitcnt vmcnt(27)
	v_fma_f64 v[113:114], v[147:148], v[115:116], v[113:114]
	s_waitcnt vmcnt(26) lgkmcnt(0)
	v_fma_f64 v[113:114], v[145:146], v[117:118], v[113:114]
	s_waitcnt vmcnt(21)
	v_fma_f64 v[123:124], v[123:124], v[119:120], v[113:114]
	ds_read_b128 v[113:116], v112 offset:800
	ds_read_b128 v[117:120], v112 offset:816
	s_waitcnt vmcnt(20) lgkmcnt(1)
	v_fma_f64 v[113:114], v[153:154], v[113:114], v[123:124]
	s_waitcnt vmcnt(19)
	v_fma_f64 v[113:114], v[151:152], v[115:116], v[113:114]
	s_waitcnt vmcnt(18) lgkmcnt(0)
	v_fma_f64 v[113:114], v[129:130], v[117:118], v[113:114]
	s_waitcnt vmcnt(13)
	v_fma_f64 v[123:124], v[125:126], v[119:120], v[113:114]
	ds_read_b128 v[113:116], v112 offset:832
	ds_read_b128 v[117:120], v112 offset:848
	s_waitcnt vmcnt(12) lgkmcnt(1)
	v_fma_f64 v[113:114], v[141:142], v[113:114], v[123:124]
	s_waitcnt vmcnt(11)
	v_fma_f64 v[113:114], v[131:132], v[115:116], v[113:114]
	s_waitcnt vmcnt(10) lgkmcnt(0)
	v_fma_f64 v[113:114], v[127:128], v[117:118], v[113:114]
	s_waitcnt vmcnt(5)
	v_fma_f64 v[117:118], v[133:134], v[119:120], v[113:114]
	ds_read_b128 v[113:116], v112 offset:864
	ds_read_b64 v[119:120], v112 offset:880
	s_waitcnt vmcnt(4) lgkmcnt(1)
	v_fma_f64 v[113:114], v[149:150], v[113:114], v[117:118]
	s_waitcnt vmcnt(3)
	v_fma_f64 v[113:114], v[137:138], v[115:116], v[113:114]
	s_waitcnt vmcnt(2) lgkmcnt(0)
	v_fma_f64 v[113:114], v[135:136], v[119:120], v[113:114]
	s_waitcnt vmcnt(0)
	v_add_f64 v[113:114], v[121:122], -v[113:114]
	buffer_store_dword v114, off, s[0:3], 0 offset:60
	buffer_store_dword v113, off, s[0:3], 0 offset:56
	v_cmpx_lt_u32_e32 6, v0
	s_cbranch_execz .LBB118_327
; %bb.326:
	s_clause 0x1
	buffer_load_dword v113, off, s[0:3], 0 offset:48
	buffer_load_dword v114, off, s[0:3], 0 offset:52
	buffer_store_dword v112, off, s[0:3], 0 offset:48
	buffer_store_dword v112, off, s[0:3], 0 offset:52
	s_waitcnt vmcnt(0)
	ds_write_b64 v111, v[113:114]
.LBB118_327:
	s_or_b32 exec_lo, exec_lo, s4
	s_waitcnt lgkmcnt(0)
	s_waitcnt_vscnt null, 0x0
	s_barrier
	buffer_gl0_inv
	s_clause 0x1c
	buffer_load_dword v121, off, s[0:3], 0 offset:56
	buffer_load_dword v122, off, s[0:3], 0 offset:60
	;; [unrolled: 1-line block ×29, first 2 shown]
	ds_read2_b64 v[113:116], v112 offset0:63 offset1:64
	ds_read2_b64 v[117:120], v112 offset0:65 offset1:66
	buffer_load_dword v146, off, s[0:3], 0 offset:172
	s_mov_b32 s4, exec_lo
	s_waitcnt vmcnt(28) lgkmcnt(1)
	v_fma_f64 v[113:114], v[121:122], v[113:114], 0
	s_clause 0x7
	buffer_load_dword v122, off, s[0:3], 0 offset:180
	buffer_load_dword v151, off, s[0:3], 0 offset:200
	buffer_load_dword v153, off, s[0:3], 0 offset:192
	buffer_load_dword v155, off, s[0:3], 0 offset:184
	buffer_load_dword v121, off, s[0:3], 0 offset:176
	buffer_load_dword v156, off, s[0:3], 0 offset:188
	buffer_load_dword v154, off, s[0:3], 0 offset:196
	buffer_load_dword v152, off, s[0:3], 0 offset:204
	s_waitcnt vmcnt(34)
	v_fma_f64 v[113:114], v[123:124], v[115:116], v[113:114]
	s_waitcnt vmcnt(32) lgkmcnt(0)
	v_fma_f64 v[113:114], v[125:126], v[117:118], v[113:114]
	s_waitcnt vmcnt(30)
	v_fma_f64 v[123:124], v[127:128], v[119:120], v[113:114]
	ds_read2_b64 v[113:116], v112 offset0:67 offset1:68
	ds_read2_b64 v[117:120], v112 offset0:69 offset1:70
	s_waitcnt vmcnt(28) lgkmcnt(1)
	v_fma_f64 v[113:114], v[129:130], v[113:114], v[123:124]
	s_clause 0x7
	buffer_load_dword v124, off, s[0:3], 0 offset:212
	buffer_load_dword v125, off, s[0:3], 0 offset:232
	buffer_load_dword v127, off, s[0:3], 0 offset:224
	buffer_load_dword v129, off, s[0:3], 0 offset:216
	buffer_load_dword v123, off, s[0:3], 0 offset:208
	buffer_load_dword v130, off, s[0:3], 0 offset:220
	buffer_load_dword v128, off, s[0:3], 0 offset:228
	buffer_load_dword v126, off, s[0:3], 0 offset:236
	s_waitcnt vmcnt(34)
	v_fma_f64 v[113:114], v[131:132], v[115:116], v[113:114]
	s_waitcnt vmcnt(32) lgkmcnt(0)
	v_fma_f64 v[113:114], v[133:134], v[117:118], v[113:114]
	s_waitcnt vmcnt(27)
	v_fma_f64 v[131:132], v[135:136], v[119:120], v[113:114]
	ds_read2_b64 v[113:116], v112 offset0:71 offset1:72
	ds_read2_b64 v[117:120], v112 offset0:73 offset1:74
	;; [unrolled: 19-line block ×8, first 2 shown]
	s_waitcnt vmcnt(26) lgkmcnt(1)
	v_fma_f64 v[113:114], v[155:156], v[113:114], v[121:122]
	s_clause 0x3
	buffer_load_dword v122, off, s[0:3], 0 offset:436
	buffer_load_dword v121, off, s[0:3], 0 offset:432
	;; [unrolled: 1-line block ×4, first 2 shown]
	s_waitcnt vmcnt(29)
	v_fma_f64 v[113:114], v[147:148], v[115:116], v[113:114]
	s_waitcnt vmcnt(28) lgkmcnt(0)
	v_fma_f64 v[113:114], v[145:146], v[117:118], v[113:114]
	s_waitcnt vmcnt(23)
	v_fma_f64 v[123:124], v[123:124], v[119:120], v[113:114]
	ds_read2_b64 v[113:116], v112 offset0:99 offset1:100
	ds_read2_b64 v[117:120], v112 offset0:101 offset1:102
	s_waitcnt vmcnt(22) lgkmcnt(1)
	v_fma_f64 v[113:114], v[153:154], v[113:114], v[123:124]
	s_waitcnt vmcnt(21)
	v_fma_f64 v[113:114], v[151:152], v[115:116], v[113:114]
	s_waitcnt vmcnt(20) lgkmcnt(0)
	v_fma_f64 v[113:114], v[129:130], v[117:118], v[113:114]
	s_waitcnt vmcnt(15)
	v_fma_f64 v[123:124], v[125:126], v[119:120], v[113:114]
	ds_read2_b64 v[113:116], v112 offset0:103 offset1:104
	ds_read2_b64 v[117:120], v112 offset0:105 offset1:106
	s_waitcnt vmcnt(14) lgkmcnt(1)
	v_fma_f64 v[113:114], v[141:142], v[113:114], v[123:124]
	;; [unrolled: 10-line block ×3, first 2 shown]
	s_waitcnt vmcnt(5)
	v_fma_f64 v[112:113], v[137:138], v[115:116], v[112:113]
	s_waitcnt vmcnt(4) lgkmcnt(0)
	v_fma_f64 v[112:113], v[135:136], v[117:118], v[112:113]
	s_waitcnt vmcnt(2)
	v_fma_f64 v[112:113], v[121:122], v[119:120], v[112:113]
	s_waitcnt vmcnt(0)
	v_add_f64 v[112:113], v[139:140], -v[112:113]
	buffer_store_dword v113, off, s[0:3], 0 offset:52
	buffer_store_dword v112, off, s[0:3], 0 offset:48
	v_cmpx_lt_u32_e32 5, v0
	s_cbranch_execz .LBB118_329
; %bb.328:
	s_clause 0x1
	buffer_load_dword v112, off, s[0:3], 0 offset:40
	buffer_load_dword v113, off, s[0:3], 0 offset:44
	v_mov_b32_e32 v114, 0
	buffer_store_dword v114, off, s[0:3], 0 offset:40
	buffer_store_dword v114, off, s[0:3], 0 offset:44
	s_waitcnt vmcnt(0)
	ds_write_b64 v111, v[112:113]
.LBB118_329:
	s_or_b32 exec_lo, exec_lo, s4
	s_waitcnt lgkmcnt(0)
	s_waitcnt_vscnt null, 0x0
	s_barrier
	buffer_gl0_inv
	s_clause 0x1c
	buffer_load_dword v121, off, s[0:3], 0 offset:48
	buffer_load_dword v122, off, s[0:3], 0 offset:52
	;; [unrolled: 1-line block ×29, first 2 shown]
	v_mov_b32_e32 v112, 0
	buffer_load_dword v146, off, s[0:3], 0 offset:164
	s_mov_b32 s4, exec_lo
	ds_read_b128 v[113:116], v112 offset:496
	ds_read_b128 v[117:120], v112 offset:512
	s_waitcnt vmcnt(28) lgkmcnt(1)
	v_fma_f64 v[113:114], v[121:122], v[113:114], 0
	s_clause 0x7
	buffer_load_dword v122, off, s[0:3], 0 offset:172
	buffer_load_dword v151, off, s[0:3], 0 offset:192
	buffer_load_dword v153, off, s[0:3], 0 offset:184
	buffer_load_dword v155, off, s[0:3], 0 offset:176
	buffer_load_dword v121, off, s[0:3], 0 offset:168
	buffer_load_dword v156, off, s[0:3], 0 offset:180
	buffer_load_dword v154, off, s[0:3], 0 offset:188
	buffer_load_dword v152, off, s[0:3], 0 offset:196
	s_waitcnt vmcnt(34)
	v_fma_f64 v[113:114], v[123:124], v[115:116], v[113:114]
	s_waitcnt vmcnt(32) lgkmcnt(0)
	v_fma_f64 v[113:114], v[125:126], v[117:118], v[113:114]
	s_waitcnt vmcnt(30)
	v_fma_f64 v[123:124], v[127:128], v[119:120], v[113:114]
	ds_read_b128 v[113:116], v112 offset:528
	ds_read_b128 v[117:120], v112 offset:544
	s_waitcnt vmcnt(28) lgkmcnt(1)
	v_fma_f64 v[113:114], v[129:130], v[113:114], v[123:124]
	s_clause 0x7
	buffer_load_dword v124, off, s[0:3], 0 offset:204
	buffer_load_dword v125, off, s[0:3], 0 offset:224
	buffer_load_dword v127, off, s[0:3], 0 offset:216
	buffer_load_dword v129, off, s[0:3], 0 offset:208
	buffer_load_dword v123, off, s[0:3], 0 offset:200
	buffer_load_dword v130, off, s[0:3], 0 offset:212
	buffer_load_dword v128, off, s[0:3], 0 offset:220
	buffer_load_dword v126, off, s[0:3], 0 offset:228
	s_waitcnt vmcnt(34)
	v_fma_f64 v[113:114], v[131:132], v[115:116], v[113:114]
	s_waitcnt vmcnt(32) lgkmcnt(0)
	v_fma_f64 v[113:114], v[133:134], v[117:118], v[113:114]
	s_waitcnt vmcnt(27)
	v_fma_f64 v[131:132], v[135:136], v[119:120], v[113:114]
	;; [unrolled: 19-line block ×8, first 2 shown]
	ds_read_b128 v[113:116], v112 offset:752
	ds_read_b128 v[117:120], v112 offset:768
	s_waitcnt vmcnt(26) lgkmcnt(1)
	v_fma_f64 v[113:114], v[155:156], v[113:114], v[121:122]
	s_clause 0x5
	buffer_load_dword v122, off, s[0:3], 0 offset:428
	buffer_load_dword v139, off, s[0:3], 0 offset:432
	;; [unrolled: 1-line block ×6, first 2 shown]
	s_waitcnt vmcnt(31)
	v_fma_f64 v[113:114], v[147:148], v[115:116], v[113:114]
	s_waitcnt vmcnt(30) lgkmcnt(0)
	v_fma_f64 v[113:114], v[145:146], v[117:118], v[113:114]
	s_waitcnt vmcnt(25)
	v_fma_f64 v[123:124], v[123:124], v[119:120], v[113:114]
	ds_read_b128 v[113:116], v112 offset:784
	ds_read_b128 v[117:120], v112 offset:800
	s_waitcnt vmcnt(24) lgkmcnt(1)
	v_fma_f64 v[113:114], v[153:154], v[113:114], v[123:124]
	s_waitcnt vmcnt(23)
	v_fma_f64 v[113:114], v[151:152], v[115:116], v[113:114]
	s_waitcnt vmcnt(22) lgkmcnt(0)
	v_fma_f64 v[113:114], v[129:130], v[117:118], v[113:114]
	s_waitcnt vmcnt(17)
	v_fma_f64 v[123:124], v[125:126], v[119:120], v[113:114]
	ds_read_b128 v[113:116], v112 offset:816
	ds_read_b128 v[117:120], v112 offset:832
	s_waitcnt vmcnt(16) lgkmcnt(1)
	v_fma_f64 v[113:114], v[141:142], v[113:114], v[123:124]
	;; [unrolled: 10-line block ×3, first 2 shown]
	s_waitcnt vmcnt(7)
	v_fma_f64 v[113:114], v[137:138], v[115:116], v[113:114]
	ds_read_b64 v[115:116], v112 offset:880
	s_waitcnt vmcnt(6) lgkmcnt(1)
	v_fma_f64 v[113:114], v[135:136], v[117:118], v[113:114]
	s_waitcnt vmcnt(3)
	v_fma_f64 v[113:114], v[121:122], v[119:120], v[113:114]
	s_waitcnt vmcnt(2) lgkmcnt(0)
	v_fma_f64 v[113:114], v[139:140], v[115:116], v[113:114]
	s_waitcnt vmcnt(0)
	v_add_f64 v[113:114], v[143:144], -v[113:114]
	buffer_store_dword v114, off, s[0:3], 0 offset:44
	buffer_store_dword v113, off, s[0:3], 0 offset:40
	v_cmpx_lt_u32_e32 4, v0
	s_cbranch_execz .LBB118_331
; %bb.330:
	s_clause 0x1
	buffer_load_dword v113, off, s[0:3], 0 offset:32
	buffer_load_dword v114, off, s[0:3], 0 offset:36
	buffer_store_dword v112, off, s[0:3], 0 offset:32
	buffer_store_dword v112, off, s[0:3], 0 offset:36
	s_waitcnt vmcnt(0)
	ds_write_b64 v111, v[113:114]
.LBB118_331:
	s_or_b32 exec_lo, exec_lo, s4
	s_waitcnt lgkmcnt(0)
	s_waitcnt_vscnt null, 0x0
	s_barrier
	buffer_gl0_inv
	s_clause 0x1c
	buffer_load_dword v121, off, s[0:3], 0 offset:40
	buffer_load_dword v122, off, s[0:3], 0 offset:44
	;; [unrolled: 1-line block ×29, first 2 shown]
	ds_read2_b64 v[113:116], v112 offset0:61 offset1:62
	ds_read2_b64 v[117:120], v112 offset0:63 offset1:64
	buffer_load_dword v146, off, s[0:3], 0 offset:156
	s_mov_b32 s4, exec_lo
	s_waitcnt vmcnt(28) lgkmcnt(1)
	v_fma_f64 v[113:114], v[121:122], v[113:114], 0
	s_clause 0x7
	buffer_load_dword v122, off, s[0:3], 0 offset:164
	buffer_load_dword v151, off, s[0:3], 0 offset:184
	buffer_load_dword v153, off, s[0:3], 0 offset:176
	buffer_load_dword v155, off, s[0:3], 0 offset:168
	buffer_load_dword v121, off, s[0:3], 0 offset:160
	buffer_load_dword v156, off, s[0:3], 0 offset:172
	buffer_load_dword v154, off, s[0:3], 0 offset:180
	buffer_load_dword v152, off, s[0:3], 0 offset:188
	s_waitcnt vmcnt(34)
	v_fma_f64 v[113:114], v[123:124], v[115:116], v[113:114]
	s_waitcnt vmcnt(32) lgkmcnt(0)
	v_fma_f64 v[113:114], v[125:126], v[117:118], v[113:114]
	s_waitcnt vmcnt(30)
	v_fma_f64 v[123:124], v[127:128], v[119:120], v[113:114]
	ds_read2_b64 v[113:116], v112 offset0:65 offset1:66
	ds_read2_b64 v[117:120], v112 offset0:67 offset1:68
	s_waitcnt vmcnt(28) lgkmcnt(1)
	v_fma_f64 v[113:114], v[129:130], v[113:114], v[123:124]
	s_clause 0x7
	buffer_load_dword v124, off, s[0:3], 0 offset:196
	buffer_load_dword v125, off, s[0:3], 0 offset:216
	buffer_load_dword v127, off, s[0:3], 0 offset:208
	buffer_load_dword v129, off, s[0:3], 0 offset:200
	buffer_load_dword v123, off, s[0:3], 0 offset:192
	buffer_load_dword v130, off, s[0:3], 0 offset:204
	buffer_load_dword v128, off, s[0:3], 0 offset:212
	buffer_load_dword v126, off, s[0:3], 0 offset:220
	s_waitcnt vmcnt(34)
	v_fma_f64 v[113:114], v[131:132], v[115:116], v[113:114]
	s_waitcnt vmcnt(32) lgkmcnt(0)
	v_fma_f64 v[113:114], v[133:134], v[117:118], v[113:114]
	s_waitcnt vmcnt(27)
	v_fma_f64 v[131:132], v[135:136], v[119:120], v[113:114]
	ds_read2_b64 v[113:116], v112 offset0:69 offset1:70
	ds_read2_b64 v[117:120], v112 offset0:71 offset1:72
	s_waitcnt vmcnt(26) lgkmcnt(1)
	v_fma_f64 v[113:114], v[141:142], v[113:114], v[131:132]
	s_clause 0x7
	buffer_load_dword v132, off, s[0:3], 0 offset:228
	buffer_load_dword v133, off, s[0:3], 0 offset:248
	buffer_load_dword v135, off, s[0:3], 0 offset:240
	buffer_load_dword v141, off, s[0:3], 0 offset:232
	buffer_load_dword v131, off, s[0:3], 0 offset:224
	buffer_load_dword v142, off, s[0:3], 0 offset:236
	buffer_load_dword v136, off, s[0:3], 0 offset:244
	buffer_load_dword v134, off, s[0:3], 0 offset:252
	s_waitcnt vmcnt(33)
	v_fma_f64 v[113:114], v[139:140], v[115:116], v[113:114]
	s_waitcnt vmcnt(32) lgkmcnt(0)
	v_fma_f64 v[113:114], v[137:138], v[117:118], v[113:114]
	s_waitcnt vmcnt(27)
	v_fma_f64 v[137:138], v[143:144], v[119:120], v[113:114]
	ds_read2_b64 v[113:116], v112 offset0:73 offset1:74
	ds_read2_b64 v[117:120], v112 offset0:75 offset1:76
	s_waitcnt vmcnt(26) lgkmcnt(1)
	v_fma_f64 v[113:114], v[149:150], v[113:114], v[137:138]
	s_clause 0x7
	buffer_load_dword v138, off, s[0:3], 0 offset:260
	buffer_load_dword v139, off, s[0:3], 0 offset:280
	buffer_load_dword v143, off, s[0:3], 0 offset:272
	buffer_load_dword v149, off, s[0:3], 0 offset:264
	buffer_load_dword v137, off, s[0:3], 0 offset:256
	buffer_load_dword v150, off, s[0:3], 0 offset:268
	buffer_load_dword v144, off, s[0:3], 0 offset:276
	buffer_load_dword v140, off, s[0:3], 0 offset:284
	s_waitcnt vmcnt(33)
	v_fma_f64 v[113:114], v[147:148], v[115:116], v[113:114]
	s_waitcnt vmcnt(32) lgkmcnt(0)
	v_fma_f64 v[113:114], v[145:146], v[117:118], v[113:114]
	s_waitcnt vmcnt(27)
	v_fma_f64 v[121:122], v[121:122], v[119:120], v[113:114]
	ds_read2_b64 v[113:116], v112 offset0:77 offset1:78
	ds_read2_b64 v[117:120], v112 offset0:79 offset1:80
	s_waitcnt vmcnt(26) lgkmcnt(1)
	v_fma_f64 v[113:114], v[155:156], v[113:114], v[121:122]
	s_clause 0x7
	buffer_load_dword v122, off, s[0:3], 0 offset:292
	buffer_load_dword v145, off, s[0:3], 0 offset:312
	buffer_load_dword v147, off, s[0:3], 0 offset:304
	buffer_load_dword v155, off, s[0:3], 0 offset:296
	buffer_load_dword v121, off, s[0:3], 0 offset:288
	buffer_load_dword v156, off, s[0:3], 0 offset:300
	buffer_load_dword v148, off, s[0:3], 0 offset:308
	buffer_load_dword v146, off, s[0:3], 0 offset:316
	s_waitcnt vmcnt(33)
	v_fma_f64 v[113:114], v[153:154], v[115:116], v[113:114]
	s_waitcnt vmcnt(32) lgkmcnt(0)
	v_fma_f64 v[113:114], v[151:152], v[117:118], v[113:114]
	s_waitcnt vmcnt(27)
	v_fma_f64 v[123:124], v[123:124], v[119:120], v[113:114]
	ds_read2_b64 v[113:116], v112 offset0:81 offset1:82
	ds_read2_b64 v[117:120], v112 offset0:83 offset1:84
	s_waitcnt vmcnt(26) lgkmcnt(1)
	v_fma_f64 v[113:114], v[129:130], v[113:114], v[123:124]
	s_clause 0x7
	buffer_load_dword v124, off, s[0:3], 0 offset:324
	buffer_load_dword v129, off, s[0:3], 0 offset:344
	buffer_load_dword v151, off, s[0:3], 0 offset:336
	buffer_load_dword v153, off, s[0:3], 0 offset:328
	buffer_load_dword v123, off, s[0:3], 0 offset:320
	buffer_load_dword v154, off, s[0:3], 0 offset:332
	buffer_load_dword v152, off, s[0:3], 0 offset:340
	buffer_load_dword v130, off, s[0:3], 0 offset:348
	s_waitcnt vmcnt(33)
	v_fma_f64 v[113:114], v[127:128], v[115:116], v[113:114]
	s_waitcnt vmcnt(32) lgkmcnt(0)
	v_fma_f64 v[113:114], v[125:126], v[117:118], v[113:114]
	s_waitcnt vmcnt(27)
	v_fma_f64 v[125:126], v[131:132], v[119:120], v[113:114]
	ds_read2_b64 v[113:116], v112 offset0:85 offset1:86
	ds_read2_b64 v[117:120], v112 offset0:87 offset1:88
	s_waitcnt vmcnt(26) lgkmcnt(1)
	v_fma_f64 v[113:114], v[141:142], v[113:114], v[125:126]
	s_clause 0x7
	buffer_load_dword v126, off, s[0:3], 0 offset:356
	buffer_load_dword v127, off, s[0:3], 0 offset:376
	buffer_load_dword v131, off, s[0:3], 0 offset:368
	buffer_load_dword v141, off, s[0:3], 0 offset:360
	buffer_load_dword v125, off, s[0:3], 0 offset:352
	buffer_load_dword v142, off, s[0:3], 0 offset:364
	buffer_load_dword v132, off, s[0:3], 0 offset:372
	buffer_load_dword v128, off, s[0:3], 0 offset:380
	s_waitcnt vmcnt(33)
	v_fma_f64 v[113:114], v[135:136], v[115:116], v[113:114]
	s_waitcnt vmcnt(32) lgkmcnt(0)
	v_fma_f64 v[113:114], v[133:134], v[117:118], v[113:114]
	s_waitcnt vmcnt(27)
	v_fma_f64 v[133:134], v[137:138], v[119:120], v[113:114]
	ds_read2_b64 v[113:116], v112 offset0:89 offset1:90
	ds_read2_b64 v[117:120], v112 offset0:91 offset1:92
	s_waitcnt vmcnt(26) lgkmcnt(1)
	v_fma_f64 v[113:114], v[149:150], v[113:114], v[133:134]
	s_clause 0x7
	buffer_load_dword v134, off, s[0:3], 0 offset:388
	buffer_load_dword v135, off, s[0:3], 0 offset:408
	buffer_load_dword v137, off, s[0:3], 0 offset:400
	buffer_load_dword v149, off, s[0:3], 0 offset:392
	buffer_load_dword v133, off, s[0:3], 0 offset:384
	buffer_load_dword v150, off, s[0:3], 0 offset:396
	buffer_load_dword v138, off, s[0:3], 0 offset:404
	buffer_load_dword v136, off, s[0:3], 0 offset:412
	s_waitcnt vmcnt(33)
	v_fma_f64 v[113:114], v[143:144], v[115:116], v[113:114]
	s_waitcnt vmcnt(32) lgkmcnt(0)
	v_fma_f64 v[113:114], v[139:140], v[117:118], v[113:114]
	s_waitcnt vmcnt(27)
	v_fma_f64 v[121:122], v[121:122], v[119:120], v[113:114]
	ds_read2_b64 v[113:116], v112 offset0:93 offset1:94
	ds_read2_b64 v[117:120], v112 offset0:95 offset1:96
	s_waitcnt vmcnt(26) lgkmcnt(1)
	v_fma_f64 v[113:114], v[155:156], v[113:114], v[121:122]
	s_clause 0x5
	buffer_load_dword v122, off, s[0:3], 0 offset:420
	buffer_load_dword v139, off, s[0:3], 0 offset:432
	;; [unrolled: 1-line block ×6, first 2 shown]
	s_waitcnt vmcnt(31)
	v_fma_f64 v[113:114], v[147:148], v[115:116], v[113:114]
	s_waitcnt vmcnt(30) lgkmcnt(0)
	v_fma_f64 v[113:114], v[145:146], v[117:118], v[113:114]
	s_waitcnt vmcnt(25)
	v_fma_f64 v[123:124], v[123:124], v[119:120], v[113:114]
	ds_read2_b64 v[113:116], v112 offset0:97 offset1:98
	s_clause 0x1
	buffer_load_dword v145, off, s[0:3], 0 offset:32
	buffer_load_dword v146, off, s[0:3], 0 offset:36
	ds_read2_b64 v[117:120], v112 offset0:99 offset1:100
	s_waitcnt vmcnt(26) lgkmcnt(1)
	v_fma_f64 v[113:114], v[153:154], v[113:114], v[123:124]
	s_waitcnt vmcnt(25)
	v_fma_f64 v[113:114], v[151:152], v[115:116], v[113:114]
	s_waitcnt vmcnt(24) lgkmcnt(0)
	v_fma_f64 v[113:114], v[129:130], v[117:118], v[113:114]
	s_waitcnt vmcnt(19)
	v_fma_f64 v[123:124], v[125:126], v[119:120], v[113:114]
	ds_read2_b64 v[113:116], v112 offset0:101 offset1:102
	ds_read2_b64 v[117:120], v112 offset0:103 offset1:104
	s_waitcnt vmcnt(18) lgkmcnt(1)
	v_fma_f64 v[113:114], v[141:142], v[113:114], v[123:124]
	s_waitcnt vmcnt(17)
	v_fma_f64 v[113:114], v[131:132], v[115:116], v[113:114]
	s_waitcnt vmcnt(16) lgkmcnt(0)
	v_fma_f64 v[113:114], v[127:128], v[117:118], v[113:114]
	s_waitcnt vmcnt(11)
	v_fma_f64 v[123:124], v[133:134], v[119:120], v[113:114]
	ds_read2_b64 v[113:116], v112 offset0:105 offset1:106
	;; [unrolled: 10-line block ×3, first 2 shown]
	s_waitcnt vmcnt(3) lgkmcnt(0)
	v_fma_f64 v[112:113], v[143:144], v[112:113], v[116:117]
	s_waitcnt vmcnt(2)
	v_fma_f64 v[112:113], v[139:140], v[114:115], v[112:113]
	s_waitcnt vmcnt(0)
	v_add_f64 v[112:113], v[145:146], -v[112:113]
	buffer_store_dword v113, off, s[0:3], 0 offset:36
	buffer_store_dword v112, off, s[0:3], 0 offset:32
	v_cmpx_lt_u32_e32 3, v0
	s_cbranch_execz .LBB118_333
; %bb.332:
	s_clause 0x1
	buffer_load_dword v112, off, s[0:3], 0 offset:24
	buffer_load_dword v113, off, s[0:3], 0 offset:28
	v_mov_b32_e32 v114, 0
	buffer_store_dword v114, off, s[0:3], 0 offset:24
	buffer_store_dword v114, off, s[0:3], 0 offset:28
	s_waitcnt vmcnt(0)
	ds_write_b64 v111, v[112:113]
.LBB118_333:
	s_or_b32 exec_lo, exec_lo, s4
	s_waitcnt lgkmcnt(0)
	s_waitcnt_vscnt null, 0x0
	s_barrier
	buffer_gl0_inv
	s_clause 0x1c
	buffer_load_dword v121, off, s[0:3], 0 offset:32
	buffer_load_dword v122, off, s[0:3], 0 offset:36
	;; [unrolled: 1-line block ×29, first 2 shown]
	v_mov_b32_e32 v112, 0
	buffer_load_dword v146, off, s[0:3], 0 offset:148
	s_mov_b32 s4, exec_lo
	ds_read_b128 v[113:116], v112 offset:480
	ds_read_b128 v[117:120], v112 offset:496
	s_waitcnt vmcnt(28) lgkmcnt(1)
	v_fma_f64 v[113:114], v[121:122], v[113:114], 0
	s_clause 0x7
	buffer_load_dword v122, off, s[0:3], 0 offset:156
	buffer_load_dword v151, off, s[0:3], 0 offset:176
	buffer_load_dword v153, off, s[0:3], 0 offset:168
	buffer_load_dword v155, off, s[0:3], 0 offset:160
	buffer_load_dword v121, off, s[0:3], 0 offset:152
	buffer_load_dword v156, off, s[0:3], 0 offset:164
	buffer_load_dword v154, off, s[0:3], 0 offset:172
	buffer_load_dword v152, off, s[0:3], 0 offset:180
	s_waitcnt vmcnt(34)
	v_fma_f64 v[113:114], v[123:124], v[115:116], v[113:114]
	s_waitcnt vmcnt(32) lgkmcnt(0)
	v_fma_f64 v[113:114], v[125:126], v[117:118], v[113:114]
	s_waitcnt vmcnt(30)
	v_fma_f64 v[123:124], v[127:128], v[119:120], v[113:114]
	ds_read_b128 v[113:116], v112 offset:512
	ds_read_b128 v[117:120], v112 offset:528
	s_waitcnt vmcnt(28) lgkmcnt(1)
	v_fma_f64 v[113:114], v[129:130], v[113:114], v[123:124]
	s_clause 0x7
	buffer_load_dword v124, off, s[0:3], 0 offset:188
	buffer_load_dword v125, off, s[0:3], 0 offset:208
	buffer_load_dword v127, off, s[0:3], 0 offset:200
	buffer_load_dword v129, off, s[0:3], 0 offset:192
	buffer_load_dword v123, off, s[0:3], 0 offset:184
	buffer_load_dword v130, off, s[0:3], 0 offset:196
	buffer_load_dword v128, off, s[0:3], 0 offset:204
	buffer_load_dword v126, off, s[0:3], 0 offset:212
	s_waitcnt vmcnt(34)
	v_fma_f64 v[113:114], v[131:132], v[115:116], v[113:114]
	s_waitcnt vmcnt(32) lgkmcnt(0)
	v_fma_f64 v[113:114], v[133:134], v[117:118], v[113:114]
	s_waitcnt vmcnt(27)
	v_fma_f64 v[131:132], v[135:136], v[119:120], v[113:114]
	ds_read_b128 v[113:116], v112 offset:544
	ds_read_b128 v[117:120], v112 offset:560
	s_waitcnt vmcnt(26) lgkmcnt(1)
	v_fma_f64 v[113:114], v[141:142], v[113:114], v[131:132]
	s_clause 0x7
	buffer_load_dword v132, off, s[0:3], 0 offset:220
	buffer_load_dword v133, off, s[0:3], 0 offset:240
	buffer_load_dword v135, off, s[0:3], 0 offset:232
	buffer_load_dword v141, off, s[0:3], 0 offset:224
	buffer_load_dword v131, off, s[0:3], 0 offset:216
	buffer_load_dword v142, off, s[0:3], 0 offset:228
	buffer_load_dword v136, off, s[0:3], 0 offset:236
	buffer_load_dword v134, off, s[0:3], 0 offset:244
	s_waitcnt vmcnt(33)
	v_fma_f64 v[113:114], v[139:140], v[115:116], v[113:114]
	s_waitcnt vmcnt(32) lgkmcnt(0)
	v_fma_f64 v[113:114], v[137:138], v[117:118], v[113:114]
	s_waitcnt vmcnt(27)
	v_fma_f64 v[137:138], v[143:144], v[119:120], v[113:114]
	ds_read_b128 v[113:116], v112 offset:576
	ds_read_b128 v[117:120], v112 offset:592
	s_waitcnt vmcnt(26) lgkmcnt(1)
	v_fma_f64 v[113:114], v[149:150], v[113:114], v[137:138]
	s_clause 0x7
	buffer_load_dword v138, off, s[0:3], 0 offset:252
	buffer_load_dword v139, off, s[0:3], 0 offset:272
	buffer_load_dword v143, off, s[0:3], 0 offset:264
	buffer_load_dword v149, off, s[0:3], 0 offset:256
	buffer_load_dword v137, off, s[0:3], 0 offset:248
	buffer_load_dword v150, off, s[0:3], 0 offset:260
	buffer_load_dword v144, off, s[0:3], 0 offset:268
	buffer_load_dword v140, off, s[0:3], 0 offset:276
	s_waitcnt vmcnt(33)
	v_fma_f64 v[113:114], v[147:148], v[115:116], v[113:114]
	s_waitcnt vmcnt(32) lgkmcnt(0)
	v_fma_f64 v[113:114], v[145:146], v[117:118], v[113:114]
	s_waitcnt vmcnt(27)
	v_fma_f64 v[121:122], v[121:122], v[119:120], v[113:114]
	ds_read_b128 v[113:116], v112 offset:608
	ds_read_b128 v[117:120], v112 offset:624
	s_waitcnt vmcnt(26) lgkmcnt(1)
	v_fma_f64 v[113:114], v[155:156], v[113:114], v[121:122]
	s_clause 0x7
	buffer_load_dword v122, off, s[0:3], 0 offset:284
	buffer_load_dword v145, off, s[0:3], 0 offset:304
	buffer_load_dword v147, off, s[0:3], 0 offset:296
	buffer_load_dword v155, off, s[0:3], 0 offset:288
	buffer_load_dword v121, off, s[0:3], 0 offset:280
	buffer_load_dword v156, off, s[0:3], 0 offset:292
	buffer_load_dword v148, off, s[0:3], 0 offset:300
	buffer_load_dword v146, off, s[0:3], 0 offset:308
	s_waitcnt vmcnt(33)
	v_fma_f64 v[113:114], v[153:154], v[115:116], v[113:114]
	s_waitcnt vmcnt(32) lgkmcnt(0)
	v_fma_f64 v[113:114], v[151:152], v[117:118], v[113:114]
	s_waitcnt vmcnt(27)
	v_fma_f64 v[123:124], v[123:124], v[119:120], v[113:114]
	ds_read_b128 v[113:116], v112 offset:640
	ds_read_b128 v[117:120], v112 offset:656
	s_waitcnt vmcnt(26) lgkmcnt(1)
	v_fma_f64 v[113:114], v[129:130], v[113:114], v[123:124]
	s_clause 0x7
	buffer_load_dword v124, off, s[0:3], 0 offset:316
	buffer_load_dword v129, off, s[0:3], 0 offset:336
	buffer_load_dword v151, off, s[0:3], 0 offset:328
	buffer_load_dword v153, off, s[0:3], 0 offset:320
	buffer_load_dword v123, off, s[0:3], 0 offset:312
	buffer_load_dword v154, off, s[0:3], 0 offset:324
	buffer_load_dword v152, off, s[0:3], 0 offset:332
	buffer_load_dword v130, off, s[0:3], 0 offset:340
	s_waitcnt vmcnt(33)
	v_fma_f64 v[113:114], v[127:128], v[115:116], v[113:114]
	s_waitcnt vmcnt(32) lgkmcnt(0)
	v_fma_f64 v[113:114], v[125:126], v[117:118], v[113:114]
	s_waitcnt vmcnt(27)
	v_fma_f64 v[125:126], v[131:132], v[119:120], v[113:114]
	ds_read_b128 v[113:116], v112 offset:672
	ds_read_b128 v[117:120], v112 offset:688
	s_waitcnt vmcnt(26) lgkmcnt(1)
	v_fma_f64 v[113:114], v[141:142], v[113:114], v[125:126]
	s_clause 0x7
	buffer_load_dword v126, off, s[0:3], 0 offset:348
	buffer_load_dword v127, off, s[0:3], 0 offset:368
	buffer_load_dword v131, off, s[0:3], 0 offset:360
	buffer_load_dword v141, off, s[0:3], 0 offset:352
	buffer_load_dword v125, off, s[0:3], 0 offset:344
	buffer_load_dword v142, off, s[0:3], 0 offset:356
	buffer_load_dword v132, off, s[0:3], 0 offset:364
	buffer_load_dword v128, off, s[0:3], 0 offset:372
	s_waitcnt vmcnt(33)
	v_fma_f64 v[113:114], v[135:136], v[115:116], v[113:114]
	s_waitcnt vmcnt(32) lgkmcnt(0)
	v_fma_f64 v[113:114], v[133:134], v[117:118], v[113:114]
	s_waitcnt vmcnt(27)
	v_fma_f64 v[133:134], v[137:138], v[119:120], v[113:114]
	ds_read_b128 v[113:116], v112 offset:704
	ds_read_b128 v[117:120], v112 offset:720
	s_waitcnt vmcnt(26) lgkmcnt(1)
	v_fma_f64 v[113:114], v[149:150], v[113:114], v[133:134]
	s_clause 0x7
	buffer_load_dword v134, off, s[0:3], 0 offset:380
	buffer_load_dword v135, off, s[0:3], 0 offset:400
	buffer_load_dword v137, off, s[0:3], 0 offset:392
	buffer_load_dword v149, off, s[0:3], 0 offset:384
	buffer_load_dword v133, off, s[0:3], 0 offset:376
	buffer_load_dword v150, off, s[0:3], 0 offset:388
	buffer_load_dword v138, off, s[0:3], 0 offset:396
	buffer_load_dword v136, off, s[0:3], 0 offset:404
	s_waitcnt vmcnt(33)
	v_fma_f64 v[113:114], v[143:144], v[115:116], v[113:114]
	s_waitcnt vmcnt(32) lgkmcnt(0)
	v_fma_f64 v[113:114], v[139:140], v[117:118], v[113:114]
	s_waitcnt vmcnt(27)
	v_fma_f64 v[121:122], v[121:122], v[119:120], v[113:114]
	ds_read_b128 v[113:116], v112 offset:736
	ds_read_b128 v[117:120], v112 offset:752
	s_waitcnt vmcnt(26) lgkmcnt(1)
	v_fma_f64 v[113:114], v[155:156], v[113:114], v[121:122]
	s_clause 0x7
	buffer_load_dword v122, off, s[0:3], 0 offset:412
	buffer_load_dword v139, off, s[0:3], 0 offset:432
	buffer_load_dword v143, off, s[0:3], 0 offset:424
	buffer_load_dword v155, off, s[0:3], 0 offset:416
	buffer_load_dword v121, off, s[0:3], 0 offset:408
	buffer_load_dword v156, off, s[0:3], 0 offset:420
	buffer_load_dword v144, off, s[0:3], 0 offset:428
	buffer_load_dword v140, off, s[0:3], 0 offset:436
	s_waitcnt vmcnt(33)
	v_fma_f64 v[113:114], v[147:148], v[115:116], v[113:114]
	s_waitcnt vmcnt(32) lgkmcnt(0)
	v_fma_f64 v[113:114], v[145:146], v[117:118], v[113:114]
	s_waitcnt vmcnt(27)
	v_fma_f64 v[123:124], v[123:124], v[119:120], v[113:114]
	ds_read_b128 v[113:116], v112 offset:768
	ds_read_b128 v[117:120], v112 offset:784
	s_waitcnt vmcnt(26) lgkmcnt(1)
	v_fma_f64 v[113:114], v[153:154], v[113:114], v[123:124]
	s_clause 0x1
	buffer_load_dword v123, off, s[0:3], 0 offset:24
	buffer_load_dword v124, off, s[0:3], 0 offset:28
	s_waitcnt vmcnt(27)
	v_fma_f64 v[113:114], v[151:152], v[115:116], v[113:114]
	s_waitcnt vmcnt(26) lgkmcnt(0)
	v_fma_f64 v[113:114], v[129:130], v[117:118], v[113:114]
	s_waitcnt vmcnt(21)
	v_fma_f64 v[125:126], v[125:126], v[119:120], v[113:114]
	ds_read_b128 v[113:116], v112 offset:800
	ds_read_b128 v[117:120], v112 offset:816
	s_waitcnt vmcnt(20) lgkmcnt(1)
	v_fma_f64 v[113:114], v[141:142], v[113:114], v[125:126]
	s_waitcnt vmcnt(19)
	v_fma_f64 v[113:114], v[131:132], v[115:116], v[113:114]
	s_waitcnt vmcnt(18) lgkmcnt(0)
	v_fma_f64 v[113:114], v[127:128], v[117:118], v[113:114]
	s_waitcnt vmcnt(13)
	v_fma_f64 v[125:126], v[133:134], v[119:120], v[113:114]
	ds_read_b128 v[113:116], v112 offset:832
	ds_read_b128 v[117:120], v112 offset:848
	s_waitcnt vmcnt(12) lgkmcnt(1)
	v_fma_f64 v[113:114], v[149:150], v[113:114], v[125:126]
	s_waitcnt vmcnt(11)
	v_fma_f64 v[113:114], v[137:138], v[115:116], v[113:114]
	s_waitcnt vmcnt(10) lgkmcnt(0)
	v_fma_f64 v[113:114], v[135:136], v[117:118], v[113:114]
	s_waitcnt vmcnt(5)
	v_fma_f64 v[117:118], v[121:122], v[119:120], v[113:114]
	ds_read_b128 v[113:116], v112 offset:864
	ds_read_b64 v[119:120], v112 offset:880
	s_waitcnt vmcnt(4) lgkmcnt(1)
	v_fma_f64 v[113:114], v[155:156], v[113:114], v[117:118]
	s_waitcnt vmcnt(3)
	v_fma_f64 v[113:114], v[143:144], v[115:116], v[113:114]
	s_waitcnt vmcnt(2) lgkmcnt(0)
	v_fma_f64 v[113:114], v[139:140], v[119:120], v[113:114]
	s_waitcnt vmcnt(0)
	v_add_f64 v[113:114], v[123:124], -v[113:114]
	buffer_store_dword v114, off, s[0:3], 0 offset:28
	buffer_store_dword v113, off, s[0:3], 0 offset:24
	v_cmpx_lt_u32_e32 2, v0
	s_cbranch_execz .LBB118_335
; %bb.334:
	s_clause 0x1
	buffer_load_dword v113, off, s[0:3], 0 offset:16
	buffer_load_dword v114, off, s[0:3], 0 offset:20
	buffer_store_dword v112, off, s[0:3], 0 offset:16
	buffer_store_dword v112, off, s[0:3], 0 offset:20
	s_waitcnt vmcnt(0)
	ds_write_b64 v111, v[113:114]
.LBB118_335:
	s_or_b32 exec_lo, exec_lo, s4
	s_waitcnt lgkmcnt(0)
	s_waitcnt_vscnt null, 0x0
	s_barrier
	buffer_gl0_inv
	s_clause 0x1c
	buffer_load_dword v121, off, s[0:3], 0 offset:24
	buffer_load_dword v122, off, s[0:3], 0 offset:28
	;; [unrolled: 1-line block ×29, first 2 shown]
	ds_read2_b64 v[113:116], v112 offset0:59 offset1:60
	ds_read2_b64 v[117:120], v112 offset0:61 offset1:62
	buffer_load_dword v146, off, s[0:3], 0 offset:140
	s_mov_b32 s4, exec_lo
	s_waitcnt vmcnt(28) lgkmcnt(1)
	v_fma_f64 v[113:114], v[121:122], v[113:114], 0
	s_clause 0x7
	buffer_load_dword v122, off, s[0:3], 0 offset:148
	buffer_load_dword v151, off, s[0:3], 0 offset:168
	buffer_load_dword v153, off, s[0:3], 0 offset:160
	buffer_load_dword v155, off, s[0:3], 0 offset:152
	buffer_load_dword v121, off, s[0:3], 0 offset:144
	buffer_load_dword v156, off, s[0:3], 0 offset:156
	buffer_load_dword v154, off, s[0:3], 0 offset:164
	buffer_load_dword v152, off, s[0:3], 0 offset:172
	s_waitcnt vmcnt(34)
	v_fma_f64 v[113:114], v[123:124], v[115:116], v[113:114]
	s_waitcnt vmcnt(32) lgkmcnt(0)
	v_fma_f64 v[113:114], v[125:126], v[117:118], v[113:114]
	s_waitcnt vmcnt(30)
	v_fma_f64 v[123:124], v[127:128], v[119:120], v[113:114]
	ds_read2_b64 v[113:116], v112 offset0:63 offset1:64
	ds_read2_b64 v[117:120], v112 offset0:65 offset1:66
	s_waitcnt vmcnt(28) lgkmcnt(1)
	v_fma_f64 v[113:114], v[129:130], v[113:114], v[123:124]
	s_clause 0x7
	buffer_load_dword v124, off, s[0:3], 0 offset:180
	buffer_load_dword v125, off, s[0:3], 0 offset:200
	buffer_load_dword v127, off, s[0:3], 0 offset:192
	buffer_load_dword v129, off, s[0:3], 0 offset:184
	buffer_load_dword v123, off, s[0:3], 0 offset:176
	buffer_load_dword v130, off, s[0:3], 0 offset:188
	buffer_load_dword v128, off, s[0:3], 0 offset:196
	buffer_load_dword v126, off, s[0:3], 0 offset:204
	s_waitcnt vmcnt(34)
	v_fma_f64 v[113:114], v[131:132], v[115:116], v[113:114]
	s_waitcnt vmcnt(32) lgkmcnt(0)
	v_fma_f64 v[113:114], v[133:134], v[117:118], v[113:114]
	s_waitcnt vmcnt(27)
	v_fma_f64 v[131:132], v[135:136], v[119:120], v[113:114]
	ds_read2_b64 v[113:116], v112 offset0:67 offset1:68
	ds_read2_b64 v[117:120], v112 offset0:69 offset1:70
	;; [unrolled: 19-line block ×9, first 2 shown]
	s_waitcnt vmcnt(26) lgkmcnt(1)
	v_fma_f64 v[113:114], v[153:154], v[113:114], v[123:124]
	s_clause 0x3
	buffer_load_dword v124, off, s[0:3], 0 offset:436
	buffer_load_dword v123, off, s[0:3], 0 offset:432
	;; [unrolled: 1-line block ×4, first 2 shown]
	s_waitcnt vmcnt(29)
	v_fma_f64 v[113:114], v[151:152], v[115:116], v[113:114]
	s_waitcnt vmcnt(28) lgkmcnt(0)
	v_fma_f64 v[113:114], v[129:130], v[117:118], v[113:114]
	s_waitcnt vmcnt(23)
	v_fma_f64 v[125:126], v[125:126], v[119:120], v[113:114]
	ds_read2_b64 v[113:116], v112 offset0:99 offset1:100
	ds_read2_b64 v[117:120], v112 offset0:101 offset1:102
	s_waitcnt vmcnt(22) lgkmcnt(1)
	v_fma_f64 v[113:114], v[141:142], v[113:114], v[125:126]
	s_waitcnt vmcnt(21)
	v_fma_f64 v[113:114], v[131:132], v[115:116], v[113:114]
	s_waitcnt vmcnt(20) lgkmcnt(0)
	v_fma_f64 v[113:114], v[127:128], v[117:118], v[113:114]
	s_waitcnt vmcnt(15)
	v_fma_f64 v[125:126], v[133:134], v[119:120], v[113:114]
	ds_read2_b64 v[113:116], v112 offset0:103 offset1:104
	ds_read2_b64 v[117:120], v112 offset0:105 offset1:106
	s_waitcnt vmcnt(14) lgkmcnt(1)
	v_fma_f64 v[113:114], v[149:150], v[113:114], v[125:126]
	;; [unrolled: 10-line block ×3, first 2 shown]
	s_waitcnt vmcnt(5)
	v_fma_f64 v[112:113], v[143:144], v[115:116], v[112:113]
	s_waitcnt vmcnt(4) lgkmcnt(0)
	v_fma_f64 v[112:113], v[139:140], v[117:118], v[112:113]
	s_waitcnt vmcnt(2)
	v_fma_f64 v[112:113], v[123:124], v[119:120], v[112:113]
	s_waitcnt vmcnt(0)
	v_add_f64 v[112:113], v[145:146], -v[112:113]
	buffer_store_dword v113, off, s[0:3], 0 offset:20
	buffer_store_dword v112, off, s[0:3], 0 offset:16
	v_cmpx_lt_u32_e32 1, v0
	s_cbranch_execz .LBB118_337
; %bb.336:
	s_clause 0x1
	buffer_load_dword v112, off, s[0:3], 0 offset:8
	buffer_load_dword v113, off, s[0:3], 0 offset:12
	v_mov_b32_e32 v114, 0
	buffer_store_dword v114, off, s[0:3], 0 offset:8
	buffer_store_dword v114, off, s[0:3], 0 offset:12
	s_waitcnt vmcnt(0)
	ds_write_b64 v111, v[112:113]
.LBB118_337:
	s_or_b32 exec_lo, exec_lo, s4
	s_waitcnt lgkmcnt(0)
	s_waitcnt_vscnt null, 0x0
	s_barrier
	buffer_gl0_inv
	s_clause 0x1c
	buffer_load_dword v122, off, s[0:3], 0 offset:16
	buffer_load_dword v123, off, s[0:3], 0 offset:20
	;; [unrolled: 1-line block ×29, first 2 shown]
	v_mov_b32_e32 v113, 0
	buffer_load_dword v147, off, s[0:3], 0 offset:132
	s_mov_b32 s4, exec_lo
	ds_read_b128 v[114:117], v113 offset:464
	ds_read_b128 v[118:121], v113 offset:480
	s_waitcnt vmcnt(28) lgkmcnt(1)
	v_fma_f64 v[114:115], v[122:123], v[114:115], 0
	s_clause 0x7
	buffer_load_dword v123, off, s[0:3], 0 offset:140
	buffer_load_dword v152, off, s[0:3], 0 offset:160
	buffer_load_dword v154, off, s[0:3], 0 offset:152
	buffer_load_dword v156, off, s[0:3], 0 offset:144
	buffer_load_dword v122, off, s[0:3], 0 offset:136
	buffer_load_dword v157, off, s[0:3], 0 offset:148
	buffer_load_dword v155, off, s[0:3], 0 offset:156
	buffer_load_dword v153, off, s[0:3], 0 offset:164
	s_waitcnt vmcnt(34)
	v_fma_f64 v[114:115], v[124:125], v[116:117], v[114:115]
	s_waitcnt vmcnt(32) lgkmcnt(0)
	v_fma_f64 v[114:115], v[126:127], v[118:119], v[114:115]
	s_waitcnt vmcnt(30)
	v_fma_f64 v[124:125], v[128:129], v[120:121], v[114:115]
	ds_read_b128 v[114:117], v113 offset:496
	ds_read_b128 v[118:121], v113 offset:512
	s_waitcnt vmcnt(28) lgkmcnt(1)
	v_fma_f64 v[114:115], v[130:131], v[114:115], v[124:125]
	s_clause 0x7
	buffer_load_dword v125, off, s[0:3], 0 offset:172
	buffer_load_dword v126, off, s[0:3], 0 offset:192
	buffer_load_dword v128, off, s[0:3], 0 offset:184
	buffer_load_dword v130, off, s[0:3], 0 offset:176
	buffer_load_dword v124, off, s[0:3], 0 offset:168
	buffer_load_dword v131, off, s[0:3], 0 offset:180
	buffer_load_dword v129, off, s[0:3], 0 offset:188
	buffer_load_dword v127, off, s[0:3], 0 offset:196
	s_waitcnt vmcnt(34)
	v_fma_f64 v[114:115], v[132:133], v[116:117], v[114:115]
	s_waitcnt vmcnt(32) lgkmcnt(0)
	v_fma_f64 v[114:115], v[134:135], v[118:119], v[114:115]
	s_waitcnt vmcnt(27)
	v_fma_f64 v[132:133], v[136:137], v[120:121], v[114:115]
	;; [unrolled: 19-line block ×9, first 2 shown]
	ds_read_b128 v[114:117], v113 offset:752
	ds_read_b128 v[118:121], v113 offset:768
	s_waitcnt vmcnt(26) lgkmcnt(1)
	v_fma_f64 v[114:115], v[154:155], v[114:115], v[124:125]
	s_clause 0x3
	buffer_load_dword v125, off, s[0:3], 0 offset:428
	buffer_load_dword v146, off, s[0:3], 0 offset:432
	;; [unrolled: 1-line block ×4, first 2 shown]
	s_waitcnt vmcnt(29)
	v_fma_f64 v[114:115], v[152:153], v[116:117], v[114:115]
	s_waitcnt vmcnt(28) lgkmcnt(0)
	v_fma_f64 v[114:115], v[130:131], v[118:119], v[114:115]
	s_clause 0x1
	buffer_load_dword v130, off, s[0:3], 0 offset:8
	buffer_load_dword v131, off, s[0:3], 0 offset:12
	s_waitcnt vmcnt(25)
	v_fma_f64 v[126:127], v[126:127], v[120:121], v[114:115]
	ds_read_b128 v[114:117], v113 offset:784
	ds_read_b128 v[118:121], v113 offset:800
	s_waitcnt vmcnt(24) lgkmcnt(1)
	v_fma_f64 v[114:115], v[142:143], v[114:115], v[126:127]
	s_waitcnt vmcnt(23)
	v_fma_f64 v[114:115], v[132:133], v[116:117], v[114:115]
	s_waitcnt vmcnt(22) lgkmcnt(0)
	v_fma_f64 v[114:115], v[128:129], v[118:119], v[114:115]
	s_waitcnt vmcnt(17)
	v_fma_f64 v[126:127], v[134:135], v[120:121], v[114:115]
	ds_read_b128 v[114:117], v113 offset:816
	ds_read_b128 v[118:121], v113 offset:832
	s_waitcnt vmcnt(16) lgkmcnt(1)
	v_fma_f64 v[114:115], v[150:151], v[114:115], v[126:127]
	s_waitcnt vmcnt(15)
	v_fma_f64 v[114:115], v[138:139], v[116:117], v[114:115]
	s_waitcnt vmcnt(14) lgkmcnt(0)
	v_fma_f64 v[114:115], v[136:137], v[118:119], v[114:115]
	s_waitcnt vmcnt(9)
	v_fma_f64 v[122:123], v[122:123], v[120:121], v[114:115]
	ds_read_b128 v[114:117], v113 offset:848
	ds_read_b128 v[118:121], v113 offset:864
	s_waitcnt vmcnt(8) lgkmcnt(1)
	v_fma_f64 v[114:115], v[156:157], v[114:115], v[122:123]
	s_waitcnt vmcnt(7)
	v_fma_f64 v[114:115], v[144:145], v[116:117], v[114:115]
	ds_read_b64 v[116:117], v113 offset:880
	s_waitcnt vmcnt(6) lgkmcnt(1)
	v_fma_f64 v[114:115], v[140:141], v[118:119], v[114:115]
	s_waitcnt vmcnt(3)
	v_fma_f64 v[114:115], v[124:125], v[120:121], v[114:115]
	s_waitcnt vmcnt(2) lgkmcnt(0)
	v_fma_f64 v[114:115], v[146:147], v[116:117], v[114:115]
	s_waitcnt vmcnt(0)
	v_add_f64 v[114:115], v[130:131], -v[114:115]
	buffer_store_dword v115, off, s[0:3], 0 offset:12
	buffer_store_dword v114, off, s[0:3], 0 offset:8
	v_cmpx_ne_u32_e32 0, v0
	s_cbranch_execz .LBB118_339
; %bb.338:
	s_clause 0x1
	buffer_load_dword v114, off, s[0:3], 0
	buffer_load_dword v115, off, s[0:3], 0 offset:4
	buffer_store_dword v113, off, s[0:3], 0
	buffer_store_dword v113, off, s[0:3], 0 offset:4
	s_waitcnt vmcnt(0)
	ds_write_b64 v111, v[114:115]
.LBB118_339:
	s_or_b32 exec_lo, exec_lo, s4
	s_waitcnt lgkmcnt(0)
	s_waitcnt_vscnt null, 0x0
	s_barrier
	buffer_gl0_inv
	s_clause 0x1c
	buffer_load_dword v111, off, s[0:3], 0 offset:8
	buffer_load_dword v112, off, s[0:3], 0 offset:12
	;; [unrolled: 1-line block ×29, first 2 shown]
	ds_read2_b64 v[114:117], v113 offset0:57 offset1:58
	ds_read2_b64 v[118:121], v113 offset0:59 offset1:60
	s_clause 0x8
	buffer_load_dword v145, off, s[0:3], 0 offset:124
	buffer_load_dword v151, off, s[0:3], 0 offset:132
	;; [unrolled: 1-line block ×9, first 2 shown]
	s_and_b32 vcc_lo, exec_lo, s16
	s_waitcnt vmcnt(36) lgkmcnt(1)
	v_fma_f64 v[111:112], v[111:112], v[114:115], 0
	s_waitcnt vmcnt(34)
	v_fma_f64 v[111:112], v[122:123], v[116:117], v[111:112]
	ds_read2_b64 v[114:117], v113 offset0:61 offset1:62
	s_waitcnt vmcnt(32) lgkmcnt(1)
	v_fma_f64 v[111:112], v[124:125], v[118:119], v[111:112]
	s_waitcnt vmcnt(30)
	v_fma_f64 v[111:112], v[126:127], v[120:121], v[111:112]
	ds_read2_b64 v[118:121], v113 offset0:63 offset1:64
	s_waitcnt vmcnt(28) lgkmcnt(1)
	v_fma_f64 v[111:112], v[128:129], v[114:115], v[111:112]
	s_clause 0x7
	buffer_load_dword v123, off, s[0:3], 0 offset:164
	buffer_load_dword v124, off, s[0:3], 0 offset:184
	buffer_load_dword v126, off, s[0:3], 0 offset:176
	buffer_load_dword v128, off, s[0:3], 0 offset:168
	buffer_load_dword v122, off, s[0:3], 0 offset:160
	buffer_load_dword v129, off, s[0:3], 0 offset:172
	buffer_load_dword v127, off, s[0:3], 0 offset:180
	buffer_load_dword v125, off, s[0:3], 0 offset:188
	s_waitcnt vmcnt(34)
	v_fma_f64 v[111:112], v[130:131], v[116:117], v[111:112]
	ds_read2_b64 v[114:117], v113 offset0:65 offset1:66
	s_waitcnt vmcnt(32) lgkmcnt(1)
	v_fma_f64 v[111:112], v[132:133], v[118:119], v[111:112]
	s_waitcnt vmcnt(27)
	v_fma_f64 v[111:112], v[134:135], v[120:121], v[111:112]
	ds_read2_b64 v[118:121], v113 offset0:67 offset1:68
	s_waitcnt vmcnt(26) lgkmcnt(1)
	v_fma_f64 v[111:112], v[140:141], v[114:115], v[111:112]
	s_clause 0x7
	buffer_load_dword v131, off, s[0:3], 0 offset:196
	buffer_load_dword v132, off, s[0:3], 0 offset:216
	buffer_load_dword v134, off, s[0:3], 0 offset:208
	buffer_load_dword v140, off, s[0:3], 0 offset:200
	buffer_load_dword v130, off, s[0:3], 0 offset:192
	buffer_load_dword v141, off, s[0:3], 0 offset:204
	buffer_load_dword v135, off, s[0:3], 0 offset:212
	buffer_load_dword v133, off, s[0:3], 0 offset:220
	;; [unrolled: 19-line block ×8, first 2 shown]
	s_waitcnt vmcnt(33)
	v_fma_f64 v[111:112], v[150:151], v[116:117], v[111:112]
	ds_read2_b64 v[114:117], v113 offset0:93 offset1:94
	s_waitcnt vmcnt(32) lgkmcnt(1)
	v_fma_f64 v[111:112], v[146:147], v[118:119], v[111:112]
	s_waitcnt vmcnt(27)
	v_fma_f64 v[111:112], v[122:123], v[120:121], v[111:112]
	ds_read2_b64 v[118:121], v113 offset0:95 offset1:96
	s_waitcnt vmcnt(26) lgkmcnt(1)
	v_fma_f64 v[114:115], v[154:155], v[114:115], v[111:112]
	s_clause 0x5
	buffer_load_dword v123, off, s[0:3], 0 offset:420
	buffer_load_dword v146, off, s[0:3], 0 offset:432
	;; [unrolled: 1-line block ×6, first 2 shown]
	s_waitcnt vmcnt(31)
	v_fma_f64 v[114:115], v[152:153], v[116:117], v[114:115]
	s_waitcnt vmcnt(30) lgkmcnt(0)
	v_fma_f64 v[114:115], v[128:129], v[118:119], v[114:115]
	s_waitcnt vmcnt(25)
	v_fma_f64 v[124:125], v[124:125], v[120:121], v[114:115]
	ds_read2_b64 v[114:117], v113 offset0:97 offset1:98
	s_clause 0x1
	buffer_load_dword v128, off, s[0:3], 0
	buffer_load_dword v129, off, s[0:3], 0 offset:4
	ds_read2_b64 v[118:121], v113 offset0:99 offset1:100
	s_waitcnt vmcnt(26) lgkmcnt(1)
	v_fma_f64 v[114:115], v[140:141], v[114:115], v[124:125]
	s_waitcnt vmcnt(25)
	v_fma_f64 v[114:115], v[130:131], v[116:117], v[114:115]
	s_waitcnt vmcnt(24) lgkmcnt(0)
	v_fma_f64 v[114:115], v[126:127], v[118:119], v[114:115]
	s_waitcnt vmcnt(19)
	v_fma_f64 v[124:125], v[132:133], v[120:121], v[114:115]
	ds_read2_b64 v[114:117], v113 offset0:101 offset1:102
	ds_read2_b64 v[118:121], v113 offset0:103 offset1:104
	s_waitcnt vmcnt(18) lgkmcnt(1)
	v_fma_f64 v[114:115], v[148:149], v[114:115], v[124:125]
	s_waitcnt vmcnt(17)
	v_fma_f64 v[114:115], v[136:137], v[116:117], v[114:115]
	s_waitcnt vmcnt(16) lgkmcnt(0)
	v_fma_f64 v[114:115], v[134:135], v[118:119], v[114:115]
	s_waitcnt vmcnt(11)
	v_fma_f64 v[124:125], v[138:139], v[120:121], v[114:115]
	ds_read2_b64 v[114:117], v113 offset0:105 offset1:106
	;; [unrolled: 10-line block ×3, first 2 shown]
	s_waitcnt vmcnt(3) lgkmcnt(0)
	v_fma_f64 v[113:114], v[111:112], v[113:114], v[117:118]
	s_waitcnt vmcnt(2)
	v_fma_f64 v[113:114], v[146:147], v[115:116], v[113:114]
	s_waitcnt vmcnt(0)
	v_add_f64 v[113:114], v[128:129], -v[113:114]
	buffer_store_dword v114, off, s[0:3], 0 offset:4
	buffer_store_dword v113, off, s[0:3], 0
	s_cbranch_vccz .LBB118_448
; %bb.340:
	v_mov_b32_e32 v0, 0
	global_load_dword v113, v0, s[12:13] offset:212
	s_waitcnt vmcnt(0)
	v_add_nc_u32_e32 v113, -1, v113
	v_cmp_ne_u32_e32 vcc_lo, 53, v113
	s_cbranch_vccz .LBB118_342
; %bb.341:
	v_lshlrev_b32_e32 v113, 3, v113
	s_clause 0x1
	buffer_load_dword v114, v113, s[0:3], 0 offen
	buffer_load_dword v115, v113, s[0:3], 0 offen offset:4
	s_waitcnt vmcnt(1)
	buffer_store_dword v114, off, s[0:3], 0 offset:424
	s_waitcnt vmcnt(0)
	buffer_store_dword v115, off, s[0:3], 0 offset:428
	buffer_store_dword v111, v113, s[0:3], 0 offen
	buffer_store_dword v112, v113, s[0:3], 0 offen offset:4
.LBB118_342:
	global_load_dword v0, v0, s[12:13] offset:208
	s_waitcnt vmcnt(0)
	v_add_nc_u32_e32 v0, -1, v0
	v_cmp_eq_u32_e32 vcc_lo, 52, v0
	s_cbranch_vccnz .LBB118_344
; %bb.343:
	v_lshlrev_b32_e32 v0, 3, v0
	s_clause 0x3
	buffer_load_dword v111, v0, s[0:3], 0 offen
	buffer_load_dword v112, v0, s[0:3], 0 offen offset:4
	buffer_load_dword v113, off, s[0:3], 0 offset:420
	buffer_load_dword v114, off, s[0:3], 0 offset:416
	s_waitcnt vmcnt(3)
	buffer_store_dword v111, off, s[0:3], 0 offset:416
	s_waitcnt vmcnt(2)
	buffer_store_dword v112, off, s[0:3], 0 offset:420
	s_waitcnt vmcnt(1)
	buffer_store_dword v113, v0, s[0:3], 0 offen offset:4
	s_waitcnt vmcnt(0)
	buffer_store_dword v114, v0, s[0:3], 0 offen
.LBB118_344:
	v_mov_b32_e32 v0, 0
	global_load_dword v111, v0, s[12:13] offset:204
	s_waitcnt vmcnt(0)
	v_add_nc_u32_e32 v111, -1, v111
	v_cmp_eq_u32_e32 vcc_lo, 51, v111
	s_cbranch_vccnz .LBB118_346
; %bb.345:
	v_lshlrev_b32_e32 v111, 3, v111
	s_clause 0x3
	buffer_load_dword v112, v111, s[0:3], 0 offen
	buffer_load_dword v113, v111, s[0:3], 0 offen offset:4
	buffer_load_dword v114, off, s[0:3], 0 offset:408
	buffer_load_dword v115, off, s[0:3], 0 offset:412
	s_waitcnt vmcnt(3)
	buffer_store_dword v112, off, s[0:3], 0 offset:408
	s_waitcnt vmcnt(2)
	buffer_store_dword v113, off, s[0:3], 0 offset:412
	s_waitcnt vmcnt(1)
	buffer_store_dword v114, v111, s[0:3], 0 offen
	s_waitcnt vmcnt(0)
	buffer_store_dword v115, v111, s[0:3], 0 offen offset:4
.LBB118_346:
	global_load_dword v0, v0, s[12:13] offset:200
	s_waitcnt vmcnt(0)
	v_add_nc_u32_e32 v0, -1, v0
	v_cmp_eq_u32_e32 vcc_lo, 50, v0
	s_cbranch_vccnz .LBB118_348
; %bb.347:
	v_lshlrev_b32_e32 v0, 3, v0
	s_clause 0x3
	buffer_load_dword v111, v0, s[0:3], 0 offen
	buffer_load_dword v112, v0, s[0:3], 0 offen offset:4
	buffer_load_dword v113, off, s[0:3], 0 offset:404
	buffer_load_dword v114, off, s[0:3], 0 offset:400
	s_waitcnt vmcnt(3)
	buffer_store_dword v111, off, s[0:3], 0 offset:400
	s_waitcnt vmcnt(2)
	buffer_store_dword v112, off, s[0:3], 0 offset:404
	s_waitcnt vmcnt(1)
	buffer_store_dword v113, v0, s[0:3], 0 offen offset:4
	s_waitcnt vmcnt(0)
	buffer_store_dword v114, v0, s[0:3], 0 offen
.LBB118_348:
	v_mov_b32_e32 v0, 0
	global_load_dword v111, v0, s[12:13] offset:196
	s_waitcnt vmcnt(0)
	v_add_nc_u32_e32 v111, -1, v111
	v_cmp_eq_u32_e32 vcc_lo, 49, v111
	s_cbranch_vccnz .LBB118_350
; %bb.349:
	v_lshlrev_b32_e32 v111, 3, v111
	s_clause 0x3
	buffer_load_dword v112, v111, s[0:3], 0 offen
	buffer_load_dword v113, v111, s[0:3], 0 offen offset:4
	buffer_load_dword v114, off, s[0:3], 0 offset:392
	buffer_load_dword v115, off, s[0:3], 0 offset:396
	s_waitcnt vmcnt(3)
	buffer_store_dword v112, off, s[0:3], 0 offset:392
	s_waitcnt vmcnt(2)
	buffer_store_dword v113, off, s[0:3], 0 offset:396
	s_waitcnt vmcnt(1)
	buffer_store_dword v114, v111, s[0:3], 0 offen
	s_waitcnt vmcnt(0)
	buffer_store_dword v115, v111, s[0:3], 0 offen offset:4
.LBB118_350:
	;; [unrolled: 43-line block ×26, first 2 shown]
	global_load_dword v0, v0, s[12:13]
	s_clause 0x1
	buffer_load_dword v113, off, s[0:3], 0
	buffer_load_dword v114, off, s[0:3], 0 offset:4
	s_waitcnt vmcnt(2)
	v_add_nc_u32_e32 v0, -1, v0
	v_cmp_eq_u32_e32 vcc_lo, 0, v0
	s_cbranch_vccnz .LBB118_448
; %bb.447:
	v_lshlrev_b32_e32 v0, 3, v0
	s_clause 0x1
	buffer_load_dword v111, v0, s[0:3], 0 offen offset:4
	buffer_load_dword v112, v0, s[0:3], 0 offen
	s_waitcnt vmcnt(1)
	buffer_store_dword v111, off, s[0:3], 0 offset:4
	s_waitcnt vmcnt(0)
	buffer_store_dword v112, off, s[0:3], 0
	buffer_store_dword v114, v0, s[0:3], 0 offen offset:4
	buffer_store_dword v113, v0, s[0:3], 0 offen
	s_clause 0x1
	buffer_load_dword v113, off, s[0:3], 0
	buffer_load_dword v114, off, s[0:3], 0 offset:4
.LBB118_448:
	s_waitcnt vmcnt(0)
	flat_store_dwordx2 v[1:2], v[113:114]
	s_clause 0x1
	buffer_load_dword v0, off, s[0:3], 0 offset:8
	buffer_load_dword v1, off, s[0:3], 0 offset:12
	s_waitcnt vmcnt(0)
	flat_store_dwordx2 v[3:4], v[0:1]
	s_clause 0x1
	buffer_load_dword v0, off, s[0:3], 0 offset:16
	buffer_load_dword v1, off, s[0:3], 0 offset:20
	;; [unrolled: 5-line block ×54, first 2 shown]
	s_waitcnt vmcnt(0)
	flat_store_dwordx2 v[109:110], v[0:1]
	s_endpgm
	.section	.rodata,"a",@progbits
	.p2align	6, 0x0
	.amdhsa_kernel _ZN9rocsolver6v33100L18getri_kernel_smallILi55EdPKPdEEvT1_iilPiilS6_bb
		.amdhsa_group_segment_fixed_size 888
		.amdhsa_private_segment_fixed_size 448
		.amdhsa_kernarg_size 60
		.amdhsa_user_sgpr_count 6
		.amdhsa_user_sgpr_private_segment_buffer 1
		.amdhsa_user_sgpr_dispatch_ptr 0
		.amdhsa_user_sgpr_queue_ptr 0
		.amdhsa_user_sgpr_kernarg_segment_ptr 1
		.amdhsa_user_sgpr_dispatch_id 0
		.amdhsa_user_sgpr_flat_scratch_init 0
		.amdhsa_user_sgpr_private_segment_size 0
		.amdhsa_wavefront_size32 1
		.amdhsa_uses_dynamic_stack 0
		.amdhsa_system_sgpr_private_segment_wavefront_offset 1
		.amdhsa_system_sgpr_workgroup_id_x 1
		.amdhsa_system_sgpr_workgroup_id_y 0
		.amdhsa_system_sgpr_workgroup_id_z 0
		.amdhsa_system_sgpr_workgroup_info 0
		.amdhsa_system_vgpr_workitem_id 0
		.amdhsa_next_free_vgpr 158
		.amdhsa_next_free_sgpr 20
		.amdhsa_reserve_vcc 1
		.amdhsa_reserve_flat_scratch 0
		.amdhsa_float_round_mode_32 0
		.amdhsa_float_round_mode_16_64 0
		.amdhsa_float_denorm_mode_32 3
		.amdhsa_float_denorm_mode_16_64 3
		.amdhsa_dx10_clamp 1
		.amdhsa_ieee_mode 1
		.amdhsa_fp16_overflow 0
		.amdhsa_workgroup_processor_mode 1
		.amdhsa_memory_ordered 1
		.amdhsa_forward_progress 1
		.amdhsa_shared_vgpr_count 0
		.amdhsa_exception_fp_ieee_invalid_op 0
		.amdhsa_exception_fp_denorm_src 0
		.amdhsa_exception_fp_ieee_div_zero 0
		.amdhsa_exception_fp_ieee_overflow 0
		.amdhsa_exception_fp_ieee_underflow 0
		.amdhsa_exception_fp_ieee_inexact 0
		.amdhsa_exception_int_div_zero 0
	.end_amdhsa_kernel
	.section	.text._ZN9rocsolver6v33100L18getri_kernel_smallILi55EdPKPdEEvT1_iilPiilS6_bb,"axG",@progbits,_ZN9rocsolver6v33100L18getri_kernel_smallILi55EdPKPdEEvT1_iilPiilS6_bb,comdat
.Lfunc_end118:
	.size	_ZN9rocsolver6v33100L18getri_kernel_smallILi55EdPKPdEEvT1_iilPiilS6_bb, .Lfunc_end118-_ZN9rocsolver6v33100L18getri_kernel_smallILi55EdPKPdEEvT1_iilPiilS6_bb
                                        ; -- End function
	.set _ZN9rocsolver6v33100L18getri_kernel_smallILi55EdPKPdEEvT1_iilPiilS6_bb.num_vgpr, 158
	.set _ZN9rocsolver6v33100L18getri_kernel_smallILi55EdPKPdEEvT1_iilPiilS6_bb.num_agpr, 0
	.set _ZN9rocsolver6v33100L18getri_kernel_smallILi55EdPKPdEEvT1_iilPiilS6_bb.numbered_sgpr, 20
	.set _ZN9rocsolver6v33100L18getri_kernel_smallILi55EdPKPdEEvT1_iilPiilS6_bb.num_named_barrier, 0
	.set _ZN9rocsolver6v33100L18getri_kernel_smallILi55EdPKPdEEvT1_iilPiilS6_bb.private_seg_size, 448
	.set _ZN9rocsolver6v33100L18getri_kernel_smallILi55EdPKPdEEvT1_iilPiilS6_bb.uses_vcc, 1
	.set _ZN9rocsolver6v33100L18getri_kernel_smallILi55EdPKPdEEvT1_iilPiilS6_bb.uses_flat_scratch, 0
	.set _ZN9rocsolver6v33100L18getri_kernel_smallILi55EdPKPdEEvT1_iilPiilS6_bb.has_dyn_sized_stack, 0
	.set _ZN9rocsolver6v33100L18getri_kernel_smallILi55EdPKPdEEvT1_iilPiilS6_bb.has_recursion, 0
	.set _ZN9rocsolver6v33100L18getri_kernel_smallILi55EdPKPdEEvT1_iilPiilS6_bb.has_indirect_call, 0
	.section	.AMDGPU.csdata,"",@progbits
; Kernel info:
; codeLenInByte = 79616
; TotalNumSgprs: 22
; NumVgprs: 158
; ScratchSize: 448
; MemoryBound: 1
; FloatMode: 240
; IeeeMode: 1
; LDSByteSize: 888 bytes/workgroup (compile time only)
; SGPRBlocks: 0
; VGPRBlocks: 19
; NumSGPRsForWavesPerEU: 22
; NumVGPRsForWavesPerEU: 158
; Occupancy: 6
; WaveLimiterHint : 1
; COMPUTE_PGM_RSRC2:SCRATCH_EN: 1
; COMPUTE_PGM_RSRC2:USER_SGPR: 6
; COMPUTE_PGM_RSRC2:TRAP_HANDLER: 0
; COMPUTE_PGM_RSRC2:TGID_X_EN: 1
; COMPUTE_PGM_RSRC2:TGID_Y_EN: 0
; COMPUTE_PGM_RSRC2:TGID_Z_EN: 0
; COMPUTE_PGM_RSRC2:TIDIG_COMP_CNT: 0
	.section	.text._ZN9rocsolver6v33100L18getri_kernel_smallILi56EdPKPdEEvT1_iilPiilS6_bb,"axG",@progbits,_ZN9rocsolver6v33100L18getri_kernel_smallILi56EdPKPdEEvT1_iilPiilS6_bb,comdat
	.globl	_ZN9rocsolver6v33100L18getri_kernel_smallILi56EdPKPdEEvT1_iilPiilS6_bb ; -- Begin function _ZN9rocsolver6v33100L18getri_kernel_smallILi56EdPKPdEEvT1_iilPiilS6_bb
	.p2align	8
	.type	_ZN9rocsolver6v33100L18getri_kernel_smallILi56EdPKPdEEvT1_iilPiilS6_bb,@function
_ZN9rocsolver6v33100L18getri_kernel_smallILi56EdPKPdEEvT1_iilPiilS6_bb: ; @_ZN9rocsolver6v33100L18getri_kernel_smallILi56EdPKPdEEvT1_iilPiilS6_bb
; %bb.0:
	s_add_u32 s0, s0, s7
	s_addc_u32 s1, s1, 0
	s_mov_b32 s7, exec_lo
	v_cmpx_gt_u32_e32 56, v0
	s_cbranch_execz .LBB119_234
; %bb.1:
	s_clause 0x2
	s_load_dword s17, s[4:5], 0x38
	s_load_dwordx2 s[12:13], s[4:5], 0x0
	s_load_dwordx4 s[8:11], s[4:5], 0x28
	s_waitcnt lgkmcnt(0)
	s_bitcmp1_b32 s17, 8
	s_cselect_b32 s16, -1, 0
	s_ashr_i32 s7, s6, 31
	s_lshl_b64 s[14:15], s[6:7], 3
	s_add_u32 s12, s12, s14
	s_addc_u32 s13, s13, s15
	s_load_dwordx2 s[14:15], s[12:13], 0x0
	s_bfe_u32 s12, s17, 0x10008
	s_cmp_eq_u32 s12, 0
                                        ; implicit-def: $sgpr12_sgpr13
	s_cbranch_scc1 .LBB119_3
; %bb.2:
	s_clause 0x1
	s_load_dword s12, s[4:5], 0x20
	s_load_dwordx2 s[18:19], s[4:5], 0x18
	s_mul_i32 s13, s8, s7
	s_mul_hi_u32 s17, s8, s6
	s_mul_i32 s9, s9, s6
	s_add_i32 s13, s17, s13
	s_mul_i32 s8, s8, s6
	s_add_i32 s9, s13, s9
	s_lshl_b64 s[8:9], s[8:9], 2
	s_waitcnt lgkmcnt(0)
	s_ashr_i32 s13, s12, 31
	s_add_u32 s17, s18, s8
	s_addc_u32 s18, s19, s9
	s_lshl_b64 s[8:9], s[12:13], 2
	s_add_u32 s12, s17, s8
	s_addc_u32 s13, s18, s9
.LBB119_3:
	s_clause 0x1
	s_load_dwordx2 s[8:9], s[4:5], 0x8
	s_load_dword s17, s[4:5], 0x38
	v_lshlrev_b32_e32 v115, 3, v0
	s_waitcnt lgkmcnt(0)
	s_ashr_i32 s5, s8, 31
	s_mov_b32 s4, s8
	v_add3_u32 v9, s9, s9, v0
	s_lshl_b64 s[4:5], s[4:5], 3
	s_add_u32 s4, s14, s4
	s_addc_u32 s5, s15, s5
	v_add_co_u32 v1, s8, s4, v115
	v_add_co_ci_u32_e64 v2, null, s5, 0, s8
	s_mov_b32 s14, s9
	s_ashr_i32 s15, s9, 31
	v_ashrrev_i32_e32 v10, 31, v9
	flat_load_dwordx2 v[5:6], v[1:2]
	s_lshl_b64 s[14:15], s[14:15], 3
	v_add_nc_u32_e32 v12, s9, v9
	v_add_co_u32 v3, vcc_lo, v1, s14
	v_add_co_ci_u32_e64 v4, null, s15, v2, vcc_lo
	v_ashrrev_i32_e32 v13, 31, v12
	s_bitcmp0_b32 s17, 0
	s_waitcnt vmcnt(0) lgkmcnt(0)
	buffer_store_dword v6, off, s[0:3], 0 offset:4
	buffer_store_dword v5, off, s[0:3], 0
	flat_load_dwordx2 v[7:8], v[3:4]
	v_lshlrev_b64 v[5:6], 3, v[9:10]
	s_waitcnt vmcnt(0) lgkmcnt(0)
	buffer_store_dword v8, off, s[0:3], 0 offset:12
	buffer_store_dword v7, off, s[0:3], 0 offset:8
	v_add_co_u32 v5, vcc_lo, s4, v5
	v_add_co_ci_u32_e64 v6, null, s5, v6, vcc_lo
	v_lshlrev_b64 v[7:8], 3, v[12:13]
	flat_load_dwordx2 v[10:11], v[5:6]
	s_waitcnt vmcnt(0) lgkmcnt(0)
	buffer_store_dword v11, off, s[0:3], 0 offset:20
	buffer_store_dword v10, off, s[0:3], 0 offset:16
	v_add_co_u32 v7, vcc_lo, s4, v7
	v_add_co_ci_u32_e64 v8, null, s5, v8, vcc_lo
	v_add_nc_u32_e32 v11, s9, v12
	flat_load_dwordx2 v[13:14], v[7:8]
	s_waitcnt vmcnt(0) lgkmcnt(0)
	buffer_store_dword v14, off, s[0:3], 0 offset:28
	buffer_store_dword v13, off, s[0:3], 0 offset:24
	v_ashrrev_i32_e32 v12, 31, v11
	v_add_nc_u32_e32 v15, s9, v11
	v_lshlrev_b64 v[9:10], 3, v[11:12]
	v_ashrrev_i32_e32 v16, 31, v15
	v_add_nc_u32_e32 v18, s9, v15
	v_add_co_u32 v9, vcc_lo, s4, v9
	v_add_co_ci_u32_e64 v10, null, s5, v10, vcc_lo
	v_lshlrev_b64 v[11:12], 3, v[15:16]
	v_ashrrev_i32_e32 v19, 31, v18
	flat_load_dwordx2 v[13:14], v[9:10]
	s_waitcnt vmcnt(0) lgkmcnt(0)
	buffer_store_dword v14, off, s[0:3], 0 offset:36
	buffer_store_dword v13, off, s[0:3], 0 offset:32
	v_add_co_u32 v11, vcc_lo, s4, v11
	v_add_co_ci_u32_e64 v12, null, s5, v12, vcc_lo
	v_lshlrev_b64 v[13:14], 3, v[18:19]
	flat_load_dwordx2 v[16:17], v[11:12]
	s_waitcnt vmcnt(0) lgkmcnt(0)
	buffer_store_dword v17, off, s[0:3], 0 offset:44
	buffer_store_dword v16, off, s[0:3], 0 offset:40
	v_add_co_u32 v13, vcc_lo, s4, v13
	v_add_co_ci_u32_e64 v14, null, s5, v14, vcc_lo
	v_add_nc_u32_e32 v17, s9, v18
	flat_load_dwordx2 v[19:20], v[13:14]
	s_waitcnt vmcnt(0) lgkmcnt(0)
	buffer_store_dword v20, off, s[0:3], 0 offset:52
	buffer_store_dword v19, off, s[0:3], 0 offset:48
	v_ashrrev_i32_e32 v18, 31, v17
	v_add_nc_u32_e32 v21, s9, v17
	v_lshlrev_b64 v[15:16], 3, v[17:18]
	v_ashrrev_i32_e32 v22, 31, v21
	v_add_nc_u32_e32 v24, s9, v21
	v_add_co_u32 v15, vcc_lo, s4, v15
	v_add_co_ci_u32_e64 v16, null, s5, v16, vcc_lo
	v_lshlrev_b64 v[17:18], 3, v[21:22]
	v_ashrrev_i32_e32 v25, 31, v24
	flat_load_dwordx2 v[19:20], v[15:16]
	;; [unrolled: 27-line block ×16, first 2 shown]
	s_waitcnt vmcnt(0) lgkmcnt(0)
	buffer_store_dword v104, off, s[0:3], 0 offset:396
	buffer_store_dword v103, off, s[0:3], 0 offset:392
	v_add_co_u32 v101, vcc_lo, s4, v101
	v_add_co_ci_u32_e64 v102, null, s5, v102, vcc_lo
	v_lshlrev_b64 v[103:104], 3, v[108:109]
	flat_load_dwordx2 v[106:107], v[101:102]
	s_waitcnt vmcnt(0) lgkmcnt(0)
	buffer_store_dword v107, off, s[0:3], 0 offset:404
	buffer_store_dword v106, off, s[0:3], 0 offset:400
	v_add_co_u32 v103, vcc_lo, s4, v103
	v_add_co_ci_u32_e64 v104, null, s5, v104, vcc_lo
	v_add_nc_u32_e32 v107, s9, v108
	flat_load_dwordx2 v[109:110], v[103:104]
	s_waitcnt vmcnt(0) lgkmcnt(0)
	buffer_store_dword v110, off, s[0:3], 0 offset:412
	buffer_store_dword v109, off, s[0:3], 0 offset:408
	v_ashrrev_i32_e32 v108, 31, v107
	v_add_nc_u32_e32 v111, s9, v107
	v_lshlrev_b64 v[105:106], 3, v[107:108]
	v_ashrrev_i32_e32 v112, 31, v111
	v_add_nc_u32_e32 v116, s9, v111
	v_add_co_u32 v105, vcc_lo, s4, v105
	v_add_co_ci_u32_e64 v106, null, s5, v106, vcc_lo
	v_lshlrev_b64 v[107:108], 3, v[111:112]
	v_ashrrev_i32_e32 v117, 31, v116
	v_add_nc_u32_e32 v111, s9, v116
	flat_load_dwordx2 v[109:110], v[105:106]
	s_waitcnt vmcnt(0) lgkmcnt(0)
	buffer_store_dword v110, off, s[0:3], 0 offset:420
	buffer_store_dword v109, off, s[0:3], 0 offset:416
	v_add_co_u32 v107, vcc_lo, s4, v107
	v_add_co_ci_u32_e64 v108, null, s5, v108, vcc_lo
	v_lshlrev_b64 v[109:110], 3, v[116:117]
	flat_load_dwordx2 v[112:113], v[107:108]
	s_waitcnt vmcnt(0) lgkmcnt(0)
	buffer_store_dword v113, off, s[0:3], 0 offset:428
	buffer_store_dword v112, off, s[0:3], 0 offset:424
	v_add_co_u32 v109, vcc_lo, s4, v109
	v_add_co_ci_u32_e64 v110, null, s5, v110, vcc_lo
	v_ashrrev_i32_e32 v112, 31, v111
	flat_load_dwordx2 v[113:114], v[109:110]
	s_waitcnt vmcnt(0) lgkmcnt(0)
	buffer_store_dword v114, off, s[0:3], 0 offset:436
	buffer_store_dword v113, off, s[0:3], 0 offset:432
	v_lshlrev_b64 v[111:112], 3, v[111:112]
	v_add_co_u32 v111, vcc_lo, s4, v111
	v_add_co_ci_u32_e64 v112, null, s5, v112, vcc_lo
	s_mov_b32 s5, -1
	flat_load_dwordx2 v[113:114], v[111:112]
	s_waitcnt vmcnt(0) lgkmcnt(0)
	buffer_store_dword v114, off, s[0:3], 0 offset:444
	buffer_store_dword v113, off, s[0:3], 0 offset:440
	s_cbranch_scc1 .LBB119_232
; %bb.4:
	v_cmp_eq_u32_e64 s4, 0, v0
	s_and_saveexec_b32 s5, s4
; %bb.5:
	v_mov_b32_e32 v113, 0
	ds_write_b32 v113, v113 offset:896
; %bb.6:
	s_or_b32 exec_lo, exec_lo, s5
	v_lshl_add_u32 v113, v0, 3, 0
	s_waitcnt lgkmcnt(0)
	s_waitcnt_vscnt null, 0x0
	s_barrier
	buffer_gl0_inv
	s_mov_b32 s8, exec_lo
	s_clause 0x1
	buffer_load_dword v116, v113, s[0:3], 0 offen
	buffer_load_dword v117, v113, s[0:3], 0 offen offset:4
	s_waitcnt vmcnt(0)
	v_cmpx_eq_f64_e32 0, v[116:117]
	s_cbranch_execz .LBB119_10
; %bb.7:
	v_mov_b32_e32 v114, 0
	s_mov_b32 s9, 0
	ds_read_b32 v116, v114 offset:896
	s_waitcnt lgkmcnt(0)
	v_readfirstlane_b32 s5, v116
	v_add_nc_u32_e32 v116, 1, v0
	s_cmp_eq_u32 s5, 0
	v_cmp_gt_i32_e32 vcc_lo, s5, v116
	s_cselect_b32 s14, -1, 0
	s_or_b32 s14, s14, vcc_lo
	s_and_b32 exec_lo, exec_lo, s14
	s_cbranch_execz .LBB119_10
; %bb.8:
	v_mov_b32_e32 v117, s5
.LBB119_9:                              ; =>This Inner Loop Header: Depth=1
	ds_cmpst_rtn_b32 v117, v114, v117, v116 offset:896
	s_waitcnt lgkmcnt(0)
	v_cmp_ne_u32_e32 vcc_lo, 0, v117
	v_cmp_le_i32_e64 s5, v117, v116
	s_and_b32 s5, vcc_lo, s5
	s_and_b32 s5, exec_lo, s5
	s_or_b32 s9, s5, s9
	s_andn2_b32 exec_lo, exec_lo, s9
	s_cbranch_execnz .LBB119_9
.LBB119_10:
	s_or_b32 exec_lo, exec_lo, s8
	v_mov_b32_e32 v114, 0
	s_barrier
	buffer_gl0_inv
	ds_read_b32 v116, v114 offset:896
	s_and_saveexec_b32 s5, s4
	s_cbranch_execz .LBB119_12
; %bb.11:
	s_lshl_b64 s[8:9], s[6:7], 2
	s_add_u32 s8, s10, s8
	s_addc_u32 s9, s11, s9
	s_waitcnt lgkmcnt(0)
	global_store_dword v114, v116, s[8:9]
.LBB119_12:
	s_or_b32 exec_lo, exec_lo, s5
	s_waitcnt lgkmcnt(0)
	v_cmp_ne_u32_e32 vcc_lo, 0, v116
	s_mov_b32 s5, 0
	s_cbranch_vccnz .LBB119_232
; %bb.13:
	s_clause 0x1
	buffer_load_dword v116, v113, s[0:3], 0 offen
	buffer_load_dword v117, v113, s[0:3], 0 offen offset:4
	s_waitcnt vmcnt(0)
	v_div_scale_f64 v[118:119], null, v[116:117], v[116:117], 1.0
	v_div_scale_f64 v[124:125], vcc_lo, 1.0, v[116:117], 1.0
	v_rcp_f64_e32 v[120:121], v[118:119]
	v_fma_f64 v[122:123], -v[118:119], v[120:121], 1.0
	v_fma_f64 v[120:121], v[120:121], v[122:123], v[120:121]
	v_fma_f64 v[122:123], -v[118:119], v[120:121], 1.0
	v_fma_f64 v[120:121], v[120:121], v[122:123], v[120:121]
	v_mul_f64 v[122:123], v[124:125], v[120:121]
	v_fma_f64 v[118:119], -v[118:119], v[122:123], v[124:125]
	v_div_fmas_f64 v[118:119], v[118:119], v[120:121], v[122:123]
	v_div_fixup_f64 v[117:118], v[118:119], v[116:117], 1.0
	v_add_nc_u32_e32 v116, 0x1c0, v115
	buffer_store_dword v118, v113, s[0:3], 0 offen offset:4
	buffer_store_dword v117, v113, s[0:3], 0 offen
	s_clause 0x1
	buffer_load_dword v120, off, s[0:3], 0 offset:12
	buffer_load_dword v119, off, s[0:3], 0 offset:8
	v_xor_b32_e32 v118, 0x80000000, v118
	s_waitcnt vmcnt(0)
	ds_write2_b64 v115, v[117:118], v[119:120] offset1:56
	s_waitcnt lgkmcnt(0)
	s_waitcnt_vscnt null, 0x0
	s_barrier
	buffer_gl0_inv
	s_and_saveexec_b32 s5, s4
	s_cbranch_execz .LBB119_15
; %bb.14:
	s_clause 0x1
	buffer_load_dword v117, v113, s[0:3], 0 offen
	buffer_load_dword v118, v113, s[0:3], 0 offen offset:4
	ds_read_b64 v[119:120], v116
	v_mov_b32_e32 v114, 0
	ds_read_b64 v[121:122], v114 offset:8
	s_waitcnt vmcnt(0) lgkmcnt(1)
	v_fma_f64 v[117:118], v[117:118], v[119:120], 0
	s_waitcnt lgkmcnt(0)
	v_mul_f64 v[117:118], v[117:118], v[121:122]
	buffer_store_dword v117, off, s[0:3], 0 offset:8
	buffer_store_dword v118, off, s[0:3], 0 offset:12
.LBB119_15:
	s_or_b32 exec_lo, exec_lo, s5
	s_waitcnt_vscnt null, 0x0
	s_barrier
	buffer_gl0_inv
	s_clause 0x1
	buffer_load_dword v117, off, s[0:3], 0 offset:16
	buffer_load_dword v118, off, s[0:3], 0 offset:20
	s_mov_b32 s5, exec_lo
	s_waitcnt vmcnt(0)
	ds_write_b64 v116, v[117:118]
	s_waitcnt lgkmcnt(0)
	s_barrier
	buffer_gl0_inv
	v_cmpx_gt_u32_e32 2, v0
	s_cbranch_execz .LBB119_19
; %bb.16:
	s_clause 0x1
	buffer_load_dword v117, v113, s[0:3], 0 offen
	buffer_load_dword v118, v113, s[0:3], 0 offen offset:4
	ds_read_b64 v[113:114], v116
	s_waitcnt vmcnt(0) lgkmcnt(0)
	v_fma_f64 v[113:114], v[117:118], v[113:114], 0
	s_and_saveexec_b32 s8, s4
	s_cbranch_execz .LBB119_18
; %bb.17:
	s_clause 0x1
	buffer_load_dword v117, off, s[0:3], 0 offset:8
	buffer_load_dword v118, off, s[0:3], 0 offset:12
	v_mov_b32_e32 v119, 0
	ds_read_b64 v[119:120], v119 offset:456
	s_waitcnt vmcnt(0) lgkmcnt(0)
	v_fma_f64 v[113:114], v[117:118], v[119:120], v[113:114]
.LBB119_18:
	s_or_b32 exec_lo, exec_lo, s8
	v_mov_b32_e32 v117, 0
	ds_read_b64 v[117:118], v117 offset:16
	s_waitcnt lgkmcnt(0)
	v_mul_f64 v[113:114], v[113:114], v[117:118]
	buffer_store_dword v114, off, s[0:3], 0 offset:20
	buffer_store_dword v113, off, s[0:3], 0 offset:16
.LBB119_19:
	s_or_b32 exec_lo, exec_lo, s5
	s_waitcnt_vscnt null, 0x0
	s_barrier
	buffer_gl0_inv
	s_clause 0x1
	buffer_load_dword v113, off, s[0:3], 0 offset:24
	buffer_load_dword v114, off, s[0:3], 0 offset:28
	v_add_nc_u32_e32 v117, -1, v0
	s_mov_b32 s4, exec_lo
	s_waitcnt vmcnt(0)
	ds_write_b64 v116, v[113:114]
	s_waitcnt lgkmcnt(0)
	s_barrier
	buffer_gl0_inv
	v_cmpx_gt_u32_e32 3, v0
	s_cbranch_execz .LBB119_23
; %bb.20:
	v_mov_b32_e32 v113, 0
	v_add_nc_u32_e32 v118, -1, v0
	v_add_nc_u32_e32 v119, 0x1c0, v115
	v_mov_b32_e32 v114, 0
	v_mov_b32_e32 v120, v115
	s_mov_b32 s5, 0
.LBB119_21:                             ; =>This Inner Loop Header: Depth=1
	s_clause 0x1
	buffer_load_dword v121, v120, s[0:3], 0 offen
	buffer_load_dword v122, v120, s[0:3], 0 offen offset:4
	ds_read_b64 v[123:124], v119
	v_add_nc_u32_e32 v118, 1, v118
	v_add_nc_u32_e32 v119, 8, v119
	v_add_nc_u32_e32 v120, 8, v120
	v_cmp_lt_u32_e32 vcc_lo, 1, v118
	s_or_b32 s5, vcc_lo, s5
	s_waitcnt vmcnt(0) lgkmcnt(0)
	v_fma_f64 v[113:114], v[121:122], v[123:124], v[113:114]
	s_andn2_b32 exec_lo, exec_lo, s5
	s_cbranch_execnz .LBB119_21
; %bb.22:
	s_or_b32 exec_lo, exec_lo, s5
	v_mov_b32_e32 v118, 0
	ds_read_b64 v[118:119], v118 offset:24
	s_waitcnt lgkmcnt(0)
	v_mul_f64 v[113:114], v[113:114], v[118:119]
	buffer_store_dword v114, off, s[0:3], 0 offset:28
	buffer_store_dword v113, off, s[0:3], 0 offset:24
.LBB119_23:
	s_or_b32 exec_lo, exec_lo, s4
	s_waitcnt_vscnt null, 0x0
	s_barrier
	buffer_gl0_inv
	s_clause 0x1
	buffer_load_dword v113, off, s[0:3], 0 offset:32
	buffer_load_dword v114, off, s[0:3], 0 offset:36
	s_mov_b32 s4, exec_lo
	s_waitcnt vmcnt(0)
	ds_write_b64 v116, v[113:114]
	s_waitcnt lgkmcnt(0)
	s_barrier
	buffer_gl0_inv
	v_cmpx_gt_u32_e32 4, v0
	s_cbranch_execz .LBB119_27
; %bb.24:
	v_mov_b32_e32 v113, 0
	v_add_nc_u32_e32 v118, -1, v0
	v_add_nc_u32_e32 v119, 0x1c0, v115
	v_mov_b32_e32 v114, 0
	v_mov_b32_e32 v120, v115
	s_mov_b32 s5, 0
.LBB119_25:                             ; =>This Inner Loop Header: Depth=1
	s_clause 0x1
	buffer_load_dword v121, v120, s[0:3], 0 offen
	buffer_load_dword v122, v120, s[0:3], 0 offen offset:4
	ds_read_b64 v[123:124], v119
	v_add_nc_u32_e32 v118, 1, v118
	v_add_nc_u32_e32 v119, 8, v119
	v_add_nc_u32_e32 v120, 8, v120
	v_cmp_lt_u32_e32 vcc_lo, 2, v118
	s_or_b32 s5, vcc_lo, s5
	s_waitcnt vmcnt(0) lgkmcnt(0)
	v_fma_f64 v[113:114], v[121:122], v[123:124], v[113:114]
	s_andn2_b32 exec_lo, exec_lo, s5
	s_cbranch_execnz .LBB119_25
; %bb.26:
	s_or_b32 exec_lo, exec_lo, s5
	v_mov_b32_e32 v118, 0
	ds_read_b64 v[118:119], v118 offset:32
	s_waitcnt lgkmcnt(0)
	v_mul_f64 v[113:114], v[113:114], v[118:119]
	buffer_store_dword v114, off, s[0:3], 0 offset:36
	buffer_store_dword v113, off, s[0:3], 0 offset:32
.LBB119_27:
	s_or_b32 exec_lo, exec_lo, s4
	s_waitcnt_vscnt null, 0x0
	s_barrier
	buffer_gl0_inv
	s_clause 0x1
	buffer_load_dword v113, off, s[0:3], 0 offset:40
	buffer_load_dword v114, off, s[0:3], 0 offset:44
	;; [unrolled: 45-line block ×20, first 2 shown]
	s_mov_b32 s4, exec_lo
	s_waitcnt vmcnt(0)
	ds_write_b64 v116, v[113:114]
	s_waitcnt lgkmcnt(0)
	s_barrier
	buffer_gl0_inv
	v_cmpx_gt_u32_e32 23, v0
	s_cbranch_execz .LBB119_103
; %bb.100:
	v_mov_b32_e32 v113, 0
	v_add_nc_u32_e32 v118, -1, v0
	v_add_nc_u32_e32 v119, 0x1c0, v115
	v_mov_b32_e32 v114, 0
	v_mov_b32_e32 v120, v115
	s_mov_b32 s5, 0
.LBB119_101:                            ; =>This Inner Loop Header: Depth=1
	s_clause 0x1
	buffer_load_dword v121, v120, s[0:3], 0 offen
	buffer_load_dword v122, v120, s[0:3], 0 offen offset:4
	ds_read_b64 v[123:124], v119
	v_add_nc_u32_e32 v118, 1, v118
	v_add_nc_u32_e32 v119, 8, v119
	v_add_nc_u32_e32 v120, 8, v120
	v_cmp_lt_u32_e32 vcc_lo, 21, v118
	s_or_b32 s5, vcc_lo, s5
	s_waitcnt vmcnt(0) lgkmcnt(0)
	v_fma_f64 v[113:114], v[121:122], v[123:124], v[113:114]
	s_andn2_b32 exec_lo, exec_lo, s5
	s_cbranch_execnz .LBB119_101
; %bb.102:
	s_or_b32 exec_lo, exec_lo, s5
	v_mov_b32_e32 v118, 0
	ds_read_b64 v[118:119], v118 offset:184
	s_waitcnt lgkmcnt(0)
	v_mul_f64 v[113:114], v[113:114], v[118:119]
	buffer_store_dword v114, off, s[0:3], 0 offset:188
	buffer_store_dword v113, off, s[0:3], 0 offset:184
.LBB119_103:
	s_or_b32 exec_lo, exec_lo, s4
	s_waitcnt_vscnt null, 0x0
	s_barrier
	buffer_gl0_inv
	s_clause 0x1
	buffer_load_dword v113, off, s[0:3], 0 offset:192
	buffer_load_dword v114, off, s[0:3], 0 offset:196
	s_mov_b32 s4, exec_lo
	s_waitcnt vmcnt(0)
	ds_write_b64 v116, v[113:114]
	s_waitcnt lgkmcnt(0)
	s_barrier
	buffer_gl0_inv
	v_cmpx_gt_u32_e32 24, v0
	s_cbranch_execz .LBB119_107
; %bb.104:
	v_mov_b32_e32 v113, 0
	v_add_nc_u32_e32 v118, -1, v0
	v_add_nc_u32_e32 v119, 0x1c0, v115
	v_mov_b32_e32 v114, 0
	v_mov_b32_e32 v120, v115
	s_mov_b32 s5, 0
.LBB119_105:                            ; =>This Inner Loop Header: Depth=1
	s_clause 0x1
	buffer_load_dword v121, v120, s[0:3], 0 offen
	buffer_load_dword v122, v120, s[0:3], 0 offen offset:4
	ds_read_b64 v[123:124], v119
	v_add_nc_u32_e32 v118, 1, v118
	v_add_nc_u32_e32 v119, 8, v119
	v_add_nc_u32_e32 v120, 8, v120
	v_cmp_lt_u32_e32 vcc_lo, 22, v118
	s_or_b32 s5, vcc_lo, s5
	s_waitcnt vmcnt(0) lgkmcnt(0)
	v_fma_f64 v[113:114], v[121:122], v[123:124], v[113:114]
	s_andn2_b32 exec_lo, exec_lo, s5
	s_cbranch_execnz .LBB119_105
; %bb.106:
	s_or_b32 exec_lo, exec_lo, s5
	v_mov_b32_e32 v118, 0
	ds_read_b64 v[118:119], v118 offset:192
	s_waitcnt lgkmcnt(0)
	v_mul_f64 v[113:114], v[113:114], v[118:119]
	buffer_store_dword v114, off, s[0:3], 0 offset:196
	buffer_store_dword v113, off, s[0:3], 0 offset:192
.LBB119_107:
	s_or_b32 exec_lo, exec_lo, s4
	s_waitcnt_vscnt null, 0x0
	s_barrier
	buffer_gl0_inv
	s_clause 0x1
	buffer_load_dword v113, off, s[0:3], 0 offset:200
	buffer_load_dword v114, off, s[0:3], 0 offset:204
	;; [unrolled: 45-line block ×32, first 2 shown]
	s_mov_b32 s4, exec_lo
	s_waitcnt vmcnt(0)
	ds_write_b64 v116, v[113:114]
	s_waitcnt lgkmcnt(0)
	s_barrier
	buffer_gl0_inv
	v_cmpx_ne_u32_e32 55, v0
	s_cbranch_execz .LBB119_231
; %bb.228:
	v_mov_b32_e32 v113, 0
	v_mov_b32_e32 v114, 0
	s_mov_b32 s5, 0
.LBB119_229:                            ; =>This Inner Loop Header: Depth=1
	s_clause 0x1
	buffer_load_dword v118, v115, s[0:3], 0 offen
	buffer_load_dword v119, v115, s[0:3], 0 offen offset:4
	ds_read_b64 v[120:121], v116
	v_add_nc_u32_e32 v117, 1, v117
	v_add_nc_u32_e32 v116, 8, v116
	;; [unrolled: 1-line block ×3, first 2 shown]
	v_cmp_lt_u32_e32 vcc_lo, 53, v117
	s_or_b32 s5, vcc_lo, s5
	s_waitcnt vmcnt(0) lgkmcnt(0)
	v_fma_f64 v[113:114], v[118:119], v[120:121], v[113:114]
	s_andn2_b32 exec_lo, exec_lo, s5
	s_cbranch_execnz .LBB119_229
; %bb.230:
	s_or_b32 exec_lo, exec_lo, s5
	v_mov_b32_e32 v115, 0
	ds_read_b64 v[115:116], v115 offset:440
	s_waitcnt lgkmcnt(0)
	v_mul_f64 v[113:114], v[113:114], v[115:116]
	buffer_store_dword v114, off, s[0:3], 0 offset:444
	buffer_store_dword v113, off, s[0:3], 0 offset:440
.LBB119_231:
	s_or_b32 exec_lo, exec_lo, s4
	s_mov_b32 s5, -1
	s_waitcnt_vscnt null, 0x0
	s_barrier
	buffer_gl0_inv
.LBB119_232:
	s_and_b32 vcc_lo, exec_lo, s5
	s_cbranch_vccz .LBB119_234
; %bb.233:
	s_lshl_b64 s[4:5], s[6:7], 2
	v_mov_b32_e32 v113, 0
	s_add_u32 s4, s10, s4
	s_addc_u32 s5, s11, s5
	global_load_dword v113, v113, s[4:5]
	s_waitcnt vmcnt(0)
	v_cmp_ne_u32_e32 vcc_lo, 0, v113
	s_cbranch_vccz .LBB119_235
.LBB119_234:
	s_endpgm
.LBB119_235:
	v_lshl_add_u32 v113, v0, 3, 0x1c0
	s_mov_b32 s4, exec_lo
	v_cmpx_eq_u32_e32 55, v0
	s_cbranch_execz .LBB119_237
; %bb.236:
	s_clause 0x1
	buffer_load_dword v114, off, s[0:3], 0 offset:432
	buffer_load_dword v115, off, s[0:3], 0 offset:436
	v_mov_b32_e32 v116, 0
	buffer_store_dword v116, off, s[0:3], 0 offset:432
	buffer_store_dword v116, off, s[0:3], 0 offset:436
	s_waitcnt vmcnt(0)
	ds_write_b64 v113, v[114:115]
.LBB119_237:
	s_or_b32 exec_lo, exec_lo, s4
	s_waitcnt lgkmcnt(0)
	s_waitcnt_vscnt null, 0x0
	s_barrier
	buffer_gl0_inv
	s_clause 0x3
	buffer_load_dword v115, off, s[0:3], 0 offset:440
	buffer_load_dword v116, off, s[0:3], 0 offset:444
	;; [unrolled: 1-line block ×4, first 2 shown]
	v_mov_b32_e32 v114, 0
	s_mov_b32 s4, exec_lo
	ds_read_b64 v[119:120], v114 offset:888
	s_waitcnt vmcnt(2) lgkmcnt(0)
	v_fma_f64 v[115:116], v[115:116], v[119:120], 0
	s_waitcnt vmcnt(0)
	v_add_f64 v[115:116], v[117:118], -v[115:116]
	buffer_store_dword v115, off, s[0:3], 0 offset:432
	buffer_store_dword v116, off, s[0:3], 0 offset:436
	v_cmpx_lt_u32_e32 53, v0
	s_cbranch_execz .LBB119_239
; %bb.238:
	s_clause 0x1
	buffer_load_dword v115, off, s[0:3], 0 offset:424
	buffer_load_dword v116, off, s[0:3], 0 offset:428
	buffer_store_dword v114, off, s[0:3], 0 offset:424
	buffer_store_dword v114, off, s[0:3], 0 offset:428
	s_waitcnt vmcnt(0)
	ds_write_b64 v113, v[115:116]
.LBB119_239:
	s_or_b32 exec_lo, exec_lo, s4
	s_waitcnt lgkmcnt(0)
	s_waitcnt_vscnt null, 0x0
	s_barrier
	buffer_gl0_inv
	s_clause 0x5
	buffer_load_dword v118, off, s[0:3], 0 offset:432
	buffer_load_dword v119, off, s[0:3], 0 offset:436
	buffer_load_dword v120, off, s[0:3], 0 offset:440
	buffer_load_dword v121, off, s[0:3], 0 offset:444
	buffer_load_dword v122, off, s[0:3], 0 offset:424
	buffer_load_dword v123, off, s[0:3], 0 offset:428
	ds_read_b128 v[114:117], v114 offset:880
	s_mov_b32 s4, exec_lo
	s_waitcnt vmcnt(4) lgkmcnt(0)
	v_fma_f64 v[114:115], v[118:119], v[114:115], 0
	s_waitcnt vmcnt(2)
	v_fma_f64 v[114:115], v[120:121], v[116:117], v[114:115]
	s_waitcnt vmcnt(0)
	v_add_f64 v[114:115], v[122:123], -v[114:115]
	buffer_store_dword v114, off, s[0:3], 0 offset:424
	buffer_store_dword v115, off, s[0:3], 0 offset:428
	v_cmpx_lt_u32_e32 52, v0
	s_cbranch_execz .LBB119_241
; %bb.240:
	s_clause 0x1
	buffer_load_dword v114, off, s[0:3], 0 offset:416
	buffer_load_dword v115, off, s[0:3], 0 offset:420
	v_mov_b32_e32 v116, 0
	buffer_store_dword v116, off, s[0:3], 0 offset:416
	buffer_store_dword v116, off, s[0:3], 0 offset:420
	s_waitcnt vmcnt(0)
	ds_write_b64 v113, v[114:115]
.LBB119_241:
	s_or_b32 exec_lo, exec_lo, s4
	s_waitcnt lgkmcnt(0)
	s_waitcnt_vscnt null, 0x0
	s_barrier
	buffer_gl0_inv
	s_clause 0x7
	buffer_load_dword v119, off, s[0:3], 0 offset:424
	buffer_load_dword v120, off, s[0:3], 0 offset:428
	;; [unrolled: 1-line block ×8, first 2 shown]
	v_mov_b32_e32 v114, 0
	ds_read2_b64 v[115:118], v114 offset0:109 offset1:110
	ds_read_b64 v[127:128], v114 offset:888
	s_mov_b32 s4, exec_lo
	s_waitcnt vmcnt(6) lgkmcnt(1)
	v_fma_f64 v[115:116], v[119:120], v[115:116], 0
	s_waitcnt vmcnt(4)
	v_fma_f64 v[115:116], v[121:122], v[117:118], v[115:116]
	s_waitcnt vmcnt(2) lgkmcnt(0)
	v_fma_f64 v[115:116], v[123:124], v[127:128], v[115:116]
	s_waitcnt vmcnt(0)
	v_add_f64 v[115:116], v[125:126], -v[115:116]
	buffer_store_dword v115, off, s[0:3], 0 offset:416
	buffer_store_dword v116, off, s[0:3], 0 offset:420
	v_cmpx_lt_u32_e32 51, v0
	s_cbranch_execz .LBB119_243
; %bb.242:
	s_clause 0x1
	buffer_load_dword v115, off, s[0:3], 0 offset:408
	buffer_load_dword v116, off, s[0:3], 0 offset:412
	buffer_store_dword v114, off, s[0:3], 0 offset:408
	buffer_store_dword v114, off, s[0:3], 0 offset:412
	s_waitcnt vmcnt(0)
	ds_write_b64 v113, v[115:116]
.LBB119_243:
	s_or_b32 exec_lo, exec_lo, s4
	s_waitcnt lgkmcnt(0)
	s_waitcnt_vscnt null, 0x0
	s_barrier
	buffer_gl0_inv
	s_clause 0x9
	buffer_load_dword v123, off, s[0:3], 0 offset:416
	buffer_load_dword v124, off, s[0:3], 0 offset:420
	;; [unrolled: 1-line block ×10, first 2 shown]
	ds_read_b128 v[115:118], v114 offset:864
	ds_read_b128 v[119:122], v114 offset:880
	s_mov_b32 s4, exec_lo
	s_waitcnt vmcnt(8) lgkmcnt(1)
	v_fma_f64 v[114:115], v[123:124], v[115:116], 0
	s_waitcnt vmcnt(6)
	v_fma_f64 v[114:115], v[125:126], v[117:118], v[114:115]
	s_waitcnt vmcnt(4) lgkmcnt(0)
	v_fma_f64 v[114:115], v[127:128], v[119:120], v[114:115]
	s_waitcnt vmcnt(2)
	v_fma_f64 v[114:115], v[129:130], v[121:122], v[114:115]
	s_waitcnt vmcnt(0)
	v_add_f64 v[114:115], v[131:132], -v[114:115]
	buffer_store_dword v114, off, s[0:3], 0 offset:408
	buffer_store_dword v115, off, s[0:3], 0 offset:412
	v_cmpx_lt_u32_e32 50, v0
	s_cbranch_execz .LBB119_245
; %bb.244:
	s_clause 0x1
	buffer_load_dword v114, off, s[0:3], 0 offset:400
	buffer_load_dword v115, off, s[0:3], 0 offset:404
	v_mov_b32_e32 v116, 0
	buffer_store_dword v116, off, s[0:3], 0 offset:400
	buffer_store_dword v116, off, s[0:3], 0 offset:404
	s_waitcnt vmcnt(0)
	ds_write_b64 v113, v[114:115]
.LBB119_245:
	s_or_b32 exec_lo, exec_lo, s4
	s_waitcnt lgkmcnt(0)
	s_waitcnt_vscnt null, 0x0
	s_barrier
	buffer_gl0_inv
	s_clause 0xb
	buffer_load_dword v123, off, s[0:3], 0 offset:408
	buffer_load_dword v124, off, s[0:3], 0 offset:412
	buffer_load_dword v125, off, s[0:3], 0 offset:416
	buffer_load_dword v126, off, s[0:3], 0 offset:420
	buffer_load_dword v127, off, s[0:3], 0 offset:424
	buffer_load_dword v128, off, s[0:3], 0 offset:428
	buffer_load_dword v129, off, s[0:3], 0 offset:432
	buffer_load_dword v130, off, s[0:3], 0 offset:436
	buffer_load_dword v131, off, s[0:3], 0 offset:440
	buffer_load_dword v132, off, s[0:3], 0 offset:444
	buffer_load_dword v133, off, s[0:3], 0 offset:400
	buffer_load_dword v134, off, s[0:3], 0 offset:404
	v_mov_b32_e32 v114, 0
	ds_read2_b64 v[115:118], v114 offset0:107 offset1:108
	ds_read2_b64 v[119:122], v114 offset0:109 offset1:110
	s_mov_b32 s4, exec_lo
	s_waitcnt vmcnt(10) lgkmcnt(1)
	v_fma_f64 v[115:116], v[123:124], v[115:116], 0
	s_waitcnt vmcnt(8)
	v_fma_f64 v[115:116], v[125:126], v[117:118], v[115:116]
	ds_read_b64 v[117:118], v114 offset:888
	s_waitcnt vmcnt(6) lgkmcnt(1)
	v_fma_f64 v[115:116], v[127:128], v[119:120], v[115:116]
	s_waitcnt vmcnt(4)
	v_fma_f64 v[115:116], v[129:130], v[121:122], v[115:116]
	s_waitcnt vmcnt(2) lgkmcnt(0)
	v_fma_f64 v[115:116], v[131:132], v[117:118], v[115:116]
	s_waitcnt vmcnt(0)
	v_add_f64 v[115:116], v[133:134], -v[115:116]
	buffer_store_dword v115, off, s[0:3], 0 offset:400
	buffer_store_dword v116, off, s[0:3], 0 offset:404
	v_cmpx_lt_u32_e32 49, v0
	s_cbranch_execz .LBB119_247
; %bb.246:
	s_clause 0x1
	buffer_load_dword v115, off, s[0:3], 0 offset:392
	buffer_load_dword v116, off, s[0:3], 0 offset:396
	buffer_store_dword v114, off, s[0:3], 0 offset:392
	buffer_store_dword v114, off, s[0:3], 0 offset:396
	s_waitcnt vmcnt(0)
	ds_write_b64 v113, v[115:116]
.LBB119_247:
	s_or_b32 exec_lo, exec_lo, s4
	s_waitcnt lgkmcnt(0)
	s_waitcnt_vscnt null, 0x0
	s_barrier
	buffer_gl0_inv
	s_clause 0xd
	buffer_load_dword v123, off, s[0:3], 0 offset:400
	buffer_load_dword v124, off, s[0:3], 0 offset:404
	;; [unrolled: 1-line block ×14, first 2 shown]
	ds_read_b128 v[115:118], v114 offset:848
	ds_read_b128 v[119:122], v114 offset:864
	s_mov_b32 s4, exec_lo
	s_waitcnt vmcnt(12) lgkmcnt(1)
	v_fma_f64 v[115:116], v[123:124], v[115:116], 0
	s_waitcnt vmcnt(10)
	v_fma_f64 v[115:116], v[125:126], v[117:118], v[115:116]
	s_waitcnt vmcnt(8) lgkmcnt(0)
	v_fma_f64 v[115:116], v[127:128], v[119:120], v[115:116]
	s_waitcnt vmcnt(6)
	v_fma_f64 v[118:119], v[129:130], v[121:122], v[115:116]
	ds_read_b128 v[114:117], v114 offset:880
	s_waitcnt vmcnt(4) lgkmcnt(0)
	v_fma_f64 v[114:115], v[131:132], v[114:115], v[118:119]
	s_waitcnt vmcnt(2)
	v_fma_f64 v[114:115], v[133:134], v[116:117], v[114:115]
	s_waitcnt vmcnt(0)
	v_add_f64 v[114:115], v[135:136], -v[114:115]
	buffer_store_dword v114, off, s[0:3], 0 offset:392
	buffer_store_dword v115, off, s[0:3], 0 offset:396
	v_cmpx_lt_u32_e32 48, v0
	s_cbranch_execz .LBB119_249
; %bb.248:
	s_clause 0x1
	buffer_load_dword v114, off, s[0:3], 0 offset:384
	buffer_load_dword v115, off, s[0:3], 0 offset:388
	v_mov_b32_e32 v116, 0
	buffer_store_dword v116, off, s[0:3], 0 offset:384
	buffer_store_dword v116, off, s[0:3], 0 offset:388
	s_waitcnt vmcnt(0)
	ds_write_b64 v113, v[114:115]
.LBB119_249:
	s_or_b32 exec_lo, exec_lo, s4
	s_waitcnt lgkmcnt(0)
	s_waitcnt_vscnt null, 0x0
	s_barrier
	buffer_gl0_inv
	s_clause 0xf
	buffer_load_dword v123, off, s[0:3], 0 offset:392
	buffer_load_dword v124, off, s[0:3], 0 offset:396
	;; [unrolled: 1-line block ×16, first 2 shown]
	v_mov_b32_e32 v114, 0
	ds_read2_b64 v[115:118], v114 offset0:105 offset1:106
	ds_read2_b64 v[119:122], v114 offset0:107 offset1:108
	s_mov_b32 s4, exec_lo
	s_waitcnt vmcnt(14) lgkmcnt(1)
	v_fma_f64 v[115:116], v[123:124], v[115:116], 0
	s_waitcnt vmcnt(12)
	v_fma_f64 v[115:116], v[125:126], v[117:118], v[115:116]
	s_waitcnt vmcnt(10) lgkmcnt(0)
	v_fma_f64 v[115:116], v[127:128], v[119:120], v[115:116]
	s_waitcnt vmcnt(8)
	v_fma_f64 v[119:120], v[129:130], v[121:122], v[115:116]
	ds_read2_b64 v[115:118], v114 offset0:109 offset1:110
	ds_read_b64 v[121:122], v114 offset:888
	s_waitcnt vmcnt(6) lgkmcnt(1)
	v_fma_f64 v[115:116], v[131:132], v[115:116], v[119:120]
	s_waitcnt vmcnt(4)
	v_fma_f64 v[115:116], v[133:134], v[117:118], v[115:116]
	s_waitcnt vmcnt(2) lgkmcnt(0)
	v_fma_f64 v[115:116], v[135:136], v[121:122], v[115:116]
	s_waitcnt vmcnt(0)
	v_add_f64 v[115:116], v[137:138], -v[115:116]
	buffer_store_dword v115, off, s[0:3], 0 offset:384
	buffer_store_dword v116, off, s[0:3], 0 offset:388
	v_cmpx_lt_u32_e32 47, v0
	s_cbranch_execz .LBB119_251
; %bb.250:
	s_clause 0x1
	buffer_load_dword v115, off, s[0:3], 0 offset:376
	buffer_load_dword v116, off, s[0:3], 0 offset:380
	buffer_store_dword v114, off, s[0:3], 0 offset:376
	buffer_store_dword v114, off, s[0:3], 0 offset:380
	s_waitcnt vmcnt(0)
	ds_write_b64 v113, v[115:116]
.LBB119_251:
	s_or_b32 exec_lo, exec_lo, s4
	s_waitcnt lgkmcnt(0)
	s_waitcnt_vscnt null, 0x0
	s_barrier
	buffer_gl0_inv
	s_clause 0x11
	buffer_load_dword v123, off, s[0:3], 0 offset:384
	buffer_load_dword v124, off, s[0:3], 0 offset:388
	;; [unrolled: 1-line block ×18, first 2 shown]
	ds_read_b128 v[115:118], v114 offset:832
	ds_read_b128 v[119:122], v114 offset:848
	s_mov_b32 s4, exec_lo
	s_waitcnt vmcnt(16) lgkmcnt(1)
	v_fma_f64 v[115:116], v[123:124], v[115:116], 0
	s_waitcnt vmcnt(14)
	v_fma_f64 v[115:116], v[125:126], v[117:118], v[115:116]
	s_waitcnt vmcnt(12) lgkmcnt(0)
	v_fma_f64 v[115:116], v[127:128], v[119:120], v[115:116]
	s_waitcnt vmcnt(10)
	v_fma_f64 v[123:124], v[129:130], v[121:122], v[115:116]
	ds_read_b128 v[115:118], v114 offset:864
	ds_read_b128 v[119:122], v114 offset:880
	s_waitcnt vmcnt(8) lgkmcnt(1)
	v_fma_f64 v[114:115], v[131:132], v[115:116], v[123:124]
	s_waitcnt vmcnt(6)
	v_fma_f64 v[114:115], v[133:134], v[117:118], v[114:115]
	s_waitcnt vmcnt(4) lgkmcnt(0)
	v_fma_f64 v[114:115], v[135:136], v[119:120], v[114:115]
	s_waitcnt vmcnt(2)
	v_fma_f64 v[114:115], v[137:138], v[121:122], v[114:115]
	s_waitcnt vmcnt(0)
	v_add_f64 v[114:115], v[139:140], -v[114:115]
	buffer_store_dword v114, off, s[0:3], 0 offset:376
	buffer_store_dword v115, off, s[0:3], 0 offset:380
	v_cmpx_lt_u32_e32 46, v0
	s_cbranch_execz .LBB119_253
; %bb.252:
	s_clause 0x1
	buffer_load_dword v114, off, s[0:3], 0 offset:368
	buffer_load_dword v115, off, s[0:3], 0 offset:372
	v_mov_b32_e32 v116, 0
	buffer_store_dword v116, off, s[0:3], 0 offset:368
	buffer_store_dword v116, off, s[0:3], 0 offset:372
	s_waitcnt vmcnt(0)
	ds_write_b64 v113, v[114:115]
.LBB119_253:
	s_or_b32 exec_lo, exec_lo, s4
	s_waitcnt lgkmcnt(0)
	s_waitcnt_vscnt null, 0x0
	s_barrier
	buffer_gl0_inv
	s_clause 0x13
	buffer_load_dword v119, off, s[0:3], 0 offset:376
	buffer_load_dword v120, off, s[0:3], 0 offset:380
	buffer_load_dword v121, off, s[0:3], 0 offset:384
	buffer_load_dword v122, off, s[0:3], 0 offset:388
	buffer_load_dword v123, off, s[0:3], 0 offset:392
	buffer_load_dword v124, off, s[0:3], 0 offset:396
	buffer_load_dword v125, off, s[0:3], 0 offset:400
	buffer_load_dword v126, off, s[0:3], 0 offset:404
	buffer_load_dword v127, off, s[0:3], 0 offset:408
	buffer_load_dword v128, off, s[0:3], 0 offset:412
	buffer_load_dword v129, off, s[0:3], 0 offset:416
	buffer_load_dword v130, off, s[0:3], 0 offset:420
	buffer_load_dword v131, off, s[0:3], 0 offset:424
	buffer_load_dword v132, off, s[0:3], 0 offset:428
	buffer_load_dword v134, off, s[0:3], 0 offset:436
	buffer_load_dword v133, off, s[0:3], 0 offset:432
	buffer_load_dword v135, off, s[0:3], 0 offset:440
	buffer_load_dword v136, off, s[0:3], 0 offset:444
	buffer_load_dword v137, off, s[0:3], 0 offset:368
	buffer_load_dword v138, off, s[0:3], 0 offset:372
	v_mov_b32_e32 v114, 0
	s_mov_b32 s4, exec_lo
	ds_read2_b64 v[115:118], v114 offset0:103 offset1:104
	s_waitcnt vmcnt(18) lgkmcnt(0)
	v_fma_f64 v[115:116], v[119:120], v[115:116], 0
	s_waitcnt vmcnt(16)
	v_fma_f64 v[119:120], v[121:122], v[117:118], v[115:116]
	ds_read2_b64 v[115:118], v114 offset0:105 offset1:106
	s_waitcnt vmcnt(14) lgkmcnt(0)
	v_fma_f64 v[115:116], v[123:124], v[115:116], v[119:120]
	s_waitcnt vmcnt(12)
	v_fma_f64 v[119:120], v[125:126], v[117:118], v[115:116]
	ds_read2_b64 v[115:118], v114 offset0:107 offset1:108
	s_waitcnt vmcnt(10) lgkmcnt(0)
	v_fma_f64 v[115:116], v[127:128], v[115:116], v[119:120]
	s_waitcnt vmcnt(8)
	v_fma_f64 v[119:120], v[129:130], v[117:118], v[115:116]
	ds_read2_b64 v[115:118], v114 offset0:109 offset1:110
	s_waitcnt vmcnt(6) lgkmcnt(0)
	v_fma_f64 v[115:116], v[131:132], v[115:116], v[119:120]
	s_waitcnt vmcnt(4)
	v_fma_f64 v[115:116], v[133:134], v[117:118], v[115:116]
	ds_read_b64 v[117:118], v114 offset:888
	s_waitcnt vmcnt(2) lgkmcnt(0)
	v_fma_f64 v[115:116], v[135:136], v[117:118], v[115:116]
	s_waitcnt vmcnt(0)
	v_add_f64 v[115:116], v[137:138], -v[115:116]
	buffer_store_dword v115, off, s[0:3], 0 offset:368
	buffer_store_dword v116, off, s[0:3], 0 offset:372
	v_cmpx_lt_u32_e32 45, v0
	s_cbranch_execz .LBB119_255
; %bb.254:
	s_clause 0x1
	buffer_load_dword v115, off, s[0:3], 0 offset:360
	buffer_load_dword v116, off, s[0:3], 0 offset:364
	buffer_store_dword v114, off, s[0:3], 0 offset:360
	buffer_store_dword v114, off, s[0:3], 0 offset:364
	s_waitcnt vmcnt(0)
	ds_write_b64 v113, v[115:116]
.LBB119_255:
	s_or_b32 exec_lo, exec_lo, s4
	s_waitcnt lgkmcnt(0)
	s_waitcnt_vscnt null, 0x0
	s_barrier
	buffer_gl0_inv
	s_clause 0x15
	buffer_load_dword v119, off, s[0:3], 0 offset:368
	buffer_load_dword v120, off, s[0:3], 0 offset:372
	;; [unrolled: 1-line block ×22, first 2 shown]
	ds_read_b128 v[115:118], v114 offset:816
	s_mov_b32 s4, exec_lo
	s_waitcnt vmcnt(20) lgkmcnt(0)
	v_fma_f64 v[115:116], v[119:120], v[115:116], 0
	s_waitcnt vmcnt(18)
	v_fma_f64 v[119:120], v[121:122], v[117:118], v[115:116]
	ds_read_b128 v[115:118], v114 offset:832
	s_waitcnt vmcnt(16) lgkmcnt(0)
	v_fma_f64 v[115:116], v[123:124], v[115:116], v[119:120]
	s_waitcnt vmcnt(14)
	v_fma_f64 v[119:120], v[125:126], v[117:118], v[115:116]
	ds_read_b128 v[115:118], v114 offset:848
	s_waitcnt vmcnt(12) lgkmcnt(0)
	v_fma_f64 v[115:116], v[127:128], v[115:116], v[119:120]
	s_waitcnt vmcnt(10)
	v_fma_f64 v[119:120], v[129:130], v[117:118], v[115:116]
	ds_read_b128 v[115:118], v114 offset:864
	s_waitcnt vmcnt(8) lgkmcnt(0)
	v_fma_f64 v[115:116], v[131:132], v[115:116], v[119:120]
	s_waitcnt vmcnt(6)
	v_fma_f64 v[118:119], v[133:134], v[117:118], v[115:116]
	ds_read_b128 v[114:117], v114 offset:880
	s_waitcnt vmcnt(4) lgkmcnt(0)
	v_fma_f64 v[114:115], v[135:136], v[114:115], v[118:119]
	s_waitcnt vmcnt(2)
	v_fma_f64 v[114:115], v[137:138], v[116:117], v[114:115]
	s_waitcnt vmcnt(0)
	v_add_f64 v[114:115], v[139:140], -v[114:115]
	buffer_store_dword v114, off, s[0:3], 0 offset:360
	buffer_store_dword v115, off, s[0:3], 0 offset:364
	v_cmpx_lt_u32_e32 44, v0
	s_cbranch_execz .LBB119_257
; %bb.256:
	s_clause 0x1
	buffer_load_dword v114, off, s[0:3], 0 offset:352
	buffer_load_dword v115, off, s[0:3], 0 offset:356
	v_mov_b32_e32 v116, 0
	buffer_store_dword v116, off, s[0:3], 0 offset:352
	buffer_store_dword v116, off, s[0:3], 0 offset:356
	s_waitcnt vmcnt(0)
	ds_write_b64 v113, v[114:115]
.LBB119_257:
	s_or_b32 exec_lo, exec_lo, s4
	s_waitcnt lgkmcnt(0)
	s_waitcnt_vscnt null, 0x0
	s_barrier
	buffer_gl0_inv
	s_clause 0x17
	buffer_load_dword v119, off, s[0:3], 0 offset:360
	buffer_load_dword v120, off, s[0:3], 0 offset:364
	;; [unrolled: 1-line block ×24, first 2 shown]
	v_mov_b32_e32 v114, 0
	s_mov_b32 s4, exec_lo
	ds_read2_b64 v[115:118], v114 offset0:101 offset1:102
	s_waitcnt vmcnt(22) lgkmcnt(0)
	v_fma_f64 v[115:116], v[119:120], v[115:116], 0
	s_waitcnt vmcnt(20)
	v_fma_f64 v[119:120], v[121:122], v[117:118], v[115:116]
	ds_read2_b64 v[115:118], v114 offset0:103 offset1:104
	s_waitcnt vmcnt(18) lgkmcnt(0)
	v_fma_f64 v[115:116], v[123:124], v[115:116], v[119:120]
	s_waitcnt vmcnt(16)
	v_fma_f64 v[119:120], v[125:126], v[117:118], v[115:116]
	;; [unrolled: 5-line block ×5, first 2 shown]
	ds_read_b64 v[117:118], v114 offset:888
	s_waitcnt vmcnt(2) lgkmcnt(0)
	v_fma_f64 v[115:116], v[139:140], v[117:118], v[115:116]
	s_waitcnt vmcnt(0)
	v_add_f64 v[115:116], v[141:142], -v[115:116]
	buffer_store_dword v116, off, s[0:3], 0 offset:356
	buffer_store_dword v115, off, s[0:3], 0 offset:352
	v_cmpx_lt_u32_e32 43, v0
	s_cbranch_execz .LBB119_259
; %bb.258:
	s_clause 0x1
	buffer_load_dword v115, off, s[0:3], 0 offset:344
	buffer_load_dword v116, off, s[0:3], 0 offset:348
	buffer_store_dword v114, off, s[0:3], 0 offset:344
	buffer_store_dword v114, off, s[0:3], 0 offset:348
	s_waitcnt vmcnt(0)
	ds_write_b64 v113, v[115:116]
.LBB119_259:
	s_or_b32 exec_lo, exec_lo, s4
	s_waitcnt lgkmcnt(0)
	s_waitcnt_vscnt null, 0x0
	s_barrier
	buffer_gl0_inv
	s_clause 0x19
	buffer_load_dword v123, off, s[0:3], 0 offset:352
	buffer_load_dword v124, off, s[0:3], 0 offset:356
	;; [unrolled: 1-line block ×26, first 2 shown]
	ds_read_b128 v[115:118], v114 offset:800
	ds_read_b128 v[119:122], v114 offset:816
	s_mov_b32 s4, exec_lo
	s_waitcnt vmcnt(24) lgkmcnt(1)
	v_fma_f64 v[115:116], v[123:124], v[115:116], 0
	s_waitcnt vmcnt(22)
	v_fma_f64 v[115:116], v[125:126], v[117:118], v[115:116]
	s_waitcnt vmcnt(20) lgkmcnt(0)
	v_fma_f64 v[115:116], v[127:128], v[119:120], v[115:116]
	s_waitcnt vmcnt(18)
	v_fma_f64 v[123:124], v[129:130], v[121:122], v[115:116]
	ds_read_b128 v[115:118], v114 offset:832
	ds_read_b128 v[119:122], v114 offset:848
	s_waitcnt vmcnt(16) lgkmcnt(1)
	v_fma_f64 v[115:116], v[131:132], v[115:116], v[123:124]
	s_waitcnt vmcnt(14)
	v_fma_f64 v[115:116], v[133:134], v[117:118], v[115:116]
	s_waitcnt vmcnt(12) lgkmcnt(0)
	v_fma_f64 v[115:116], v[135:136], v[119:120], v[115:116]
	s_waitcnt vmcnt(7)
	v_fma_f64 v[123:124], v[137:138], v[121:122], v[115:116]
	ds_read_b128 v[115:118], v114 offset:864
	ds_read_b128 v[119:122], v114 offset:880
	s_waitcnt vmcnt(6) lgkmcnt(1)
	v_fma_f64 v[114:115], v[143:144], v[115:116], v[123:124]
	s_waitcnt vmcnt(5)
	v_fma_f64 v[114:115], v[141:142], v[117:118], v[114:115]
	s_waitcnt vmcnt(4) lgkmcnt(0)
	v_fma_f64 v[114:115], v[139:140], v[119:120], v[114:115]
	s_waitcnt vmcnt(2)
	v_fma_f64 v[114:115], v[145:146], v[121:122], v[114:115]
	s_waitcnt vmcnt(0)
	v_add_f64 v[114:115], v[147:148], -v[114:115]
	buffer_store_dword v115, off, s[0:3], 0 offset:348
	buffer_store_dword v114, off, s[0:3], 0 offset:344
	v_cmpx_lt_u32_e32 42, v0
	s_cbranch_execz .LBB119_261
; %bb.260:
	s_clause 0x1
	buffer_load_dword v114, off, s[0:3], 0 offset:336
	buffer_load_dword v115, off, s[0:3], 0 offset:340
	v_mov_b32_e32 v116, 0
	buffer_store_dword v116, off, s[0:3], 0 offset:336
	buffer_store_dword v116, off, s[0:3], 0 offset:340
	s_waitcnt vmcnt(0)
	ds_write_b64 v113, v[114:115]
.LBB119_261:
	s_or_b32 exec_lo, exec_lo, s4
	s_waitcnt lgkmcnt(0)
	s_waitcnt_vscnt null, 0x0
	s_barrier
	buffer_gl0_inv
	s_clause 0x1b
	buffer_load_dword v123, off, s[0:3], 0 offset:344
	buffer_load_dword v124, off, s[0:3], 0 offset:348
	;; [unrolled: 1-line block ×28, first 2 shown]
	v_mov_b32_e32 v114, 0
	ds_read2_b64 v[115:118], v114 offset0:99 offset1:100
	ds_read2_b64 v[119:122], v114 offset0:101 offset1:102
	s_mov_b32 s4, exec_lo
	s_waitcnt vmcnt(26) lgkmcnt(1)
	v_fma_f64 v[115:116], v[123:124], v[115:116], 0
	s_waitcnt vmcnt(24)
	v_fma_f64 v[115:116], v[125:126], v[117:118], v[115:116]
	s_waitcnt vmcnt(22) lgkmcnt(0)
	v_fma_f64 v[115:116], v[127:128], v[119:120], v[115:116]
	s_waitcnt vmcnt(20)
	v_fma_f64 v[123:124], v[129:130], v[121:122], v[115:116]
	ds_read2_b64 v[115:118], v114 offset0:103 offset1:104
	ds_read2_b64 v[119:122], v114 offset0:105 offset1:106
	s_waitcnt vmcnt(18) lgkmcnt(1)
	v_fma_f64 v[115:116], v[131:132], v[115:116], v[123:124]
	s_waitcnt vmcnt(16)
	v_fma_f64 v[115:116], v[133:134], v[117:118], v[115:116]
	s_waitcnt vmcnt(14) lgkmcnt(0)
	v_fma_f64 v[115:116], v[135:136], v[119:120], v[115:116]
	s_waitcnt vmcnt(9)
	v_fma_f64 v[123:124], v[137:138], v[121:122], v[115:116]
	ds_read2_b64 v[115:118], v114 offset0:107 offset1:108
	ds_read2_b64 v[119:122], v114 offset0:109 offset1:110
	s_waitcnt vmcnt(8) lgkmcnt(1)
	v_fma_f64 v[115:116], v[143:144], v[115:116], v[123:124]
	s_waitcnt vmcnt(7)
	v_fma_f64 v[115:116], v[141:142], v[117:118], v[115:116]
	ds_read_b64 v[117:118], v114 offset:888
	s_waitcnt vmcnt(6) lgkmcnt(1)
	v_fma_f64 v[115:116], v[139:140], v[119:120], v[115:116]
	s_waitcnt vmcnt(3)
	v_fma_f64 v[115:116], v[145:146], v[121:122], v[115:116]
	s_waitcnt vmcnt(2) lgkmcnt(0)
	v_fma_f64 v[115:116], v[147:148], v[117:118], v[115:116]
	s_waitcnt vmcnt(0)
	v_add_f64 v[115:116], v[149:150], -v[115:116]
	buffer_store_dword v116, off, s[0:3], 0 offset:340
	buffer_store_dword v115, off, s[0:3], 0 offset:336
	v_cmpx_lt_u32_e32 41, v0
	s_cbranch_execz .LBB119_263
; %bb.262:
	s_clause 0x1
	buffer_load_dword v115, off, s[0:3], 0 offset:328
	buffer_load_dword v116, off, s[0:3], 0 offset:332
	buffer_store_dword v114, off, s[0:3], 0 offset:328
	buffer_store_dword v114, off, s[0:3], 0 offset:332
	s_waitcnt vmcnt(0)
	ds_write_b64 v113, v[115:116]
.LBB119_263:
	s_or_b32 exec_lo, exec_lo, s4
	s_waitcnt lgkmcnt(0)
	s_waitcnt_vscnt null, 0x0
	s_barrier
	buffer_gl0_inv
	s_clause 0x1b
	buffer_load_dword v123, off, s[0:3], 0 offset:336
	buffer_load_dword v124, off, s[0:3], 0 offset:340
	buffer_load_dword v125, off, s[0:3], 0 offset:344
	buffer_load_dword v126, off, s[0:3], 0 offset:348
	buffer_load_dword v127, off, s[0:3], 0 offset:352
	buffer_load_dword v128, off, s[0:3], 0 offset:356
	buffer_load_dword v129, off, s[0:3], 0 offset:360
	buffer_load_dword v130, off, s[0:3], 0 offset:364
	buffer_load_dword v131, off, s[0:3], 0 offset:368
	buffer_load_dword v132, off, s[0:3], 0 offset:372
	buffer_load_dword v133, off, s[0:3], 0 offset:376
	buffer_load_dword v134, off, s[0:3], 0 offset:380
	buffer_load_dword v135, off, s[0:3], 0 offset:384
	buffer_load_dword v136, off, s[0:3], 0 offset:388
	buffer_load_dword v138, off, s[0:3], 0 offset:396
	buffer_load_dword v139, off, s[0:3], 0 offset:416
	buffer_load_dword v141, off, s[0:3], 0 offset:408
	buffer_load_dword v143, off, s[0:3], 0 offset:400
	buffer_load_dword v137, off, s[0:3], 0 offset:392
	buffer_load_dword v144, off, s[0:3], 0 offset:404
	buffer_load_dword v142, off, s[0:3], 0 offset:412
	buffer_load_dword v140, off, s[0:3], 0 offset:420
	buffer_load_dword v146, off, s[0:3], 0 offset:428
	buffer_load_dword v147, off, s[0:3], 0 offset:440
	buffer_load_dword v149, off, s[0:3], 0 offset:432
	buffer_load_dword v145, off, s[0:3], 0 offset:424
	buffer_load_dword v150, off, s[0:3], 0 offset:436
	buffer_load_dword v148, off, s[0:3], 0 offset:444
	ds_read_b128 v[115:118], v114 offset:784
	s_clause 0x1
	buffer_load_dword v151, off, s[0:3], 0 offset:328
	buffer_load_dword v152, off, s[0:3], 0 offset:332
	ds_read_b128 v[119:122], v114 offset:800
	s_mov_b32 s4, exec_lo
	s_waitcnt vmcnt(28) lgkmcnt(1)
	v_fma_f64 v[115:116], v[123:124], v[115:116], 0
	s_waitcnt vmcnt(26)
	v_fma_f64 v[115:116], v[125:126], v[117:118], v[115:116]
	s_waitcnt vmcnt(24) lgkmcnt(0)
	v_fma_f64 v[115:116], v[127:128], v[119:120], v[115:116]
	s_waitcnt vmcnt(22)
	v_fma_f64 v[123:124], v[129:130], v[121:122], v[115:116]
	ds_read_b128 v[115:118], v114 offset:816
	ds_read_b128 v[119:122], v114 offset:832
	s_waitcnt vmcnt(20) lgkmcnt(1)
	v_fma_f64 v[115:116], v[131:132], v[115:116], v[123:124]
	s_waitcnt vmcnt(18)
	v_fma_f64 v[115:116], v[133:134], v[117:118], v[115:116]
	s_waitcnt vmcnt(16) lgkmcnt(0)
	v_fma_f64 v[115:116], v[135:136], v[119:120], v[115:116]
	s_waitcnt vmcnt(11)
	v_fma_f64 v[123:124], v[137:138], v[121:122], v[115:116]
	ds_read_b128 v[115:118], v114 offset:848
	ds_read_b128 v[119:122], v114 offset:864
	s_waitcnt vmcnt(10) lgkmcnt(1)
	v_fma_f64 v[115:116], v[143:144], v[115:116], v[123:124]
	s_waitcnt vmcnt(9)
	v_fma_f64 v[115:116], v[141:142], v[117:118], v[115:116]
	s_waitcnt vmcnt(8) lgkmcnt(0)
	v_fma_f64 v[115:116], v[139:140], v[119:120], v[115:116]
	s_waitcnt vmcnt(4)
	v_fma_f64 v[118:119], v[145:146], v[121:122], v[115:116]
	ds_read_b128 v[114:117], v114 offset:880
	s_waitcnt vmcnt(3) lgkmcnt(0)
	v_fma_f64 v[114:115], v[149:150], v[114:115], v[118:119]
	s_waitcnt vmcnt(2)
	v_fma_f64 v[114:115], v[147:148], v[116:117], v[114:115]
	s_waitcnt vmcnt(0)
	v_add_f64 v[114:115], v[151:152], -v[114:115]
	buffer_store_dword v115, off, s[0:3], 0 offset:332
	buffer_store_dword v114, off, s[0:3], 0 offset:328
	v_cmpx_lt_u32_e32 40, v0
	s_cbranch_execz .LBB119_265
; %bb.264:
	s_clause 0x1
	buffer_load_dword v114, off, s[0:3], 0 offset:320
	buffer_load_dword v115, off, s[0:3], 0 offset:324
	v_mov_b32_e32 v116, 0
	buffer_store_dword v116, off, s[0:3], 0 offset:320
	buffer_store_dword v116, off, s[0:3], 0 offset:324
	s_waitcnt vmcnt(0)
	ds_write_b64 v113, v[114:115]
.LBB119_265:
	s_or_b32 exec_lo, exec_lo, s4
	s_waitcnt lgkmcnt(0)
	s_waitcnt_vscnt null, 0x0
	s_barrier
	buffer_gl0_inv
	s_clause 0x1c
	buffer_load_dword v123, off, s[0:3], 0 offset:328
	buffer_load_dword v124, off, s[0:3], 0 offset:332
	;; [unrolled: 1-line block ×29, first 2 shown]
	v_mov_b32_e32 v114, 0
	buffer_load_dword v148, off, s[0:3], 0 offset:444
	s_mov_b32 s4, exec_lo
	ds_read2_b64 v[115:118], v114 offset0:97 offset1:98
	ds_read2_b64 v[119:122], v114 offset0:99 offset1:100
	s_waitcnt vmcnt(28) lgkmcnt(1)
	v_fma_f64 v[115:116], v[123:124], v[115:116], 0
	s_clause 0x1
	buffer_load_dword v123, off, s[0:3], 0 offset:320
	buffer_load_dword v124, off, s[0:3], 0 offset:324
	s_waitcnt vmcnt(28)
	v_fma_f64 v[115:116], v[125:126], v[117:118], v[115:116]
	s_waitcnt vmcnt(26) lgkmcnt(0)
	v_fma_f64 v[115:116], v[127:128], v[119:120], v[115:116]
	s_waitcnt vmcnt(24)
	v_fma_f64 v[125:126], v[129:130], v[121:122], v[115:116]
	ds_read2_b64 v[115:118], v114 offset0:101 offset1:102
	ds_read2_b64 v[119:122], v114 offset0:103 offset1:104
	s_waitcnt vmcnt(22) lgkmcnt(1)
	v_fma_f64 v[115:116], v[131:132], v[115:116], v[125:126]
	s_waitcnt vmcnt(20)
	v_fma_f64 v[115:116], v[133:134], v[117:118], v[115:116]
	s_waitcnt vmcnt(18) lgkmcnt(0)
	v_fma_f64 v[115:116], v[135:136], v[119:120], v[115:116]
	s_waitcnt vmcnt(13)
	v_fma_f64 v[125:126], v[137:138], v[121:122], v[115:116]
	ds_read2_b64 v[115:118], v114 offset0:105 offset1:106
	ds_read2_b64 v[119:122], v114 offset0:107 offset1:108
	s_waitcnt vmcnt(12) lgkmcnt(1)
	v_fma_f64 v[115:116], v[143:144], v[115:116], v[125:126]
	s_waitcnt vmcnt(11)
	v_fma_f64 v[115:116], v[141:142], v[117:118], v[115:116]
	s_waitcnt vmcnt(10) lgkmcnt(0)
	v_fma_f64 v[115:116], v[139:140], v[119:120], v[115:116]
	s_waitcnt vmcnt(5)
	v_fma_f64 v[119:120], v[145:146], v[121:122], v[115:116]
	ds_read2_b64 v[115:118], v114 offset0:109 offset1:110
	ds_read_b64 v[121:122], v114 offset:888
	s_waitcnt vmcnt(4) lgkmcnt(1)
	v_fma_f64 v[115:116], v[151:152], v[115:116], v[119:120]
	s_waitcnt vmcnt(3)
	v_fma_f64 v[115:116], v[149:150], v[117:118], v[115:116]
	s_waitcnt vmcnt(2) lgkmcnt(0)
	v_fma_f64 v[115:116], v[147:148], v[121:122], v[115:116]
	s_waitcnt vmcnt(0)
	v_add_f64 v[115:116], v[123:124], -v[115:116]
	buffer_store_dword v116, off, s[0:3], 0 offset:324
	buffer_store_dword v115, off, s[0:3], 0 offset:320
	v_cmpx_lt_u32_e32 39, v0
	s_cbranch_execz .LBB119_267
; %bb.266:
	s_clause 0x1
	buffer_load_dword v115, off, s[0:3], 0 offset:312
	buffer_load_dword v116, off, s[0:3], 0 offset:316
	buffer_store_dword v114, off, s[0:3], 0 offset:312
	buffer_store_dword v114, off, s[0:3], 0 offset:316
	s_waitcnt vmcnt(0)
	ds_write_b64 v113, v[115:116]
.LBB119_267:
	s_or_b32 exec_lo, exec_lo, s4
	s_waitcnt lgkmcnt(0)
	s_waitcnt_vscnt null, 0x0
	s_barrier
	buffer_gl0_inv
	s_clause 0x1c
	buffer_load_dword v123, off, s[0:3], 0 offset:320
	buffer_load_dword v124, off, s[0:3], 0 offset:324
	;; [unrolled: 1-line block ×29, first 2 shown]
	ds_read_b128 v[115:118], v114 offset:768
	ds_read_b128 v[119:122], v114 offset:784
	buffer_load_dword v148, off, s[0:3], 0 offset:436
	s_mov_b32 s4, exec_lo
	s_waitcnt vmcnt(28) lgkmcnt(1)
	v_fma_f64 v[115:116], v[123:124], v[115:116], 0
	s_clause 0x1
	buffer_load_dword v124, off, s[0:3], 0 offset:444
	buffer_load_dword v123, off, s[0:3], 0 offset:440
	s_waitcnt vmcnt(28)
	v_fma_f64 v[115:116], v[125:126], v[117:118], v[115:116]
	s_clause 0x1
	buffer_load_dword v125, off, s[0:3], 0 offset:312
	buffer_load_dword v126, off, s[0:3], 0 offset:316
	s_waitcnt vmcnt(28) lgkmcnt(0)
	v_fma_f64 v[115:116], v[127:128], v[119:120], v[115:116]
	s_waitcnt vmcnt(26)
	v_fma_f64 v[127:128], v[129:130], v[121:122], v[115:116]
	ds_read_b128 v[115:118], v114 offset:800
	ds_read_b128 v[119:122], v114 offset:816
	s_waitcnt vmcnt(24) lgkmcnt(1)
	v_fma_f64 v[115:116], v[131:132], v[115:116], v[127:128]
	s_waitcnt vmcnt(22)
	v_fma_f64 v[115:116], v[133:134], v[117:118], v[115:116]
	s_waitcnt vmcnt(20) lgkmcnt(0)
	v_fma_f64 v[115:116], v[135:136], v[119:120], v[115:116]
	s_waitcnt vmcnt(15)
	v_fma_f64 v[127:128], v[137:138], v[121:122], v[115:116]
	ds_read_b128 v[115:118], v114 offset:832
	ds_read_b128 v[119:122], v114 offset:848
	s_waitcnt vmcnt(14) lgkmcnt(1)
	v_fma_f64 v[115:116], v[143:144], v[115:116], v[127:128]
	s_waitcnt vmcnt(13)
	v_fma_f64 v[115:116], v[141:142], v[117:118], v[115:116]
	;; [unrolled: 10-line block ×3, first 2 shown]
	s_waitcnt vmcnt(4) lgkmcnt(0)
	v_fma_f64 v[114:115], v[147:148], v[119:120], v[114:115]
	s_waitcnt vmcnt(2)
	v_fma_f64 v[114:115], v[123:124], v[121:122], v[114:115]
	s_waitcnt vmcnt(0)
	v_add_f64 v[114:115], v[125:126], -v[114:115]
	buffer_store_dword v115, off, s[0:3], 0 offset:316
	buffer_store_dword v114, off, s[0:3], 0 offset:312
	v_cmpx_lt_u32_e32 38, v0
	s_cbranch_execz .LBB119_269
; %bb.268:
	s_clause 0x1
	buffer_load_dword v114, off, s[0:3], 0 offset:304
	buffer_load_dword v115, off, s[0:3], 0 offset:308
	v_mov_b32_e32 v116, 0
	buffer_store_dword v116, off, s[0:3], 0 offset:304
	buffer_store_dword v116, off, s[0:3], 0 offset:308
	s_waitcnt vmcnt(0)
	ds_write_b64 v113, v[114:115]
.LBB119_269:
	s_or_b32 exec_lo, exec_lo, s4
	s_waitcnt lgkmcnt(0)
	s_waitcnt_vscnt null, 0x0
	s_barrier
	buffer_gl0_inv
	s_clause 0x1c
	buffer_load_dword v123, off, s[0:3], 0 offset:312
	buffer_load_dword v124, off, s[0:3], 0 offset:316
	;; [unrolled: 1-line block ×29, first 2 shown]
	v_mov_b32_e32 v114, 0
	buffer_load_dword v148, off, s[0:3], 0 offset:428
	s_mov_b32 s4, exec_lo
	ds_read2_b64 v[115:118], v114 offset0:95 offset1:96
	ds_read2_b64 v[119:122], v114 offset0:97 offset1:98
	s_waitcnt vmcnt(28) lgkmcnt(1)
	v_fma_f64 v[115:116], v[123:124], v[115:116], 0
	s_clause 0x3
	buffer_load_dword v124, off, s[0:3], 0 offset:436
	buffer_load_dword v153, off, s[0:3], 0 offset:440
	;; [unrolled: 1-line block ×4, first 2 shown]
	s_waitcnt vmcnt(30)
	v_fma_f64 v[115:116], v[125:126], v[117:118], v[115:116]
	s_clause 0x1
	buffer_load_dword v125, off, s[0:3], 0 offset:304
	buffer_load_dword v126, off, s[0:3], 0 offset:308
	s_waitcnt vmcnt(30) lgkmcnt(0)
	v_fma_f64 v[115:116], v[127:128], v[119:120], v[115:116]
	s_waitcnt vmcnt(28)
	v_fma_f64 v[127:128], v[129:130], v[121:122], v[115:116]
	ds_read2_b64 v[115:118], v114 offset0:99 offset1:100
	ds_read2_b64 v[119:122], v114 offset0:101 offset1:102
	s_waitcnt vmcnt(26) lgkmcnt(1)
	v_fma_f64 v[115:116], v[131:132], v[115:116], v[127:128]
	s_waitcnt vmcnt(24)
	v_fma_f64 v[115:116], v[133:134], v[117:118], v[115:116]
	s_waitcnt vmcnt(22) lgkmcnt(0)
	v_fma_f64 v[115:116], v[135:136], v[119:120], v[115:116]
	s_waitcnt vmcnt(17)
	v_fma_f64 v[127:128], v[137:138], v[121:122], v[115:116]
	ds_read2_b64 v[115:118], v114 offset0:103 offset1:104
	ds_read2_b64 v[119:122], v114 offset0:105 offset1:106
	s_waitcnt vmcnt(16) lgkmcnt(1)
	v_fma_f64 v[115:116], v[143:144], v[115:116], v[127:128]
	s_waitcnt vmcnt(15)
	v_fma_f64 v[115:116], v[141:142], v[117:118], v[115:116]
	;; [unrolled: 10-line block ×3, first 2 shown]
	ds_read_b64 v[117:118], v114 offset:888
	s_waitcnt vmcnt(6) lgkmcnt(1)
	v_fma_f64 v[115:116], v[147:148], v[119:120], v[115:116]
	s_waitcnt vmcnt(3)
	v_fma_f64 v[115:116], v[123:124], v[121:122], v[115:116]
	s_waitcnt vmcnt(2) lgkmcnt(0)
	v_fma_f64 v[115:116], v[153:154], v[117:118], v[115:116]
	s_waitcnt vmcnt(0)
	v_add_f64 v[115:116], v[125:126], -v[115:116]
	buffer_store_dword v116, off, s[0:3], 0 offset:308
	buffer_store_dword v115, off, s[0:3], 0 offset:304
	v_cmpx_lt_u32_e32 37, v0
	s_cbranch_execz .LBB119_271
; %bb.270:
	s_clause 0x1
	buffer_load_dword v115, off, s[0:3], 0 offset:296
	buffer_load_dword v116, off, s[0:3], 0 offset:300
	buffer_store_dword v114, off, s[0:3], 0 offset:296
	buffer_store_dword v114, off, s[0:3], 0 offset:300
	s_waitcnt vmcnt(0)
	ds_write_b64 v113, v[115:116]
.LBB119_271:
	s_or_b32 exec_lo, exec_lo, s4
	s_waitcnt lgkmcnt(0)
	s_waitcnt_vscnt null, 0x0
	s_barrier
	buffer_gl0_inv
	s_clause 0x1c
	buffer_load_dword v123, off, s[0:3], 0 offset:304
	buffer_load_dword v124, off, s[0:3], 0 offset:308
	buffer_load_dword v125, off, s[0:3], 0 offset:312
	buffer_load_dword v126, off, s[0:3], 0 offset:316
	buffer_load_dword v127, off, s[0:3], 0 offset:320
	buffer_load_dword v128, off, s[0:3], 0 offset:324
	buffer_load_dword v129, off, s[0:3], 0 offset:328
	buffer_load_dword v130, off, s[0:3], 0 offset:332
	buffer_load_dword v131, off, s[0:3], 0 offset:336
	buffer_load_dword v132, off, s[0:3], 0 offset:340
	buffer_load_dword v133, off, s[0:3], 0 offset:344
	buffer_load_dword v134, off, s[0:3], 0 offset:348
	buffer_load_dword v135, off, s[0:3], 0 offset:352
	buffer_load_dword v136, off, s[0:3], 0 offset:356
	buffer_load_dword v138, off, s[0:3], 0 offset:364
	buffer_load_dword v139, off, s[0:3], 0 offset:384
	buffer_load_dword v141, off, s[0:3], 0 offset:376
	buffer_load_dword v143, off, s[0:3], 0 offset:368
	buffer_load_dword v137, off, s[0:3], 0 offset:360
	buffer_load_dword v144, off, s[0:3], 0 offset:372
	buffer_load_dword v142, off, s[0:3], 0 offset:380
	buffer_load_dword v140, off, s[0:3], 0 offset:388
	buffer_load_dword v146, off, s[0:3], 0 offset:396
	buffer_load_dword v147, off, s[0:3], 0 offset:416
	buffer_load_dword v149, off, s[0:3], 0 offset:408
	buffer_load_dword v151, off, s[0:3], 0 offset:400
	buffer_load_dword v145, off, s[0:3], 0 offset:392
	buffer_load_dword v152, off, s[0:3], 0 offset:404
	buffer_load_dword v150, off, s[0:3], 0 offset:412
	ds_read_b128 v[115:118], v114 offset:752
	ds_read_b128 v[119:122], v114 offset:768
	buffer_load_dword v148, off, s[0:3], 0 offset:420
	s_mov_b32 s4, exec_lo
	s_waitcnt vmcnt(28) lgkmcnt(1)
	v_fma_f64 v[115:116], v[123:124], v[115:116], 0
	s_clause 0x5
	buffer_load_dword v124, off, s[0:3], 0 offset:428
	buffer_load_dword v153, off, s[0:3], 0 offset:440
	;; [unrolled: 1-line block ×6, first 2 shown]
	s_waitcnt vmcnt(32)
	v_fma_f64 v[115:116], v[125:126], v[117:118], v[115:116]
	s_waitcnt vmcnt(30) lgkmcnt(0)
	v_fma_f64 v[115:116], v[127:128], v[119:120], v[115:116]
	s_waitcnt vmcnt(28)
	v_fma_f64 v[125:126], v[129:130], v[121:122], v[115:116]
	ds_read_b128 v[115:118], v114 offset:784
	s_clause 0x1
	buffer_load_dword v127, off, s[0:3], 0 offset:296
	buffer_load_dword v128, off, s[0:3], 0 offset:300
	ds_read_b128 v[119:122], v114 offset:800
	s_waitcnt vmcnt(28) lgkmcnt(1)
	v_fma_f64 v[115:116], v[131:132], v[115:116], v[125:126]
	s_waitcnt vmcnt(26)
	v_fma_f64 v[115:116], v[133:134], v[117:118], v[115:116]
	s_waitcnt vmcnt(24) lgkmcnt(0)
	v_fma_f64 v[115:116], v[135:136], v[119:120], v[115:116]
	s_waitcnt vmcnt(19)
	v_fma_f64 v[125:126], v[137:138], v[121:122], v[115:116]
	ds_read_b128 v[115:118], v114 offset:816
	ds_read_b128 v[119:122], v114 offset:832
	s_waitcnt vmcnt(18) lgkmcnt(1)
	v_fma_f64 v[115:116], v[143:144], v[115:116], v[125:126]
	s_waitcnt vmcnt(17)
	v_fma_f64 v[115:116], v[141:142], v[117:118], v[115:116]
	s_waitcnt vmcnt(16) lgkmcnt(0)
	v_fma_f64 v[115:116], v[139:140], v[119:120], v[115:116]
	s_waitcnt vmcnt(11)
	v_fma_f64 v[125:126], v[145:146], v[121:122], v[115:116]
	ds_read_b128 v[115:118], v114 offset:848
	;; [unrolled: 10-line block ×3, first 2 shown]
	s_waitcnt vmcnt(3) lgkmcnt(0)
	v_fma_f64 v[114:115], v[155:156], v[114:115], v[118:119]
	s_waitcnt vmcnt(2)
	v_fma_f64 v[114:115], v[153:154], v[116:117], v[114:115]
	s_waitcnt vmcnt(0)
	v_add_f64 v[114:115], v[127:128], -v[114:115]
	buffer_store_dword v115, off, s[0:3], 0 offset:300
	buffer_store_dword v114, off, s[0:3], 0 offset:296
	v_cmpx_lt_u32_e32 36, v0
	s_cbranch_execz .LBB119_273
; %bb.272:
	s_clause 0x1
	buffer_load_dword v114, off, s[0:3], 0 offset:288
	buffer_load_dword v115, off, s[0:3], 0 offset:292
	v_mov_b32_e32 v116, 0
	buffer_store_dword v116, off, s[0:3], 0 offset:288
	buffer_store_dword v116, off, s[0:3], 0 offset:292
	s_waitcnt vmcnt(0)
	ds_write_b64 v113, v[114:115]
.LBB119_273:
	s_or_b32 exec_lo, exec_lo, s4
	s_waitcnt lgkmcnt(0)
	s_waitcnt_vscnt null, 0x0
	s_barrier
	buffer_gl0_inv
	s_clause 0x1c
	buffer_load_dword v123, off, s[0:3], 0 offset:296
	buffer_load_dword v124, off, s[0:3], 0 offset:300
	;; [unrolled: 1-line block ×29, first 2 shown]
	v_mov_b32_e32 v114, 0
	buffer_load_dword v148, off, s[0:3], 0 offset:412
	s_mov_b32 s4, exec_lo
	ds_read2_b64 v[115:118], v114 offset0:93 offset1:94
	ds_read2_b64 v[119:122], v114 offset0:95 offset1:96
	s_waitcnt vmcnt(28) lgkmcnt(1)
	v_fma_f64 v[115:116], v[123:124], v[115:116], 0
	s_clause 0x7
	buffer_load_dword v124, off, s[0:3], 0 offset:420
	buffer_load_dword v153, off, s[0:3], 0 offset:440
	;; [unrolled: 1-line block ×8, first 2 shown]
	s_waitcnt vmcnt(34)
	v_fma_f64 v[115:116], v[125:126], v[117:118], v[115:116]
	s_waitcnt vmcnt(32) lgkmcnt(0)
	v_fma_f64 v[115:116], v[127:128], v[119:120], v[115:116]
	s_waitcnt vmcnt(30)
	v_fma_f64 v[125:126], v[129:130], v[121:122], v[115:116]
	ds_read2_b64 v[115:118], v114 offset0:97 offset1:98
	ds_read2_b64 v[119:122], v114 offset0:99 offset1:100
	s_waitcnt vmcnt(28) lgkmcnt(1)
	v_fma_f64 v[115:116], v[131:132], v[115:116], v[125:126]
	s_clause 0x1
	buffer_load_dword v125, off, s[0:3], 0 offset:288
	buffer_load_dword v126, off, s[0:3], 0 offset:292
	s_waitcnt vmcnt(28)
	v_fma_f64 v[115:116], v[133:134], v[117:118], v[115:116]
	s_waitcnt vmcnt(26) lgkmcnt(0)
	v_fma_f64 v[115:116], v[135:136], v[119:120], v[115:116]
	s_waitcnt vmcnt(21)
	v_fma_f64 v[127:128], v[137:138], v[121:122], v[115:116]
	ds_read2_b64 v[115:118], v114 offset0:101 offset1:102
	ds_read2_b64 v[119:122], v114 offset0:103 offset1:104
	s_waitcnt vmcnt(20) lgkmcnt(1)
	v_fma_f64 v[115:116], v[143:144], v[115:116], v[127:128]
	s_waitcnt vmcnt(19)
	v_fma_f64 v[115:116], v[141:142], v[117:118], v[115:116]
	s_waitcnt vmcnt(18) lgkmcnt(0)
	v_fma_f64 v[115:116], v[139:140], v[119:120], v[115:116]
	s_waitcnt vmcnt(13)
	v_fma_f64 v[127:128], v[145:146], v[121:122], v[115:116]
	ds_read2_b64 v[115:118], v114 offset0:105 offset1:106
	ds_read2_b64 v[119:122], v114 offset0:107 offset1:108
	s_waitcnt vmcnt(12) lgkmcnt(1)
	v_fma_f64 v[115:116], v[151:152], v[115:116], v[127:128]
	s_waitcnt vmcnt(11)
	v_fma_f64 v[115:116], v[149:150], v[117:118], v[115:116]
	s_waitcnt vmcnt(10) lgkmcnt(0)
	v_fma_f64 v[115:116], v[147:148], v[119:120], v[115:116]
	s_waitcnt vmcnt(5)
	v_fma_f64 v[119:120], v[123:124], v[121:122], v[115:116]
	ds_read2_b64 v[115:118], v114 offset0:109 offset1:110
	ds_read_b64 v[121:122], v114 offset:888
	s_waitcnt vmcnt(4) lgkmcnt(1)
	v_fma_f64 v[115:116], v[157:158], v[115:116], v[119:120]
	s_waitcnt vmcnt(3)
	v_fma_f64 v[115:116], v[155:156], v[117:118], v[115:116]
	s_waitcnt vmcnt(2) lgkmcnt(0)
	v_fma_f64 v[115:116], v[153:154], v[121:122], v[115:116]
	s_waitcnt vmcnt(0)
	v_add_f64 v[115:116], v[125:126], -v[115:116]
	buffer_store_dword v116, off, s[0:3], 0 offset:292
	buffer_store_dword v115, off, s[0:3], 0 offset:288
	v_cmpx_lt_u32_e32 35, v0
	s_cbranch_execz .LBB119_275
; %bb.274:
	s_clause 0x1
	buffer_load_dword v115, off, s[0:3], 0 offset:280
	buffer_load_dword v116, off, s[0:3], 0 offset:284
	buffer_store_dword v114, off, s[0:3], 0 offset:280
	buffer_store_dword v114, off, s[0:3], 0 offset:284
	s_waitcnt vmcnt(0)
	ds_write_b64 v113, v[115:116]
.LBB119_275:
	s_or_b32 exec_lo, exec_lo, s4
	s_waitcnt lgkmcnt(0)
	s_waitcnt_vscnt null, 0x0
	s_barrier
	buffer_gl0_inv
	s_clause 0x1c
	buffer_load_dword v123, off, s[0:3], 0 offset:288
	buffer_load_dword v124, off, s[0:3], 0 offset:292
	;; [unrolled: 1-line block ×29, first 2 shown]
	ds_read_b128 v[115:118], v114 offset:736
	ds_read_b128 v[119:122], v114 offset:752
	buffer_load_dword v148, off, s[0:3], 0 offset:404
	s_mov_b32 s4, exec_lo
	s_waitcnt vmcnt(28) lgkmcnt(1)
	v_fma_f64 v[115:116], v[123:124], v[115:116], 0
	s_clause 0x7
	buffer_load_dword v124, off, s[0:3], 0 offset:412
	buffer_load_dword v153, off, s[0:3], 0 offset:432
	;; [unrolled: 1-line block ×8, first 2 shown]
	s_waitcnt vmcnt(34)
	v_fma_f64 v[115:116], v[125:126], v[117:118], v[115:116]
	s_waitcnt vmcnt(32) lgkmcnt(0)
	v_fma_f64 v[115:116], v[127:128], v[119:120], v[115:116]
	s_waitcnt vmcnt(30)
	v_fma_f64 v[125:126], v[129:130], v[121:122], v[115:116]
	ds_read_b128 v[115:118], v114 offset:768
	ds_read_b128 v[119:122], v114 offset:784
	s_waitcnt vmcnt(28) lgkmcnt(1)
	v_fma_f64 v[115:116], v[131:132], v[115:116], v[125:126]
	s_clause 0x3
	buffer_load_dword v126, off, s[0:3], 0 offset:444
	buffer_load_dword v125, off, s[0:3], 0 offset:440
	;; [unrolled: 1-line block ×4, first 2 shown]
	s_waitcnt vmcnt(30)
	v_fma_f64 v[115:116], v[133:134], v[117:118], v[115:116]
	s_waitcnt vmcnt(28) lgkmcnt(0)
	v_fma_f64 v[115:116], v[135:136], v[119:120], v[115:116]
	s_waitcnt vmcnt(23)
	v_fma_f64 v[129:130], v[137:138], v[121:122], v[115:116]
	ds_read_b128 v[115:118], v114 offset:800
	ds_read_b128 v[119:122], v114 offset:816
	s_waitcnt vmcnt(22) lgkmcnt(1)
	v_fma_f64 v[115:116], v[143:144], v[115:116], v[129:130]
	s_waitcnt vmcnt(21)
	v_fma_f64 v[115:116], v[141:142], v[117:118], v[115:116]
	s_waitcnt vmcnt(20) lgkmcnt(0)
	v_fma_f64 v[115:116], v[139:140], v[119:120], v[115:116]
	s_waitcnt vmcnt(15)
	v_fma_f64 v[129:130], v[145:146], v[121:122], v[115:116]
	ds_read_b128 v[115:118], v114 offset:832
	ds_read_b128 v[119:122], v114 offset:848
	s_waitcnt vmcnt(14) lgkmcnt(1)
	v_fma_f64 v[115:116], v[151:152], v[115:116], v[129:130]
	;; [unrolled: 10-line block ×3, first 2 shown]
	s_waitcnt vmcnt(5)
	v_fma_f64 v[114:115], v[155:156], v[117:118], v[114:115]
	s_waitcnt vmcnt(4) lgkmcnt(0)
	v_fma_f64 v[114:115], v[153:154], v[119:120], v[114:115]
	s_waitcnt vmcnt(2)
	v_fma_f64 v[114:115], v[125:126], v[121:122], v[114:115]
	s_waitcnt vmcnt(0)
	v_add_f64 v[114:115], v[127:128], -v[114:115]
	buffer_store_dword v115, off, s[0:3], 0 offset:284
	buffer_store_dword v114, off, s[0:3], 0 offset:280
	v_cmpx_lt_u32_e32 34, v0
	s_cbranch_execz .LBB119_277
; %bb.276:
	s_clause 0x1
	buffer_load_dword v114, off, s[0:3], 0 offset:272
	buffer_load_dword v115, off, s[0:3], 0 offset:276
	v_mov_b32_e32 v116, 0
	buffer_store_dword v116, off, s[0:3], 0 offset:272
	buffer_store_dword v116, off, s[0:3], 0 offset:276
	s_waitcnt vmcnt(0)
	ds_write_b64 v113, v[114:115]
.LBB119_277:
	s_or_b32 exec_lo, exec_lo, s4
	s_waitcnt lgkmcnt(0)
	s_waitcnt_vscnt null, 0x0
	s_barrier
	buffer_gl0_inv
	s_clause 0x1c
	buffer_load_dword v123, off, s[0:3], 0 offset:280
	buffer_load_dword v124, off, s[0:3], 0 offset:284
	;; [unrolled: 1-line block ×29, first 2 shown]
	v_mov_b32_e32 v114, 0
	buffer_load_dword v148, off, s[0:3], 0 offset:396
	s_mov_b32 s4, exec_lo
	ds_read2_b64 v[115:118], v114 offset0:91 offset1:92
	ds_read2_b64 v[119:122], v114 offset0:93 offset1:94
	s_waitcnt vmcnt(28) lgkmcnt(1)
	v_fma_f64 v[115:116], v[123:124], v[115:116], 0
	s_clause 0x7
	buffer_load_dword v124, off, s[0:3], 0 offset:404
	buffer_load_dword v153, off, s[0:3], 0 offset:424
	buffer_load_dword v155, off, s[0:3], 0 offset:416
	buffer_load_dword v157, off, s[0:3], 0 offset:408
	buffer_load_dword v123, off, s[0:3], 0 offset:400
	buffer_load_dword v158, off, s[0:3], 0 offset:412
	buffer_load_dword v156, off, s[0:3], 0 offset:420
	buffer_load_dword v154, off, s[0:3], 0 offset:428
	s_waitcnt vmcnt(34)
	v_fma_f64 v[115:116], v[125:126], v[117:118], v[115:116]
	s_waitcnt vmcnt(32) lgkmcnt(0)
	v_fma_f64 v[115:116], v[127:128], v[119:120], v[115:116]
	s_waitcnt vmcnt(30)
	v_fma_f64 v[125:126], v[129:130], v[121:122], v[115:116]
	ds_read2_b64 v[115:118], v114 offset0:95 offset1:96
	ds_read2_b64 v[119:122], v114 offset0:97 offset1:98
	s_waitcnt vmcnt(28) lgkmcnt(1)
	v_fma_f64 v[115:116], v[131:132], v[115:116], v[125:126]
	s_clause 0x5
	buffer_load_dword v126, off, s[0:3], 0 offset:436
	buffer_load_dword v127, off, s[0:3], 0 offset:440
	;; [unrolled: 1-line block ×6, first 2 shown]
	s_waitcnt vmcnt(32)
	v_fma_f64 v[115:116], v[133:134], v[117:118], v[115:116]
	s_waitcnt vmcnt(30) lgkmcnt(0)
	v_fma_f64 v[115:116], v[135:136], v[119:120], v[115:116]
	s_waitcnt vmcnt(25)
	v_fma_f64 v[131:132], v[137:138], v[121:122], v[115:116]
	ds_read2_b64 v[115:118], v114 offset0:99 offset1:100
	ds_read2_b64 v[119:122], v114 offset0:101 offset1:102
	s_waitcnt vmcnt(24) lgkmcnt(1)
	v_fma_f64 v[115:116], v[143:144], v[115:116], v[131:132]
	s_waitcnt vmcnt(23)
	v_fma_f64 v[115:116], v[141:142], v[117:118], v[115:116]
	s_waitcnt vmcnt(22) lgkmcnt(0)
	v_fma_f64 v[115:116], v[139:140], v[119:120], v[115:116]
	s_waitcnt vmcnt(17)
	v_fma_f64 v[131:132], v[145:146], v[121:122], v[115:116]
	ds_read2_b64 v[115:118], v114 offset0:103 offset1:104
	ds_read2_b64 v[119:122], v114 offset0:105 offset1:106
	s_waitcnt vmcnt(16) lgkmcnt(1)
	v_fma_f64 v[115:116], v[151:152], v[115:116], v[131:132]
	;; [unrolled: 10-line block ×3, first 2 shown]
	s_waitcnt vmcnt(7)
	v_fma_f64 v[115:116], v[155:156], v[117:118], v[115:116]
	ds_read_b64 v[117:118], v114 offset:888
	s_waitcnt vmcnt(6) lgkmcnt(1)
	v_fma_f64 v[115:116], v[153:154], v[119:120], v[115:116]
	s_waitcnt vmcnt(3)
	v_fma_f64 v[115:116], v[125:126], v[121:122], v[115:116]
	s_waitcnt vmcnt(2) lgkmcnt(0)
	v_fma_f64 v[115:116], v[127:128], v[117:118], v[115:116]
	s_waitcnt vmcnt(0)
	v_add_f64 v[115:116], v[129:130], -v[115:116]
	buffer_store_dword v116, off, s[0:3], 0 offset:276
	buffer_store_dword v115, off, s[0:3], 0 offset:272
	v_cmpx_lt_u32_e32 33, v0
	s_cbranch_execz .LBB119_279
; %bb.278:
	s_clause 0x1
	buffer_load_dword v115, off, s[0:3], 0 offset:264
	buffer_load_dword v116, off, s[0:3], 0 offset:268
	buffer_store_dword v114, off, s[0:3], 0 offset:264
	buffer_store_dword v114, off, s[0:3], 0 offset:268
	s_waitcnt vmcnt(0)
	ds_write_b64 v113, v[115:116]
.LBB119_279:
	s_or_b32 exec_lo, exec_lo, s4
	s_waitcnt lgkmcnt(0)
	s_waitcnt_vscnt null, 0x0
	s_barrier
	buffer_gl0_inv
	s_clause 0x1c
	buffer_load_dword v123, off, s[0:3], 0 offset:272
	buffer_load_dword v124, off, s[0:3], 0 offset:276
	;; [unrolled: 1-line block ×29, first 2 shown]
	ds_read_b128 v[115:118], v114 offset:720
	ds_read_b128 v[119:122], v114 offset:736
	buffer_load_dword v148, off, s[0:3], 0 offset:388
	s_mov_b32 s4, exec_lo
	s_waitcnt vmcnt(28) lgkmcnt(1)
	v_fma_f64 v[115:116], v[123:124], v[115:116], 0
	s_clause 0x7
	buffer_load_dword v124, off, s[0:3], 0 offset:396
	buffer_load_dword v153, off, s[0:3], 0 offset:416
	;; [unrolled: 1-line block ×8, first 2 shown]
	s_waitcnt vmcnt(34)
	v_fma_f64 v[115:116], v[125:126], v[117:118], v[115:116]
	s_waitcnt vmcnt(32) lgkmcnt(0)
	v_fma_f64 v[115:116], v[127:128], v[119:120], v[115:116]
	s_waitcnt vmcnt(30)
	v_fma_f64 v[125:126], v[129:130], v[121:122], v[115:116]
	ds_read_b128 v[115:118], v114 offset:752
	ds_read_b128 v[119:122], v114 offset:768
	s_waitcnt vmcnt(28) lgkmcnt(1)
	v_fma_f64 v[115:116], v[131:132], v[115:116], v[125:126]
	s_clause 0x5
	buffer_load_dword v126, off, s[0:3], 0 offset:428
	buffer_load_dword v127, off, s[0:3], 0 offset:440
	buffer_load_dword v129, off, s[0:3], 0 offset:432
	buffer_load_dword v125, off, s[0:3], 0 offset:424
	buffer_load_dword v130, off, s[0:3], 0 offset:436
	buffer_load_dword v128, off, s[0:3], 0 offset:444
	s_waitcnt vmcnt(32)
	v_fma_f64 v[115:116], v[133:134], v[117:118], v[115:116]
	s_waitcnt vmcnt(30) lgkmcnt(0)
	v_fma_f64 v[115:116], v[135:136], v[119:120], v[115:116]
	s_waitcnt vmcnt(25)
	v_fma_f64 v[131:132], v[137:138], v[121:122], v[115:116]
	ds_read_b128 v[115:118], v114 offset:784
	s_clause 0x1
	buffer_load_dword v133, off, s[0:3], 0 offset:264
	buffer_load_dword v134, off, s[0:3], 0 offset:268
	ds_read_b128 v[119:122], v114 offset:800
	s_waitcnt vmcnt(26) lgkmcnt(1)
	v_fma_f64 v[115:116], v[143:144], v[115:116], v[131:132]
	s_waitcnt vmcnt(25)
	v_fma_f64 v[115:116], v[141:142], v[117:118], v[115:116]
	s_waitcnt vmcnt(24) lgkmcnt(0)
	v_fma_f64 v[115:116], v[139:140], v[119:120], v[115:116]
	s_waitcnt vmcnt(19)
	v_fma_f64 v[131:132], v[145:146], v[121:122], v[115:116]
	ds_read_b128 v[115:118], v114 offset:816
	ds_read_b128 v[119:122], v114 offset:832
	s_waitcnt vmcnt(18) lgkmcnt(1)
	v_fma_f64 v[115:116], v[151:152], v[115:116], v[131:132]
	s_waitcnt vmcnt(17)
	v_fma_f64 v[115:116], v[149:150], v[117:118], v[115:116]
	s_waitcnt vmcnt(16) lgkmcnt(0)
	v_fma_f64 v[115:116], v[147:148], v[119:120], v[115:116]
	s_waitcnt vmcnt(11)
	v_fma_f64 v[123:124], v[123:124], v[121:122], v[115:116]
	ds_read_b128 v[115:118], v114 offset:848
	;; [unrolled: 10-line block ×3, first 2 shown]
	s_waitcnt vmcnt(3) lgkmcnt(0)
	v_fma_f64 v[114:115], v[129:130], v[114:115], v[118:119]
	s_waitcnt vmcnt(2)
	v_fma_f64 v[114:115], v[127:128], v[116:117], v[114:115]
	s_waitcnt vmcnt(0)
	v_add_f64 v[114:115], v[133:134], -v[114:115]
	buffer_store_dword v115, off, s[0:3], 0 offset:268
	buffer_store_dword v114, off, s[0:3], 0 offset:264
	v_cmpx_lt_u32_e32 32, v0
	s_cbranch_execz .LBB119_281
; %bb.280:
	s_clause 0x1
	buffer_load_dword v114, off, s[0:3], 0 offset:256
	buffer_load_dword v115, off, s[0:3], 0 offset:260
	v_mov_b32_e32 v116, 0
	buffer_store_dword v116, off, s[0:3], 0 offset:256
	buffer_store_dword v116, off, s[0:3], 0 offset:260
	s_waitcnt vmcnt(0)
	ds_write_b64 v113, v[114:115]
.LBB119_281:
	s_or_b32 exec_lo, exec_lo, s4
	s_waitcnt lgkmcnt(0)
	s_waitcnt_vscnt null, 0x0
	s_barrier
	buffer_gl0_inv
	s_clause 0x1c
	buffer_load_dword v123, off, s[0:3], 0 offset:264
	buffer_load_dword v124, off, s[0:3], 0 offset:268
	;; [unrolled: 1-line block ×29, first 2 shown]
	v_mov_b32_e32 v114, 0
	buffer_load_dword v148, off, s[0:3], 0 offset:380
	s_mov_b32 s4, exec_lo
	ds_read2_b64 v[115:118], v114 offset0:89 offset1:90
	ds_read2_b64 v[119:122], v114 offset0:91 offset1:92
	s_waitcnt vmcnt(28) lgkmcnt(1)
	v_fma_f64 v[115:116], v[123:124], v[115:116], 0
	s_clause 0x7
	buffer_load_dword v124, off, s[0:3], 0 offset:388
	buffer_load_dword v153, off, s[0:3], 0 offset:408
	;; [unrolled: 1-line block ×8, first 2 shown]
	s_waitcnt vmcnt(34)
	v_fma_f64 v[115:116], v[125:126], v[117:118], v[115:116]
	s_waitcnt vmcnt(32) lgkmcnt(0)
	v_fma_f64 v[115:116], v[127:128], v[119:120], v[115:116]
	s_waitcnt vmcnt(30)
	v_fma_f64 v[125:126], v[129:130], v[121:122], v[115:116]
	ds_read2_b64 v[115:118], v114 offset0:93 offset1:94
	ds_read2_b64 v[119:122], v114 offset0:95 offset1:96
	s_waitcnt vmcnt(28) lgkmcnt(1)
	v_fma_f64 v[115:116], v[131:132], v[115:116], v[125:126]
	s_clause 0x7
	buffer_load_dword v126, off, s[0:3], 0 offset:420
	buffer_load_dword v127, off, s[0:3], 0 offset:440
	;; [unrolled: 1-line block ×8, first 2 shown]
	s_waitcnt vmcnt(34)
	v_fma_f64 v[115:116], v[133:134], v[117:118], v[115:116]
	s_waitcnt vmcnt(32) lgkmcnt(0)
	v_fma_f64 v[115:116], v[135:136], v[119:120], v[115:116]
	s_waitcnt vmcnt(27)
	v_fma_f64 v[133:134], v[137:138], v[121:122], v[115:116]
	ds_read2_b64 v[115:118], v114 offset0:97 offset1:98
	ds_read2_b64 v[119:122], v114 offset0:99 offset1:100
	s_waitcnt vmcnt(26) lgkmcnt(1)
	v_fma_f64 v[115:116], v[143:144], v[115:116], v[133:134]
	s_clause 0x1
	buffer_load_dword v133, off, s[0:3], 0 offset:256
	buffer_load_dword v134, off, s[0:3], 0 offset:260
	s_waitcnt vmcnt(27)
	v_fma_f64 v[115:116], v[141:142], v[117:118], v[115:116]
	s_waitcnt vmcnt(26) lgkmcnt(0)
	v_fma_f64 v[115:116], v[139:140], v[119:120], v[115:116]
	s_waitcnt vmcnt(21)
	v_fma_f64 v[135:136], v[145:146], v[121:122], v[115:116]
	ds_read2_b64 v[115:118], v114 offset0:101 offset1:102
	ds_read2_b64 v[119:122], v114 offset0:103 offset1:104
	s_waitcnt vmcnt(20) lgkmcnt(1)
	v_fma_f64 v[115:116], v[151:152], v[115:116], v[135:136]
	s_waitcnt vmcnt(19)
	v_fma_f64 v[115:116], v[149:150], v[117:118], v[115:116]
	s_waitcnt vmcnt(18) lgkmcnt(0)
	v_fma_f64 v[115:116], v[147:148], v[119:120], v[115:116]
	s_waitcnt vmcnt(13)
	v_fma_f64 v[123:124], v[123:124], v[121:122], v[115:116]
	ds_read2_b64 v[115:118], v114 offset0:105 offset1:106
	ds_read2_b64 v[119:122], v114 offset0:107 offset1:108
	s_waitcnt vmcnt(12) lgkmcnt(1)
	v_fma_f64 v[115:116], v[157:158], v[115:116], v[123:124]
	s_waitcnt vmcnt(11)
	v_fma_f64 v[115:116], v[155:156], v[117:118], v[115:116]
	s_waitcnt vmcnt(10) lgkmcnt(0)
	v_fma_f64 v[115:116], v[153:154], v[119:120], v[115:116]
	s_waitcnt vmcnt(5)
	v_fma_f64 v[119:120], v[125:126], v[121:122], v[115:116]
	ds_read2_b64 v[115:118], v114 offset0:109 offset1:110
	ds_read_b64 v[121:122], v114 offset:888
	s_waitcnt vmcnt(4) lgkmcnt(1)
	v_fma_f64 v[115:116], v[131:132], v[115:116], v[119:120]
	s_waitcnt vmcnt(3)
	v_fma_f64 v[115:116], v[129:130], v[117:118], v[115:116]
	s_waitcnt vmcnt(2) lgkmcnt(0)
	v_fma_f64 v[115:116], v[127:128], v[121:122], v[115:116]
	s_waitcnt vmcnt(0)
	v_add_f64 v[115:116], v[133:134], -v[115:116]
	buffer_store_dword v116, off, s[0:3], 0 offset:260
	buffer_store_dword v115, off, s[0:3], 0 offset:256
	v_cmpx_lt_u32_e32 31, v0
	s_cbranch_execz .LBB119_283
; %bb.282:
	s_clause 0x1
	buffer_load_dword v115, off, s[0:3], 0 offset:248
	buffer_load_dword v116, off, s[0:3], 0 offset:252
	buffer_store_dword v114, off, s[0:3], 0 offset:248
	buffer_store_dword v114, off, s[0:3], 0 offset:252
	s_waitcnt vmcnt(0)
	ds_write_b64 v113, v[115:116]
.LBB119_283:
	s_or_b32 exec_lo, exec_lo, s4
	s_waitcnt lgkmcnt(0)
	s_waitcnt_vscnt null, 0x0
	s_barrier
	buffer_gl0_inv
	s_clause 0x1c
	buffer_load_dword v123, off, s[0:3], 0 offset:256
	buffer_load_dword v124, off, s[0:3], 0 offset:260
	buffer_load_dword v125, off, s[0:3], 0 offset:264
	buffer_load_dword v126, off, s[0:3], 0 offset:268
	buffer_load_dword v127, off, s[0:3], 0 offset:272
	buffer_load_dword v128, off, s[0:3], 0 offset:276
	buffer_load_dword v129, off, s[0:3], 0 offset:280
	buffer_load_dword v130, off, s[0:3], 0 offset:284
	buffer_load_dword v131, off, s[0:3], 0 offset:288
	buffer_load_dword v132, off, s[0:3], 0 offset:292
	buffer_load_dword v133, off, s[0:3], 0 offset:296
	buffer_load_dword v134, off, s[0:3], 0 offset:300
	buffer_load_dword v135, off, s[0:3], 0 offset:304
	buffer_load_dword v136, off, s[0:3], 0 offset:308
	buffer_load_dword v138, off, s[0:3], 0 offset:316
	buffer_load_dword v139, off, s[0:3], 0 offset:336
	buffer_load_dword v141, off, s[0:3], 0 offset:328
	buffer_load_dword v143, off, s[0:3], 0 offset:320
	buffer_load_dword v137, off, s[0:3], 0 offset:312
	buffer_load_dword v144, off, s[0:3], 0 offset:324
	buffer_load_dword v142, off, s[0:3], 0 offset:332
	buffer_load_dword v140, off, s[0:3], 0 offset:340
	buffer_load_dword v146, off, s[0:3], 0 offset:348
	buffer_load_dword v147, off, s[0:3], 0 offset:368
	buffer_load_dword v149, off, s[0:3], 0 offset:360
	buffer_load_dword v151, off, s[0:3], 0 offset:352
	buffer_load_dword v145, off, s[0:3], 0 offset:344
	buffer_load_dword v152, off, s[0:3], 0 offset:356
	buffer_load_dword v150, off, s[0:3], 0 offset:364
	ds_read_b128 v[115:118], v114 offset:704
	ds_read_b128 v[119:122], v114 offset:720
	buffer_load_dword v148, off, s[0:3], 0 offset:372
	s_mov_b32 s4, exec_lo
	s_waitcnt vmcnt(28) lgkmcnt(1)
	v_fma_f64 v[115:116], v[123:124], v[115:116], 0
	s_clause 0x7
	buffer_load_dword v124, off, s[0:3], 0 offset:380
	buffer_load_dword v153, off, s[0:3], 0 offset:400
	;; [unrolled: 1-line block ×8, first 2 shown]
	s_waitcnt vmcnt(34)
	v_fma_f64 v[115:116], v[125:126], v[117:118], v[115:116]
	s_waitcnt vmcnt(32) lgkmcnt(0)
	v_fma_f64 v[115:116], v[127:128], v[119:120], v[115:116]
	s_waitcnt vmcnt(30)
	v_fma_f64 v[125:126], v[129:130], v[121:122], v[115:116]
	ds_read_b128 v[115:118], v114 offset:736
	ds_read_b128 v[119:122], v114 offset:752
	s_waitcnt vmcnt(28) lgkmcnt(1)
	v_fma_f64 v[115:116], v[131:132], v[115:116], v[125:126]
	s_clause 0x7
	buffer_load_dword v126, off, s[0:3], 0 offset:412
	buffer_load_dword v127, off, s[0:3], 0 offset:432
	;; [unrolled: 1-line block ×8, first 2 shown]
	s_waitcnt vmcnt(34)
	v_fma_f64 v[115:116], v[133:134], v[117:118], v[115:116]
	s_waitcnt vmcnt(32) lgkmcnt(0)
	v_fma_f64 v[115:116], v[135:136], v[119:120], v[115:116]
	s_waitcnt vmcnt(27)
	v_fma_f64 v[133:134], v[137:138], v[121:122], v[115:116]
	ds_read_b128 v[115:118], v114 offset:768
	ds_read_b128 v[119:122], v114 offset:784
	s_waitcnt vmcnt(26) lgkmcnt(1)
	v_fma_f64 v[115:116], v[143:144], v[115:116], v[133:134]
	s_clause 0x3
	buffer_load_dword v134, off, s[0:3], 0 offset:444
	buffer_load_dword v133, off, s[0:3], 0 offset:440
	;; [unrolled: 1-line block ×4, first 2 shown]
	s_waitcnt vmcnt(29)
	v_fma_f64 v[115:116], v[141:142], v[117:118], v[115:116]
	s_waitcnt vmcnt(28) lgkmcnt(0)
	v_fma_f64 v[115:116], v[139:140], v[119:120], v[115:116]
	s_waitcnt vmcnt(23)
	v_fma_f64 v[137:138], v[145:146], v[121:122], v[115:116]
	ds_read_b128 v[115:118], v114 offset:800
	ds_read_b128 v[119:122], v114 offset:816
	s_waitcnt vmcnt(22) lgkmcnt(1)
	v_fma_f64 v[115:116], v[151:152], v[115:116], v[137:138]
	s_waitcnt vmcnt(21)
	v_fma_f64 v[115:116], v[149:150], v[117:118], v[115:116]
	s_waitcnt vmcnt(20) lgkmcnt(0)
	v_fma_f64 v[115:116], v[147:148], v[119:120], v[115:116]
	s_waitcnt vmcnt(15)
	v_fma_f64 v[123:124], v[123:124], v[121:122], v[115:116]
	ds_read_b128 v[115:118], v114 offset:832
	ds_read_b128 v[119:122], v114 offset:848
	s_waitcnt vmcnt(14) lgkmcnt(1)
	v_fma_f64 v[115:116], v[157:158], v[115:116], v[123:124]
	;; [unrolled: 10-line block ×3, first 2 shown]
	s_waitcnt vmcnt(5)
	v_fma_f64 v[114:115], v[129:130], v[117:118], v[114:115]
	s_waitcnt vmcnt(4) lgkmcnt(0)
	v_fma_f64 v[114:115], v[127:128], v[119:120], v[114:115]
	s_waitcnt vmcnt(2)
	v_fma_f64 v[114:115], v[133:134], v[121:122], v[114:115]
	s_waitcnt vmcnt(0)
	v_add_f64 v[114:115], v[135:136], -v[114:115]
	buffer_store_dword v115, off, s[0:3], 0 offset:252
	buffer_store_dword v114, off, s[0:3], 0 offset:248
	v_cmpx_lt_u32_e32 30, v0
	s_cbranch_execz .LBB119_285
; %bb.284:
	s_clause 0x1
	buffer_load_dword v114, off, s[0:3], 0 offset:240
	buffer_load_dword v115, off, s[0:3], 0 offset:244
	v_mov_b32_e32 v116, 0
	buffer_store_dword v116, off, s[0:3], 0 offset:240
	buffer_store_dword v116, off, s[0:3], 0 offset:244
	s_waitcnt vmcnt(0)
	ds_write_b64 v113, v[114:115]
.LBB119_285:
	s_or_b32 exec_lo, exec_lo, s4
	s_waitcnt lgkmcnt(0)
	s_waitcnt_vscnt null, 0x0
	s_barrier
	buffer_gl0_inv
	s_clause 0x1c
	buffer_load_dword v123, off, s[0:3], 0 offset:248
	buffer_load_dword v124, off, s[0:3], 0 offset:252
	;; [unrolled: 1-line block ×29, first 2 shown]
	v_mov_b32_e32 v114, 0
	buffer_load_dword v148, off, s[0:3], 0 offset:364
	s_mov_b32 s4, exec_lo
	ds_read2_b64 v[115:118], v114 offset0:87 offset1:88
	ds_read2_b64 v[119:122], v114 offset0:89 offset1:90
	s_waitcnt vmcnt(28) lgkmcnt(1)
	v_fma_f64 v[115:116], v[123:124], v[115:116], 0
	s_clause 0x7
	buffer_load_dword v124, off, s[0:3], 0 offset:372
	buffer_load_dword v153, off, s[0:3], 0 offset:392
	;; [unrolled: 1-line block ×8, first 2 shown]
	s_waitcnt vmcnt(34)
	v_fma_f64 v[115:116], v[125:126], v[117:118], v[115:116]
	s_waitcnt vmcnt(32) lgkmcnt(0)
	v_fma_f64 v[115:116], v[127:128], v[119:120], v[115:116]
	s_waitcnt vmcnt(30)
	v_fma_f64 v[125:126], v[129:130], v[121:122], v[115:116]
	ds_read2_b64 v[115:118], v114 offset0:91 offset1:92
	ds_read2_b64 v[119:122], v114 offset0:93 offset1:94
	s_waitcnt vmcnt(28) lgkmcnt(1)
	v_fma_f64 v[115:116], v[131:132], v[115:116], v[125:126]
	s_clause 0x7
	buffer_load_dword v126, off, s[0:3], 0 offset:404
	buffer_load_dword v127, off, s[0:3], 0 offset:424
	;; [unrolled: 1-line block ×8, first 2 shown]
	s_waitcnt vmcnt(34)
	v_fma_f64 v[115:116], v[133:134], v[117:118], v[115:116]
	s_waitcnt vmcnt(32) lgkmcnt(0)
	v_fma_f64 v[115:116], v[135:136], v[119:120], v[115:116]
	s_waitcnt vmcnt(27)
	v_fma_f64 v[133:134], v[137:138], v[121:122], v[115:116]
	ds_read2_b64 v[115:118], v114 offset0:95 offset1:96
	ds_read2_b64 v[119:122], v114 offset0:97 offset1:98
	s_waitcnt vmcnt(26) lgkmcnt(1)
	v_fma_f64 v[115:116], v[143:144], v[115:116], v[133:134]
	s_clause 0x5
	buffer_load_dword v134, off, s[0:3], 0 offset:436
	buffer_load_dword v135, off, s[0:3], 0 offset:440
	;; [unrolled: 1-line block ×6, first 2 shown]
	s_waitcnt vmcnt(31)
	v_fma_f64 v[115:116], v[141:142], v[117:118], v[115:116]
	s_waitcnt vmcnt(30) lgkmcnt(0)
	v_fma_f64 v[115:116], v[139:140], v[119:120], v[115:116]
	s_waitcnt vmcnt(25)
	v_fma_f64 v[139:140], v[145:146], v[121:122], v[115:116]
	ds_read2_b64 v[115:118], v114 offset0:99 offset1:100
	ds_read2_b64 v[119:122], v114 offset0:101 offset1:102
	s_waitcnt vmcnt(24) lgkmcnt(1)
	v_fma_f64 v[115:116], v[151:152], v[115:116], v[139:140]
	s_waitcnt vmcnt(23)
	v_fma_f64 v[115:116], v[149:150], v[117:118], v[115:116]
	s_waitcnt vmcnt(22) lgkmcnt(0)
	v_fma_f64 v[115:116], v[147:148], v[119:120], v[115:116]
	s_waitcnt vmcnt(17)
	v_fma_f64 v[123:124], v[123:124], v[121:122], v[115:116]
	ds_read2_b64 v[115:118], v114 offset0:103 offset1:104
	ds_read2_b64 v[119:122], v114 offset0:105 offset1:106
	s_waitcnt vmcnt(16) lgkmcnt(1)
	v_fma_f64 v[115:116], v[157:158], v[115:116], v[123:124]
	;; [unrolled: 10-line block ×3, first 2 shown]
	s_waitcnt vmcnt(7)
	v_fma_f64 v[115:116], v[129:130], v[117:118], v[115:116]
	ds_read_b64 v[117:118], v114 offset:888
	s_waitcnt vmcnt(6) lgkmcnt(1)
	v_fma_f64 v[115:116], v[127:128], v[119:120], v[115:116]
	s_waitcnt vmcnt(3)
	v_fma_f64 v[115:116], v[133:134], v[121:122], v[115:116]
	s_waitcnt vmcnt(2) lgkmcnt(0)
	v_fma_f64 v[115:116], v[135:136], v[117:118], v[115:116]
	s_waitcnt vmcnt(0)
	v_add_f64 v[115:116], v[137:138], -v[115:116]
	buffer_store_dword v116, off, s[0:3], 0 offset:244
	buffer_store_dword v115, off, s[0:3], 0 offset:240
	v_cmpx_lt_u32_e32 29, v0
	s_cbranch_execz .LBB119_287
; %bb.286:
	s_clause 0x1
	buffer_load_dword v115, off, s[0:3], 0 offset:232
	buffer_load_dword v116, off, s[0:3], 0 offset:236
	buffer_store_dword v114, off, s[0:3], 0 offset:232
	buffer_store_dword v114, off, s[0:3], 0 offset:236
	s_waitcnt vmcnt(0)
	ds_write_b64 v113, v[115:116]
.LBB119_287:
	s_or_b32 exec_lo, exec_lo, s4
	s_waitcnt lgkmcnt(0)
	s_waitcnt_vscnt null, 0x0
	s_barrier
	buffer_gl0_inv
	s_clause 0x1c
	buffer_load_dword v123, off, s[0:3], 0 offset:240
	buffer_load_dword v124, off, s[0:3], 0 offset:244
	;; [unrolled: 1-line block ×29, first 2 shown]
	ds_read_b128 v[115:118], v114 offset:688
	ds_read_b128 v[119:122], v114 offset:704
	buffer_load_dword v148, off, s[0:3], 0 offset:356
	s_mov_b32 s4, exec_lo
	s_waitcnt vmcnt(28) lgkmcnt(1)
	v_fma_f64 v[115:116], v[123:124], v[115:116], 0
	s_clause 0x7
	buffer_load_dword v124, off, s[0:3], 0 offset:364
	buffer_load_dword v153, off, s[0:3], 0 offset:384
	;; [unrolled: 1-line block ×8, first 2 shown]
	s_waitcnt vmcnt(34)
	v_fma_f64 v[115:116], v[125:126], v[117:118], v[115:116]
	s_waitcnt vmcnt(32) lgkmcnt(0)
	v_fma_f64 v[115:116], v[127:128], v[119:120], v[115:116]
	s_waitcnt vmcnt(30)
	v_fma_f64 v[125:126], v[129:130], v[121:122], v[115:116]
	ds_read_b128 v[115:118], v114 offset:720
	ds_read_b128 v[119:122], v114 offset:736
	s_waitcnt vmcnt(28) lgkmcnt(1)
	v_fma_f64 v[115:116], v[131:132], v[115:116], v[125:126]
	s_clause 0x7
	buffer_load_dword v126, off, s[0:3], 0 offset:396
	buffer_load_dword v127, off, s[0:3], 0 offset:416
	;; [unrolled: 1-line block ×8, first 2 shown]
	s_waitcnt vmcnt(34)
	v_fma_f64 v[115:116], v[133:134], v[117:118], v[115:116]
	s_waitcnt vmcnt(32) lgkmcnt(0)
	v_fma_f64 v[115:116], v[135:136], v[119:120], v[115:116]
	s_waitcnt vmcnt(27)
	v_fma_f64 v[133:134], v[137:138], v[121:122], v[115:116]
	ds_read_b128 v[115:118], v114 offset:752
	ds_read_b128 v[119:122], v114 offset:768
	s_waitcnt vmcnt(26) lgkmcnt(1)
	v_fma_f64 v[115:116], v[143:144], v[115:116], v[133:134]
	s_clause 0x5
	buffer_load_dword v134, off, s[0:3], 0 offset:428
	buffer_load_dword v135, off, s[0:3], 0 offset:440
	;; [unrolled: 1-line block ×6, first 2 shown]
	s_waitcnt vmcnt(31)
	v_fma_f64 v[115:116], v[141:142], v[117:118], v[115:116]
	s_waitcnt vmcnt(30) lgkmcnt(0)
	v_fma_f64 v[115:116], v[139:140], v[119:120], v[115:116]
	s_waitcnt vmcnt(25)
	v_fma_f64 v[139:140], v[145:146], v[121:122], v[115:116]
	ds_read_b128 v[115:118], v114 offset:784
	s_clause 0x1
	buffer_load_dword v141, off, s[0:3], 0 offset:232
	buffer_load_dword v142, off, s[0:3], 0 offset:236
	ds_read_b128 v[119:122], v114 offset:800
	s_waitcnt vmcnt(26) lgkmcnt(1)
	v_fma_f64 v[115:116], v[151:152], v[115:116], v[139:140]
	s_waitcnt vmcnt(25)
	v_fma_f64 v[115:116], v[149:150], v[117:118], v[115:116]
	s_waitcnt vmcnt(24) lgkmcnt(0)
	v_fma_f64 v[115:116], v[147:148], v[119:120], v[115:116]
	s_waitcnt vmcnt(19)
	v_fma_f64 v[123:124], v[123:124], v[121:122], v[115:116]
	ds_read_b128 v[115:118], v114 offset:816
	ds_read_b128 v[119:122], v114 offset:832
	s_waitcnt vmcnt(18) lgkmcnt(1)
	v_fma_f64 v[115:116], v[157:158], v[115:116], v[123:124]
	s_waitcnt vmcnt(17)
	v_fma_f64 v[115:116], v[155:156], v[117:118], v[115:116]
	s_waitcnt vmcnt(16) lgkmcnt(0)
	v_fma_f64 v[115:116], v[153:154], v[119:120], v[115:116]
	s_waitcnt vmcnt(11)
	v_fma_f64 v[123:124], v[125:126], v[121:122], v[115:116]
	ds_read_b128 v[115:118], v114 offset:848
	;; [unrolled: 10-line block ×3, first 2 shown]
	s_waitcnt vmcnt(3) lgkmcnt(0)
	v_fma_f64 v[114:115], v[137:138], v[114:115], v[118:119]
	s_waitcnt vmcnt(2)
	v_fma_f64 v[114:115], v[135:136], v[116:117], v[114:115]
	s_waitcnt vmcnt(0)
	v_add_f64 v[114:115], v[141:142], -v[114:115]
	buffer_store_dword v115, off, s[0:3], 0 offset:236
	buffer_store_dword v114, off, s[0:3], 0 offset:232
	v_cmpx_lt_u32_e32 28, v0
	s_cbranch_execz .LBB119_289
; %bb.288:
	s_clause 0x1
	buffer_load_dword v114, off, s[0:3], 0 offset:224
	buffer_load_dword v115, off, s[0:3], 0 offset:228
	v_mov_b32_e32 v116, 0
	buffer_store_dword v116, off, s[0:3], 0 offset:224
	buffer_store_dword v116, off, s[0:3], 0 offset:228
	s_waitcnt vmcnt(0)
	ds_write_b64 v113, v[114:115]
.LBB119_289:
	s_or_b32 exec_lo, exec_lo, s4
	s_waitcnt lgkmcnt(0)
	s_waitcnt_vscnt null, 0x0
	s_barrier
	buffer_gl0_inv
	s_clause 0x1c
	buffer_load_dword v123, off, s[0:3], 0 offset:232
	buffer_load_dword v124, off, s[0:3], 0 offset:236
	;; [unrolled: 1-line block ×29, first 2 shown]
	v_mov_b32_e32 v114, 0
	buffer_load_dword v148, off, s[0:3], 0 offset:348
	s_mov_b32 s4, exec_lo
	ds_read2_b64 v[115:118], v114 offset0:85 offset1:86
	ds_read2_b64 v[119:122], v114 offset0:87 offset1:88
	s_waitcnt vmcnt(28) lgkmcnt(1)
	v_fma_f64 v[115:116], v[123:124], v[115:116], 0
	s_clause 0x7
	buffer_load_dword v124, off, s[0:3], 0 offset:356
	buffer_load_dword v153, off, s[0:3], 0 offset:376
	buffer_load_dword v155, off, s[0:3], 0 offset:368
	buffer_load_dword v157, off, s[0:3], 0 offset:360
	buffer_load_dword v123, off, s[0:3], 0 offset:352
	buffer_load_dword v158, off, s[0:3], 0 offset:364
	buffer_load_dword v156, off, s[0:3], 0 offset:372
	buffer_load_dword v154, off, s[0:3], 0 offset:380
	s_waitcnt vmcnt(34)
	v_fma_f64 v[115:116], v[125:126], v[117:118], v[115:116]
	s_waitcnt vmcnt(32) lgkmcnt(0)
	v_fma_f64 v[115:116], v[127:128], v[119:120], v[115:116]
	s_waitcnt vmcnt(30)
	v_fma_f64 v[125:126], v[129:130], v[121:122], v[115:116]
	ds_read2_b64 v[115:118], v114 offset0:89 offset1:90
	ds_read2_b64 v[119:122], v114 offset0:91 offset1:92
	s_waitcnt vmcnt(28) lgkmcnt(1)
	v_fma_f64 v[115:116], v[131:132], v[115:116], v[125:126]
	s_clause 0x7
	buffer_load_dword v126, off, s[0:3], 0 offset:388
	buffer_load_dword v127, off, s[0:3], 0 offset:408
	buffer_load_dword v129, off, s[0:3], 0 offset:400
	buffer_load_dword v131, off, s[0:3], 0 offset:392
	buffer_load_dword v125, off, s[0:3], 0 offset:384
	buffer_load_dword v132, off, s[0:3], 0 offset:396
	buffer_load_dword v130, off, s[0:3], 0 offset:404
	buffer_load_dword v128, off, s[0:3], 0 offset:412
	s_waitcnt vmcnt(34)
	v_fma_f64 v[115:116], v[133:134], v[117:118], v[115:116]
	s_waitcnt vmcnt(32) lgkmcnt(0)
	v_fma_f64 v[115:116], v[135:136], v[119:120], v[115:116]
	s_waitcnt vmcnt(27)
	v_fma_f64 v[133:134], v[137:138], v[121:122], v[115:116]
	;; [unrolled: 19-line block ×3, first 2 shown]
	ds_read2_b64 v[115:118], v114 offset0:97 offset1:98
	ds_read2_b64 v[119:122], v114 offset0:99 offset1:100
	s_waitcnt vmcnt(26) lgkmcnt(1)
	v_fma_f64 v[115:116], v[151:152], v[115:116], v[139:140]
	s_clause 0x1
	buffer_load_dword v139, off, s[0:3], 0 offset:224
	buffer_load_dword v140, off, s[0:3], 0 offset:228
	s_waitcnt vmcnt(27)
	v_fma_f64 v[115:116], v[149:150], v[117:118], v[115:116]
	s_waitcnt vmcnt(26) lgkmcnt(0)
	v_fma_f64 v[115:116], v[147:148], v[119:120], v[115:116]
	s_waitcnt vmcnt(21)
	v_fma_f64 v[123:124], v[123:124], v[121:122], v[115:116]
	ds_read2_b64 v[115:118], v114 offset0:101 offset1:102
	ds_read2_b64 v[119:122], v114 offset0:103 offset1:104
	s_waitcnt vmcnt(20) lgkmcnt(1)
	v_fma_f64 v[115:116], v[157:158], v[115:116], v[123:124]
	s_waitcnt vmcnt(19)
	v_fma_f64 v[115:116], v[155:156], v[117:118], v[115:116]
	s_waitcnt vmcnt(18) lgkmcnt(0)
	v_fma_f64 v[115:116], v[153:154], v[119:120], v[115:116]
	s_waitcnt vmcnt(13)
	v_fma_f64 v[123:124], v[125:126], v[121:122], v[115:116]
	ds_read2_b64 v[115:118], v114 offset0:105 offset1:106
	ds_read2_b64 v[119:122], v114 offset0:107 offset1:108
	s_waitcnt vmcnt(12) lgkmcnt(1)
	v_fma_f64 v[115:116], v[131:132], v[115:116], v[123:124]
	s_waitcnt vmcnt(11)
	v_fma_f64 v[115:116], v[129:130], v[117:118], v[115:116]
	s_waitcnt vmcnt(10) lgkmcnt(0)
	v_fma_f64 v[115:116], v[127:128], v[119:120], v[115:116]
	s_waitcnt vmcnt(5)
	v_fma_f64 v[119:120], v[133:134], v[121:122], v[115:116]
	ds_read2_b64 v[115:118], v114 offset0:109 offset1:110
	ds_read_b64 v[121:122], v114 offset:888
	s_waitcnt vmcnt(4) lgkmcnt(1)
	v_fma_f64 v[115:116], v[143:144], v[115:116], v[119:120]
	s_waitcnt vmcnt(3)
	v_fma_f64 v[115:116], v[137:138], v[117:118], v[115:116]
	s_waitcnt vmcnt(2) lgkmcnt(0)
	v_fma_f64 v[115:116], v[135:136], v[121:122], v[115:116]
	s_waitcnt vmcnt(0)
	v_add_f64 v[115:116], v[139:140], -v[115:116]
	buffer_store_dword v116, off, s[0:3], 0 offset:228
	buffer_store_dword v115, off, s[0:3], 0 offset:224
	v_cmpx_lt_u32_e32 27, v0
	s_cbranch_execz .LBB119_291
; %bb.290:
	s_clause 0x1
	buffer_load_dword v115, off, s[0:3], 0 offset:216
	buffer_load_dword v116, off, s[0:3], 0 offset:220
	buffer_store_dword v114, off, s[0:3], 0 offset:216
	buffer_store_dword v114, off, s[0:3], 0 offset:220
	s_waitcnt vmcnt(0)
	ds_write_b64 v113, v[115:116]
.LBB119_291:
	s_or_b32 exec_lo, exec_lo, s4
	s_waitcnt lgkmcnt(0)
	s_waitcnt_vscnt null, 0x0
	s_barrier
	buffer_gl0_inv
	s_clause 0x1c
	buffer_load_dword v123, off, s[0:3], 0 offset:224
	buffer_load_dword v124, off, s[0:3], 0 offset:228
	;; [unrolled: 1-line block ×29, first 2 shown]
	ds_read_b128 v[115:118], v114 offset:672
	ds_read_b128 v[119:122], v114 offset:688
	buffer_load_dword v148, off, s[0:3], 0 offset:340
	s_mov_b32 s4, exec_lo
	s_waitcnt vmcnt(28) lgkmcnt(1)
	v_fma_f64 v[115:116], v[123:124], v[115:116], 0
	s_clause 0x7
	buffer_load_dword v124, off, s[0:3], 0 offset:348
	buffer_load_dword v153, off, s[0:3], 0 offset:368
	buffer_load_dword v155, off, s[0:3], 0 offset:360
	buffer_load_dword v157, off, s[0:3], 0 offset:352
	buffer_load_dword v123, off, s[0:3], 0 offset:344
	buffer_load_dword v158, off, s[0:3], 0 offset:356
	buffer_load_dword v156, off, s[0:3], 0 offset:364
	buffer_load_dword v154, off, s[0:3], 0 offset:372
	s_waitcnt vmcnt(34)
	v_fma_f64 v[115:116], v[125:126], v[117:118], v[115:116]
	s_waitcnt vmcnt(32) lgkmcnt(0)
	v_fma_f64 v[115:116], v[127:128], v[119:120], v[115:116]
	s_waitcnt vmcnt(30)
	v_fma_f64 v[125:126], v[129:130], v[121:122], v[115:116]
	ds_read_b128 v[115:118], v114 offset:704
	ds_read_b128 v[119:122], v114 offset:720
	s_waitcnt vmcnt(28) lgkmcnt(1)
	v_fma_f64 v[115:116], v[131:132], v[115:116], v[125:126]
	s_clause 0x7
	buffer_load_dword v126, off, s[0:3], 0 offset:380
	buffer_load_dword v127, off, s[0:3], 0 offset:400
	buffer_load_dword v129, off, s[0:3], 0 offset:392
	buffer_load_dword v131, off, s[0:3], 0 offset:384
	buffer_load_dword v125, off, s[0:3], 0 offset:376
	buffer_load_dword v132, off, s[0:3], 0 offset:388
	buffer_load_dword v130, off, s[0:3], 0 offset:396
	buffer_load_dword v128, off, s[0:3], 0 offset:404
	s_waitcnt vmcnt(34)
	v_fma_f64 v[115:116], v[133:134], v[117:118], v[115:116]
	s_waitcnt vmcnt(32) lgkmcnt(0)
	v_fma_f64 v[115:116], v[135:136], v[119:120], v[115:116]
	s_waitcnt vmcnt(27)
	v_fma_f64 v[133:134], v[137:138], v[121:122], v[115:116]
	ds_read_b128 v[115:118], v114 offset:736
	ds_read_b128 v[119:122], v114 offset:752
	;; [unrolled: 19-line block ×3, first 2 shown]
	s_waitcnt vmcnt(26) lgkmcnt(1)
	v_fma_f64 v[115:116], v[151:152], v[115:116], v[139:140]
	s_clause 0x3
	buffer_load_dword v140, off, s[0:3], 0 offset:444
	buffer_load_dword v139, off, s[0:3], 0 offset:440
	;; [unrolled: 1-line block ×4, first 2 shown]
	s_waitcnt vmcnt(29)
	v_fma_f64 v[115:116], v[149:150], v[117:118], v[115:116]
	s_waitcnt vmcnt(28) lgkmcnt(0)
	v_fma_f64 v[115:116], v[147:148], v[119:120], v[115:116]
	s_waitcnt vmcnt(23)
	v_fma_f64 v[123:124], v[123:124], v[121:122], v[115:116]
	ds_read_b128 v[115:118], v114 offset:800
	ds_read_b128 v[119:122], v114 offset:816
	s_waitcnt vmcnt(22) lgkmcnt(1)
	v_fma_f64 v[115:116], v[157:158], v[115:116], v[123:124]
	s_waitcnt vmcnt(21)
	v_fma_f64 v[115:116], v[155:156], v[117:118], v[115:116]
	s_waitcnt vmcnt(20) lgkmcnt(0)
	v_fma_f64 v[115:116], v[153:154], v[119:120], v[115:116]
	s_waitcnt vmcnt(15)
	v_fma_f64 v[123:124], v[125:126], v[121:122], v[115:116]
	ds_read_b128 v[115:118], v114 offset:832
	ds_read_b128 v[119:122], v114 offset:848
	s_waitcnt vmcnt(14) lgkmcnt(1)
	v_fma_f64 v[115:116], v[131:132], v[115:116], v[123:124]
	;; [unrolled: 10-line block ×3, first 2 shown]
	s_waitcnt vmcnt(5)
	v_fma_f64 v[114:115], v[137:138], v[117:118], v[114:115]
	s_waitcnt vmcnt(4) lgkmcnt(0)
	v_fma_f64 v[114:115], v[135:136], v[119:120], v[114:115]
	s_waitcnt vmcnt(2)
	v_fma_f64 v[114:115], v[139:140], v[121:122], v[114:115]
	s_waitcnt vmcnt(0)
	v_add_f64 v[114:115], v[141:142], -v[114:115]
	buffer_store_dword v115, off, s[0:3], 0 offset:220
	buffer_store_dword v114, off, s[0:3], 0 offset:216
	v_cmpx_lt_u32_e32 26, v0
	s_cbranch_execz .LBB119_293
; %bb.292:
	s_clause 0x1
	buffer_load_dword v114, off, s[0:3], 0 offset:208
	buffer_load_dword v115, off, s[0:3], 0 offset:212
	v_mov_b32_e32 v116, 0
	buffer_store_dword v116, off, s[0:3], 0 offset:208
	buffer_store_dword v116, off, s[0:3], 0 offset:212
	s_waitcnt vmcnt(0)
	ds_write_b64 v113, v[114:115]
.LBB119_293:
	s_or_b32 exec_lo, exec_lo, s4
	s_waitcnt lgkmcnt(0)
	s_waitcnt_vscnt null, 0x0
	s_barrier
	buffer_gl0_inv
	s_clause 0x1c
	buffer_load_dword v123, off, s[0:3], 0 offset:216
	buffer_load_dword v124, off, s[0:3], 0 offset:220
	;; [unrolled: 1-line block ×29, first 2 shown]
	v_mov_b32_e32 v114, 0
	buffer_load_dword v148, off, s[0:3], 0 offset:332
	s_mov_b32 s4, exec_lo
	ds_read2_b64 v[115:118], v114 offset0:83 offset1:84
	ds_read2_b64 v[119:122], v114 offset0:85 offset1:86
	s_waitcnt vmcnt(28) lgkmcnt(1)
	v_fma_f64 v[115:116], v[123:124], v[115:116], 0
	s_clause 0x7
	buffer_load_dword v124, off, s[0:3], 0 offset:340
	buffer_load_dword v153, off, s[0:3], 0 offset:360
	buffer_load_dword v155, off, s[0:3], 0 offset:352
	buffer_load_dword v157, off, s[0:3], 0 offset:344
	buffer_load_dword v123, off, s[0:3], 0 offset:336
	buffer_load_dword v158, off, s[0:3], 0 offset:348
	buffer_load_dword v156, off, s[0:3], 0 offset:356
	buffer_load_dword v154, off, s[0:3], 0 offset:364
	s_waitcnt vmcnt(34)
	v_fma_f64 v[115:116], v[125:126], v[117:118], v[115:116]
	s_waitcnt vmcnt(32) lgkmcnt(0)
	v_fma_f64 v[115:116], v[127:128], v[119:120], v[115:116]
	s_waitcnt vmcnt(30)
	v_fma_f64 v[125:126], v[129:130], v[121:122], v[115:116]
	ds_read2_b64 v[115:118], v114 offset0:87 offset1:88
	ds_read2_b64 v[119:122], v114 offset0:89 offset1:90
	s_waitcnt vmcnt(28) lgkmcnt(1)
	v_fma_f64 v[115:116], v[131:132], v[115:116], v[125:126]
	s_clause 0x7
	buffer_load_dword v126, off, s[0:3], 0 offset:372
	buffer_load_dword v127, off, s[0:3], 0 offset:392
	buffer_load_dword v129, off, s[0:3], 0 offset:384
	buffer_load_dword v131, off, s[0:3], 0 offset:376
	buffer_load_dword v125, off, s[0:3], 0 offset:368
	buffer_load_dword v132, off, s[0:3], 0 offset:380
	buffer_load_dword v130, off, s[0:3], 0 offset:388
	buffer_load_dword v128, off, s[0:3], 0 offset:396
	s_waitcnt vmcnt(34)
	v_fma_f64 v[115:116], v[133:134], v[117:118], v[115:116]
	s_waitcnt vmcnt(32) lgkmcnt(0)
	v_fma_f64 v[115:116], v[135:136], v[119:120], v[115:116]
	s_waitcnt vmcnt(27)
	v_fma_f64 v[133:134], v[137:138], v[121:122], v[115:116]
	;; [unrolled: 19-line block ×3, first 2 shown]
	ds_read2_b64 v[115:118], v114 offset0:95 offset1:96
	ds_read2_b64 v[119:122], v114 offset0:97 offset1:98
	s_waitcnt vmcnt(26) lgkmcnt(1)
	v_fma_f64 v[115:116], v[151:152], v[115:116], v[139:140]
	s_clause 0x5
	buffer_load_dword v140, off, s[0:3], 0 offset:436
	buffer_load_dword v141, off, s[0:3], 0 offset:440
	;; [unrolled: 1-line block ×6, first 2 shown]
	s_waitcnt vmcnt(31)
	v_fma_f64 v[115:116], v[149:150], v[117:118], v[115:116]
	s_waitcnt vmcnt(30) lgkmcnt(0)
	v_fma_f64 v[115:116], v[147:148], v[119:120], v[115:116]
	s_waitcnt vmcnt(25)
	v_fma_f64 v[123:124], v[123:124], v[121:122], v[115:116]
	ds_read2_b64 v[115:118], v114 offset0:99 offset1:100
	ds_read2_b64 v[119:122], v114 offset0:101 offset1:102
	s_waitcnt vmcnt(24) lgkmcnt(1)
	v_fma_f64 v[115:116], v[157:158], v[115:116], v[123:124]
	s_waitcnt vmcnt(23)
	v_fma_f64 v[115:116], v[155:156], v[117:118], v[115:116]
	s_waitcnt vmcnt(22) lgkmcnt(0)
	v_fma_f64 v[115:116], v[153:154], v[119:120], v[115:116]
	s_waitcnt vmcnt(17)
	v_fma_f64 v[123:124], v[125:126], v[121:122], v[115:116]
	ds_read2_b64 v[115:118], v114 offset0:103 offset1:104
	ds_read2_b64 v[119:122], v114 offset0:105 offset1:106
	s_waitcnt vmcnt(16) lgkmcnt(1)
	v_fma_f64 v[115:116], v[131:132], v[115:116], v[123:124]
	;; [unrolled: 10-line block ×3, first 2 shown]
	s_waitcnt vmcnt(7)
	v_fma_f64 v[115:116], v[137:138], v[117:118], v[115:116]
	ds_read_b64 v[117:118], v114 offset:888
	s_waitcnt vmcnt(6) lgkmcnt(1)
	v_fma_f64 v[115:116], v[135:136], v[119:120], v[115:116]
	s_waitcnt vmcnt(3)
	v_fma_f64 v[115:116], v[139:140], v[121:122], v[115:116]
	s_waitcnt vmcnt(2) lgkmcnt(0)
	v_fma_f64 v[115:116], v[141:142], v[117:118], v[115:116]
	s_waitcnt vmcnt(0)
	v_add_f64 v[115:116], v[145:146], -v[115:116]
	buffer_store_dword v116, off, s[0:3], 0 offset:212
	buffer_store_dword v115, off, s[0:3], 0 offset:208
	v_cmpx_lt_u32_e32 25, v0
	s_cbranch_execz .LBB119_295
; %bb.294:
	s_clause 0x1
	buffer_load_dword v115, off, s[0:3], 0 offset:200
	buffer_load_dword v116, off, s[0:3], 0 offset:204
	buffer_store_dword v114, off, s[0:3], 0 offset:200
	buffer_store_dword v114, off, s[0:3], 0 offset:204
	s_waitcnt vmcnt(0)
	ds_write_b64 v113, v[115:116]
.LBB119_295:
	s_or_b32 exec_lo, exec_lo, s4
	s_waitcnt lgkmcnt(0)
	s_waitcnt_vscnt null, 0x0
	s_barrier
	buffer_gl0_inv
	s_clause 0x1c
	buffer_load_dword v123, off, s[0:3], 0 offset:208
	buffer_load_dword v124, off, s[0:3], 0 offset:212
	;; [unrolled: 1-line block ×29, first 2 shown]
	ds_read_b128 v[115:118], v114 offset:656
	ds_read_b128 v[119:122], v114 offset:672
	buffer_load_dword v148, off, s[0:3], 0 offset:324
	s_mov_b32 s4, exec_lo
	s_waitcnt vmcnt(28) lgkmcnt(1)
	v_fma_f64 v[115:116], v[123:124], v[115:116], 0
	s_clause 0x7
	buffer_load_dword v124, off, s[0:3], 0 offset:332
	buffer_load_dword v153, off, s[0:3], 0 offset:352
	buffer_load_dword v155, off, s[0:3], 0 offset:344
	buffer_load_dword v157, off, s[0:3], 0 offset:336
	buffer_load_dword v123, off, s[0:3], 0 offset:328
	buffer_load_dword v158, off, s[0:3], 0 offset:340
	buffer_load_dword v156, off, s[0:3], 0 offset:348
	buffer_load_dword v154, off, s[0:3], 0 offset:356
	s_waitcnt vmcnt(34)
	v_fma_f64 v[115:116], v[125:126], v[117:118], v[115:116]
	s_waitcnt vmcnt(32) lgkmcnt(0)
	v_fma_f64 v[115:116], v[127:128], v[119:120], v[115:116]
	s_waitcnt vmcnt(30)
	v_fma_f64 v[125:126], v[129:130], v[121:122], v[115:116]
	ds_read_b128 v[115:118], v114 offset:688
	ds_read_b128 v[119:122], v114 offset:704
	s_waitcnt vmcnt(28) lgkmcnt(1)
	v_fma_f64 v[115:116], v[131:132], v[115:116], v[125:126]
	s_clause 0x7
	buffer_load_dword v126, off, s[0:3], 0 offset:364
	buffer_load_dword v127, off, s[0:3], 0 offset:384
	buffer_load_dword v129, off, s[0:3], 0 offset:376
	buffer_load_dword v131, off, s[0:3], 0 offset:368
	buffer_load_dword v125, off, s[0:3], 0 offset:360
	buffer_load_dword v132, off, s[0:3], 0 offset:372
	buffer_load_dword v130, off, s[0:3], 0 offset:380
	buffer_load_dword v128, off, s[0:3], 0 offset:388
	s_waitcnt vmcnt(34)
	v_fma_f64 v[115:116], v[133:134], v[117:118], v[115:116]
	s_waitcnt vmcnt(32) lgkmcnt(0)
	v_fma_f64 v[115:116], v[135:136], v[119:120], v[115:116]
	s_waitcnt vmcnt(27)
	v_fma_f64 v[133:134], v[137:138], v[121:122], v[115:116]
	ds_read_b128 v[115:118], v114 offset:720
	ds_read_b128 v[119:122], v114 offset:736
	;; [unrolled: 19-line block ×3, first 2 shown]
	s_waitcnt vmcnt(26) lgkmcnt(1)
	v_fma_f64 v[115:116], v[151:152], v[115:116], v[139:140]
	s_clause 0x5
	buffer_load_dword v140, off, s[0:3], 0 offset:428
	buffer_load_dword v141, off, s[0:3], 0 offset:440
	;; [unrolled: 1-line block ×6, first 2 shown]
	s_waitcnt vmcnt(31)
	v_fma_f64 v[115:116], v[149:150], v[117:118], v[115:116]
	s_waitcnt vmcnt(30) lgkmcnt(0)
	v_fma_f64 v[115:116], v[147:148], v[119:120], v[115:116]
	s_waitcnt vmcnt(25)
	v_fma_f64 v[123:124], v[123:124], v[121:122], v[115:116]
	ds_read_b128 v[115:118], v114 offset:784
	s_clause 0x1
	buffer_load_dword v147, off, s[0:3], 0 offset:200
	buffer_load_dword v148, off, s[0:3], 0 offset:204
	ds_read_b128 v[119:122], v114 offset:800
	s_waitcnt vmcnt(26) lgkmcnt(1)
	v_fma_f64 v[115:116], v[157:158], v[115:116], v[123:124]
	s_waitcnt vmcnt(25)
	v_fma_f64 v[115:116], v[155:156], v[117:118], v[115:116]
	s_waitcnt vmcnt(24) lgkmcnt(0)
	v_fma_f64 v[115:116], v[153:154], v[119:120], v[115:116]
	s_waitcnt vmcnt(19)
	v_fma_f64 v[123:124], v[125:126], v[121:122], v[115:116]
	ds_read_b128 v[115:118], v114 offset:816
	ds_read_b128 v[119:122], v114 offset:832
	s_waitcnt vmcnt(18) lgkmcnt(1)
	v_fma_f64 v[115:116], v[131:132], v[115:116], v[123:124]
	s_waitcnt vmcnt(17)
	v_fma_f64 v[115:116], v[129:130], v[117:118], v[115:116]
	s_waitcnt vmcnt(16) lgkmcnt(0)
	v_fma_f64 v[115:116], v[127:128], v[119:120], v[115:116]
	s_waitcnt vmcnt(11)
	v_fma_f64 v[123:124], v[133:134], v[121:122], v[115:116]
	ds_read_b128 v[115:118], v114 offset:848
	;; [unrolled: 10-line block ×3, first 2 shown]
	s_waitcnt vmcnt(3) lgkmcnt(0)
	v_fma_f64 v[114:115], v[145:146], v[114:115], v[118:119]
	s_waitcnt vmcnt(2)
	v_fma_f64 v[114:115], v[141:142], v[116:117], v[114:115]
	s_waitcnt vmcnt(0)
	v_add_f64 v[114:115], v[147:148], -v[114:115]
	buffer_store_dword v115, off, s[0:3], 0 offset:204
	buffer_store_dword v114, off, s[0:3], 0 offset:200
	v_cmpx_lt_u32_e32 24, v0
	s_cbranch_execz .LBB119_297
; %bb.296:
	s_clause 0x1
	buffer_load_dword v114, off, s[0:3], 0 offset:192
	buffer_load_dword v115, off, s[0:3], 0 offset:196
	v_mov_b32_e32 v116, 0
	buffer_store_dword v116, off, s[0:3], 0 offset:192
	buffer_store_dword v116, off, s[0:3], 0 offset:196
	s_waitcnt vmcnt(0)
	ds_write_b64 v113, v[114:115]
.LBB119_297:
	s_or_b32 exec_lo, exec_lo, s4
	s_waitcnt lgkmcnt(0)
	s_waitcnt_vscnt null, 0x0
	s_barrier
	buffer_gl0_inv
	s_clause 0x1c
	buffer_load_dword v123, off, s[0:3], 0 offset:200
	buffer_load_dword v124, off, s[0:3], 0 offset:204
	;; [unrolled: 1-line block ×29, first 2 shown]
	v_mov_b32_e32 v114, 0
	buffer_load_dword v148, off, s[0:3], 0 offset:316
	s_mov_b32 s4, exec_lo
	ds_read2_b64 v[115:118], v114 offset0:81 offset1:82
	ds_read2_b64 v[119:122], v114 offset0:83 offset1:84
	s_waitcnt vmcnt(28) lgkmcnt(1)
	v_fma_f64 v[115:116], v[123:124], v[115:116], 0
	s_clause 0x7
	buffer_load_dword v124, off, s[0:3], 0 offset:324
	buffer_load_dword v153, off, s[0:3], 0 offset:344
	buffer_load_dword v155, off, s[0:3], 0 offset:336
	buffer_load_dword v157, off, s[0:3], 0 offset:328
	buffer_load_dword v123, off, s[0:3], 0 offset:320
	buffer_load_dword v158, off, s[0:3], 0 offset:332
	buffer_load_dword v156, off, s[0:3], 0 offset:340
	buffer_load_dword v154, off, s[0:3], 0 offset:348
	s_waitcnt vmcnt(34)
	v_fma_f64 v[115:116], v[125:126], v[117:118], v[115:116]
	s_waitcnt vmcnt(32) lgkmcnt(0)
	v_fma_f64 v[115:116], v[127:128], v[119:120], v[115:116]
	s_waitcnt vmcnt(30)
	v_fma_f64 v[125:126], v[129:130], v[121:122], v[115:116]
	ds_read2_b64 v[115:118], v114 offset0:85 offset1:86
	ds_read2_b64 v[119:122], v114 offset0:87 offset1:88
	s_waitcnt vmcnt(28) lgkmcnt(1)
	v_fma_f64 v[115:116], v[131:132], v[115:116], v[125:126]
	s_clause 0x7
	buffer_load_dword v126, off, s[0:3], 0 offset:356
	buffer_load_dword v127, off, s[0:3], 0 offset:376
	buffer_load_dword v129, off, s[0:3], 0 offset:368
	buffer_load_dword v131, off, s[0:3], 0 offset:360
	buffer_load_dword v125, off, s[0:3], 0 offset:352
	buffer_load_dword v132, off, s[0:3], 0 offset:364
	buffer_load_dword v130, off, s[0:3], 0 offset:372
	buffer_load_dword v128, off, s[0:3], 0 offset:380
	s_waitcnt vmcnt(34)
	v_fma_f64 v[115:116], v[133:134], v[117:118], v[115:116]
	s_waitcnt vmcnt(32) lgkmcnt(0)
	v_fma_f64 v[115:116], v[135:136], v[119:120], v[115:116]
	s_waitcnt vmcnt(27)
	v_fma_f64 v[133:134], v[137:138], v[121:122], v[115:116]
	ds_read2_b64 v[115:118], v114 offset0:89 offset1:90
	ds_read2_b64 v[119:122], v114 offset0:91 offset1:92
	s_waitcnt vmcnt(26) lgkmcnt(1)
	v_fma_f64 v[115:116], v[143:144], v[115:116], v[133:134]
	s_clause 0x7
	buffer_load_dword v134, off, s[0:3], 0 offset:388
	buffer_load_dword v135, off, s[0:3], 0 offset:408
	buffer_load_dword v137, off, s[0:3], 0 offset:400
	buffer_load_dword v143, off, s[0:3], 0 offset:392
	buffer_load_dword v133, off, s[0:3], 0 offset:384
	buffer_load_dword v144, off, s[0:3], 0 offset:396
	buffer_load_dword v138, off, s[0:3], 0 offset:404
	buffer_load_dword v136, off, s[0:3], 0 offset:412
	s_waitcnt vmcnt(33)
	v_fma_f64 v[115:116], v[141:142], v[117:118], v[115:116]
	s_waitcnt vmcnt(32) lgkmcnt(0)
	v_fma_f64 v[115:116], v[139:140], v[119:120], v[115:116]
	s_waitcnt vmcnt(27)
	v_fma_f64 v[139:140], v[145:146], v[121:122], v[115:116]
	ds_read2_b64 v[115:118], v114 offset0:93 offset1:94
	ds_read2_b64 v[119:122], v114 offset0:95 offset1:96
	s_waitcnt vmcnt(26) lgkmcnt(1)
	v_fma_f64 v[115:116], v[151:152], v[115:116], v[139:140]
	s_clause 0x7
	buffer_load_dword v140, off, s[0:3], 0 offset:420
	buffer_load_dword v141, off, s[0:3], 0 offset:440
	buffer_load_dword v145, off, s[0:3], 0 offset:432
	buffer_load_dword v151, off, s[0:3], 0 offset:424
	buffer_load_dword v139, off, s[0:3], 0 offset:416
	buffer_load_dword v152, off, s[0:3], 0 offset:428
	buffer_load_dword v146, off, s[0:3], 0 offset:436
	buffer_load_dword v142, off, s[0:3], 0 offset:444
	s_waitcnt vmcnt(33)
	v_fma_f64 v[115:116], v[149:150], v[117:118], v[115:116]
	s_waitcnt vmcnt(32) lgkmcnt(0)
	v_fma_f64 v[115:116], v[147:148], v[119:120], v[115:116]
	s_waitcnt vmcnt(27)
	v_fma_f64 v[123:124], v[123:124], v[121:122], v[115:116]
	ds_read2_b64 v[115:118], v114 offset0:97 offset1:98
	ds_read2_b64 v[119:122], v114 offset0:99 offset1:100
	s_waitcnt vmcnt(26) lgkmcnt(1)
	v_fma_f64 v[115:116], v[157:158], v[115:116], v[123:124]
	s_clause 0x1
	buffer_load_dword v123, off, s[0:3], 0 offset:192
	buffer_load_dword v124, off, s[0:3], 0 offset:196
	s_waitcnt vmcnt(27)
	v_fma_f64 v[115:116], v[155:156], v[117:118], v[115:116]
	s_waitcnt vmcnt(26) lgkmcnt(0)
	v_fma_f64 v[115:116], v[153:154], v[119:120], v[115:116]
	s_waitcnt vmcnt(21)
	v_fma_f64 v[125:126], v[125:126], v[121:122], v[115:116]
	ds_read2_b64 v[115:118], v114 offset0:101 offset1:102
	ds_read2_b64 v[119:122], v114 offset0:103 offset1:104
	s_waitcnt vmcnt(20) lgkmcnt(1)
	v_fma_f64 v[115:116], v[131:132], v[115:116], v[125:126]
	s_waitcnt vmcnt(19)
	v_fma_f64 v[115:116], v[129:130], v[117:118], v[115:116]
	s_waitcnt vmcnt(18) lgkmcnt(0)
	v_fma_f64 v[115:116], v[127:128], v[119:120], v[115:116]
	s_waitcnt vmcnt(13)
	v_fma_f64 v[125:126], v[133:134], v[121:122], v[115:116]
	ds_read2_b64 v[115:118], v114 offset0:105 offset1:106
	ds_read2_b64 v[119:122], v114 offset0:107 offset1:108
	s_waitcnt vmcnt(12) lgkmcnt(1)
	v_fma_f64 v[115:116], v[143:144], v[115:116], v[125:126]
	s_waitcnt vmcnt(11)
	v_fma_f64 v[115:116], v[137:138], v[117:118], v[115:116]
	s_waitcnt vmcnt(10) lgkmcnt(0)
	v_fma_f64 v[115:116], v[135:136], v[119:120], v[115:116]
	s_waitcnt vmcnt(5)
	v_fma_f64 v[119:120], v[139:140], v[121:122], v[115:116]
	ds_read2_b64 v[115:118], v114 offset0:109 offset1:110
	ds_read_b64 v[121:122], v114 offset:888
	s_waitcnt vmcnt(4) lgkmcnt(1)
	v_fma_f64 v[115:116], v[151:152], v[115:116], v[119:120]
	s_waitcnt vmcnt(3)
	v_fma_f64 v[115:116], v[145:146], v[117:118], v[115:116]
	s_waitcnt vmcnt(2) lgkmcnt(0)
	v_fma_f64 v[115:116], v[141:142], v[121:122], v[115:116]
	s_waitcnt vmcnt(0)
	v_add_f64 v[115:116], v[123:124], -v[115:116]
	buffer_store_dword v116, off, s[0:3], 0 offset:196
	buffer_store_dword v115, off, s[0:3], 0 offset:192
	v_cmpx_lt_u32_e32 23, v0
	s_cbranch_execz .LBB119_299
; %bb.298:
	s_clause 0x1
	buffer_load_dword v115, off, s[0:3], 0 offset:184
	buffer_load_dword v116, off, s[0:3], 0 offset:188
	buffer_store_dword v114, off, s[0:3], 0 offset:184
	buffer_store_dword v114, off, s[0:3], 0 offset:188
	s_waitcnt vmcnt(0)
	ds_write_b64 v113, v[115:116]
.LBB119_299:
	s_or_b32 exec_lo, exec_lo, s4
	s_waitcnt lgkmcnt(0)
	s_waitcnt_vscnt null, 0x0
	s_barrier
	buffer_gl0_inv
	s_clause 0x1c
	buffer_load_dword v123, off, s[0:3], 0 offset:192
	buffer_load_dword v124, off, s[0:3], 0 offset:196
	;; [unrolled: 1-line block ×29, first 2 shown]
	ds_read_b128 v[115:118], v114 offset:640
	ds_read_b128 v[119:122], v114 offset:656
	buffer_load_dword v148, off, s[0:3], 0 offset:308
	s_mov_b32 s4, exec_lo
	s_waitcnt vmcnt(28) lgkmcnt(1)
	v_fma_f64 v[115:116], v[123:124], v[115:116], 0
	s_clause 0x7
	buffer_load_dword v124, off, s[0:3], 0 offset:316
	buffer_load_dword v153, off, s[0:3], 0 offset:336
	buffer_load_dword v155, off, s[0:3], 0 offset:328
	buffer_load_dword v157, off, s[0:3], 0 offset:320
	buffer_load_dword v123, off, s[0:3], 0 offset:312
	buffer_load_dword v158, off, s[0:3], 0 offset:324
	buffer_load_dword v156, off, s[0:3], 0 offset:332
	buffer_load_dword v154, off, s[0:3], 0 offset:340
	s_waitcnt vmcnt(34)
	v_fma_f64 v[115:116], v[125:126], v[117:118], v[115:116]
	s_waitcnt vmcnt(32) lgkmcnt(0)
	v_fma_f64 v[115:116], v[127:128], v[119:120], v[115:116]
	s_waitcnt vmcnt(30)
	v_fma_f64 v[125:126], v[129:130], v[121:122], v[115:116]
	ds_read_b128 v[115:118], v114 offset:672
	ds_read_b128 v[119:122], v114 offset:688
	s_waitcnt vmcnt(28) lgkmcnt(1)
	v_fma_f64 v[115:116], v[131:132], v[115:116], v[125:126]
	s_clause 0x7
	buffer_load_dword v126, off, s[0:3], 0 offset:348
	buffer_load_dword v127, off, s[0:3], 0 offset:368
	buffer_load_dword v129, off, s[0:3], 0 offset:360
	buffer_load_dword v131, off, s[0:3], 0 offset:352
	buffer_load_dword v125, off, s[0:3], 0 offset:344
	buffer_load_dword v132, off, s[0:3], 0 offset:356
	buffer_load_dword v130, off, s[0:3], 0 offset:364
	buffer_load_dword v128, off, s[0:3], 0 offset:372
	s_waitcnt vmcnt(34)
	v_fma_f64 v[115:116], v[133:134], v[117:118], v[115:116]
	s_waitcnt vmcnt(32) lgkmcnt(0)
	v_fma_f64 v[115:116], v[135:136], v[119:120], v[115:116]
	s_waitcnt vmcnt(27)
	v_fma_f64 v[133:134], v[137:138], v[121:122], v[115:116]
	ds_read_b128 v[115:118], v114 offset:704
	ds_read_b128 v[119:122], v114 offset:720
	;; [unrolled: 19-line block ×4, first 2 shown]
	s_waitcnt vmcnt(26) lgkmcnt(1)
	v_fma_f64 v[115:116], v[157:158], v[115:116], v[123:124]
	s_clause 0x3
	buffer_load_dword v124, off, s[0:3], 0 offset:444
	buffer_load_dword v123, off, s[0:3], 0 offset:440
	;; [unrolled: 1-line block ×4, first 2 shown]
	s_waitcnt vmcnt(29)
	v_fma_f64 v[115:116], v[155:156], v[117:118], v[115:116]
	s_waitcnt vmcnt(28) lgkmcnt(0)
	v_fma_f64 v[115:116], v[153:154], v[119:120], v[115:116]
	s_waitcnt vmcnt(23)
	v_fma_f64 v[125:126], v[125:126], v[121:122], v[115:116]
	ds_read_b128 v[115:118], v114 offset:800
	ds_read_b128 v[119:122], v114 offset:816
	s_waitcnt vmcnt(22) lgkmcnt(1)
	v_fma_f64 v[115:116], v[131:132], v[115:116], v[125:126]
	s_waitcnt vmcnt(21)
	v_fma_f64 v[115:116], v[129:130], v[117:118], v[115:116]
	s_waitcnt vmcnt(20) lgkmcnt(0)
	v_fma_f64 v[115:116], v[127:128], v[119:120], v[115:116]
	s_waitcnt vmcnt(15)
	v_fma_f64 v[125:126], v[133:134], v[121:122], v[115:116]
	ds_read_b128 v[115:118], v114 offset:832
	ds_read_b128 v[119:122], v114 offset:848
	s_waitcnt vmcnt(14) lgkmcnt(1)
	v_fma_f64 v[115:116], v[143:144], v[115:116], v[125:126]
	;; [unrolled: 10-line block ×3, first 2 shown]
	s_waitcnt vmcnt(5)
	v_fma_f64 v[114:115], v[145:146], v[117:118], v[114:115]
	s_waitcnt vmcnt(4) lgkmcnt(0)
	v_fma_f64 v[114:115], v[141:142], v[119:120], v[114:115]
	s_waitcnt vmcnt(2)
	v_fma_f64 v[114:115], v[123:124], v[121:122], v[114:115]
	s_waitcnt vmcnt(0)
	v_add_f64 v[114:115], v[147:148], -v[114:115]
	buffer_store_dword v115, off, s[0:3], 0 offset:188
	buffer_store_dword v114, off, s[0:3], 0 offset:184
	v_cmpx_lt_u32_e32 22, v0
	s_cbranch_execz .LBB119_301
; %bb.300:
	s_clause 0x1
	buffer_load_dword v114, off, s[0:3], 0 offset:176
	buffer_load_dword v115, off, s[0:3], 0 offset:180
	v_mov_b32_e32 v116, 0
	buffer_store_dword v116, off, s[0:3], 0 offset:176
	buffer_store_dword v116, off, s[0:3], 0 offset:180
	s_waitcnt vmcnt(0)
	ds_write_b64 v113, v[114:115]
.LBB119_301:
	s_or_b32 exec_lo, exec_lo, s4
	s_waitcnt lgkmcnt(0)
	s_waitcnt_vscnt null, 0x0
	s_barrier
	buffer_gl0_inv
	s_clause 0x1c
	buffer_load_dword v123, off, s[0:3], 0 offset:184
	buffer_load_dword v124, off, s[0:3], 0 offset:188
	;; [unrolled: 1-line block ×29, first 2 shown]
	v_mov_b32_e32 v114, 0
	buffer_load_dword v148, off, s[0:3], 0 offset:300
	s_mov_b32 s4, exec_lo
	ds_read2_b64 v[115:118], v114 offset0:79 offset1:80
	ds_read2_b64 v[119:122], v114 offset0:81 offset1:82
	s_waitcnt vmcnt(28) lgkmcnt(1)
	v_fma_f64 v[115:116], v[123:124], v[115:116], 0
	s_clause 0x7
	buffer_load_dword v124, off, s[0:3], 0 offset:308
	buffer_load_dword v153, off, s[0:3], 0 offset:328
	buffer_load_dword v155, off, s[0:3], 0 offset:320
	buffer_load_dword v157, off, s[0:3], 0 offset:312
	buffer_load_dword v123, off, s[0:3], 0 offset:304
	buffer_load_dword v158, off, s[0:3], 0 offset:316
	buffer_load_dword v156, off, s[0:3], 0 offset:324
	buffer_load_dword v154, off, s[0:3], 0 offset:332
	s_waitcnt vmcnt(34)
	v_fma_f64 v[115:116], v[125:126], v[117:118], v[115:116]
	s_waitcnt vmcnt(32) lgkmcnt(0)
	v_fma_f64 v[115:116], v[127:128], v[119:120], v[115:116]
	s_waitcnt vmcnt(30)
	v_fma_f64 v[125:126], v[129:130], v[121:122], v[115:116]
	ds_read2_b64 v[115:118], v114 offset0:83 offset1:84
	ds_read2_b64 v[119:122], v114 offset0:85 offset1:86
	s_waitcnt vmcnt(28) lgkmcnt(1)
	v_fma_f64 v[115:116], v[131:132], v[115:116], v[125:126]
	s_clause 0x7
	buffer_load_dword v126, off, s[0:3], 0 offset:340
	buffer_load_dword v127, off, s[0:3], 0 offset:360
	buffer_load_dword v129, off, s[0:3], 0 offset:352
	buffer_load_dword v131, off, s[0:3], 0 offset:344
	buffer_load_dword v125, off, s[0:3], 0 offset:336
	buffer_load_dword v132, off, s[0:3], 0 offset:348
	buffer_load_dword v130, off, s[0:3], 0 offset:356
	buffer_load_dword v128, off, s[0:3], 0 offset:364
	s_waitcnt vmcnt(34)
	v_fma_f64 v[115:116], v[133:134], v[117:118], v[115:116]
	s_waitcnt vmcnt(32) lgkmcnt(0)
	v_fma_f64 v[115:116], v[135:136], v[119:120], v[115:116]
	s_waitcnt vmcnt(27)
	v_fma_f64 v[133:134], v[137:138], v[121:122], v[115:116]
	;; [unrolled: 19-line block ×4, first 2 shown]
	ds_read2_b64 v[115:118], v114 offset0:95 offset1:96
	ds_read2_b64 v[119:122], v114 offset0:97 offset1:98
	s_waitcnt vmcnt(26) lgkmcnt(1)
	v_fma_f64 v[115:116], v[157:158], v[115:116], v[123:124]
	s_clause 0x5
	buffer_load_dword v124, off, s[0:3], 0 offset:436
	buffer_load_dword v147, off, s[0:3], 0 offset:440
	buffer_load_dword v123, off, s[0:3], 0 offset:432
	buffer_load_dword v148, off, s[0:3], 0 offset:444
	buffer_load_dword v149, off, s[0:3], 0 offset:176
	buffer_load_dword v150, off, s[0:3], 0 offset:180
	s_waitcnt vmcnt(31)
	v_fma_f64 v[115:116], v[155:156], v[117:118], v[115:116]
	s_waitcnt vmcnt(30) lgkmcnt(0)
	v_fma_f64 v[115:116], v[153:154], v[119:120], v[115:116]
	s_waitcnt vmcnt(25)
	v_fma_f64 v[125:126], v[125:126], v[121:122], v[115:116]
	ds_read2_b64 v[115:118], v114 offset0:99 offset1:100
	ds_read2_b64 v[119:122], v114 offset0:101 offset1:102
	s_waitcnt vmcnt(24) lgkmcnt(1)
	v_fma_f64 v[115:116], v[131:132], v[115:116], v[125:126]
	s_waitcnt vmcnt(23)
	v_fma_f64 v[115:116], v[129:130], v[117:118], v[115:116]
	s_waitcnt vmcnt(22) lgkmcnt(0)
	v_fma_f64 v[115:116], v[127:128], v[119:120], v[115:116]
	s_waitcnt vmcnt(17)
	v_fma_f64 v[125:126], v[133:134], v[121:122], v[115:116]
	ds_read2_b64 v[115:118], v114 offset0:103 offset1:104
	ds_read2_b64 v[119:122], v114 offset0:105 offset1:106
	s_waitcnt vmcnt(16) lgkmcnt(1)
	v_fma_f64 v[115:116], v[143:144], v[115:116], v[125:126]
	;; [unrolled: 10-line block ×3, first 2 shown]
	s_waitcnt vmcnt(7)
	v_fma_f64 v[115:116], v[145:146], v[117:118], v[115:116]
	ds_read_b64 v[117:118], v114 offset:888
	s_waitcnt vmcnt(6) lgkmcnt(1)
	v_fma_f64 v[115:116], v[141:142], v[119:120], v[115:116]
	s_waitcnt vmcnt(3)
	v_fma_f64 v[115:116], v[123:124], v[121:122], v[115:116]
	s_waitcnt vmcnt(2) lgkmcnt(0)
	v_fma_f64 v[115:116], v[147:148], v[117:118], v[115:116]
	s_waitcnt vmcnt(0)
	v_add_f64 v[115:116], v[149:150], -v[115:116]
	buffer_store_dword v116, off, s[0:3], 0 offset:180
	buffer_store_dword v115, off, s[0:3], 0 offset:176
	v_cmpx_lt_u32_e32 21, v0
	s_cbranch_execz .LBB119_303
; %bb.302:
	s_clause 0x1
	buffer_load_dword v115, off, s[0:3], 0 offset:168
	buffer_load_dword v116, off, s[0:3], 0 offset:172
	buffer_store_dword v114, off, s[0:3], 0 offset:168
	buffer_store_dword v114, off, s[0:3], 0 offset:172
	s_waitcnt vmcnt(0)
	ds_write_b64 v113, v[115:116]
.LBB119_303:
	s_or_b32 exec_lo, exec_lo, s4
	s_waitcnt lgkmcnt(0)
	s_waitcnt_vscnt null, 0x0
	s_barrier
	buffer_gl0_inv
	s_clause 0x1c
	buffer_load_dword v123, off, s[0:3], 0 offset:176
	buffer_load_dword v124, off, s[0:3], 0 offset:180
	;; [unrolled: 1-line block ×29, first 2 shown]
	ds_read_b128 v[115:118], v114 offset:624
	ds_read_b128 v[119:122], v114 offset:640
	buffer_load_dword v148, off, s[0:3], 0 offset:292
	s_mov_b32 s4, exec_lo
	s_waitcnt vmcnt(28) lgkmcnt(1)
	v_fma_f64 v[115:116], v[123:124], v[115:116], 0
	s_clause 0x7
	buffer_load_dword v124, off, s[0:3], 0 offset:300
	buffer_load_dword v153, off, s[0:3], 0 offset:320
	buffer_load_dword v155, off, s[0:3], 0 offset:312
	buffer_load_dword v157, off, s[0:3], 0 offset:304
	buffer_load_dword v123, off, s[0:3], 0 offset:296
	buffer_load_dword v158, off, s[0:3], 0 offset:308
	buffer_load_dword v156, off, s[0:3], 0 offset:316
	buffer_load_dword v154, off, s[0:3], 0 offset:324
	s_waitcnt vmcnt(34)
	v_fma_f64 v[115:116], v[125:126], v[117:118], v[115:116]
	s_waitcnt vmcnt(32) lgkmcnt(0)
	v_fma_f64 v[115:116], v[127:128], v[119:120], v[115:116]
	s_waitcnt vmcnt(30)
	v_fma_f64 v[125:126], v[129:130], v[121:122], v[115:116]
	ds_read_b128 v[115:118], v114 offset:656
	ds_read_b128 v[119:122], v114 offset:672
	s_waitcnt vmcnt(28) lgkmcnt(1)
	v_fma_f64 v[115:116], v[131:132], v[115:116], v[125:126]
	s_clause 0x7
	buffer_load_dword v126, off, s[0:3], 0 offset:332
	buffer_load_dword v127, off, s[0:3], 0 offset:352
	buffer_load_dword v129, off, s[0:3], 0 offset:344
	buffer_load_dword v131, off, s[0:3], 0 offset:336
	buffer_load_dword v125, off, s[0:3], 0 offset:328
	buffer_load_dword v132, off, s[0:3], 0 offset:340
	buffer_load_dword v130, off, s[0:3], 0 offset:348
	buffer_load_dword v128, off, s[0:3], 0 offset:356
	s_waitcnt vmcnt(34)
	v_fma_f64 v[115:116], v[133:134], v[117:118], v[115:116]
	s_waitcnt vmcnt(32) lgkmcnt(0)
	v_fma_f64 v[115:116], v[135:136], v[119:120], v[115:116]
	s_waitcnt vmcnt(27)
	v_fma_f64 v[133:134], v[137:138], v[121:122], v[115:116]
	ds_read_b128 v[115:118], v114 offset:688
	ds_read_b128 v[119:122], v114 offset:704
	;; [unrolled: 19-line block ×4, first 2 shown]
	s_waitcnt vmcnt(26) lgkmcnt(1)
	v_fma_f64 v[115:116], v[157:158], v[115:116], v[123:124]
	s_clause 0x5
	buffer_load_dword v124, off, s[0:3], 0 offset:428
	buffer_load_dword v147, off, s[0:3], 0 offset:440
	;; [unrolled: 1-line block ×6, first 2 shown]
	s_waitcnt vmcnt(31)
	v_fma_f64 v[115:116], v[155:156], v[117:118], v[115:116]
	s_waitcnt vmcnt(30) lgkmcnt(0)
	v_fma_f64 v[115:116], v[153:154], v[119:120], v[115:116]
	s_waitcnt vmcnt(25)
	v_fma_f64 v[125:126], v[125:126], v[121:122], v[115:116]
	ds_read_b128 v[115:118], v114 offset:784
	s_clause 0x1
	buffer_load_dword v153, off, s[0:3], 0 offset:168
	buffer_load_dword v154, off, s[0:3], 0 offset:172
	ds_read_b128 v[119:122], v114 offset:800
	s_waitcnt vmcnt(26) lgkmcnt(1)
	v_fma_f64 v[115:116], v[131:132], v[115:116], v[125:126]
	s_waitcnt vmcnt(25)
	v_fma_f64 v[115:116], v[129:130], v[117:118], v[115:116]
	s_waitcnt vmcnt(24) lgkmcnt(0)
	v_fma_f64 v[115:116], v[127:128], v[119:120], v[115:116]
	s_waitcnt vmcnt(19)
	v_fma_f64 v[125:126], v[133:134], v[121:122], v[115:116]
	ds_read_b128 v[115:118], v114 offset:816
	ds_read_b128 v[119:122], v114 offset:832
	s_waitcnt vmcnt(18) lgkmcnt(1)
	v_fma_f64 v[115:116], v[143:144], v[115:116], v[125:126]
	s_waitcnt vmcnt(17)
	v_fma_f64 v[115:116], v[137:138], v[117:118], v[115:116]
	s_waitcnt vmcnt(16) lgkmcnt(0)
	v_fma_f64 v[115:116], v[135:136], v[119:120], v[115:116]
	s_waitcnt vmcnt(11)
	v_fma_f64 v[125:126], v[139:140], v[121:122], v[115:116]
	ds_read_b128 v[115:118], v114 offset:848
	;; [unrolled: 10-line block ×3, first 2 shown]
	s_waitcnt vmcnt(3) lgkmcnt(0)
	v_fma_f64 v[114:115], v[149:150], v[114:115], v[118:119]
	s_waitcnt vmcnt(2)
	v_fma_f64 v[114:115], v[147:148], v[116:117], v[114:115]
	s_waitcnt vmcnt(0)
	v_add_f64 v[114:115], v[153:154], -v[114:115]
	buffer_store_dword v115, off, s[0:3], 0 offset:172
	buffer_store_dword v114, off, s[0:3], 0 offset:168
	v_cmpx_lt_u32_e32 20, v0
	s_cbranch_execz .LBB119_305
; %bb.304:
	s_clause 0x1
	buffer_load_dword v114, off, s[0:3], 0 offset:160
	buffer_load_dword v115, off, s[0:3], 0 offset:164
	v_mov_b32_e32 v116, 0
	buffer_store_dword v116, off, s[0:3], 0 offset:160
	buffer_store_dword v116, off, s[0:3], 0 offset:164
	s_waitcnt vmcnt(0)
	ds_write_b64 v113, v[114:115]
.LBB119_305:
	s_or_b32 exec_lo, exec_lo, s4
	s_waitcnt lgkmcnt(0)
	s_waitcnt_vscnt null, 0x0
	s_barrier
	buffer_gl0_inv
	s_clause 0x1c
	buffer_load_dword v123, off, s[0:3], 0 offset:168
	buffer_load_dword v124, off, s[0:3], 0 offset:172
	;; [unrolled: 1-line block ×29, first 2 shown]
	v_mov_b32_e32 v114, 0
	buffer_load_dword v148, off, s[0:3], 0 offset:284
	s_mov_b32 s4, exec_lo
	ds_read2_b64 v[115:118], v114 offset0:77 offset1:78
	ds_read2_b64 v[119:122], v114 offset0:79 offset1:80
	s_waitcnt vmcnt(28) lgkmcnt(1)
	v_fma_f64 v[115:116], v[123:124], v[115:116], 0
	s_clause 0x7
	buffer_load_dword v124, off, s[0:3], 0 offset:292
	buffer_load_dword v153, off, s[0:3], 0 offset:312
	buffer_load_dword v155, off, s[0:3], 0 offset:304
	buffer_load_dword v157, off, s[0:3], 0 offset:296
	buffer_load_dword v123, off, s[0:3], 0 offset:288
	buffer_load_dword v158, off, s[0:3], 0 offset:300
	buffer_load_dword v156, off, s[0:3], 0 offset:308
	buffer_load_dword v154, off, s[0:3], 0 offset:316
	s_waitcnt vmcnt(34)
	v_fma_f64 v[115:116], v[125:126], v[117:118], v[115:116]
	s_waitcnt vmcnt(32) lgkmcnt(0)
	v_fma_f64 v[115:116], v[127:128], v[119:120], v[115:116]
	s_waitcnt vmcnt(30)
	v_fma_f64 v[125:126], v[129:130], v[121:122], v[115:116]
	ds_read2_b64 v[115:118], v114 offset0:81 offset1:82
	ds_read2_b64 v[119:122], v114 offset0:83 offset1:84
	s_waitcnt vmcnt(28) lgkmcnt(1)
	v_fma_f64 v[115:116], v[131:132], v[115:116], v[125:126]
	s_clause 0x7
	buffer_load_dword v126, off, s[0:3], 0 offset:324
	buffer_load_dword v127, off, s[0:3], 0 offset:344
	buffer_load_dword v129, off, s[0:3], 0 offset:336
	buffer_load_dword v131, off, s[0:3], 0 offset:328
	buffer_load_dword v125, off, s[0:3], 0 offset:320
	buffer_load_dword v132, off, s[0:3], 0 offset:332
	buffer_load_dword v130, off, s[0:3], 0 offset:340
	buffer_load_dword v128, off, s[0:3], 0 offset:348
	s_waitcnt vmcnt(34)
	v_fma_f64 v[115:116], v[133:134], v[117:118], v[115:116]
	s_waitcnt vmcnt(32) lgkmcnt(0)
	v_fma_f64 v[115:116], v[135:136], v[119:120], v[115:116]
	s_waitcnt vmcnt(27)
	v_fma_f64 v[133:134], v[137:138], v[121:122], v[115:116]
	;; [unrolled: 19-line block ×5, first 2 shown]
	ds_read2_b64 v[115:118], v114 offset0:97 offset1:98
	ds_read2_b64 v[119:122], v114 offset0:99 offset1:100
	s_waitcnt vmcnt(26) lgkmcnt(1)
	v_fma_f64 v[115:116], v[131:132], v[115:116], v[125:126]
	s_clause 0x1
	buffer_load_dword v125, off, s[0:3], 0 offset:160
	buffer_load_dword v126, off, s[0:3], 0 offset:164
	s_waitcnt vmcnt(27)
	v_fma_f64 v[115:116], v[129:130], v[117:118], v[115:116]
	s_waitcnt vmcnt(26) lgkmcnt(0)
	v_fma_f64 v[115:116], v[127:128], v[119:120], v[115:116]
	s_waitcnt vmcnt(21)
	v_fma_f64 v[127:128], v[133:134], v[121:122], v[115:116]
	ds_read2_b64 v[115:118], v114 offset0:101 offset1:102
	ds_read2_b64 v[119:122], v114 offset0:103 offset1:104
	s_waitcnt vmcnt(20) lgkmcnt(1)
	v_fma_f64 v[115:116], v[143:144], v[115:116], v[127:128]
	s_waitcnt vmcnt(19)
	v_fma_f64 v[115:116], v[137:138], v[117:118], v[115:116]
	s_waitcnt vmcnt(18) lgkmcnt(0)
	v_fma_f64 v[115:116], v[135:136], v[119:120], v[115:116]
	s_waitcnt vmcnt(13)
	v_fma_f64 v[127:128], v[139:140], v[121:122], v[115:116]
	ds_read2_b64 v[115:118], v114 offset0:105 offset1:106
	ds_read2_b64 v[119:122], v114 offset0:107 offset1:108
	s_waitcnt vmcnt(12) lgkmcnt(1)
	v_fma_f64 v[115:116], v[151:152], v[115:116], v[127:128]
	s_waitcnt vmcnt(11)
	v_fma_f64 v[115:116], v[145:146], v[117:118], v[115:116]
	s_waitcnt vmcnt(10) lgkmcnt(0)
	v_fma_f64 v[115:116], v[141:142], v[119:120], v[115:116]
	s_waitcnt vmcnt(5)
	v_fma_f64 v[119:120], v[123:124], v[121:122], v[115:116]
	ds_read2_b64 v[115:118], v114 offset0:109 offset1:110
	ds_read_b64 v[121:122], v114 offset:888
	s_waitcnt vmcnt(4) lgkmcnt(1)
	v_fma_f64 v[115:116], v[157:158], v[115:116], v[119:120]
	s_waitcnt vmcnt(3)
	v_fma_f64 v[115:116], v[149:150], v[117:118], v[115:116]
	s_waitcnt vmcnt(2) lgkmcnt(0)
	v_fma_f64 v[115:116], v[147:148], v[121:122], v[115:116]
	s_waitcnt vmcnt(0)
	v_add_f64 v[115:116], v[125:126], -v[115:116]
	buffer_store_dword v116, off, s[0:3], 0 offset:164
	buffer_store_dword v115, off, s[0:3], 0 offset:160
	v_cmpx_lt_u32_e32 19, v0
	s_cbranch_execz .LBB119_307
; %bb.306:
	s_clause 0x1
	buffer_load_dword v115, off, s[0:3], 0 offset:152
	buffer_load_dword v116, off, s[0:3], 0 offset:156
	buffer_store_dword v114, off, s[0:3], 0 offset:152
	buffer_store_dword v114, off, s[0:3], 0 offset:156
	s_waitcnt vmcnt(0)
	ds_write_b64 v113, v[115:116]
.LBB119_307:
	s_or_b32 exec_lo, exec_lo, s4
	s_waitcnt lgkmcnt(0)
	s_waitcnt_vscnt null, 0x0
	s_barrier
	buffer_gl0_inv
	s_clause 0x1c
	buffer_load_dword v123, off, s[0:3], 0 offset:160
	buffer_load_dword v124, off, s[0:3], 0 offset:164
	;; [unrolled: 1-line block ×29, first 2 shown]
	ds_read_b128 v[115:118], v114 offset:608
	ds_read_b128 v[119:122], v114 offset:624
	buffer_load_dword v148, off, s[0:3], 0 offset:276
	s_mov_b32 s4, exec_lo
	s_waitcnt vmcnt(28) lgkmcnt(1)
	v_fma_f64 v[115:116], v[123:124], v[115:116], 0
	s_clause 0x7
	buffer_load_dword v124, off, s[0:3], 0 offset:284
	buffer_load_dword v153, off, s[0:3], 0 offset:304
	buffer_load_dword v155, off, s[0:3], 0 offset:296
	buffer_load_dword v157, off, s[0:3], 0 offset:288
	buffer_load_dword v123, off, s[0:3], 0 offset:280
	buffer_load_dword v158, off, s[0:3], 0 offset:292
	buffer_load_dword v156, off, s[0:3], 0 offset:300
	buffer_load_dword v154, off, s[0:3], 0 offset:308
	s_waitcnt vmcnt(34)
	v_fma_f64 v[115:116], v[125:126], v[117:118], v[115:116]
	s_waitcnt vmcnt(32) lgkmcnt(0)
	v_fma_f64 v[115:116], v[127:128], v[119:120], v[115:116]
	s_waitcnt vmcnt(30)
	v_fma_f64 v[125:126], v[129:130], v[121:122], v[115:116]
	ds_read_b128 v[115:118], v114 offset:640
	ds_read_b128 v[119:122], v114 offset:656
	s_waitcnt vmcnt(28) lgkmcnt(1)
	v_fma_f64 v[115:116], v[131:132], v[115:116], v[125:126]
	s_clause 0x7
	buffer_load_dword v126, off, s[0:3], 0 offset:316
	buffer_load_dword v127, off, s[0:3], 0 offset:336
	buffer_load_dword v129, off, s[0:3], 0 offset:328
	buffer_load_dword v131, off, s[0:3], 0 offset:320
	buffer_load_dword v125, off, s[0:3], 0 offset:312
	buffer_load_dword v132, off, s[0:3], 0 offset:324
	buffer_load_dword v130, off, s[0:3], 0 offset:332
	buffer_load_dword v128, off, s[0:3], 0 offset:340
	s_waitcnt vmcnt(34)
	v_fma_f64 v[115:116], v[133:134], v[117:118], v[115:116]
	s_waitcnt vmcnt(32) lgkmcnt(0)
	v_fma_f64 v[115:116], v[135:136], v[119:120], v[115:116]
	s_waitcnt vmcnt(27)
	v_fma_f64 v[133:134], v[137:138], v[121:122], v[115:116]
	ds_read_b128 v[115:118], v114 offset:672
	ds_read_b128 v[119:122], v114 offset:688
	;; [unrolled: 19-line block ×5, first 2 shown]
	s_waitcnt vmcnt(26) lgkmcnt(1)
	v_fma_f64 v[115:116], v[131:132], v[115:116], v[125:126]
	s_clause 0x1
	buffer_load_dword v126, off, s[0:3], 0 offset:444
	buffer_load_dword v125, off, s[0:3], 0 offset:440
	s_waitcnt vmcnt(27)
	v_fma_f64 v[115:116], v[129:130], v[117:118], v[115:116]
	s_clause 0x1
	buffer_load_dword v129, off, s[0:3], 0 offset:152
	buffer_load_dword v130, off, s[0:3], 0 offset:156
	s_waitcnt vmcnt(28) lgkmcnt(0)
	v_fma_f64 v[115:116], v[127:128], v[119:120], v[115:116]
	s_waitcnt vmcnt(23)
	v_fma_f64 v[127:128], v[133:134], v[121:122], v[115:116]
	ds_read_b128 v[115:118], v114 offset:800
	ds_read_b128 v[119:122], v114 offset:816
	s_waitcnt vmcnt(22) lgkmcnt(1)
	v_fma_f64 v[115:116], v[143:144], v[115:116], v[127:128]
	s_waitcnt vmcnt(21)
	v_fma_f64 v[115:116], v[137:138], v[117:118], v[115:116]
	s_waitcnt vmcnt(20) lgkmcnt(0)
	v_fma_f64 v[115:116], v[135:136], v[119:120], v[115:116]
	s_waitcnt vmcnt(15)
	v_fma_f64 v[127:128], v[139:140], v[121:122], v[115:116]
	ds_read_b128 v[115:118], v114 offset:832
	ds_read_b128 v[119:122], v114 offset:848
	s_waitcnt vmcnt(14) lgkmcnt(1)
	v_fma_f64 v[115:116], v[151:152], v[115:116], v[127:128]
	s_waitcnt vmcnt(13)
	v_fma_f64 v[115:116], v[145:146], v[117:118], v[115:116]
	;; [unrolled: 10-line block ×3, first 2 shown]
	s_waitcnt vmcnt(4) lgkmcnt(0)
	v_fma_f64 v[114:115], v[147:148], v[119:120], v[114:115]
	s_waitcnt vmcnt(2)
	v_fma_f64 v[114:115], v[125:126], v[121:122], v[114:115]
	s_waitcnt vmcnt(0)
	v_add_f64 v[114:115], v[129:130], -v[114:115]
	buffer_store_dword v115, off, s[0:3], 0 offset:156
	buffer_store_dword v114, off, s[0:3], 0 offset:152
	v_cmpx_lt_u32_e32 18, v0
	s_cbranch_execz .LBB119_309
; %bb.308:
	s_clause 0x1
	buffer_load_dword v114, off, s[0:3], 0 offset:144
	buffer_load_dword v115, off, s[0:3], 0 offset:148
	v_mov_b32_e32 v116, 0
	buffer_store_dword v116, off, s[0:3], 0 offset:144
	buffer_store_dword v116, off, s[0:3], 0 offset:148
	s_waitcnt vmcnt(0)
	ds_write_b64 v113, v[114:115]
.LBB119_309:
	s_or_b32 exec_lo, exec_lo, s4
	s_waitcnt lgkmcnt(0)
	s_waitcnt_vscnt null, 0x0
	s_barrier
	buffer_gl0_inv
	s_clause 0x1c
	buffer_load_dword v123, off, s[0:3], 0 offset:152
	buffer_load_dword v124, off, s[0:3], 0 offset:156
	;; [unrolled: 1-line block ×29, first 2 shown]
	v_mov_b32_e32 v114, 0
	buffer_load_dword v148, off, s[0:3], 0 offset:268
	s_mov_b32 s4, exec_lo
	ds_read2_b64 v[115:118], v114 offset0:75 offset1:76
	ds_read2_b64 v[119:122], v114 offset0:77 offset1:78
	s_waitcnt vmcnt(28) lgkmcnt(1)
	v_fma_f64 v[115:116], v[123:124], v[115:116], 0
	s_clause 0x7
	buffer_load_dword v124, off, s[0:3], 0 offset:276
	buffer_load_dword v153, off, s[0:3], 0 offset:296
	buffer_load_dword v155, off, s[0:3], 0 offset:288
	buffer_load_dword v157, off, s[0:3], 0 offset:280
	buffer_load_dword v123, off, s[0:3], 0 offset:272
	buffer_load_dword v158, off, s[0:3], 0 offset:284
	buffer_load_dword v156, off, s[0:3], 0 offset:292
	buffer_load_dword v154, off, s[0:3], 0 offset:300
	s_waitcnt vmcnt(34)
	v_fma_f64 v[115:116], v[125:126], v[117:118], v[115:116]
	s_waitcnt vmcnt(32) lgkmcnt(0)
	v_fma_f64 v[115:116], v[127:128], v[119:120], v[115:116]
	s_waitcnt vmcnt(30)
	v_fma_f64 v[125:126], v[129:130], v[121:122], v[115:116]
	ds_read2_b64 v[115:118], v114 offset0:79 offset1:80
	ds_read2_b64 v[119:122], v114 offset0:81 offset1:82
	s_waitcnt vmcnt(28) lgkmcnt(1)
	v_fma_f64 v[115:116], v[131:132], v[115:116], v[125:126]
	s_clause 0x7
	buffer_load_dword v126, off, s[0:3], 0 offset:308
	buffer_load_dword v127, off, s[0:3], 0 offset:328
	buffer_load_dword v129, off, s[0:3], 0 offset:320
	buffer_load_dword v131, off, s[0:3], 0 offset:312
	buffer_load_dword v125, off, s[0:3], 0 offset:304
	buffer_load_dword v132, off, s[0:3], 0 offset:316
	buffer_load_dword v130, off, s[0:3], 0 offset:324
	buffer_load_dword v128, off, s[0:3], 0 offset:332
	s_waitcnt vmcnt(34)
	v_fma_f64 v[115:116], v[133:134], v[117:118], v[115:116]
	s_waitcnt vmcnt(32) lgkmcnt(0)
	v_fma_f64 v[115:116], v[135:136], v[119:120], v[115:116]
	s_waitcnt vmcnt(27)
	v_fma_f64 v[133:134], v[137:138], v[121:122], v[115:116]
	;; [unrolled: 19-line block ×5, first 2 shown]
	ds_read2_b64 v[115:118], v114 offset0:95 offset1:96
	ds_read2_b64 v[119:122], v114 offset0:97 offset1:98
	s_waitcnt vmcnt(26) lgkmcnt(1)
	v_fma_f64 v[115:116], v[131:132], v[115:116], v[125:126]
	s_clause 0x3
	buffer_load_dword v126, off, s[0:3], 0 offset:436
	buffer_load_dword v131, off, s[0:3], 0 offset:440
	;; [unrolled: 1-line block ×4, first 2 shown]
	s_waitcnt vmcnt(29)
	v_fma_f64 v[115:116], v[129:130], v[117:118], v[115:116]
	s_waitcnt vmcnt(28) lgkmcnt(0)
	v_fma_f64 v[115:116], v[127:128], v[119:120], v[115:116]
	s_clause 0x1
	buffer_load_dword v127, off, s[0:3], 0 offset:144
	buffer_load_dword v128, off, s[0:3], 0 offset:148
	s_waitcnt vmcnt(25)
	v_fma_f64 v[129:130], v[133:134], v[121:122], v[115:116]
	ds_read2_b64 v[115:118], v114 offset0:99 offset1:100
	ds_read2_b64 v[119:122], v114 offset0:101 offset1:102
	s_waitcnt vmcnt(24) lgkmcnt(1)
	v_fma_f64 v[115:116], v[143:144], v[115:116], v[129:130]
	s_waitcnt vmcnt(23)
	v_fma_f64 v[115:116], v[137:138], v[117:118], v[115:116]
	s_waitcnt vmcnt(22) lgkmcnt(0)
	v_fma_f64 v[115:116], v[135:136], v[119:120], v[115:116]
	s_waitcnt vmcnt(17)
	v_fma_f64 v[129:130], v[139:140], v[121:122], v[115:116]
	ds_read2_b64 v[115:118], v114 offset0:103 offset1:104
	ds_read2_b64 v[119:122], v114 offset0:105 offset1:106
	s_waitcnt vmcnt(16) lgkmcnt(1)
	v_fma_f64 v[115:116], v[151:152], v[115:116], v[129:130]
	s_waitcnt vmcnt(15)
	v_fma_f64 v[115:116], v[145:146], v[117:118], v[115:116]
	s_waitcnt vmcnt(14) lgkmcnt(0)
	v_fma_f64 v[115:116], v[141:142], v[119:120], v[115:116]
	s_waitcnt vmcnt(9)
	v_fma_f64 v[123:124], v[123:124], v[121:122], v[115:116]
	ds_read2_b64 v[115:118], v114 offset0:107 offset1:108
	ds_read2_b64 v[119:122], v114 offset0:109 offset1:110
	s_waitcnt vmcnt(8) lgkmcnt(1)
	v_fma_f64 v[115:116], v[157:158], v[115:116], v[123:124]
	s_waitcnt vmcnt(7)
	v_fma_f64 v[115:116], v[149:150], v[117:118], v[115:116]
	ds_read_b64 v[117:118], v114 offset:888
	s_waitcnt vmcnt(6) lgkmcnt(1)
	v_fma_f64 v[115:116], v[147:148], v[119:120], v[115:116]
	s_waitcnt vmcnt(3)
	v_fma_f64 v[115:116], v[125:126], v[121:122], v[115:116]
	s_waitcnt vmcnt(2) lgkmcnt(0)
	v_fma_f64 v[115:116], v[131:132], v[117:118], v[115:116]
	s_waitcnt vmcnt(0)
	v_add_f64 v[115:116], v[127:128], -v[115:116]
	buffer_store_dword v116, off, s[0:3], 0 offset:148
	buffer_store_dword v115, off, s[0:3], 0 offset:144
	v_cmpx_lt_u32_e32 17, v0
	s_cbranch_execz .LBB119_311
; %bb.310:
	s_clause 0x1
	buffer_load_dword v115, off, s[0:3], 0 offset:136
	buffer_load_dword v116, off, s[0:3], 0 offset:140
	buffer_store_dword v114, off, s[0:3], 0 offset:136
	buffer_store_dword v114, off, s[0:3], 0 offset:140
	s_waitcnt vmcnt(0)
	ds_write_b64 v113, v[115:116]
.LBB119_311:
	s_or_b32 exec_lo, exec_lo, s4
	s_waitcnt lgkmcnt(0)
	s_waitcnt_vscnt null, 0x0
	s_barrier
	buffer_gl0_inv
	s_clause 0x1c
	buffer_load_dword v123, off, s[0:3], 0 offset:144
	buffer_load_dword v124, off, s[0:3], 0 offset:148
	;; [unrolled: 1-line block ×29, first 2 shown]
	ds_read_b128 v[115:118], v114 offset:592
	ds_read_b128 v[119:122], v114 offset:608
	buffer_load_dword v148, off, s[0:3], 0 offset:260
	s_mov_b32 s4, exec_lo
	s_waitcnt vmcnt(28) lgkmcnt(1)
	v_fma_f64 v[115:116], v[123:124], v[115:116], 0
	s_clause 0x7
	buffer_load_dword v124, off, s[0:3], 0 offset:268
	buffer_load_dword v153, off, s[0:3], 0 offset:288
	buffer_load_dword v155, off, s[0:3], 0 offset:280
	buffer_load_dword v157, off, s[0:3], 0 offset:272
	buffer_load_dword v123, off, s[0:3], 0 offset:264
	buffer_load_dword v158, off, s[0:3], 0 offset:276
	buffer_load_dword v156, off, s[0:3], 0 offset:284
	buffer_load_dword v154, off, s[0:3], 0 offset:292
	s_waitcnt vmcnt(34)
	v_fma_f64 v[115:116], v[125:126], v[117:118], v[115:116]
	s_waitcnt vmcnt(32) lgkmcnt(0)
	v_fma_f64 v[115:116], v[127:128], v[119:120], v[115:116]
	s_waitcnt vmcnt(30)
	v_fma_f64 v[125:126], v[129:130], v[121:122], v[115:116]
	ds_read_b128 v[115:118], v114 offset:624
	ds_read_b128 v[119:122], v114 offset:640
	s_waitcnt vmcnt(28) lgkmcnt(1)
	v_fma_f64 v[115:116], v[131:132], v[115:116], v[125:126]
	s_clause 0x7
	buffer_load_dword v126, off, s[0:3], 0 offset:300
	buffer_load_dword v127, off, s[0:3], 0 offset:320
	buffer_load_dword v129, off, s[0:3], 0 offset:312
	buffer_load_dword v131, off, s[0:3], 0 offset:304
	buffer_load_dword v125, off, s[0:3], 0 offset:296
	buffer_load_dword v132, off, s[0:3], 0 offset:308
	buffer_load_dword v130, off, s[0:3], 0 offset:316
	buffer_load_dword v128, off, s[0:3], 0 offset:324
	s_waitcnt vmcnt(34)
	v_fma_f64 v[115:116], v[133:134], v[117:118], v[115:116]
	s_waitcnt vmcnt(32) lgkmcnt(0)
	v_fma_f64 v[115:116], v[135:136], v[119:120], v[115:116]
	s_waitcnt vmcnt(27)
	v_fma_f64 v[133:134], v[137:138], v[121:122], v[115:116]
	ds_read_b128 v[115:118], v114 offset:656
	ds_read_b128 v[119:122], v114 offset:672
	;; [unrolled: 19-line block ×5, first 2 shown]
	s_waitcnt vmcnt(26) lgkmcnt(1)
	v_fma_f64 v[115:116], v[131:132], v[115:116], v[125:126]
	s_clause 0x5
	buffer_load_dword v126, off, s[0:3], 0 offset:428
	buffer_load_dword v131, off, s[0:3], 0 offset:440
	;; [unrolled: 1-line block ×6, first 2 shown]
	s_waitcnt vmcnt(31)
	v_fma_f64 v[115:116], v[129:130], v[117:118], v[115:116]
	s_waitcnt vmcnt(30) lgkmcnt(0)
	v_fma_f64 v[115:116], v[127:128], v[119:120], v[115:116]
	s_waitcnt vmcnt(25)
	v_fma_f64 v[127:128], v[133:134], v[121:122], v[115:116]
	ds_read_b128 v[115:118], v114 offset:784
	s_clause 0x1
	buffer_load_dword v129, off, s[0:3], 0 offset:136
	buffer_load_dword v130, off, s[0:3], 0 offset:140
	ds_read_b128 v[119:122], v114 offset:800
	s_waitcnt vmcnt(26) lgkmcnt(1)
	v_fma_f64 v[115:116], v[143:144], v[115:116], v[127:128]
	s_waitcnt vmcnt(25)
	v_fma_f64 v[115:116], v[137:138], v[117:118], v[115:116]
	s_waitcnt vmcnt(24) lgkmcnt(0)
	v_fma_f64 v[115:116], v[135:136], v[119:120], v[115:116]
	s_waitcnt vmcnt(19)
	v_fma_f64 v[127:128], v[139:140], v[121:122], v[115:116]
	ds_read_b128 v[115:118], v114 offset:816
	ds_read_b128 v[119:122], v114 offset:832
	s_waitcnt vmcnt(18) lgkmcnt(1)
	v_fma_f64 v[115:116], v[151:152], v[115:116], v[127:128]
	s_waitcnt vmcnt(17)
	v_fma_f64 v[115:116], v[145:146], v[117:118], v[115:116]
	s_waitcnt vmcnt(16) lgkmcnt(0)
	v_fma_f64 v[115:116], v[141:142], v[119:120], v[115:116]
	s_waitcnt vmcnt(11)
	v_fma_f64 v[123:124], v[123:124], v[121:122], v[115:116]
	ds_read_b128 v[115:118], v114 offset:848
	;; [unrolled: 10-line block ×3, first 2 shown]
	s_waitcnt vmcnt(3) lgkmcnt(0)
	v_fma_f64 v[114:115], v[153:154], v[114:115], v[118:119]
	s_waitcnt vmcnt(2)
	v_fma_f64 v[114:115], v[131:132], v[116:117], v[114:115]
	s_waitcnt vmcnt(0)
	v_add_f64 v[114:115], v[129:130], -v[114:115]
	buffer_store_dword v115, off, s[0:3], 0 offset:140
	buffer_store_dword v114, off, s[0:3], 0 offset:136
	v_cmpx_lt_u32_e32 16, v0
	s_cbranch_execz .LBB119_313
; %bb.312:
	s_clause 0x1
	buffer_load_dword v114, off, s[0:3], 0 offset:128
	buffer_load_dword v115, off, s[0:3], 0 offset:132
	v_mov_b32_e32 v116, 0
	buffer_store_dword v116, off, s[0:3], 0 offset:128
	buffer_store_dword v116, off, s[0:3], 0 offset:132
	s_waitcnt vmcnt(0)
	ds_write_b64 v113, v[114:115]
.LBB119_313:
	s_or_b32 exec_lo, exec_lo, s4
	s_waitcnt lgkmcnt(0)
	s_waitcnt_vscnt null, 0x0
	s_barrier
	buffer_gl0_inv
	s_clause 0x1c
	buffer_load_dword v123, off, s[0:3], 0 offset:136
	buffer_load_dword v124, off, s[0:3], 0 offset:140
	;; [unrolled: 1-line block ×29, first 2 shown]
	v_mov_b32_e32 v114, 0
	buffer_load_dword v148, off, s[0:3], 0 offset:252
	s_mov_b32 s4, exec_lo
	ds_read2_b64 v[115:118], v114 offset0:73 offset1:74
	ds_read2_b64 v[119:122], v114 offset0:75 offset1:76
	s_waitcnt vmcnt(28) lgkmcnt(1)
	v_fma_f64 v[115:116], v[123:124], v[115:116], 0
	s_clause 0x7
	buffer_load_dword v124, off, s[0:3], 0 offset:260
	buffer_load_dword v153, off, s[0:3], 0 offset:280
	buffer_load_dword v155, off, s[0:3], 0 offset:272
	buffer_load_dword v157, off, s[0:3], 0 offset:264
	buffer_load_dword v123, off, s[0:3], 0 offset:256
	buffer_load_dword v158, off, s[0:3], 0 offset:268
	buffer_load_dword v156, off, s[0:3], 0 offset:276
	buffer_load_dword v154, off, s[0:3], 0 offset:284
	s_waitcnt vmcnt(34)
	v_fma_f64 v[115:116], v[125:126], v[117:118], v[115:116]
	s_waitcnt vmcnt(32) lgkmcnt(0)
	v_fma_f64 v[115:116], v[127:128], v[119:120], v[115:116]
	s_waitcnt vmcnt(30)
	v_fma_f64 v[125:126], v[129:130], v[121:122], v[115:116]
	ds_read2_b64 v[115:118], v114 offset0:77 offset1:78
	ds_read2_b64 v[119:122], v114 offset0:79 offset1:80
	s_waitcnt vmcnt(28) lgkmcnt(1)
	v_fma_f64 v[115:116], v[131:132], v[115:116], v[125:126]
	s_clause 0x7
	buffer_load_dword v126, off, s[0:3], 0 offset:292
	buffer_load_dword v127, off, s[0:3], 0 offset:312
	buffer_load_dword v129, off, s[0:3], 0 offset:304
	buffer_load_dword v131, off, s[0:3], 0 offset:296
	buffer_load_dword v125, off, s[0:3], 0 offset:288
	buffer_load_dword v132, off, s[0:3], 0 offset:300
	buffer_load_dword v130, off, s[0:3], 0 offset:308
	buffer_load_dword v128, off, s[0:3], 0 offset:316
	s_waitcnt vmcnt(34)
	v_fma_f64 v[115:116], v[133:134], v[117:118], v[115:116]
	s_waitcnt vmcnt(32) lgkmcnt(0)
	v_fma_f64 v[115:116], v[135:136], v[119:120], v[115:116]
	s_waitcnt vmcnt(27)
	v_fma_f64 v[133:134], v[137:138], v[121:122], v[115:116]
	ds_read2_b64 v[115:118], v114 offset0:81 offset1:82
	ds_read2_b64 v[119:122], v114 offset0:83 offset1:84
	s_waitcnt vmcnt(26) lgkmcnt(1)
	v_fma_f64 v[115:116], v[143:144], v[115:116], v[133:134]
	s_clause 0x7
	buffer_load_dword v134, off, s[0:3], 0 offset:324
	buffer_load_dword v135, off, s[0:3], 0 offset:344
	buffer_load_dword v137, off, s[0:3], 0 offset:336
	buffer_load_dword v143, off, s[0:3], 0 offset:328
	buffer_load_dword v133, off, s[0:3], 0 offset:320
	buffer_load_dword v144, off, s[0:3], 0 offset:332
	buffer_load_dword v138, off, s[0:3], 0 offset:340
	buffer_load_dword v136, off, s[0:3], 0 offset:348
	s_waitcnt vmcnt(33)
	v_fma_f64 v[115:116], v[141:142], v[117:118], v[115:116]
	s_waitcnt vmcnt(32) lgkmcnt(0)
	v_fma_f64 v[115:116], v[139:140], v[119:120], v[115:116]
	s_waitcnt vmcnt(27)
	v_fma_f64 v[139:140], v[145:146], v[121:122], v[115:116]
	ds_read2_b64 v[115:118], v114 offset0:85 offset1:86
	ds_read2_b64 v[119:122], v114 offset0:87 offset1:88
	s_waitcnt vmcnt(26) lgkmcnt(1)
	v_fma_f64 v[115:116], v[151:152], v[115:116], v[139:140]
	s_clause 0x7
	buffer_load_dword v140, off, s[0:3], 0 offset:356
	buffer_load_dword v141, off, s[0:3], 0 offset:376
	buffer_load_dword v145, off, s[0:3], 0 offset:368
	buffer_load_dword v151, off, s[0:3], 0 offset:360
	buffer_load_dword v139, off, s[0:3], 0 offset:352
	buffer_load_dword v152, off, s[0:3], 0 offset:364
	buffer_load_dword v146, off, s[0:3], 0 offset:372
	buffer_load_dword v142, off, s[0:3], 0 offset:380
	s_waitcnt vmcnt(33)
	v_fma_f64 v[115:116], v[149:150], v[117:118], v[115:116]
	s_waitcnt vmcnt(32) lgkmcnt(0)
	v_fma_f64 v[115:116], v[147:148], v[119:120], v[115:116]
	s_waitcnt vmcnt(27)
	v_fma_f64 v[123:124], v[123:124], v[121:122], v[115:116]
	ds_read2_b64 v[115:118], v114 offset0:89 offset1:90
	ds_read2_b64 v[119:122], v114 offset0:91 offset1:92
	s_waitcnt vmcnt(26) lgkmcnt(1)
	v_fma_f64 v[115:116], v[157:158], v[115:116], v[123:124]
	s_clause 0x7
	buffer_load_dword v124, off, s[0:3], 0 offset:388
	buffer_load_dword v147, off, s[0:3], 0 offset:408
	buffer_load_dword v149, off, s[0:3], 0 offset:400
	buffer_load_dword v157, off, s[0:3], 0 offset:392
	buffer_load_dword v123, off, s[0:3], 0 offset:384
	buffer_load_dword v158, off, s[0:3], 0 offset:396
	buffer_load_dword v150, off, s[0:3], 0 offset:404
	buffer_load_dword v148, off, s[0:3], 0 offset:412
	s_waitcnt vmcnt(33)
	v_fma_f64 v[115:116], v[155:156], v[117:118], v[115:116]
	s_waitcnt vmcnt(32) lgkmcnt(0)
	v_fma_f64 v[115:116], v[153:154], v[119:120], v[115:116]
	s_waitcnt vmcnt(27)
	v_fma_f64 v[125:126], v[125:126], v[121:122], v[115:116]
	ds_read2_b64 v[115:118], v114 offset0:93 offset1:94
	ds_read2_b64 v[119:122], v114 offset0:95 offset1:96
	s_waitcnt vmcnt(26) lgkmcnt(1)
	v_fma_f64 v[115:116], v[131:132], v[115:116], v[125:126]
	s_clause 0x7
	buffer_load_dword v126, off, s[0:3], 0 offset:420
	buffer_load_dword v131, off, s[0:3], 0 offset:440
	buffer_load_dword v153, off, s[0:3], 0 offset:432
	buffer_load_dword v155, off, s[0:3], 0 offset:424
	buffer_load_dword v125, off, s[0:3], 0 offset:416
	buffer_load_dword v156, off, s[0:3], 0 offset:428
	buffer_load_dword v154, off, s[0:3], 0 offset:436
	buffer_load_dword v132, off, s[0:3], 0 offset:444
	s_waitcnt vmcnt(33)
	v_fma_f64 v[115:116], v[129:130], v[117:118], v[115:116]
	s_waitcnt vmcnt(32) lgkmcnt(0)
	v_fma_f64 v[115:116], v[127:128], v[119:120], v[115:116]
	s_waitcnt vmcnt(27)
	v_fma_f64 v[127:128], v[133:134], v[121:122], v[115:116]
	ds_read2_b64 v[115:118], v114 offset0:97 offset1:98
	ds_read2_b64 v[119:122], v114 offset0:99 offset1:100
	s_waitcnt vmcnt(26) lgkmcnt(1)
	v_fma_f64 v[115:116], v[143:144], v[115:116], v[127:128]
	s_clause 0x1
	buffer_load_dword v127, off, s[0:3], 0 offset:128
	buffer_load_dword v128, off, s[0:3], 0 offset:132
	s_waitcnt vmcnt(27)
	v_fma_f64 v[115:116], v[137:138], v[117:118], v[115:116]
	s_waitcnt vmcnt(26) lgkmcnt(0)
	v_fma_f64 v[115:116], v[135:136], v[119:120], v[115:116]
	s_waitcnt vmcnt(21)
	v_fma_f64 v[129:130], v[139:140], v[121:122], v[115:116]
	ds_read2_b64 v[115:118], v114 offset0:101 offset1:102
	ds_read2_b64 v[119:122], v114 offset0:103 offset1:104
	s_waitcnt vmcnt(20) lgkmcnt(1)
	v_fma_f64 v[115:116], v[151:152], v[115:116], v[129:130]
	s_waitcnt vmcnt(19)
	v_fma_f64 v[115:116], v[145:146], v[117:118], v[115:116]
	s_waitcnt vmcnt(18) lgkmcnt(0)
	v_fma_f64 v[115:116], v[141:142], v[119:120], v[115:116]
	s_waitcnt vmcnt(13)
	v_fma_f64 v[123:124], v[123:124], v[121:122], v[115:116]
	ds_read2_b64 v[115:118], v114 offset0:105 offset1:106
	ds_read2_b64 v[119:122], v114 offset0:107 offset1:108
	s_waitcnt vmcnt(12) lgkmcnt(1)
	v_fma_f64 v[115:116], v[157:158], v[115:116], v[123:124]
	s_waitcnt vmcnt(11)
	v_fma_f64 v[115:116], v[149:150], v[117:118], v[115:116]
	s_waitcnt vmcnt(10) lgkmcnt(0)
	v_fma_f64 v[115:116], v[147:148], v[119:120], v[115:116]
	s_waitcnt vmcnt(5)
	v_fma_f64 v[119:120], v[125:126], v[121:122], v[115:116]
	ds_read2_b64 v[115:118], v114 offset0:109 offset1:110
	ds_read_b64 v[121:122], v114 offset:888
	s_waitcnt vmcnt(4) lgkmcnt(1)
	v_fma_f64 v[115:116], v[155:156], v[115:116], v[119:120]
	s_waitcnt vmcnt(3)
	v_fma_f64 v[115:116], v[153:154], v[117:118], v[115:116]
	s_waitcnt vmcnt(2) lgkmcnt(0)
	v_fma_f64 v[115:116], v[131:132], v[121:122], v[115:116]
	s_waitcnt vmcnt(0)
	v_add_f64 v[115:116], v[127:128], -v[115:116]
	buffer_store_dword v116, off, s[0:3], 0 offset:132
	buffer_store_dword v115, off, s[0:3], 0 offset:128
	v_cmpx_lt_u32_e32 15, v0
	s_cbranch_execz .LBB119_315
; %bb.314:
	s_clause 0x1
	buffer_load_dword v115, off, s[0:3], 0 offset:120
	buffer_load_dword v116, off, s[0:3], 0 offset:124
	buffer_store_dword v114, off, s[0:3], 0 offset:120
	buffer_store_dword v114, off, s[0:3], 0 offset:124
	s_waitcnt vmcnt(0)
	ds_write_b64 v113, v[115:116]
.LBB119_315:
	s_or_b32 exec_lo, exec_lo, s4
	s_waitcnt lgkmcnt(0)
	s_waitcnt_vscnt null, 0x0
	s_barrier
	buffer_gl0_inv
	s_clause 0x1c
	buffer_load_dword v123, off, s[0:3], 0 offset:128
	buffer_load_dword v124, off, s[0:3], 0 offset:132
	;; [unrolled: 1-line block ×29, first 2 shown]
	ds_read_b128 v[115:118], v114 offset:576
	ds_read_b128 v[119:122], v114 offset:592
	buffer_load_dword v148, off, s[0:3], 0 offset:244
	s_mov_b32 s4, exec_lo
	s_waitcnt vmcnt(28) lgkmcnt(1)
	v_fma_f64 v[115:116], v[123:124], v[115:116], 0
	s_clause 0x7
	buffer_load_dword v124, off, s[0:3], 0 offset:252
	buffer_load_dword v153, off, s[0:3], 0 offset:272
	buffer_load_dword v155, off, s[0:3], 0 offset:264
	buffer_load_dword v157, off, s[0:3], 0 offset:256
	buffer_load_dword v123, off, s[0:3], 0 offset:248
	buffer_load_dword v158, off, s[0:3], 0 offset:260
	buffer_load_dword v156, off, s[0:3], 0 offset:268
	buffer_load_dword v154, off, s[0:3], 0 offset:276
	s_waitcnt vmcnt(34)
	v_fma_f64 v[115:116], v[125:126], v[117:118], v[115:116]
	s_waitcnt vmcnt(32) lgkmcnt(0)
	v_fma_f64 v[115:116], v[127:128], v[119:120], v[115:116]
	s_waitcnt vmcnt(30)
	v_fma_f64 v[125:126], v[129:130], v[121:122], v[115:116]
	ds_read_b128 v[115:118], v114 offset:608
	ds_read_b128 v[119:122], v114 offset:624
	s_waitcnt vmcnt(28) lgkmcnt(1)
	v_fma_f64 v[115:116], v[131:132], v[115:116], v[125:126]
	s_clause 0x7
	buffer_load_dword v126, off, s[0:3], 0 offset:284
	buffer_load_dword v127, off, s[0:3], 0 offset:304
	buffer_load_dword v129, off, s[0:3], 0 offset:296
	buffer_load_dword v131, off, s[0:3], 0 offset:288
	buffer_load_dword v125, off, s[0:3], 0 offset:280
	buffer_load_dword v132, off, s[0:3], 0 offset:292
	buffer_load_dword v130, off, s[0:3], 0 offset:300
	buffer_load_dword v128, off, s[0:3], 0 offset:308
	s_waitcnt vmcnt(34)
	v_fma_f64 v[115:116], v[133:134], v[117:118], v[115:116]
	s_waitcnt vmcnt(32) lgkmcnt(0)
	v_fma_f64 v[115:116], v[135:136], v[119:120], v[115:116]
	s_waitcnt vmcnt(27)
	v_fma_f64 v[133:134], v[137:138], v[121:122], v[115:116]
	ds_read_b128 v[115:118], v114 offset:640
	ds_read_b128 v[119:122], v114 offset:656
	;; [unrolled: 19-line block ×6, first 2 shown]
	s_waitcnt vmcnt(26) lgkmcnt(1)
	v_fma_f64 v[115:116], v[143:144], v[115:116], v[127:128]
	s_clause 0x3
	buffer_load_dword v128, off, s[0:3], 0 offset:444
	buffer_load_dword v127, off, s[0:3], 0 offset:440
	;; [unrolled: 1-line block ×4, first 2 shown]
	s_waitcnt vmcnt(29)
	v_fma_f64 v[115:116], v[137:138], v[117:118], v[115:116]
	s_waitcnt vmcnt(28) lgkmcnt(0)
	v_fma_f64 v[115:116], v[135:136], v[119:120], v[115:116]
	s_waitcnt vmcnt(23)
	v_fma_f64 v[133:134], v[139:140], v[121:122], v[115:116]
	ds_read_b128 v[115:118], v114 offset:800
	ds_read_b128 v[119:122], v114 offset:816
	s_waitcnt vmcnt(22) lgkmcnt(1)
	v_fma_f64 v[115:116], v[151:152], v[115:116], v[133:134]
	s_waitcnt vmcnt(21)
	v_fma_f64 v[115:116], v[145:146], v[117:118], v[115:116]
	s_waitcnt vmcnt(20) lgkmcnt(0)
	v_fma_f64 v[115:116], v[141:142], v[119:120], v[115:116]
	s_waitcnt vmcnt(15)
	v_fma_f64 v[123:124], v[123:124], v[121:122], v[115:116]
	ds_read_b128 v[115:118], v114 offset:832
	ds_read_b128 v[119:122], v114 offset:848
	s_waitcnt vmcnt(14) lgkmcnt(1)
	v_fma_f64 v[115:116], v[157:158], v[115:116], v[123:124]
	;; [unrolled: 10-line block ×3, first 2 shown]
	s_waitcnt vmcnt(5)
	v_fma_f64 v[114:115], v[153:154], v[117:118], v[114:115]
	s_waitcnt vmcnt(4) lgkmcnt(0)
	v_fma_f64 v[114:115], v[131:132], v[119:120], v[114:115]
	s_waitcnt vmcnt(2)
	v_fma_f64 v[114:115], v[127:128], v[121:122], v[114:115]
	s_waitcnt vmcnt(0)
	v_add_f64 v[114:115], v[129:130], -v[114:115]
	buffer_store_dword v115, off, s[0:3], 0 offset:124
	buffer_store_dword v114, off, s[0:3], 0 offset:120
	v_cmpx_lt_u32_e32 14, v0
	s_cbranch_execz .LBB119_317
; %bb.316:
	s_clause 0x1
	buffer_load_dword v114, off, s[0:3], 0 offset:112
	buffer_load_dword v115, off, s[0:3], 0 offset:116
	v_mov_b32_e32 v116, 0
	buffer_store_dword v116, off, s[0:3], 0 offset:112
	buffer_store_dword v116, off, s[0:3], 0 offset:116
	s_waitcnt vmcnt(0)
	ds_write_b64 v113, v[114:115]
.LBB119_317:
	s_or_b32 exec_lo, exec_lo, s4
	s_waitcnt lgkmcnt(0)
	s_waitcnt_vscnt null, 0x0
	s_barrier
	buffer_gl0_inv
	s_clause 0x1c
	buffer_load_dword v123, off, s[0:3], 0 offset:120
	buffer_load_dword v124, off, s[0:3], 0 offset:124
	;; [unrolled: 1-line block ×29, first 2 shown]
	v_mov_b32_e32 v114, 0
	buffer_load_dword v148, off, s[0:3], 0 offset:236
	s_mov_b32 s4, exec_lo
	ds_read2_b64 v[115:118], v114 offset0:71 offset1:72
	ds_read2_b64 v[119:122], v114 offset0:73 offset1:74
	s_waitcnt vmcnt(28) lgkmcnt(1)
	v_fma_f64 v[115:116], v[123:124], v[115:116], 0
	s_clause 0x7
	buffer_load_dword v124, off, s[0:3], 0 offset:244
	buffer_load_dword v153, off, s[0:3], 0 offset:264
	buffer_load_dword v155, off, s[0:3], 0 offset:256
	buffer_load_dword v157, off, s[0:3], 0 offset:248
	buffer_load_dword v123, off, s[0:3], 0 offset:240
	buffer_load_dword v158, off, s[0:3], 0 offset:252
	buffer_load_dword v156, off, s[0:3], 0 offset:260
	buffer_load_dword v154, off, s[0:3], 0 offset:268
	s_waitcnt vmcnt(34)
	v_fma_f64 v[115:116], v[125:126], v[117:118], v[115:116]
	s_waitcnt vmcnt(32) lgkmcnt(0)
	v_fma_f64 v[115:116], v[127:128], v[119:120], v[115:116]
	s_waitcnt vmcnt(30)
	v_fma_f64 v[125:126], v[129:130], v[121:122], v[115:116]
	ds_read2_b64 v[115:118], v114 offset0:75 offset1:76
	ds_read2_b64 v[119:122], v114 offset0:77 offset1:78
	s_waitcnt vmcnt(28) lgkmcnt(1)
	v_fma_f64 v[115:116], v[131:132], v[115:116], v[125:126]
	s_clause 0x7
	buffer_load_dword v126, off, s[0:3], 0 offset:276
	buffer_load_dword v127, off, s[0:3], 0 offset:296
	buffer_load_dword v129, off, s[0:3], 0 offset:288
	buffer_load_dword v131, off, s[0:3], 0 offset:280
	buffer_load_dword v125, off, s[0:3], 0 offset:272
	buffer_load_dword v132, off, s[0:3], 0 offset:284
	buffer_load_dword v130, off, s[0:3], 0 offset:292
	buffer_load_dword v128, off, s[0:3], 0 offset:300
	s_waitcnt vmcnt(34)
	v_fma_f64 v[115:116], v[133:134], v[117:118], v[115:116]
	s_waitcnt vmcnt(32) lgkmcnt(0)
	v_fma_f64 v[115:116], v[135:136], v[119:120], v[115:116]
	s_waitcnt vmcnt(27)
	v_fma_f64 v[133:134], v[137:138], v[121:122], v[115:116]
	;; [unrolled: 19-line block ×6, first 2 shown]
	ds_read2_b64 v[115:118], v114 offset0:95 offset1:96
	ds_read2_b64 v[119:122], v114 offset0:97 offset1:98
	s_waitcnt vmcnt(26) lgkmcnt(1)
	v_fma_f64 v[115:116], v[143:144], v[115:116], v[127:128]
	s_clause 0x5
	buffer_load_dword v128, off, s[0:3], 0 offset:436
	buffer_load_dword v129, off, s[0:3], 0 offset:440
	;; [unrolled: 1-line block ×6, first 2 shown]
	s_waitcnt vmcnt(31)
	v_fma_f64 v[115:116], v[137:138], v[117:118], v[115:116]
	s_waitcnt vmcnt(30) lgkmcnt(0)
	v_fma_f64 v[115:116], v[135:136], v[119:120], v[115:116]
	s_waitcnt vmcnt(25)
	v_fma_f64 v[135:136], v[139:140], v[121:122], v[115:116]
	ds_read2_b64 v[115:118], v114 offset0:99 offset1:100
	ds_read2_b64 v[119:122], v114 offset0:101 offset1:102
	s_waitcnt vmcnt(24) lgkmcnt(1)
	v_fma_f64 v[115:116], v[151:152], v[115:116], v[135:136]
	s_waitcnt vmcnt(23)
	v_fma_f64 v[115:116], v[145:146], v[117:118], v[115:116]
	s_waitcnt vmcnt(22) lgkmcnt(0)
	v_fma_f64 v[115:116], v[141:142], v[119:120], v[115:116]
	s_waitcnt vmcnt(17)
	v_fma_f64 v[123:124], v[123:124], v[121:122], v[115:116]
	ds_read2_b64 v[115:118], v114 offset0:103 offset1:104
	ds_read2_b64 v[119:122], v114 offset0:105 offset1:106
	s_waitcnt vmcnt(16) lgkmcnt(1)
	v_fma_f64 v[115:116], v[157:158], v[115:116], v[123:124]
	;; [unrolled: 10-line block ×3, first 2 shown]
	s_waitcnt vmcnt(7)
	v_fma_f64 v[115:116], v[153:154], v[117:118], v[115:116]
	ds_read_b64 v[117:118], v114 offset:888
	s_waitcnt vmcnt(6) lgkmcnt(1)
	v_fma_f64 v[115:116], v[131:132], v[119:120], v[115:116]
	s_waitcnt vmcnt(3)
	v_fma_f64 v[115:116], v[127:128], v[121:122], v[115:116]
	s_waitcnt vmcnt(2) lgkmcnt(0)
	v_fma_f64 v[115:116], v[129:130], v[117:118], v[115:116]
	s_waitcnt vmcnt(0)
	v_add_f64 v[115:116], v[133:134], -v[115:116]
	buffer_store_dword v116, off, s[0:3], 0 offset:116
	buffer_store_dword v115, off, s[0:3], 0 offset:112
	v_cmpx_lt_u32_e32 13, v0
	s_cbranch_execz .LBB119_319
; %bb.318:
	s_clause 0x1
	buffer_load_dword v115, off, s[0:3], 0 offset:104
	buffer_load_dword v116, off, s[0:3], 0 offset:108
	buffer_store_dword v114, off, s[0:3], 0 offset:104
	buffer_store_dword v114, off, s[0:3], 0 offset:108
	s_waitcnt vmcnt(0)
	ds_write_b64 v113, v[115:116]
.LBB119_319:
	s_or_b32 exec_lo, exec_lo, s4
	s_waitcnt lgkmcnt(0)
	s_waitcnt_vscnt null, 0x0
	s_barrier
	buffer_gl0_inv
	s_clause 0x1c
	buffer_load_dword v123, off, s[0:3], 0 offset:112
	buffer_load_dword v124, off, s[0:3], 0 offset:116
	;; [unrolled: 1-line block ×29, first 2 shown]
	ds_read_b128 v[115:118], v114 offset:560
	ds_read_b128 v[119:122], v114 offset:576
	buffer_load_dword v148, off, s[0:3], 0 offset:228
	s_mov_b32 s4, exec_lo
	s_waitcnt vmcnt(28) lgkmcnt(1)
	v_fma_f64 v[115:116], v[123:124], v[115:116], 0
	s_clause 0x7
	buffer_load_dword v124, off, s[0:3], 0 offset:236
	buffer_load_dword v153, off, s[0:3], 0 offset:256
	buffer_load_dword v155, off, s[0:3], 0 offset:248
	buffer_load_dword v157, off, s[0:3], 0 offset:240
	buffer_load_dword v123, off, s[0:3], 0 offset:232
	buffer_load_dword v158, off, s[0:3], 0 offset:244
	buffer_load_dword v156, off, s[0:3], 0 offset:252
	buffer_load_dword v154, off, s[0:3], 0 offset:260
	s_waitcnt vmcnt(34)
	v_fma_f64 v[115:116], v[125:126], v[117:118], v[115:116]
	s_waitcnt vmcnt(32) lgkmcnt(0)
	v_fma_f64 v[115:116], v[127:128], v[119:120], v[115:116]
	s_waitcnt vmcnt(30)
	v_fma_f64 v[125:126], v[129:130], v[121:122], v[115:116]
	ds_read_b128 v[115:118], v114 offset:592
	ds_read_b128 v[119:122], v114 offset:608
	s_waitcnt vmcnt(28) lgkmcnt(1)
	v_fma_f64 v[115:116], v[131:132], v[115:116], v[125:126]
	s_clause 0x7
	buffer_load_dword v126, off, s[0:3], 0 offset:268
	buffer_load_dword v127, off, s[0:3], 0 offset:288
	buffer_load_dword v129, off, s[0:3], 0 offset:280
	buffer_load_dword v131, off, s[0:3], 0 offset:272
	buffer_load_dword v125, off, s[0:3], 0 offset:264
	buffer_load_dword v132, off, s[0:3], 0 offset:276
	buffer_load_dword v130, off, s[0:3], 0 offset:284
	buffer_load_dword v128, off, s[0:3], 0 offset:292
	s_waitcnt vmcnt(34)
	v_fma_f64 v[115:116], v[133:134], v[117:118], v[115:116]
	s_waitcnt vmcnt(32) lgkmcnt(0)
	v_fma_f64 v[115:116], v[135:136], v[119:120], v[115:116]
	s_waitcnt vmcnt(27)
	v_fma_f64 v[133:134], v[137:138], v[121:122], v[115:116]
	ds_read_b128 v[115:118], v114 offset:624
	ds_read_b128 v[119:122], v114 offset:640
	;; [unrolled: 19-line block ×6, first 2 shown]
	s_waitcnt vmcnt(26) lgkmcnt(1)
	v_fma_f64 v[115:116], v[143:144], v[115:116], v[127:128]
	s_clause 0x5
	buffer_load_dword v128, off, s[0:3], 0 offset:428
	buffer_load_dword v129, off, s[0:3], 0 offset:440
	;; [unrolled: 1-line block ×6, first 2 shown]
	s_waitcnt vmcnt(31)
	v_fma_f64 v[115:116], v[137:138], v[117:118], v[115:116]
	s_waitcnt vmcnt(30) lgkmcnt(0)
	v_fma_f64 v[115:116], v[135:136], v[119:120], v[115:116]
	s_waitcnt vmcnt(25)
	v_fma_f64 v[135:136], v[139:140], v[121:122], v[115:116]
	ds_read_b128 v[115:118], v114 offset:784
	s_clause 0x1
	buffer_load_dword v137, off, s[0:3], 0 offset:104
	buffer_load_dword v138, off, s[0:3], 0 offset:108
	ds_read_b128 v[119:122], v114 offset:800
	s_waitcnt vmcnt(26) lgkmcnt(1)
	v_fma_f64 v[115:116], v[151:152], v[115:116], v[135:136]
	s_waitcnt vmcnt(25)
	v_fma_f64 v[115:116], v[145:146], v[117:118], v[115:116]
	s_waitcnt vmcnt(24) lgkmcnt(0)
	v_fma_f64 v[115:116], v[141:142], v[119:120], v[115:116]
	s_waitcnt vmcnt(19)
	v_fma_f64 v[123:124], v[123:124], v[121:122], v[115:116]
	ds_read_b128 v[115:118], v114 offset:816
	ds_read_b128 v[119:122], v114 offset:832
	s_waitcnt vmcnt(18) lgkmcnt(1)
	v_fma_f64 v[115:116], v[157:158], v[115:116], v[123:124]
	s_waitcnt vmcnt(17)
	v_fma_f64 v[115:116], v[149:150], v[117:118], v[115:116]
	s_waitcnt vmcnt(16) lgkmcnt(0)
	v_fma_f64 v[115:116], v[147:148], v[119:120], v[115:116]
	s_waitcnt vmcnt(11)
	v_fma_f64 v[123:124], v[125:126], v[121:122], v[115:116]
	ds_read_b128 v[115:118], v114 offset:848
	;; [unrolled: 10-line block ×3, first 2 shown]
	s_waitcnt vmcnt(3) lgkmcnt(0)
	v_fma_f64 v[114:115], v[133:134], v[114:115], v[118:119]
	s_waitcnt vmcnt(2)
	v_fma_f64 v[114:115], v[129:130], v[116:117], v[114:115]
	s_waitcnt vmcnt(0)
	v_add_f64 v[114:115], v[137:138], -v[114:115]
	buffer_store_dword v115, off, s[0:3], 0 offset:108
	buffer_store_dword v114, off, s[0:3], 0 offset:104
	v_cmpx_lt_u32_e32 12, v0
	s_cbranch_execz .LBB119_321
; %bb.320:
	s_clause 0x1
	buffer_load_dword v114, off, s[0:3], 0 offset:96
	buffer_load_dword v115, off, s[0:3], 0 offset:100
	v_mov_b32_e32 v116, 0
	buffer_store_dword v116, off, s[0:3], 0 offset:96
	buffer_store_dword v116, off, s[0:3], 0 offset:100
	s_waitcnt vmcnt(0)
	ds_write_b64 v113, v[114:115]
.LBB119_321:
	s_or_b32 exec_lo, exec_lo, s4
	s_waitcnt lgkmcnt(0)
	s_waitcnt_vscnt null, 0x0
	s_barrier
	buffer_gl0_inv
	s_clause 0x1c
	buffer_load_dword v123, off, s[0:3], 0 offset:104
	buffer_load_dword v124, off, s[0:3], 0 offset:108
	;; [unrolled: 1-line block ×29, first 2 shown]
	v_mov_b32_e32 v114, 0
	buffer_load_dword v148, off, s[0:3], 0 offset:220
	s_mov_b32 s4, exec_lo
	ds_read2_b64 v[115:118], v114 offset0:69 offset1:70
	ds_read2_b64 v[119:122], v114 offset0:71 offset1:72
	s_waitcnt vmcnt(28) lgkmcnt(1)
	v_fma_f64 v[115:116], v[123:124], v[115:116], 0
	s_clause 0x7
	buffer_load_dword v124, off, s[0:3], 0 offset:228
	buffer_load_dword v153, off, s[0:3], 0 offset:248
	buffer_load_dword v155, off, s[0:3], 0 offset:240
	buffer_load_dword v157, off, s[0:3], 0 offset:232
	buffer_load_dword v123, off, s[0:3], 0 offset:224
	buffer_load_dword v158, off, s[0:3], 0 offset:236
	buffer_load_dword v156, off, s[0:3], 0 offset:244
	buffer_load_dword v154, off, s[0:3], 0 offset:252
	s_waitcnt vmcnt(34)
	v_fma_f64 v[115:116], v[125:126], v[117:118], v[115:116]
	s_waitcnt vmcnt(32) lgkmcnt(0)
	v_fma_f64 v[115:116], v[127:128], v[119:120], v[115:116]
	s_waitcnt vmcnt(30)
	v_fma_f64 v[125:126], v[129:130], v[121:122], v[115:116]
	ds_read2_b64 v[115:118], v114 offset0:73 offset1:74
	ds_read2_b64 v[119:122], v114 offset0:75 offset1:76
	s_waitcnt vmcnt(28) lgkmcnt(1)
	v_fma_f64 v[115:116], v[131:132], v[115:116], v[125:126]
	s_clause 0x7
	buffer_load_dword v126, off, s[0:3], 0 offset:260
	buffer_load_dword v127, off, s[0:3], 0 offset:280
	buffer_load_dword v129, off, s[0:3], 0 offset:272
	buffer_load_dword v131, off, s[0:3], 0 offset:264
	buffer_load_dword v125, off, s[0:3], 0 offset:256
	buffer_load_dword v132, off, s[0:3], 0 offset:268
	buffer_load_dword v130, off, s[0:3], 0 offset:276
	buffer_load_dword v128, off, s[0:3], 0 offset:284
	s_waitcnt vmcnt(34)
	v_fma_f64 v[115:116], v[133:134], v[117:118], v[115:116]
	s_waitcnt vmcnt(32) lgkmcnt(0)
	v_fma_f64 v[115:116], v[135:136], v[119:120], v[115:116]
	s_waitcnt vmcnt(27)
	v_fma_f64 v[133:134], v[137:138], v[121:122], v[115:116]
	;; [unrolled: 19-line block ×7, first 2 shown]
	ds_read2_b64 v[115:118], v114 offset0:97 offset1:98
	ds_read2_b64 v[119:122], v114 offset0:99 offset1:100
	s_waitcnt vmcnt(26) lgkmcnt(1)
	v_fma_f64 v[115:116], v[151:152], v[115:116], v[135:136]
	s_clause 0x1
	buffer_load_dword v135, off, s[0:3], 0 offset:96
	buffer_load_dword v136, off, s[0:3], 0 offset:100
	s_waitcnt vmcnt(27)
	v_fma_f64 v[115:116], v[145:146], v[117:118], v[115:116]
	s_waitcnt vmcnt(26) lgkmcnt(0)
	v_fma_f64 v[115:116], v[141:142], v[119:120], v[115:116]
	s_waitcnt vmcnt(21)
	v_fma_f64 v[123:124], v[123:124], v[121:122], v[115:116]
	ds_read2_b64 v[115:118], v114 offset0:101 offset1:102
	ds_read2_b64 v[119:122], v114 offset0:103 offset1:104
	s_waitcnt vmcnt(20) lgkmcnt(1)
	v_fma_f64 v[115:116], v[157:158], v[115:116], v[123:124]
	s_waitcnt vmcnt(19)
	v_fma_f64 v[115:116], v[149:150], v[117:118], v[115:116]
	s_waitcnt vmcnt(18) lgkmcnt(0)
	v_fma_f64 v[115:116], v[147:148], v[119:120], v[115:116]
	s_waitcnt vmcnt(13)
	v_fma_f64 v[123:124], v[125:126], v[121:122], v[115:116]
	ds_read2_b64 v[115:118], v114 offset0:105 offset1:106
	ds_read2_b64 v[119:122], v114 offset0:107 offset1:108
	s_waitcnt vmcnt(12) lgkmcnt(1)
	v_fma_f64 v[115:116], v[155:156], v[115:116], v[123:124]
	s_waitcnt vmcnt(11)
	v_fma_f64 v[115:116], v[153:154], v[117:118], v[115:116]
	s_waitcnt vmcnt(10) lgkmcnt(0)
	v_fma_f64 v[115:116], v[131:132], v[119:120], v[115:116]
	s_waitcnt vmcnt(5)
	v_fma_f64 v[119:120], v[127:128], v[121:122], v[115:116]
	ds_read2_b64 v[115:118], v114 offset0:109 offset1:110
	ds_read_b64 v[121:122], v114 offset:888
	s_waitcnt vmcnt(4) lgkmcnt(1)
	v_fma_f64 v[115:116], v[143:144], v[115:116], v[119:120]
	s_waitcnt vmcnt(3)
	v_fma_f64 v[115:116], v[133:134], v[117:118], v[115:116]
	s_waitcnt vmcnt(2) lgkmcnt(0)
	v_fma_f64 v[115:116], v[129:130], v[121:122], v[115:116]
	s_waitcnt vmcnt(0)
	v_add_f64 v[115:116], v[135:136], -v[115:116]
	buffer_store_dword v116, off, s[0:3], 0 offset:100
	buffer_store_dword v115, off, s[0:3], 0 offset:96
	v_cmpx_lt_u32_e32 11, v0
	s_cbranch_execz .LBB119_323
; %bb.322:
	s_clause 0x1
	buffer_load_dword v115, off, s[0:3], 0 offset:88
	buffer_load_dword v116, off, s[0:3], 0 offset:92
	buffer_store_dword v114, off, s[0:3], 0 offset:88
	buffer_store_dword v114, off, s[0:3], 0 offset:92
	s_waitcnt vmcnt(0)
	ds_write_b64 v113, v[115:116]
.LBB119_323:
	s_or_b32 exec_lo, exec_lo, s4
	s_waitcnt lgkmcnt(0)
	s_waitcnt_vscnt null, 0x0
	s_barrier
	buffer_gl0_inv
	s_clause 0x1c
	buffer_load_dword v123, off, s[0:3], 0 offset:96
	buffer_load_dword v124, off, s[0:3], 0 offset:100
	;; [unrolled: 1-line block ×29, first 2 shown]
	ds_read_b128 v[115:118], v114 offset:544
	ds_read_b128 v[119:122], v114 offset:560
	buffer_load_dword v148, off, s[0:3], 0 offset:212
	s_mov_b32 s4, exec_lo
	s_waitcnt vmcnt(28) lgkmcnt(1)
	v_fma_f64 v[115:116], v[123:124], v[115:116], 0
	s_clause 0x7
	buffer_load_dword v124, off, s[0:3], 0 offset:220
	buffer_load_dword v153, off, s[0:3], 0 offset:240
	buffer_load_dword v155, off, s[0:3], 0 offset:232
	buffer_load_dword v157, off, s[0:3], 0 offset:224
	buffer_load_dword v123, off, s[0:3], 0 offset:216
	buffer_load_dword v158, off, s[0:3], 0 offset:228
	buffer_load_dword v156, off, s[0:3], 0 offset:236
	buffer_load_dword v154, off, s[0:3], 0 offset:244
	s_waitcnt vmcnt(34)
	v_fma_f64 v[115:116], v[125:126], v[117:118], v[115:116]
	s_waitcnt vmcnt(32) lgkmcnt(0)
	v_fma_f64 v[115:116], v[127:128], v[119:120], v[115:116]
	s_waitcnt vmcnt(30)
	v_fma_f64 v[125:126], v[129:130], v[121:122], v[115:116]
	ds_read_b128 v[115:118], v114 offset:576
	ds_read_b128 v[119:122], v114 offset:592
	s_waitcnt vmcnt(28) lgkmcnt(1)
	v_fma_f64 v[115:116], v[131:132], v[115:116], v[125:126]
	s_clause 0x7
	buffer_load_dword v126, off, s[0:3], 0 offset:252
	buffer_load_dword v127, off, s[0:3], 0 offset:272
	buffer_load_dword v129, off, s[0:3], 0 offset:264
	buffer_load_dword v131, off, s[0:3], 0 offset:256
	buffer_load_dword v125, off, s[0:3], 0 offset:248
	buffer_load_dword v132, off, s[0:3], 0 offset:260
	buffer_load_dword v130, off, s[0:3], 0 offset:268
	buffer_load_dword v128, off, s[0:3], 0 offset:276
	s_waitcnt vmcnt(34)
	v_fma_f64 v[115:116], v[133:134], v[117:118], v[115:116]
	s_waitcnt vmcnt(32) lgkmcnt(0)
	v_fma_f64 v[115:116], v[135:136], v[119:120], v[115:116]
	s_waitcnt vmcnt(27)
	v_fma_f64 v[133:134], v[137:138], v[121:122], v[115:116]
	ds_read_b128 v[115:118], v114 offset:608
	ds_read_b128 v[119:122], v114 offset:624
	;; [unrolled: 19-line block ×7, first 2 shown]
	s_waitcnt vmcnt(26) lgkmcnt(1)
	v_fma_f64 v[115:116], v[151:152], v[115:116], v[135:136]
	s_clause 0x3
	buffer_load_dword v136, off, s[0:3], 0 offset:444
	buffer_load_dword v135, off, s[0:3], 0 offset:440
	;; [unrolled: 1-line block ×4, first 2 shown]
	s_waitcnt vmcnt(29)
	v_fma_f64 v[115:116], v[145:146], v[117:118], v[115:116]
	s_waitcnt vmcnt(28) lgkmcnt(0)
	v_fma_f64 v[115:116], v[141:142], v[119:120], v[115:116]
	s_waitcnt vmcnt(23)
	v_fma_f64 v[123:124], v[123:124], v[121:122], v[115:116]
	ds_read_b128 v[115:118], v114 offset:800
	ds_read_b128 v[119:122], v114 offset:816
	s_waitcnt vmcnt(22) lgkmcnt(1)
	v_fma_f64 v[115:116], v[157:158], v[115:116], v[123:124]
	s_waitcnt vmcnt(21)
	v_fma_f64 v[115:116], v[149:150], v[117:118], v[115:116]
	s_waitcnt vmcnt(20) lgkmcnt(0)
	v_fma_f64 v[115:116], v[147:148], v[119:120], v[115:116]
	s_waitcnt vmcnt(15)
	v_fma_f64 v[123:124], v[125:126], v[121:122], v[115:116]
	ds_read_b128 v[115:118], v114 offset:832
	ds_read_b128 v[119:122], v114 offset:848
	s_waitcnt vmcnt(14) lgkmcnt(1)
	v_fma_f64 v[115:116], v[155:156], v[115:116], v[123:124]
	;; [unrolled: 10-line block ×3, first 2 shown]
	s_waitcnt vmcnt(5)
	v_fma_f64 v[114:115], v[133:134], v[117:118], v[114:115]
	s_waitcnt vmcnt(4) lgkmcnt(0)
	v_fma_f64 v[114:115], v[129:130], v[119:120], v[114:115]
	s_waitcnt vmcnt(2)
	v_fma_f64 v[114:115], v[135:136], v[121:122], v[114:115]
	s_waitcnt vmcnt(0)
	v_add_f64 v[114:115], v[137:138], -v[114:115]
	buffer_store_dword v115, off, s[0:3], 0 offset:92
	buffer_store_dword v114, off, s[0:3], 0 offset:88
	v_cmpx_lt_u32_e32 10, v0
	s_cbranch_execz .LBB119_325
; %bb.324:
	s_clause 0x1
	buffer_load_dword v114, off, s[0:3], 0 offset:80
	buffer_load_dword v115, off, s[0:3], 0 offset:84
	v_mov_b32_e32 v116, 0
	buffer_store_dword v116, off, s[0:3], 0 offset:80
	buffer_store_dword v116, off, s[0:3], 0 offset:84
	s_waitcnt vmcnt(0)
	ds_write_b64 v113, v[114:115]
.LBB119_325:
	s_or_b32 exec_lo, exec_lo, s4
	s_waitcnt lgkmcnt(0)
	s_waitcnt_vscnt null, 0x0
	s_barrier
	buffer_gl0_inv
	s_clause 0x1c
	buffer_load_dword v123, off, s[0:3], 0 offset:88
	buffer_load_dword v124, off, s[0:3], 0 offset:92
	;; [unrolled: 1-line block ×29, first 2 shown]
	v_mov_b32_e32 v114, 0
	buffer_load_dword v148, off, s[0:3], 0 offset:204
	s_mov_b32 s4, exec_lo
	ds_read2_b64 v[115:118], v114 offset0:67 offset1:68
	ds_read2_b64 v[119:122], v114 offset0:69 offset1:70
	s_waitcnt vmcnt(28) lgkmcnt(1)
	v_fma_f64 v[115:116], v[123:124], v[115:116], 0
	s_clause 0x7
	buffer_load_dword v124, off, s[0:3], 0 offset:212
	buffer_load_dword v153, off, s[0:3], 0 offset:232
	buffer_load_dword v155, off, s[0:3], 0 offset:224
	buffer_load_dword v157, off, s[0:3], 0 offset:216
	buffer_load_dword v123, off, s[0:3], 0 offset:208
	buffer_load_dword v158, off, s[0:3], 0 offset:220
	buffer_load_dword v156, off, s[0:3], 0 offset:228
	buffer_load_dword v154, off, s[0:3], 0 offset:236
	s_waitcnt vmcnt(34)
	v_fma_f64 v[115:116], v[125:126], v[117:118], v[115:116]
	s_waitcnt vmcnt(32) lgkmcnt(0)
	v_fma_f64 v[115:116], v[127:128], v[119:120], v[115:116]
	s_waitcnt vmcnt(30)
	v_fma_f64 v[125:126], v[129:130], v[121:122], v[115:116]
	ds_read2_b64 v[115:118], v114 offset0:71 offset1:72
	ds_read2_b64 v[119:122], v114 offset0:73 offset1:74
	s_waitcnt vmcnt(28) lgkmcnt(1)
	v_fma_f64 v[115:116], v[131:132], v[115:116], v[125:126]
	s_clause 0x7
	buffer_load_dword v126, off, s[0:3], 0 offset:244
	buffer_load_dword v127, off, s[0:3], 0 offset:264
	buffer_load_dword v129, off, s[0:3], 0 offset:256
	buffer_load_dword v131, off, s[0:3], 0 offset:248
	buffer_load_dword v125, off, s[0:3], 0 offset:240
	buffer_load_dword v132, off, s[0:3], 0 offset:252
	buffer_load_dword v130, off, s[0:3], 0 offset:260
	buffer_load_dword v128, off, s[0:3], 0 offset:268
	s_waitcnt vmcnt(34)
	v_fma_f64 v[115:116], v[133:134], v[117:118], v[115:116]
	s_waitcnt vmcnt(32) lgkmcnt(0)
	v_fma_f64 v[115:116], v[135:136], v[119:120], v[115:116]
	s_waitcnt vmcnt(27)
	v_fma_f64 v[133:134], v[137:138], v[121:122], v[115:116]
	ds_read2_b64 v[115:118], v114 offset0:75 offset1:76
	ds_read2_b64 v[119:122], v114 offset0:77 offset1:78
	s_waitcnt vmcnt(26) lgkmcnt(1)
	v_fma_f64 v[115:116], v[143:144], v[115:116], v[133:134]
	s_clause 0x7
	buffer_load_dword v134, off, s[0:3], 0 offset:276
	buffer_load_dword v135, off, s[0:3], 0 offset:296
	buffer_load_dword v137, off, s[0:3], 0 offset:288
	buffer_load_dword v143, off, s[0:3], 0 offset:280
	buffer_load_dword v133, off, s[0:3], 0 offset:272
	buffer_load_dword v144, off, s[0:3], 0 offset:284
	buffer_load_dword v138, off, s[0:3], 0 offset:292
	buffer_load_dword v136, off, s[0:3], 0 offset:300
	s_waitcnt vmcnt(33)
	v_fma_f64 v[115:116], v[141:142], v[117:118], v[115:116]
	s_waitcnt vmcnt(32) lgkmcnt(0)
	v_fma_f64 v[115:116], v[139:140], v[119:120], v[115:116]
	s_waitcnt vmcnt(27)
	v_fma_f64 v[139:140], v[145:146], v[121:122], v[115:116]
	ds_read2_b64 v[115:118], v114 offset0:79 offset1:80
	ds_read2_b64 v[119:122], v114 offset0:81 offset1:82
	s_waitcnt vmcnt(26) lgkmcnt(1)
	v_fma_f64 v[115:116], v[151:152], v[115:116], v[139:140]
	s_clause 0x7
	buffer_load_dword v140, off, s[0:3], 0 offset:308
	buffer_load_dword v141, off, s[0:3], 0 offset:328
	buffer_load_dword v145, off, s[0:3], 0 offset:320
	buffer_load_dword v151, off, s[0:3], 0 offset:312
	buffer_load_dword v139, off, s[0:3], 0 offset:304
	buffer_load_dword v152, off, s[0:3], 0 offset:316
	buffer_load_dword v146, off, s[0:3], 0 offset:324
	buffer_load_dword v142, off, s[0:3], 0 offset:332
	s_waitcnt vmcnt(33)
	v_fma_f64 v[115:116], v[149:150], v[117:118], v[115:116]
	s_waitcnt vmcnt(32) lgkmcnt(0)
	v_fma_f64 v[115:116], v[147:148], v[119:120], v[115:116]
	s_waitcnt vmcnt(27)
	v_fma_f64 v[123:124], v[123:124], v[121:122], v[115:116]
	ds_read2_b64 v[115:118], v114 offset0:83 offset1:84
	ds_read2_b64 v[119:122], v114 offset0:85 offset1:86
	s_waitcnt vmcnt(26) lgkmcnt(1)
	v_fma_f64 v[115:116], v[157:158], v[115:116], v[123:124]
	s_clause 0x7
	buffer_load_dword v124, off, s[0:3], 0 offset:340
	buffer_load_dword v147, off, s[0:3], 0 offset:360
	buffer_load_dword v149, off, s[0:3], 0 offset:352
	buffer_load_dword v157, off, s[0:3], 0 offset:344
	buffer_load_dword v123, off, s[0:3], 0 offset:336
	buffer_load_dword v158, off, s[0:3], 0 offset:348
	buffer_load_dword v150, off, s[0:3], 0 offset:356
	buffer_load_dword v148, off, s[0:3], 0 offset:364
	s_waitcnt vmcnt(33)
	v_fma_f64 v[115:116], v[155:156], v[117:118], v[115:116]
	s_waitcnt vmcnt(32) lgkmcnt(0)
	v_fma_f64 v[115:116], v[153:154], v[119:120], v[115:116]
	s_waitcnt vmcnt(27)
	v_fma_f64 v[125:126], v[125:126], v[121:122], v[115:116]
	ds_read2_b64 v[115:118], v114 offset0:87 offset1:88
	ds_read2_b64 v[119:122], v114 offset0:89 offset1:90
	s_waitcnt vmcnt(26) lgkmcnt(1)
	v_fma_f64 v[115:116], v[131:132], v[115:116], v[125:126]
	s_clause 0x7
	buffer_load_dword v126, off, s[0:3], 0 offset:372
	buffer_load_dword v131, off, s[0:3], 0 offset:392
	buffer_load_dword v153, off, s[0:3], 0 offset:384
	buffer_load_dword v155, off, s[0:3], 0 offset:376
	buffer_load_dword v125, off, s[0:3], 0 offset:368
	buffer_load_dword v156, off, s[0:3], 0 offset:380
	buffer_load_dword v154, off, s[0:3], 0 offset:388
	buffer_load_dword v132, off, s[0:3], 0 offset:396
	s_waitcnt vmcnt(33)
	v_fma_f64 v[115:116], v[129:130], v[117:118], v[115:116]
	s_waitcnt vmcnt(32) lgkmcnt(0)
	v_fma_f64 v[115:116], v[127:128], v[119:120], v[115:116]
	s_waitcnt vmcnt(27)
	v_fma_f64 v[127:128], v[133:134], v[121:122], v[115:116]
	ds_read2_b64 v[115:118], v114 offset0:91 offset1:92
	ds_read2_b64 v[119:122], v114 offset0:93 offset1:94
	s_waitcnt vmcnt(26) lgkmcnt(1)
	v_fma_f64 v[115:116], v[143:144], v[115:116], v[127:128]
	s_clause 0x7
	buffer_load_dword v128, off, s[0:3], 0 offset:404
	buffer_load_dword v129, off, s[0:3], 0 offset:424
	buffer_load_dword v133, off, s[0:3], 0 offset:416
	buffer_load_dword v143, off, s[0:3], 0 offset:408
	buffer_load_dword v127, off, s[0:3], 0 offset:400
	buffer_load_dword v144, off, s[0:3], 0 offset:412
	buffer_load_dword v134, off, s[0:3], 0 offset:420
	buffer_load_dword v130, off, s[0:3], 0 offset:428
	s_waitcnt vmcnt(33)
	v_fma_f64 v[115:116], v[137:138], v[117:118], v[115:116]
	s_waitcnt vmcnt(32) lgkmcnt(0)
	v_fma_f64 v[115:116], v[135:136], v[119:120], v[115:116]
	s_waitcnt vmcnt(27)
	v_fma_f64 v[135:136], v[139:140], v[121:122], v[115:116]
	ds_read2_b64 v[115:118], v114 offset0:95 offset1:96
	ds_read2_b64 v[119:122], v114 offset0:97 offset1:98
	s_waitcnt vmcnt(26) lgkmcnt(1)
	v_fma_f64 v[115:116], v[151:152], v[115:116], v[135:136]
	s_clause 0x5
	buffer_load_dword v136, off, s[0:3], 0 offset:436
	buffer_load_dword v137, off, s[0:3], 0 offset:440
	buffer_load_dword v135, off, s[0:3], 0 offset:432
	buffer_load_dword v138, off, s[0:3], 0 offset:444
	buffer_load_dword v139, off, s[0:3], 0 offset:80
	buffer_load_dword v140, off, s[0:3], 0 offset:84
	s_waitcnt vmcnt(31)
	v_fma_f64 v[115:116], v[145:146], v[117:118], v[115:116]
	s_waitcnt vmcnt(30) lgkmcnt(0)
	v_fma_f64 v[115:116], v[141:142], v[119:120], v[115:116]
	s_waitcnt vmcnt(25)
	v_fma_f64 v[123:124], v[123:124], v[121:122], v[115:116]
	ds_read2_b64 v[115:118], v114 offset0:99 offset1:100
	ds_read2_b64 v[119:122], v114 offset0:101 offset1:102
	s_waitcnt vmcnt(24) lgkmcnt(1)
	v_fma_f64 v[115:116], v[157:158], v[115:116], v[123:124]
	s_waitcnt vmcnt(23)
	v_fma_f64 v[115:116], v[149:150], v[117:118], v[115:116]
	s_waitcnt vmcnt(22) lgkmcnt(0)
	v_fma_f64 v[115:116], v[147:148], v[119:120], v[115:116]
	s_waitcnt vmcnt(17)
	v_fma_f64 v[123:124], v[125:126], v[121:122], v[115:116]
	ds_read2_b64 v[115:118], v114 offset0:103 offset1:104
	ds_read2_b64 v[119:122], v114 offset0:105 offset1:106
	s_waitcnt vmcnt(16) lgkmcnt(1)
	v_fma_f64 v[115:116], v[155:156], v[115:116], v[123:124]
	;; [unrolled: 10-line block ×3, first 2 shown]
	s_waitcnt vmcnt(7)
	v_fma_f64 v[115:116], v[133:134], v[117:118], v[115:116]
	ds_read_b64 v[117:118], v114 offset:888
	s_waitcnt vmcnt(6) lgkmcnt(1)
	v_fma_f64 v[115:116], v[129:130], v[119:120], v[115:116]
	s_waitcnt vmcnt(3)
	v_fma_f64 v[115:116], v[135:136], v[121:122], v[115:116]
	s_waitcnt vmcnt(2) lgkmcnt(0)
	v_fma_f64 v[115:116], v[137:138], v[117:118], v[115:116]
	s_waitcnt vmcnt(0)
	v_add_f64 v[115:116], v[139:140], -v[115:116]
	buffer_store_dword v116, off, s[0:3], 0 offset:84
	buffer_store_dword v115, off, s[0:3], 0 offset:80
	v_cmpx_lt_u32_e32 9, v0
	s_cbranch_execz .LBB119_327
; %bb.326:
	s_clause 0x1
	buffer_load_dword v115, off, s[0:3], 0 offset:72
	buffer_load_dword v116, off, s[0:3], 0 offset:76
	buffer_store_dword v114, off, s[0:3], 0 offset:72
	buffer_store_dword v114, off, s[0:3], 0 offset:76
	s_waitcnt vmcnt(0)
	ds_write_b64 v113, v[115:116]
.LBB119_327:
	s_or_b32 exec_lo, exec_lo, s4
	s_waitcnt lgkmcnt(0)
	s_waitcnt_vscnt null, 0x0
	s_barrier
	buffer_gl0_inv
	s_clause 0x1c
	buffer_load_dword v123, off, s[0:3], 0 offset:80
	buffer_load_dword v124, off, s[0:3], 0 offset:84
	;; [unrolled: 1-line block ×29, first 2 shown]
	ds_read_b128 v[115:118], v114 offset:528
	ds_read_b128 v[119:122], v114 offset:544
	buffer_load_dword v148, off, s[0:3], 0 offset:196
	s_mov_b32 s4, exec_lo
	s_waitcnt vmcnt(28) lgkmcnt(1)
	v_fma_f64 v[115:116], v[123:124], v[115:116], 0
	s_clause 0x7
	buffer_load_dword v124, off, s[0:3], 0 offset:204
	buffer_load_dword v153, off, s[0:3], 0 offset:224
	buffer_load_dword v155, off, s[0:3], 0 offset:216
	buffer_load_dword v157, off, s[0:3], 0 offset:208
	buffer_load_dword v123, off, s[0:3], 0 offset:200
	buffer_load_dword v158, off, s[0:3], 0 offset:212
	buffer_load_dword v156, off, s[0:3], 0 offset:220
	buffer_load_dword v154, off, s[0:3], 0 offset:228
	s_waitcnt vmcnt(34)
	v_fma_f64 v[115:116], v[125:126], v[117:118], v[115:116]
	s_waitcnt vmcnt(32) lgkmcnt(0)
	v_fma_f64 v[115:116], v[127:128], v[119:120], v[115:116]
	s_waitcnt vmcnt(30)
	v_fma_f64 v[125:126], v[129:130], v[121:122], v[115:116]
	ds_read_b128 v[115:118], v114 offset:560
	ds_read_b128 v[119:122], v114 offset:576
	s_waitcnt vmcnt(28) lgkmcnt(1)
	v_fma_f64 v[115:116], v[131:132], v[115:116], v[125:126]
	s_clause 0x7
	buffer_load_dword v126, off, s[0:3], 0 offset:236
	buffer_load_dword v127, off, s[0:3], 0 offset:256
	buffer_load_dword v129, off, s[0:3], 0 offset:248
	buffer_load_dword v131, off, s[0:3], 0 offset:240
	buffer_load_dword v125, off, s[0:3], 0 offset:232
	buffer_load_dword v132, off, s[0:3], 0 offset:244
	buffer_load_dword v130, off, s[0:3], 0 offset:252
	buffer_load_dword v128, off, s[0:3], 0 offset:260
	s_waitcnt vmcnt(34)
	v_fma_f64 v[115:116], v[133:134], v[117:118], v[115:116]
	s_waitcnt vmcnt(32) lgkmcnt(0)
	v_fma_f64 v[115:116], v[135:136], v[119:120], v[115:116]
	s_waitcnt vmcnt(27)
	v_fma_f64 v[133:134], v[137:138], v[121:122], v[115:116]
	ds_read_b128 v[115:118], v114 offset:592
	ds_read_b128 v[119:122], v114 offset:608
	;; [unrolled: 19-line block ×7, first 2 shown]
	s_waitcnt vmcnt(26) lgkmcnt(1)
	v_fma_f64 v[115:116], v[151:152], v[115:116], v[135:136]
	s_clause 0x5
	buffer_load_dword v136, off, s[0:3], 0 offset:428
	buffer_load_dword v137, off, s[0:3], 0 offset:440
	;; [unrolled: 1-line block ×6, first 2 shown]
	s_waitcnt vmcnt(31)
	v_fma_f64 v[115:116], v[145:146], v[117:118], v[115:116]
	s_waitcnt vmcnt(30) lgkmcnt(0)
	v_fma_f64 v[115:116], v[141:142], v[119:120], v[115:116]
	s_waitcnt vmcnt(25)
	v_fma_f64 v[123:124], v[123:124], v[121:122], v[115:116]
	ds_read_b128 v[115:118], v114 offset:784
	s_clause 0x1
	buffer_load_dword v141, off, s[0:3], 0 offset:72
	buffer_load_dword v142, off, s[0:3], 0 offset:76
	ds_read_b128 v[119:122], v114 offset:800
	s_waitcnt vmcnt(26) lgkmcnt(1)
	v_fma_f64 v[115:116], v[157:158], v[115:116], v[123:124]
	s_waitcnt vmcnt(25)
	v_fma_f64 v[115:116], v[149:150], v[117:118], v[115:116]
	s_waitcnt vmcnt(24) lgkmcnt(0)
	v_fma_f64 v[115:116], v[147:148], v[119:120], v[115:116]
	s_waitcnt vmcnt(19)
	v_fma_f64 v[123:124], v[125:126], v[121:122], v[115:116]
	ds_read_b128 v[115:118], v114 offset:816
	ds_read_b128 v[119:122], v114 offset:832
	s_waitcnt vmcnt(18) lgkmcnt(1)
	v_fma_f64 v[115:116], v[155:156], v[115:116], v[123:124]
	s_waitcnt vmcnt(17)
	v_fma_f64 v[115:116], v[153:154], v[117:118], v[115:116]
	s_waitcnt vmcnt(16) lgkmcnt(0)
	v_fma_f64 v[115:116], v[131:132], v[119:120], v[115:116]
	s_waitcnt vmcnt(11)
	v_fma_f64 v[123:124], v[127:128], v[121:122], v[115:116]
	ds_read_b128 v[115:118], v114 offset:848
	;; [unrolled: 10-line block ×3, first 2 shown]
	s_waitcnt vmcnt(3) lgkmcnt(0)
	v_fma_f64 v[114:115], v[139:140], v[114:115], v[118:119]
	s_waitcnt vmcnt(2)
	v_fma_f64 v[114:115], v[137:138], v[116:117], v[114:115]
	s_waitcnt vmcnt(0)
	v_add_f64 v[114:115], v[141:142], -v[114:115]
	buffer_store_dword v115, off, s[0:3], 0 offset:76
	buffer_store_dword v114, off, s[0:3], 0 offset:72
	v_cmpx_lt_u32_e32 8, v0
	s_cbranch_execz .LBB119_329
; %bb.328:
	s_clause 0x1
	buffer_load_dword v114, off, s[0:3], 0 offset:64
	buffer_load_dword v115, off, s[0:3], 0 offset:68
	v_mov_b32_e32 v116, 0
	buffer_store_dword v116, off, s[0:3], 0 offset:64
	buffer_store_dword v116, off, s[0:3], 0 offset:68
	s_waitcnt vmcnt(0)
	ds_write_b64 v113, v[114:115]
.LBB119_329:
	s_or_b32 exec_lo, exec_lo, s4
	s_waitcnt lgkmcnt(0)
	s_waitcnt_vscnt null, 0x0
	s_barrier
	buffer_gl0_inv
	s_clause 0x1c
	buffer_load_dword v123, off, s[0:3], 0 offset:72
	buffer_load_dword v124, off, s[0:3], 0 offset:76
	;; [unrolled: 1-line block ×29, first 2 shown]
	v_mov_b32_e32 v114, 0
	buffer_load_dword v148, off, s[0:3], 0 offset:188
	s_mov_b32 s4, exec_lo
	ds_read2_b64 v[115:118], v114 offset0:65 offset1:66
	ds_read2_b64 v[119:122], v114 offset0:67 offset1:68
	s_waitcnt vmcnt(28) lgkmcnt(1)
	v_fma_f64 v[115:116], v[123:124], v[115:116], 0
	s_clause 0x7
	buffer_load_dword v124, off, s[0:3], 0 offset:196
	buffer_load_dword v153, off, s[0:3], 0 offset:216
	buffer_load_dword v155, off, s[0:3], 0 offset:208
	buffer_load_dword v157, off, s[0:3], 0 offset:200
	buffer_load_dword v123, off, s[0:3], 0 offset:192
	buffer_load_dword v158, off, s[0:3], 0 offset:204
	buffer_load_dword v156, off, s[0:3], 0 offset:212
	buffer_load_dword v154, off, s[0:3], 0 offset:220
	s_waitcnt vmcnt(34)
	v_fma_f64 v[115:116], v[125:126], v[117:118], v[115:116]
	s_waitcnt vmcnt(32) lgkmcnt(0)
	v_fma_f64 v[115:116], v[127:128], v[119:120], v[115:116]
	s_waitcnt vmcnt(30)
	v_fma_f64 v[125:126], v[129:130], v[121:122], v[115:116]
	ds_read2_b64 v[115:118], v114 offset0:69 offset1:70
	ds_read2_b64 v[119:122], v114 offset0:71 offset1:72
	s_waitcnt vmcnt(28) lgkmcnt(1)
	v_fma_f64 v[115:116], v[131:132], v[115:116], v[125:126]
	s_clause 0x7
	buffer_load_dword v126, off, s[0:3], 0 offset:228
	buffer_load_dword v127, off, s[0:3], 0 offset:248
	buffer_load_dword v129, off, s[0:3], 0 offset:240
	buffer_load_dword v131, off, s[0:3], 0 offset:232
	buffer_load_dword v125, off, s[0:3], 0 offset:224
	buffer_load_dword v132, off, s[0:3], 0 offset:236
	buffer_load_dword v130, off, s[0:3], 0 offset:244
	buffer_load_dword v128, off, s[0:3], 0 offset:252
	s_waitcnt vmcnt(34)
	v_fma_f64 v[115:116], v[133:134], v[117:118], v[115:116]
	s_waitcnt vmcnt(32) lgkmcnt(0)
	v_fma_f64 v[115:116], v[135:136], v[119:120], v[115:116]
	s_waitcnt vmcnt(27)
	v_fma_f64 v[133:134], v[137:138], v[121:122], v[115:116]
	;; [unrolled: 19-line block ×8, first 2 shown]
	ds_read2_b64 v[115:118], v114 offset0:97 offset1:98
	ds_read2_b64 v[119:122], v114 offset0:99 offset1:100
	s_waitcnt vmcnt(26) lgkmcnt(1)
	v_fma_f64 v[115:116], v[157:158], v[115:116], v[123:124]
	s_clause 0x1
	buffer_load_dword v123, off, s[0:3], 0 offset:64
	buffer_load_dword v124, off, s[0:3], 0 offset:68
	s_waitcnt vmcnt(27)
	v_fma_f64 v[115:116], v[149:150], v[117:118], v[115:116]
	s_waitcnt vmcnt(26) lgkmcnt(0)
	v_fma_f64 v[115:116], v[147:148], v[119:120], v[115:116]
	s_waitcnt vmcnt(21)
	v_fma_f64 v[125:126], v[125:126], v[121:122], v[115:116]
	ds_read2_b64 v[115:118], v114 offset0:101 offset1:102
	ds_read2_b64 v[119:122], v114 offset0:103 offset1:104
	s_waitcnt vmcnt(20) lgkmcnt(1)
	v_fma_f64 v[115:116], v[155:156], v[115:116], v[125:126]
	s_waitcnt vmcnt(19)
	v_fma_f64 v[115:116], v[153:154], v[117:118], v[115:116]
	s_waitcnt vmcnt(18) lgkmcnt(0)
	v_fma_f64 v[115:116], v[131:132], v[119:120], v[115:116]
	s_waitcnt vmcnt(13)
	v_fma_f64 v[125:126], v[127:128], v[121:122], v[115:116]
	ds_read2_b64 v[115:118], v114 offset0:105 offset1:106
	ds_read2_b64 v[119:122], v114 offset0:107 offset1:108
	s_waitcnt vmcnt(12) lgkmcnt(1)
	v_fma_f64 v[115:116], v[143:144], v[115:116], v[125:126]
	s_waitcnt vmcnt(11)
	v_fma_f64 v[115:116], v[133:134], v[117:118], v[115:116]
	s_waitcnt vmcnt(10) lgkmcnt(0)
	v_fma_f64 v[115:116], v[129:130], v[119:120], v[115:116]
	s_waitcnt vmcnt(5)
	v_fma_f64 v[119:120], v[135:136], v[121:122], v[115:116]
	ds_read2_b64 v[115:118], v114 offset0:109 offset1:110
	ds_read_b64 v[121:122], v114 offset:888
	s_waitcnt vmcnt(4) lgkmcnt(1)
	v_fma_f64 v[115:116], v[151:152], v[115:116], v[119:120]
	s_waitcnt vmcnt(3)
	v_fma_f64 v[115:116], v[139:140], v[117:118], v[115:116]
	s_waitcnt vmcnt(2) lgkmcnt(0)
	v_fma_f64 v[115:116], v[137:138], v[121:122], v[115:116]
	s_waitcnt vmcnt(0)
	v_add_f64 v[115:116], v[123:124], -v[115:116]
	buffer_store_dword v116, off, s[0:3], 0 offset:68
	buffer_store_dword v115, off, s[0:3], 0 offset:64
	v_cmpx_lt_u32_e32 7, v0
	s_cbranch_execz .LBB119_331
; %bb.330:
	s_clause 0x1
	buffer_load_dword v115, off, s[0:3], 0 offset:56
	buffer_load_dword v116, off, s[0:3], 0 offset:60
	buffer_store_dword v114, off, s[0:3], 0 offset:56
	buffer_store_dword v114, off, s[0:3], 0 offset:60
	s_waitcnt vmcnt(0)
	ds_write_b64 v113, v[115:116]
.LBB119_331:
	s_or_b32 exec_lo, exec_lo, s4
	s_waitcnt lgkmcnt(0)
	s_waitcnt_vscnt null, 0x0
	s_barrier
	buffer_gl0_inv
	s_clause 0x1c
	buffer_load_dword v123, off, s[0:3], 0 offset:64
	buffer_load_dword v124, off, s[0:3], 0 offset:68
	;; [unrolled: 1-line block ×29, first 2 shown]
	ds_read_b128 v[115:118], v114 offset:512
	ds_read_b128 v[119:122], v114 offset:528
	buffer_load_dword v148, off, s[0:3], 0 offset:180
	s_mov_b32 s4, exec_lo
	s_waitcnt vmcnt(28) lgkmcnt(1)
	v_fma_f64 v[115:116], v[123:124], v[115:116], 0
	s_clause 0x7
	buffer_load_dword v124, off, s[0:3], 0 offset:188
	buffer_load_dword v153, off, s[0:3], 0 offset:208
	buffer_load_dword v155, off, s[0:3], 0 offset:200
	buffer_load_dword v157, off, s[0:3], 0 offset:192
	buffer_load_dword v123, off, s[0:3], 0 offset:184
	buffer_load_dword v158, off, s[0:3], 0 offset:196
	buffer_load_dword v156, off, s[0:3], 0 offset:204
	buffer_load_dword v154, off, s[0:3], 0 offset:212
	s_waitcnt vmcnt(34)
	v_fma_f64 v[115:116], v[125:126], v[117:118], v[115:116]
	s_waitcnt vmcnt(32) lgkmcnt(0)
	v_fma_f64 v[115:116], v[127:128], v[119:120], v[115:116]
	s_waitcnt vmcnt(30)
	v_fma_f64 v[125:126], v[129:130], v[121:122], v[115:116]
	ds_read_b128 v[115:118], v114 offset:544
	ds_read_b128 v[119:122], v114 offset:560
	s_waitcnt vmcnt(28) lgkmcnt(1)
	v_fma_f64 v[115:116], v[131:132], v[115:116], v[125:126]
	s_clause 0x7
	buffer_load_dword v126, off, s[0:3], 0 offset:220
	buffer_load_dword v127, off, s[0:3], 0 offset:240
	buffer_load_dword v129, off, s[0:3], 0 offset:232
	buffer_load_dword v131, off, s[0:3], 0 offset:224
	buffer_load_dword v125, off, s[0:3], 0 offset:216
	buffer_load_dword v132, off, s[0:3], 0 offset:228
	buffer_load_dword v130, off, s[0:3], 0 offset:236
	buffer_load_dword v128, off, s[0:3], 0 offset:244
	s_waitcnt vmcnt(34)
	v_fma_f64 v[115:116], v[133:134], v[117:118], v[115:116]
	s_waitcnt vmcnt(32) lgkmcnt(0)
	v_fma_f64 v[115:116], v[135:136], v[119:120], v[115:116]
	s_waitcnt vmcnt(27)
	v_fma_f64 v[133:134], v[137:138], v[121:122], v[115:116]
	ds_read_b128 v[115:118], v114 offset:576
	ds_read_b128 v[119:122], v114 offset:592
	;; [unrolled: 19-line block ×8, first 2 shown]
	s_waitcnt vmcnt(26) lgkmcnt(1)
	v_fma_f64 v[115:116], v[157:158], v[115:116], v[123:124]
	s_clause 0x3
	buffer_load_dword v124, off, s[0:3], 0 offset:444
	buffer_load_dword v123, off, s[0:3], 0 offset:440
	;; [unrolled: 1-line block ×4, first 2 shown]
	s_waitcnt vmcnt(29)
	v_fma_f64 v[115:116], v[149:150], v[117:118], v[115:116]
	s_waitcnt vmcnt(28) lgkmcnt(0)
	v_fma_f64 v[115:116], v[147:148], v[119:120], v[115:116]
	s_waitcnt vmcnt(23)
	v_fma_f64 v[125:126], v[125:126], v[121:122], v[115:116]
	ds_read_b128 v[115:118], v114 offset:800
	ds_read_b128 v[119:122], v114 offset:816
	s_waitcnt vmcnt(22) lgkmcnt(1)
	v_fma_f64 v[115:116], v[155:156], v[115:116], v[125:126]
	s_waitcnt vmcnt(21)
	v_fma_f64 v[115:116], v[153:154], v[117:118], v[115:116]
	s_waitcnt vmcnt(20) lgkmcnt(0)
	v_fma_f64 v[115:116], v[131:132], v[119:120], v[115:116]
	s_waitcnt vmcnt(15)
	v_fma_f64 v[125:126], v[127:128], v[121:122], v[115:116]
	ds_read_b128 v[115:118], v114 offset:832
	ds_read_b128 v[119:122], v114 offset:848
	s_waitcnt vmcnt(14) lgkmcnt(1)
	v_fma_f64 v[115:116], v[143:144], v[115:116], v[125:126]
	;; [unrolled: 10-line block ×3, first 2 shown]
	s_waitcnt vmcnt(5)
	v_fma_f64 v[114:115], v[139:140], v[117:118], v[114:115]
	s_waitcnt vmcnt(4) lgkmcnt(0)
	v_fma_f64 v[114:115], v[137:138], v[119:120], v[114:115]
	s_waitcnt vmcnt(2)
	v_fma_f64 v[114:115], v[123:124], v[121:122], v[114:115]
	s_waitcnt vmcnt(0)
	v_add_f64 v[114:115], v[141:142], -v[114:115]
	buffer_store_dword v115, off, s[0:3], 0 offset:60
	buffer_store_dword v114, off, s[0:3], 0 offset:56
	v_cmpx_lt_u32_e32 6, v0
	s_cbranch_execz .LBB119_333
; %bb.332:
	s_clause 0x1
	buffer_load_dword v114, off, s[0:3], 0 offset:48
	buffer_load_dword v115, off, s[0:3], 0 offset:52
	v_mov_b32_e32 v116, 0
	buffer_store_dword v116, off, s[0:3], 0 offset:48
	buffer_store_dword v116, off, s[0:3], 0 offset:52
	s_waitcnt vmcnt(0)
	ds_write_b64 v113, v[114:115]
.LBB119_333:
	s_or_b32 exec_lo, exec_lo, s4
	s_waitcnt lgkmcnt(0)
	s_waitcnt_vscnt null, 0x0
	s_barrier
	buffer_gl0_inv
	s_clause 0x1c
	buffer_load_dword v123, off, s[0:3], 0 offset:56
	buffer_load_dword v124, off, s[0:3], 0 offset:60
	;; [unrolled: 1-line block ×29, first 2 shown]
	v_mov_b32_e32 v114, 0
	buffer_load_dword v148, off, s[0:3], 0 offset:172
	s_mov_b32 s4, exec_lo
	ds_read2_b64 v[115:118], v114 offset0:63 offset1:64
	ds_read2_b64 v[119:122], v114 offset0:65 offset1:66
	s_waitcnt vmcnt(28) lgkmcnt(1)
	v_fma_f64 v[115:116], v[123:124], v[115:116], 0
	s_clause 0x7
	buffer_load_dword v124, off, s[0:3], 0 offset:180
	buffer_load_dword v153, off, s[0:3], 0 offset:200
	buffer_load_dword v155, off, s[0:3], 0 offset:192
	buffer_load_dword v157, off, s[0:3], 0 offset:184
	buffer_load_dword v123, off, s[0:3], 0 offset:176
	buffer_load_dword v158, off, s[0:3], 0 offset:188
	buffer_load_dword v156, off, s[0:3], 0 offset:196
	buffer_load_dword v154, off, s[0:3], 0 offset:204
	s_waitcnt vmcnt(34)
	v_fma_f64 v[115:116], v[125:126], v[117:118], v[115:116]
	s_waitcnt vmcnt(32) lgkmcnt(0)
	v_fma_f64 v[115:116], v[127:128], v[119:120], v[115:116]
	s_waitcnt vmcnt(30)
	v_fma_f64 v[125:126], v[129:130], v[121:122], v[115:116]
	ds_read2_b64 v[115:118], v114 offset0:67 offset1:68
	ds_read2_b64 v[119:122], v114 offset0:69 offset1:70
	s_waitcnt vmcnt(28) lgkmcnt(1)
	v_fma_f64 v[115:116], v[131:132], v[115:116], v[125:126]
	s_clause 0x7
	buffer_load_dword v126, off, s[0:3], 0 offset:212
	buffer_load_dword v127, off, s[0:3], 0 offset:232
	buffer_load_dword v129, off, s[0:3], 0 offset:224
	buffer_load_dword v131, off, s[0:3], 0 offset:216
	buffer_load_dword v125, off, s[0:3], 0 offset:208
	buffer_load_dword v132, off, s[0:3], 0 offset:220
	buffer_load_dword v130, off, s[0:3], 0 offset:228
	buffer_load_dword v128, off, s[0:3], 0 offset:236
	s_waitcnt vmcnt(34)
	v_fma_f64 v[115:116], v[133:134], v[117:118], v[115:116]
	s_waitcnt vmcnt(32) lgkmcnt(0)
	v_fma_f64 v[115:116], v[135:136], v[119:120], v[115:116]
	s_waitcnt vmcnt(27)
	v_fma_f64 v[133:134], v[137:138], v[121:122], v[115:116]
	;; [unrolled: 19-line block ×8, first 2 shown]
	ds_read2_b64 v[115:118], v114 offset0:95 offset1:96
	ds_read2_b64 v[119:122], v114 offset0:97 offset1:98
	s_waitcnt vmcnt(26) lgkmcnt(1)
	v_fma_f64 v[115:116], v[157:158], v[115:116], v[123:124]
	s_clause 0x5
	buffer_load_dword v124, off, s[0:3], 0 offset:436
	buffer_load_dword v141, off, s[0:3], 0 offset:440
	;; [unrolled: 1-line block ×6, first 2 shown]
	s_waitcnt vmcnt(31)
	v_fma_f64 v[115:116], v[149:150], v[117:118], v[115:116]
	s_waitcnt vmcnt(30) lgkmcnt(0)
	v_fma_f64 v[115:116], v[147:148], v[119:120], v[115:116]
	s_waitcnt vmcnt(25)
	v_fma_f64 v[125:126], v[125:126], v[121:122], v[115:116]
	ds_read2_b64 v[115:118], v114 offset0:99 offset1:100
	ds_read2_b64 v[119:122], v114 offset0:101 offset1:102
	s_waitcnt vmcnt(24) lgkmcnt(1)
	v_fma_f64 v[115:116], v[155:156], v[115:116], v[125:126]
	s_waitcnt vmcnt(23)
	v_fma_f64 v[115:116], v[153:154], v[117:118], v[115:116]
	s_waitcnt vmcnt(22) lgkmcnt(0)
	v_fma_f64 v[115:116], v[131:132], v[119:120], v[115:116]
	s_waitcnt vmcnt(17)
	v_fma_f64 v[125:126], v[127:128], v[121:122], v[115:116]
	ds_read2_b64 v[115:118], v114 offset0:103 offset1:104
	ds_read2_b64 v[119:122], v114 offset0:105 offset1:106
	s_waitcnt vmcnt(16) lgkmcnt(1)
	v_fma_f64 v[115:116], v[143:144], v[115:116], v[125:126]
	s_waitcnt vmcnt(15)
	v_fma_f64 v[115:116], v[133:134], v[117:118], v[115:116]
	s_waitcnt vmcnt(14) lgkmcnt(0)
	v_fma_f64 v[115:116], v[129:130], v[119:120], v[115:116]
	s_waitcnt vmcnt(9)
	v_fma_f64 v[125:126], v[135:136], v[121:122], v[115:116]
	ds_read2_b64 v[115:118], v114 offset0:107 offset1:108
	ds_read2_b64 v[119:122], v114 offset0:109 offset1:110
	s_waitcnt vmcnt(8) lgkmcnt(1)
	v_fma_f64 v[115:116], v[151:152], v[115:116], v[125:126]
	s_waitcnt vmcnt(7)
	v_fma_f64 v[115:116], v[139:140], v[117:118], v[115:116]
	ds_read_b64 v[117:118], v114 offset:888
	s_waitcnt vmcnt(6) lgkmcnt(1)
	v_fma_f64 v[115:116], v[137:138], v[119:120], v[115:116]
	s_waitcnt vmcnt(3)
	v_fma_f64 v[115:116], v[123:124], v[121:122], v[115:116]
	s_waitcnt vmcnt(2) lgkmcnt(0)
	v_fma_f64 v[115:116], v[141:142], v[117:118], v[115:116]
	s_waitcnt vmcnt(0)
	v_add_f64 v[115:116], v[145:146], -v[115:116]
	buffer_store_dword v116, off, s[0:3], 0 offset:52
	buffer_store_dword v115, off, s[0:3], 0 offset:48
	v_cmpx_lt_u32_e32 5, v0
	s_cbranch_execz .LBB119_335
; %bb.334:
	s_clause 0x1
	buffer_load_dword v115, off, s[0:3], 0 offset:40
	buffer_load_dword v116, off, s[0:3], 0 offset:44
	buffer_store_dword v114, off, s[0:3], 0 offset:40
	buffer_store_dword v114, off, s[0:3], 0 offset:44
	s_waitcnt vmcnt(0)
	ds_write_b64 v113, v[115:116]
.LBB119_335:
	s_or_b32 exec_lo, exec_lo, s4
	s_waitcnt lgkmcnt(0)
	s_waitcnt_vscnt null, 0x0
	s_barrier
	buffer_gl0_inv
	s_clause 0x1c
	buffer_load_dword v123, off, s[0:3], 0 offset:48
	buffer_load_dword v124, off, s[0:3], 0 offset:52
	;; [unrolled: 1-line block ×29, first 2 shown]
	ds_read_b128 v[115:118], v114 offset:496
	ds_read_b128 v[119:122], v114 offset:512
	buffer_load_dword v148, off, s[0:3], 0 offset:164
	s_mov_b32 s4, exec_lo
	s_waitcnt vmcnt(28) lgkmcnt(1)
	v_fma_f64 v[115:116], v[123:124], v[115:116], 0
	s_clause 0x7
	buffer_load_dword v124, off, s[0:3], 0 offset:172
	buffer_load_dword v153, off, s[0:3], 0 offset:192
	buffer_load_dword v155, off, s[0:3], 0 offset:184
	buffer_load_dword v157, off, s[0:3], 0 offset:176
	buffer_load_dword v123, off, s[0:3], 0 offset:168
	buffer_load_dword v158, off, s[0:3], 0 offset:180
	buffer_load_dword v156, off, s[0:3], 0 offset:188
	buffer_load_dword v154, off, s[0:3], 0 offset:196
	s_waitcnt vmcnt(34)
	v_fma_f64 v[115:116], v[125:126], v[117:118], v[115:116]
	s_waitcnt vmcnt(32) lgkmcnt(0)
	v_fma_f64 v[115:116], v[127:128], v[119:120], v[115:116]
	s_waitcnt vmcnt(30)
	v_fma_f64 v[125:126], v[129:130], v[121:122], v[115:116]
	ds_read_b128 v[115:118], v114 offset:528
	ds_read_b128 v[119:122], v114 offset:544
	s_waitcnt vmcnt(28) lgkmcnt(1)
	v_fma_f64 v[115:116], v[131:132], v[115:116], v[125:126]
	s_clause 0x7
	buffer_load_dword v126, off, s[0:3], 0 offset:204
	buffer_load_dword v127, off, s[0:3], 0 offset:224
	buffer_load_dword v129, off, s[0:3], 0 offset:216
	buffer_load_dword v131, off, s[0:3], 0 offset:208
	buffer_load_dword v125, off, s[0:3], 0 offset:200
	buffer_load_dword v132, off, s[0:3], 0 offset:212
	buffer_load_dword v130, off, s[0:3], 0 offset:220
	buffer_load_dword v128, off, s[0:3], 0 offset:228
	s_waitcnt vmcnt(34)
	v_fma_f64 v[115:116], v[133:134], v[117:118], v[115:116]
	s_waitcnt vmcnt(32) lgkmcnt(0)
	v_fma_f64 v[115:116], v[135:136], v[119:120], v[115:116]
	s_waitcnt vmcnt(27)
	v_fma_f64 v[133:134], v[137:138], v[121:122], v[115:116]
	ds_read_b128 v[115:118], v114 offset:560
	ds_read_b128 v[119:122], v114 offset:576
	;; [unrolled: 19-line block ×8, first 2 shown]
	s_waitcnt vmcnt(26) lgkmcnt(1)
	v_fma_f64 v[115:116], v[157:158], v[115:116], v[123:124]
	s_clause 0x5
	buffer_load_dword v124, off, s[0:3], 0 offset:428
	buffer_load_dword v141, off, s[0:3], 0 offset:440
	;; [unrolled: 1-line block ×6, first 2 shown]
	s_waitcnt vmcnt(31)
	v_fma_f64 v[115:116], v[149:150], v[117:118], v[115:116]
	s_waitcnt vmcnt(30) lgkmcnt(0)
	v_fma_f64 v[115:116], v[147:148], v[119:120], v[115:116]
	s_waitcnt vmcnt(25)
	v_fma_f64 v[125:126], v[125:126], v[121:122], v[115:116]
	ds_read_b128 v[115:118], v114 offset:784
	s_clause 0x1
	buffer_load_dword v147, off, s[0:3], 0 offset:40
	buffer_load_dword v148, off, s[0:3], 0 offset:44
	ds_read_b128 v[119:122], v114 offset:800
	s_waitcnt vmcnt(26) lgkmcnt(1)
	v_fma_f64 v[115:116], v[155:156], v[115:116], v[125:126]
	s_waitcnt vmcnt(25)
	v_fma_f64 v[115:116], v[153:154], v[117:118], v[115:116]
	s_waitcnt vmcnt(24) lgkmcnt(0)
	v_fma_f64 v[115:116], v[131:132], v[119:120], v[115:116]
	s_waitcnt vmcnt(19)
	v_fma_f64 v[125:126], v[127:128], v[121:122], v[115:116]
	ds_read_b128 v[115:118], v114 offset:816
	ds_read_b128 v[119:122], v114 offset:832
	s_waitcnt vmcnt(18) lgkmcnt(1)
	v_fma_f64 v[115:116], v[143:144], v[115:116], v[125:126]
	s_waitcnt vmcnt(17)
	v_fma_f64 v[115:116], v[133:134], v[117:118], v[115:116]
	s_waitcnt vmcnt(16) lgkmcnt(0)
	v_fma_f64 v[115:116], v[129:130], v[119:120], v[115:116]
	s_waitcnt vmcnt(11)
	v_fma_f64 v[125:126], v[135:136], v[121:122], v[115:116]
	ds_read_b128 v[115:118], v114 offset:848
	;; [unrolled: 10-line block ×3, first 2 shown]
	s_waitcnt vmcnt(3) lgkmcnt(0)
	v_fma_f64 v[114:115], v[145:146], v[114:115], v[118:119]
	s_waitcnt vmcnt(2)
	v_fma_f64 v[114:115], v[141:142], v[116:117], v[114:115]
	s_waitcnt vmcnt(0)
	v_add_f64 v[114:115], v[147:148], -v[114:115]
	buffer_store_dword v115, off, s[0:3], 0 offset:44
	buffer_store_dword v114, off, s[0:3], 0 offset:40
	v_cmpx_lt_u32_e32 4, v0
	s_cbranch_execz .LBB119_337
; %bb.336:
	s_clause 0x1
	buffer_load_dword v114, off, s[0:3], 0 offset:32
	buffer_load_dword v115, off, s[0:3], 0 offset:36
	v_mov_b32_e32 v116, 0
	buffer_store_dword v116, off, s[0:3], 0 offset:32
	buffer_store_dword v116, off, s[0:3], 0 offset:36
	s_waitcnt vmcnt(0)
	ds_write_b64 v113, v[114:115]
.LBB119_337:
	s_or_b32 exec_lo, exec_lo, s4
	s_waitcnt lgkmcnt(0)
	s_waitcnt_vscnt null, 0x0
	s_barrier
	buffer_gl0_inv
	s_clause 0x1c
	buffer_load_dword v123, off, s[0:3], 0 offset:40
	buffer_load_dword v124, off, s[0:3], 0 offset:44
	;; [unrolled: 1-line block ×29, first 2 shown]
	v_mov_b32_e32 v114, 0
	buffer_load_dword v148, off, s[0:3], 0 offset:156
	s_mov_b32 s4, exec_lo
	ds_read2_b64 v[115:118], v114 offset0:61 offset1:62
	ds_read2_b64 v[119:122], v114 offset0:63 offset1:64
	s_waitcnt vmcnt(28) lgkmcnt(1)
	v_fma_f64 v[115:116], v[123:124], v[115:116], 0
	s_clause 0x7
	buffer_load_dword v124, off, s[0:3], 0 offset:164
	buffer_load_dword v153, off, s[0:3], 0 offset:184
	buffer_load_dword v155, off, s[0:3], 0 offset:176
	buffer_load_dword v157, off, s[0:3], 0 offset:168
	buffer_load_dword v123, off, s[0:3], 0 offset:160
	buffer_load_dword v158, off, s[0:3], 0 offset:172
	buffer_load_dword v156, off, s[0:3], 0 offset:180
	buffer_load_dword v154, off, s[0:3], 0 offset:188
	s_waitcnt vmcnt(34)
	v_fma_f64 v[115:116], v[125:126], v[117:118], v[115:116]
	s_waitcnt vmcnt(32) lgkmcnt(0)
	v_fma_f64 v[115:116], v[127:128], v[119:120], v[115:116]
	s_waitcnt vmcnt(30)
	v_fma_f64 v[125:126], v[129:130], v[121:122], v[115:116]
	ds_read2_b64 v[115:118], v114 offset0:65 offset1:66
	ds_read2_b64 v[119:122], v114 offset0:67 offset1:68
	s_waitcnt vmcnt(28) lgkmcnt(1)
	v_fma_f64 v[115:116], v[131:132], v[115:116], v[125:126]
	s_clause 0x7
	buffer_load_dword v126, off, s[0:3], 0 offset:196
	buffer_load_dword v127, off, s[0:3], 0 offset:216
	buffer_load_dword v129, off, s[0:3], 0 offset:208
	buffer_load_dword v131, off, s[0:3], 0 offset:200
	buffer_load_dword v125, off, s[0:3], 0 offset:192
	buffer_load_dword v132, off, s[0:3], 0 offset:204
	buffer_load_dword v130, off, s[0:3], 0 offset:212
	buffer_load_dword v128, off, s[0:3], 0 offset:220
	s_waitcnt vmcnt(34)
	v_fma_f64 v[115:116], v[133:134], v[117:118], v[115:116]
	s_waitcnt vmcnt(32) lgkmcnt(0)
	v_fma_f64 v[115:116], v[135:136], v[119:120], v[115:116]
	s_waitcnt vmcnt(27)
	v_fma_f64 v[133:134], v[137:138], v[121:122], v[115:116]
	;; [unrolled: 19-line block ×9, first 2 shown]
	ds_read2_b64 v[115:118], v114 offset0:97 offset1:98
	ds_read2_b64 v[119:122], v114 offset0:99 offset1:100
	s_waitcnt vmcnt(26) lgkmcnt(1)
	v_fma_f64 v[115:116], v[155:156], v[115:116], v[125:126]
	s_clause 0x1
	buffer_load_dword v125, off, s[0:3], 0 offset:32
	buffer_load_dword v126, off, s[0:3], 0 offset:36
	s_waitcnt vmcnt(27)
	v_fma_f64 v[115:116], v[153:154], v[117:118], v[115:116]
	s_waitcnt vmcnt(26) lgkmcnt(0)
	v_fma_f64 v[115:116], v[131:132], v[119:120], v[115:116]
	s_waitcnt vmcnt(21)
	v_fma_f64 v[127:128], v[127:128], v[121:122], v[115:116]
	ds_read2_b64 v[115:118], v114 offset0:101 offset1:102
	ds_read2_b64 v[119:122], v114 offset0:103 offset1:104
	s_waitcnt vmcnt(20) lgkmcnt(1)
	v_fma_f64 v[115:116], v[143:144], v[115:116], v[127:128]
	s_waitcnt vmcnt(19)
	v_fma_f64 v[115:116], v[133:134], v[117:118], v[115:116]
	s_waitcnt vmcnt(18) lgkmcnt(0)
	v_fma_f64 v[115:116], v[129:130], v[119:120], v[115:116]
	s_waitcnt vmcnt(13)
	v_fma_f64 v[127:128], v[135:136], v[121:122], v[115:116]
	ds_read2_b64 v[115:118], v114 offset0:105 offset1:106
	ds_read2_b64 v[119:122], v114 offset0:107 offset1:108
	s_waitcnt vmcnt(12) lgkmcnt(1)
	v_fma_f64 v[115:116], v[151:152], v[115:116], v[127:128]
	s_waitcnt vmcnt(11)
	v_fma_f64 v[115:116], v[139:140], v[117:118], v[115:116]
	s_waitcnt vmcnt(10) lgkmcnt(0)
	v_fma_f64 v[115:116], v[137:138], v[119:120], v[115:116]
	s_waitcnt vmcnt(5)
	v_fma_f64 v[119:120], v[123:124], v[121:122], v[115:116]
	ds_read2_b64 v[115:118], v114 offset0:109 offset1:110
	ds_read_b64 v[121:122], v114 offset:888
	s_waitcnt vmcnt(4) lgkmcnt(1)
	v_fma_f64 v[115:116], v[157:158], v[115:116], v[119:120]
	s_waitcnt vmcnt(3)
	v_fma_f64 v[115:116], v[145:146], v[117:118], v[115:116]
	s_waitcnt vmcnt(2) lgkmcnt(0)
	v_fma_f64 v[115:116], v[141:142], v[121:122], v[115:116]
	s_waitcnt vmcnt(0)
	v_add_f64 v[115:116], v[125:126], -v[115:116]
	buffer_store_dword v116, off, s[0:3], 0 offset:36
	buffer_store_dword v115, off, s[0:3], 0 offset:32
	v_cmpx_lt_u32_e32 3, v0
	s_cbranch_execz .LBB119_339
; %bb.338:
	s_clause 0x1
	buffer_load_dword v115, off, s[0:3], 0 offset:24
	buffer_load_dword v116, off, s[0:3], 0 offset:28
	buffer_store_dword v114, off, s[0:3], 0 offset:24
	buffer_store_dword v114, off, s[0:3], 0 offset:28
	s_waitcnt vmcnt(0)
	ds_write_b64 v113, v[115:116]
.LBB119_339:
	s_or_b32 exec_lo, exec_lo, s4
	s_waitcnt lgkmcnt(0)
	s_waitcnt_vscnt null, 0x0
	s_barrier
	buffer_gl0_inv
	s_clause 0x1c
	buffer_load_dword v123, off, s[0:3], 0 offset:32
	buffer_load_dword v124, off, s[0:3], 0 offset:36
	;; [unrolled: 1-line block ×29, first 2 shown]
	ds_read_b128 v[115:118], v114 offset:480
	ds_read_b128 v[119:122], v114 offset:496
	buffer_load_dword v148, off, s[0:3], 0 offset:148
	s_mov_b32 s4, exec_lo
	s_waitcnt vmcnt(28) lgkmcnt(1)
	v_fma_f64 v[115:116], v[123:124], v[115:116], 0
	s_clause 0x7
	buffer_load_dword v124, off, s[0:3], 0 offset:156
	buffer_load_dword v153, off, s[0:3], 0 offset:176
	buffer_load_dword v155, off, s[0:3], 0 offset:168
	buffer_load_dword v157, off, s[0:3], 0 offset:160
	buffer_load_dword v123, off, s[0:3], 0 offset:152
	buffer_load_dword v158, off, s[0:3], 0 offset:164
	buffer_load_dword v156, off, s[0:3], 0 offset:172
	buffer_load_dword v154, off, s[0:3], 0 offset:180
	s_waitcnt vmcnt(34)
	v_fma_f64 v[115:116], v[125:126], v[117:118], v[115:116]
	s_waitcnt vmcnt(32) lgkmcnt(0)
	v_fma_f64 v[115:116], v[127:128], v[119:120], v[115:116]
	s_waitcnt vmcnt(30)
	v_fma_f64 v[125:126], v[129:130], v[121:122], v[115:116]
	ds_read_b128 v[115:118], v114 offset:512
	ds_read_b128 v[119:122], v114 offset:528
	s_waitcnt vmcnt(28) lgkmcnt(1)
	v_fma_f64 v[115:116], v[131:132], v[115:116], v[125:126]
	s_clause 0x7
	buffer_load_dword v126, off, s[0:3], 0 offset:188
	buffer_load_dword v127, off, s[0:3], 0 offset:208
	buffer_load_dword v129, off, s[0:3], 0 offset:200
	buffer_load_dword v131, off, s[0:3], 0 offset:192
	buffer_load_dword v125, off, s[0:3], 0 offset:184
	buffer_load_dword v132, off, s[0:3], 0 offset:196
	buffer_load_dword v130, off, s[0:3], 0 offset:204
	buffer_load_dword v128, off, s[0:3], 0 offset:212
	s_waitcnt vmcnt(34)
	v_fma_f64 v[115:116], v[133:134], v[117:118], v[115:116]
	s_waitcnt vmcnt(32) lgkmcnt(0)
	v_fma_f64 v[115:116], v[135:136], v[119:120], v[115:116]
	s_waitcnt vmcnt(27)
	v_fma_f64 v[133:134], v[137:138], v[121:122], v[115:116]
	ds_read_b128 v[115:118], v114 offset:544
	ds_read_b128 v[119:122], v114 offset:560
	;; [unrolled: 19-line block ×9, first 2 shown]
	s_waitcnt vmcnt(26) lgkmcnt(1)
	v_fma_f64 v[115:116], v[155:156], v[115:116], v[125:126]
	s_clause 0x3
	buffer_load_dword v126, off, s[0:3], 0 offset:444
	buffer_load_dword v125, off, s[0:3], 0 offset:440
	;; [unrolled: 1-line block ×4, first 2 shown]
	s_waitcnt vmcnt(29)
	v_fma_f64 v[115:116], v[153:154], v[117:118], v[115:116]
	s_waitcnt vmcnt(28) lgkmcnt(0)
	v_fma_f64 v[115:116], v[131:132], v[119:120], v[115:116]
	s_waitcnt vmcnt(23)
	v_fma_f64 v[127:128], v[127:128], v[121:122], v[115:116]
	ds_read_b128 v[115:118], v114 offset:800
	ds_read_b128 v[119:122], v114 offset:816
	s_waitcnt vmcnt(22) lgkmcnt(1)
	v_fma_f64 v[115:116], v[143:144], v[115:116], v[127:128]
	s_waitcnt vmcnt(21)
	v_fma_f64 v[115:116], v[133:134], v[117:118], v[115:116]
	s_waitcnt vmcnt(20) lgkmcnt(0)
	v_fma_f64 v[115:116], v[129:130], v[119:120], v[115:116]
	s_waitcnt vmcnt(15)
	v_fma_f64 v[127:128], v[135:136], v[121:122], v[115:116]
	ds_read_b128 v[115:118], v114 offset:832
	ds_read_b128 v[119:122], v114 offset:848
	s_waitcnt vmcnt(14) lgkmcnt(1)
	v_fma_f64 v[115:116], v[151:152], v[115:116], v[127:128]
	;; [unrolled: 10-line block ×3, first 2 shown]
	s_waitcnt vmcnt(5)
	v_fma_f64 v[114:115], v[145:146], v[117:118], v[114:115]
	s_waitcnt vmcnt(4) lgkmcnt(0)
	v_fma_f64 v[114:115], v[141:142], v[119:120], v[114:115]
	s_waitcnt vmcnt(2)
	v_fma_f64 v[114:115], v[125:126], v[121:122], v[114:115]
	s_waitcnt vmcnt(0)
	v_add_f64 v[114:115], v[147:148], -v[114:115]
	buffer_store_dword v115, off, s[0:3], 0 offset:28
	buffer_store_dword v114, off, s[0:3], 0 offset:24
	v_cmpx_lt_u32_e32 2, v0
	s_cbranch_execz .LBB119_341
; %bb.340:
	s_clause 0x1
	buffer_load_dword v114, off, s[0:3], 0 offset:16
	buffer_load_dword v115, off, s[0:3], 0 offset:20
	v_mov_b32_e32 v116, 0
	buffer_store_dword v116, off, s[0:3], 0 offset:16
	buffer_store_dword v116, off, s[0:3], 0 offset:20
	s_waitcnt vmcnt(0)
	ds_write_b64 v113, v[114:115]
.LBB119_341:
	s_or_b32 exec_lo, exec_lo, s4
	s_waitcnt lgkmcnt(0)
	s_waitcnt_vscnt null, 0x0
	s_barrier
	buffer_gl0_inv
	s_clause 0x1c
	buffer_load_dword v123, off, s[0:3], 0 offset:24
	buffer_load_dword v124, off, s[0:3], 0 offset:28
	;; [unrolled: 1-line block ×29, first 2 shown]
	v_mov_b32_e32 v114, 0
	buffer_load_dword v148, off, s[0:3], 0 offset:140
	s_mov_b32 s4, exec_lo
	ds_read2_b64 v[115:118], v114 offset0:59 offset1:60
	ds_read2_b64 v[119:122], v114 offset0:61 offset1:62
	s_waitcnt vmcnt(28) lgkmcnt(1)
	v_fma_f64 v[115:116], v[123:124], v[115:116], 0
	s_clause 0x7
	buffer_load_dword v124, off, s[0:3], 0 offset:148
	buffer_load_dword v153, off, s[0:3], 0 offset:168
	buffer_load_dword v155, off, s[0:3], 0 offset:160
	buffer_load_dword v157, off, s[0:3], 0 offset:152
	buffer_load_dword v123, off, s[0:3], 0 offset:144
	buffer_load_dword v158, off, s[0:3], 0 offset:156
	buffer_load_dword v156, off, s[0:3], 0 offset:164
	buffer_load_dword v154, off, s[0:3], 0 offset:172
	s_waitcnt vmcnt(34)
	v_fma_f64 v[115:116], v[125:126], v[117:118], v[115:116]
	s_waitcnt vmcnt(32) lgkmcnt(0)
	v_fma_f64 v[115:116], v[127:128], v[119:120], v[115:116]
	s_waitcnt vmcnt(30)
	v_fma_f64 v[125:126], v[129:130], v[121:122], v[115:116]
	ds_read2_b64 v[115:118], v114 offset0:63 offset1:64
	ds_read2_b64 v[119:122], v114 offset0:65 offset1:66
	s_waitcnt vmcnt(28) lgkmcnt(1)
	v_fma_f64 v[115:116], v[131:132], v[115:116], v[125:126]
	s_clause 0x7
	buffer_load_dword v126, off, s[0:3], 0 offset:180
	buffer_load_dword v127, off, s[0:3], 0 offset:200
	buffer_load_dword v129, off, s[0:3], 0 offset:192
	buffer_load_dword v131, off, s[0:3], 0 offset:184
	buffer_load_dword v125, off, s[0:3], 0 offset:176
	buffer_load_dword v132, off, s[0:3], 0 offset:188
	buffer_load_dword v130, off, s[0:3], 0 offset:196
	buffer_load_dword v128, off, s[0:3], 0 offset:204
	s_waitcnt vmcnt(34)
	v_fma_f64 v[115:116], v[133:134], v[117:118], v[115:116]
	s_waitcnt vmcnt(32) lgkmcnt(0)
	v_fma_f64 v[115:116], v[135:136], v[119:120], v[115:116]
	s_waitcnt vmcnt(27)
	v_fma_f64 v[133:134], v[137:138], v[121:122], v[115:116]
	;; [unrolled: 19-line block ×9, first 2 shown]
	ds_read2_b64 v[115:118], v114 offset0:95 offset1:96
	ds_read2_b64 v[119:122], v114 offset0:97 offset1:98
	s_waitcnt vmcnt(26) lgkmcnt(1)
	v_fma_f64 v[115:116], v[155:156], v[115:116], v[125:126]
	s_clause 0x3
	buffer_load_dword v126, off, s[0:3], 0 offset:436
	buffer_load_dword v147, off, s[0:3], 0 offset:440
	buffer_load_dword v125, off, s[0:3], 0 offset:432
	buffer_load_dword v148, off, s[0:3], 0 offset:444
	s_waitcnt vmcnt(29)
	v_fma_f64 v[115:116], v[153:154], v[117:118], v[115:116]
	s_waitcnt vmcnt(28) lgkmcnt(0)
	v_fma_f64 v[115:116], v[131:132], v[119:120], v[115:116]
	s_clause 0x1
	buffer_load_dword v131, off, s[0:3], 0 offset:16
	buffer_load_dword v132, off, s[0:3], 0 offset:20
	s_waitcnt vmcnt(25)
	v_fma_f64 v[127:128], v[127:128], v[121:122], v[115:116]
	ds_read2_b64 v[115:118], v114 offset0:99 offset1:100
	ds_read2_b64 v[119:122], v114 offset0:101 offset1:102
	s_waitcnt vmcnt(24) lgkmcnt(1)
	v_fma_f64 v[115:116], v[143:144], v[115:116], v[127:128]
	s_waitcnt vmcnt(23)
	v_fma_f64 v[115:116], v[133:134], v[117:118], v[115:116]
	s_waitcnt vmcnt(22) lgkmcnt(0)
	v_fma_f64 v[115:116], v[129:130], v[119:120], v[115:116]
	s_waitcnt vmcnt(17)
	v_fma_f64 v[127:128], v[135:136], v[121:122], v[115:116]
	ds_read2_b64 v[115:118], v114 offset0:103 offset1:104
	ds_read2_b64 v[119:122], v114 offset0:105 offset1:106
	s_waitcnt vmcnt(16) lgkmcnt(1)
	v_fma_f64 v[115:116], v[151:152], v[115:116], v[127:128]
	s_waitcnt vmcnt(15)
	v_fma_f64 v[115:116], v[139:140], v[117:118], v[115:116]
	s_waitcnt vmcnt(14) lgkmcnt(0)
	v_fma_f64 v[115:116], v[137:138], v[119:120], v[115:116]
	s_waitcnt vmcnt(9)
	v_fma_f64 v[123:124], v[123:124], v[121:122], v[115:116]
	ds_read2_b64 v[115:118], v114 offset0:107 offset1:108
	ds_read2_b64 v[119:122], v114 offset0:109 offset1:110
	s_waitcnt vmcnt(8) lgkmcnt(1)
	v_fma_f64 v[115:116], v[157:158], v[115:116], v[123:124]
	s_waitcnt vmcnt(7)
	v_fma_f64 v[115:116], v[145:146], v[117:118], v[115:116]
	ds_read_b64 v[117:118], v114 offset:888
	s_waitcnt vmcnt(6) lgkmcnt(1)
	v_fma_f64 v[115:116], v[141:142], v[119:120], v[115:116]
	s_waitcnt vmcnt(3)
	v_fma_f64 v[115:116], v[125:126], v[121:122], v[115:116]
	s_waitcnt vmcnt(2) lgkmcnt(0)
	v_fma_f64 v[115:116], v[147:148], v[117:118], v[115:116]
	s_waitcnt vmcnt(0)
	v_add_f64 v[115:116], v[131:132], -v[115:116]
	buffer_store_dword v116, off, s[0:3], 0 offset:20
	buffer_store_dword v115, off, s[0:3], 0 offset:16
	v_cmpx_lt_u32_e32 1, v0
	s_cbranch_execz .LBB119_343
; %bb.342:
	s_clause 0x1
	buffer_load_dword v115, off, s[0:3], 0 offset:8
	buffer_load_dword v116, off, s[0:3], 0 offset:12
	buffer_store_dword v114, off, s[0:3], 0 offset:8
	buffer_store_dword v114, off, s[0:3], 0 offset:12
	s_waitcnt vmcnt(0)
	ds_write_b64 v113, v[115:116]
.LBB119_343:
	s_or_b32 exec_lo, exec_lo, s4
	s_waitcnt lgkmcnt(0)
	s_waitcnt_vscnt null, 0x0
	s_barrier
	buffer_gl0_inv
	s_clause 0x1c
	buffer_load_dword v123, off, s[0:3], 0 offset:16
	buffer_load_dword v124, off, s[0:3], 0 offset:20
	;; [unrolled: 1-line block ×29, first 2 shown]
	ds_read_b128 v[115:118], v114 offset:464
	ds_read_b128 v[119:122], v114 offset:480
	buffer_load_dword v148, off, s[0:3], 0 offset:132
	s_mov_b32 s4, exec_lo
	s_waitcnt vmcnt(28) lgkmcnt(1)
	v_fma_f64 v[115:116], v[123:124], v[115:116], 0
	s_clause 0x7
	buffer_load_dword v124, off, s[0:3], 0 offset:140
	buffer_load_dword v153, off, s[0:3], 0 offset:160
	buffer_load_dword v155, off, s[0:3], 0 offset:152
	buffer_load_dword v157, off, s[0:3], 0 offset:144
	buffer_load_dword v123, off, s[0:3], 0 offset:136
	buffer_load_dword v158, off, s[0:3], 0 offset:148
	buffer_load_dword v156, off, s[0:3], 0 offset:156
	buffer_load_dword v154, off, s[0:3], 0 offset:164
	s_waitcnt vmcnt(34)
	v_fma_f64 v[115:116], v[125:126], v[117:118], v[115:116]
	s_waitcnt vmcnt(32) lgkmcnt(0)
	v_fma_f64 v[115:116], v[127:128], v[119:120], v[115:116]
	s_waitcnt vmcnt(30)
	v_fma_f64 v[125:126], v[129:130], v[121:122], v[115:116]
	ds_read_b128 v[115:118], v114 offset:496
	ds_read_b128 v[119:122], v114 offset:512
	s_waitcnt vmcnt(28) lgkmcnt(1)
	v_fma_f64 v[115:116], v[131:132], v[115:116], v[125:126]
	s_clause 0x7
	buffer_load_dword v126, off, s[0:3], 0 offset:172
	buffer_load_dword v127, off, s[0:3], 0 offset:192
	buffer_load_dword v129, off, s[0:3], 0 offset:184
	buffer_load_dword v131, off, s[0:3], 0 offset:176
	buffer_load_dword v125, off, s[0:3], 0 offset:168
	buffer_load_dword v132, off, s[0:3], 0 offset:180
	buffer_load_dword v130, off, s[0:3], 0 offset:188
	buffer_load_dword v128, off, s[0:3], 0 offset:196
	s_waitcnt vmcnt(34)
	v_fma_f64 v[115:116], v[133:134], v[117:118], v[115:116]
	s_waitcnt vmcnt(32) lgkmcnt(0)
	v_fma_f64 v[115:116], v[135:136], v[119:120], v[115:116]
	s_waitcnt vmcnt(27)
	v_fma_f64 v[133:134], v[137:138], v[121:122], v[115:116]
	ds_read_b128 v[115:118], v114 offset:528
	ds_read_b128 v[119:122], v114 offset:544
	;; [unrolled: 19-line block ×9, first 2 shown]
	s_waitcnt vmcnt(26) lgkmcnt(1)
	v_fma_f64 v[115:116], v[155:156], v[115:116], v[125:126]
	s_clause 0x5
	buffer_load_dword v126, off, s[0:3], 0 offset:428
	buffer_load_dword v147, off, s[0:3], 0 offset:440
	;; [unrolled: 1-line block ×6, first 2 shown]
	s_waitcnt vmcnt(31)
	v_fma_f64 v[115:116], v[153:154], v[117:118], v[115:116]
	s_waitcnt vmcnt(30) lgkmcnt(0)
	v_fma_f64 v[115:116], v[131:132], v[119:120], v[115:116]
	s_waitcnt vmcnt(25)
	v_fma_f64 v[127:128], v[127:128], v[121:122], v[115:116]
	ds_read_b128 v[115:118], v114 offset:784
	s_clause 0x1
	buffer_load_dword v131, off, s[0:3], 0 offset:8
	buffer_load_dword v132, off, s[0:3], 0 offset:12
	ds_read_b128 v[119:122], v114 offset:800
	s_waitcnt vmcnt(26) lgkmcnt(1)
	v_fma_f64 v[115:116], v[143:144], v[115:116], v[127:128]
	s_waitcnt vmcnt(25)
	v_fma_f64 v[115:116], v[133:134], v[117:118], v[115:116]
	s_waitcnt vmcnt(24) lgkmcnt(0)
	v_fma_f64 v[115:116], v[129:130], v[119:120], v[115:116]
	s_waitcnt vmcnt(19)
	v_fma_f64 v[127:128], v[135:136], v[121:122], v[115:116]
	ds_read_b128 v[115:118], v114 offset:816
	ds_read_b128 v[119:122], v114 offset:832
	s_waitcnt vmcnt(18) lgkmcnt(1)
	v_fma_f64 v[115:116], v[151:152], v[115:116], v[127:128]
	s_waitcnt vmcnt(17)
	v_fma_f64 v[115:116], v[139:140], v[117:118], v[115:116]
	s_waitcnt vmcnt(16) lgkmcnt(0)
	v_fma_f64 v[115:116], v[137:138], v[119:120], v[115:116]
	s_waitcnt vmcnt(11)
	v_fma_f64 v[123:124], v[123:124], v[121:122], v[115:116]
	ds_read_b128 v[115:118], v114 offset:848
	;; [unrolled: 10-line block ×3, first 2 shown]
	s_waitcnt vmcnt(3) lgkmcnt(0)
	v_fma_f64 v[114:115], v[149:150], v[114:115], v[118:119]
	s_waitcnt vmcnt(2)
	v_fma_f64 v[114:115], v[147:148], v[116:117], v[114:115]
	s_waitcnt vmcnt(0)
	v_add_f64 v[114:115], v[131:132], -v[114:115]
	buffer_store_dword v115, off, s[0:3], 0 offset:12
	buffer_store_dword v114, off, s[0:3], 0 offset:8
	v_cmpx_ne_u32_e32 0, v0
	s_cbranch_execz .LBB119_345
; %bb.344:
	s_clause 0x1
	buffer_load_dword v114, off, s[0:3], 0
	buffer_load_dword v115, off, s[0:3], 0 offset:4
	v_mov_b32_e32 v0, 0
	buffer_store_dword v0, off, s[0:3], 0
	buffer_store_dword v0, off, s[0:3], 0 offset:4
	s_waitcnt vmcnt(0)
	ds_write_b64 v113, v[114:115]
.LBB119_345:
	s_or_b32 exec_lo, exec_lo, s4
	s_waitcnt lgkmcnt(0)
	s_waitcnt_vscnt null, 0x0
	s_barrier
	buffer_gl0_inv
	s_clause 0x1c
	buffer_load_dword v121, off, s[0:3], 0 offset:8
	buffer_load_dword v122, off, s[0:3], 0 offset:12
	;; [unrolled: 1-line block ×29, first 2 shown]
	v_mov_b32_e32 v0, 0
	buffer_load_dword v146, off, s[0:3], 0 offset:124
	s_and_b32 vcc_lo, exec_lo, s16
	ds_read2_b64 v[113:116], v0 offset0:57 offset1:58
	ds_read2_b64 v[117:120], v0 offset0:59 offset1:60
	s_waitcnt vmcnt(28) lgkmcnt(1)
	v_fma_f64 v[113:114], v[121:122], v[113:114], 0
	s_clause 0x7
	buffer_load_dword v122, off, s[0:3], 0 offset:132
	buffer_load_dword v151, off, s[0:3], 0 offset:152
	buffer_load_dword v153, off, s[0:3], 0 offset:144
	buffer_load_dword v155, off, s[0:3], 0 offset:136
	buffer_load_dword v121, off, s[0:3], 0 offset:128
	buffer_load_dword v156, off, s[0:3], 0 offset:140
	buffer_load_dword v154, off, s[0:3], 0 offset:148
	buffer_load_dword v152, off, s[0:3], 0 offset:156
	s_waitcnt vmcnt(34)
	v_fma_f64 v[113:114], v[123:124], v[115:116], v[113:114]
	s_waitcnt vmcnt(32) lgkmcnt(0)
	v_fma_f64 v[113:114], v[125:126], v[117:118], v[113:114]
	s_waitcnt vmcnt(30)
	v_fma_f64 v[123:124], v[127:128], v[119:120], v[113:114]
	ds_read2_b64 v[113:116], v0 offset0:61 offset1:62
	ds_read2_b64 v[117:120], v0 offset0:63 offset1:64
	s_waitcnt vmcnt(28) lgkmcnt(1)
	v_fma_f64 v[113:114], v[129:130], v[113:114], v[123:124]
	s_clause 0x7
	buffer_load_dword v124, off, s[0:3], 0 offset:164
	buffer_load_dword v125, off, s[0:3], 0 offset:184
	buffer_load_dword v127, off, s[0:3], 0 offset:176
	buffer_load_dword v129, off, s[0:3], 0 offset:168
	buffer_load_dword v123, off, s[0:3], 0 offset:160
	buffer_load_dword v130, off, s[0:3], 0 offset:172
	buffer_load_dword v128, off, s[0:3], 0 offset:180
	buffer_load_dword v126, off, s[0:3], 0 offset:188
	s_waitcnt vmcnt(34)
	v_fma_f64 v[113:114], v[131:132], v[115:116], v[113:114]
	s_waitcnt vmcnt(32) lgkmcnt(0)
	v_fma_f64 v[113:114], v[133:134], v[117:118], v[113:114]
	s_waitcnt vmcnt(27)
	v_fma_f64 v[131:132], v[135:136], v[119:120], v[113:114]
	;; [unrolled: 19-line block ×9, first 2 shown]
	ds_read2_b64 v[113:116], v0 offset0:93 offset1:94
	ds_read2_b64 v[117:120], v0 offset0:95 offset1:96
	s_waitcnt vmcnt(26) lgkmcnt(1)
	v_fma_f64 v[121:122], v[153:154], v[113:114], v[121:122]
	s_clause 0x6
	buffer_load_dword v124, off, s[0:3], 0 offset:420
	buffer_load_dword v145, off, s[0:3], 0 offset:440
	;; [unrolled: 1-line block ×7, first 2 shown]
	s_waitcnt vmcnt(32)
	v_fma_f64 v[114:115], v[151:152], v[115:116], v[121:122]
	s_waitcnt vmcnt(31) lgkmcnt(0)
	v_fma_f64 v[115:116], v[129:130], v[117:118], v[114:115]
	buffer_load_dword v114, off, s[0:3], 0 offset:436
	s_waitcnt vmcnt(27)
	v_fma_f64 v[125:126], v[125:126], v[119:120], v[115:116]
	ds_read2_b64 v[115:118], v0 offset0:97 offset1:98
	ds_read2_b64 v[119:122], v0 offset0:99 offset1:100
	s_waitcnt vmcnt(26) lgkmcnt(1)
	v_fma_f64 v[115:116], v[141:142], v[115:116], v[125:126]
	s_clause 0x1
	buffer_load_dword v125, off, s[0:3], 0
	buffer_load_dword v126, off, s[0:3], 0 offset:4
	s_waitcnt vmcnt(27)
	v_fma_f64 v[115:116], v[131:132], v[117:118], v[115:116]
	s_waitcnt vmcnt(26) lgkmcnt(0)
	v_fma_f64 v[115:116], v[127:128], v[119:120], v[115:116]
	s_waitcnt vmcnt(21)
	v_fma_f64 v[127:128], v[133:134], v[121:122], v[115:116]
	ds_read2_b64 v[115:118], v0 offset0:101 offset1:102
	ds_read2_b64 v[119:122], v0 offset0:103 offset1:104
	s_waitcnt vmcnt(20) lgkmcnt(1)
	v_fma_f64 v[115:116], v[149:150], v[115:116], v[127:128]
	s_waitcnt vmcnt(19)
	v_fma_f64 v[115:116], v[137:138], v[117:118], v[115:116]
	s_waitcnt vmcnt(18) lgkmcnt(0)
	v_fma_f64 v[115:116], v[135:136], v[119:120], v[115:116]
	s_waitcnt vmcnt(13)
	v_fma_f64 v[127:128], v[139:140], v[121:122], v[115:116]
	ds_read2_b64 v[115:118], v0 offset0:105 offset1:106
	ds_read2_b64 v[119:122], v0 offset0:107 offset1:108
	s_waitcnt vmcnt(12) lgkmcnt(1)
	v_fma_f64 v[115:116], v[157:158], v[115:116], v[127:128]
	s_waitcnt vmcnt(11)
	v_fma_f64 v[115:116], v[155:156], v[117:118], v[115:116]
	s_waitcnt vmcnt(10) lgkmcnt(0)
	v_fma_f64 v[115:116], v[143:144], v[119:120], v[115:116]
	s_waitcnt vmcnt(5)
	v_fma_f64 v[119:120], v[123:124], v[121:122], v[115:116]
	ds_read2_b64 v[115:118], v0 offset0:109 offset1:110
	ds_read_b64 v[121:122], v0 offset:888
	s_waitcnt vmcnt(4) lgkmcnt(1)
	v_fma_f64 v[115:116], v[147:148], v[115:116], v[119:120]
	s_waitcnt vmcnt(2)
	v_fma_f64 v[115:116], v[113:114], v[117:118], v[115:116]
	s_waitcnt lgkmcnt(0)
	v_fma_f64 v[115:116], v[145:146], v[121:122], v[115:116]
	s_waitcnt vmcnt(0)
	v_add_f64 v[115:116], v[125:126], -v[115:116]
	buffer_store_dword v116, off, s[0:3], 0 offset:4
	buffer_store_dword v115, off, s[0:3], 0
	s_cbranch_vccz .LBB119_456
; %bb.346:
	global_load_dword v0, v0, s[12:13] offset:216
	s_waitcnt vmcnt(0)
	v_add_nc_u32_e32 v0, -1, v0
	v_cmp_ne_u32_e32 vcc_lo, 54, v0
	s_cbranch_vccz .LBB119_348
; %bb.347:
	v_lshlrev_b32_e32 v0, 3, v0
	s_clause 0x1
	buffer_load_dword v115, v0, s[0:3], 0 offen offset:4
	buffer_load_dword v116, v0, s[0:3], 0 offen
	s_waitcnt vmcnt(1)
	buffer_store_dword v115, off, s[0:3], 0 offset:436
	s_waitcnt vmcnt(0)
	buffer_store_dword v116, off, s[0:3], 0 offset:432
	buffer_store_dword v114, v0, s[0:3], 0 offen offset:4
	buffer_store_dword v113, v0, s[0:3], 0 offen
.LBB119_348:
	v_mov_b32_e32 v0, 0
	global_load_dword v113, v0, s[12:13] offset:212
	s_waitcnt vmcnt(0)
	v_add_nc_u32_e32 v113, -1, v113
	v_cmp_eq_u32_e32 vcc_lo, 53, v113
	s_cbranch_vccnz .LBB119_350
; %bb.349:
	v_lshlrev_b32_e32 v113, 3, v113
	s_clause 0x3
	buffer_load_dword v114, v113, s[0:3], 0 offen
	buffer_load_dword v115, v113, s[0:3], 0 offen offset:4
	buffer_load_dword v116, off, s[0:3], 0 offset:424
	buffer_load_dword v117, off, s[0:3], 0 offset:428
	s_waitcnt vmcnt(3)
	buffer_store_dword v114, off, s[0:3], 0 offset:424
	s_waitcnt vmcnt(2)
	buffer_store_dword v115, off, s[0:3], 0 offset:428
	s_waitcnt vmcnt(1)
	buffer_store_dword v116, v113, s[0:3], 0 offen
	s_waitcnt vmcnt(0)
	buffer_store_dword v117, v113, s[0:3], 0 offen offset:4
.LBB119_350:
	global_load_dword v0, v0, s[12:13] offset:208
	s_waitcnt vmcnt(0)
	v_add_nc_u32_e32 v0, -1, v0
	v_cmp_eq_u32_e32 vcc_lo, 52, v0
	s_cbranch_vccnz .LBB119_352
; %bb.351:
	v_lshlrev_b32_e32 v0, 3, v0
	s_clause 0x3
	buffer_load_dword v113, v0, s[0:3], 0 offen
	buffer_load_dword v114, v0, s[0:3], 0 offen offset:4
	buffer_load_dword v115, off, s[0:3], 0 offset:420
	buffer_load_dword v116, off, s[0:3], 0 offset:416
	s_waitcnt vmcnt(3)
	buffer_store_dword v113, off, s[0:3], 0 offset:416
	s_waitcnt vmcnt(2)
	buffer_store_dword v114, off, s[0:3], 0 offset:420
	s_waitcnt vmcnt(1)
	buffer_store_dword v115, v0, s[0:3], 0 offen offset:4
	s_waitcnt vmcnt(0)
	buffer_store_dword v116, v0, s[0:3], 0 offen
.LBB119_352:
	v_mov_b32_e32 v0, 0
	global_load_dword v113, v0, s[12:13] offset:204
	s_waitcnt vmcnt(0)
	v_add_nc_u32_e32 v113, -1, v113
	v_cmp_eq_u32_e32 vcc_lo, 51, v113
	s_cbranch_vccnz .LBB119_354
; %bb.353:
	v_lshlrev_b32_e32 v113, 3, v113
	s_clause 0x3
	buffer_load_dword v114, v113, s[0:3], 0 offen
	buffer_load_dword v115, v113, s[0:3], 0 offen offset:4
	buffer_load_dword v116, off, s[0:3], 0 offset:408
	buffer_load_dword v117, off, s[0:3], 0 offset:412
	s_waitcnt vmcnt(3)
	buffer_store_dword v114, off, s[0:3], 0 offset:408
	s_waitcnt vmcnt(2)
	buffer_store_dword v115, off, s[0:3], 0 offset:412
	s_waitcnt vmcnt(1)
	buffer_store_dword v116, v113, s[0:3], 0 offen
	s_waitcnt vmcnt(0)
	buffer_store_dword v117, v113, s[0:3], 0 offen offset:4
.LBB119_354:
	global_load_dword v0, v0, s[12:13] offset:200
	s_waitcnt vmcnt(0)
	v_add_nc_u32_e32 v0, -1, v0
	v_cmp_eq_u32_e32 vcc_lo, 50, v0
	s_cbranch_vccnz .LBB119_356
; %bb.355:
	v_lshlrev_b32_e32 v0, 3, v0
	s_clause 0x3
	buffer_load_dword v113, v0, s[0:3], 0 offen
	buffer_load_dword v114, v0, s[0:3], 0 offen offset:4
	buffer_load_dword v115, off, s[0:3], 0 offset:404
	buffer_load_dword v116, off, s[0:3], 0 offset:400
	s_waitcnt vmcnt(3)
	buffer_store_dword v113, off, s[0:3], 0 offset:400
	s_waitcnt vmcnt(2)
	buffer_store_dword v114, off, s[0:3], 0 offset:404
	s_waitcnt vmcnt(1)
	buffer_store_dword v115, v0, s[0:3], 0 offen offset:4
	s_waitcnt vmcnt(0)
	buffer_store_dword v116, v0, s[0:3], 0 offen
.LBB119_356:
	;; [unrolled: 43-line block ×26, first 2 shown]
	v_mov_b32_e32 v0, 0
	global_load_dword v113, v0, s[12:13] offset:4
	s_waitcnt vmcnt(0)
	v_add_nc_u32_e32 v113, -1, v113
	v_cmp_eq_u32_e32 vcc_lo, 1, v113
	s_cbranch_vccnz .LBB119_454
; %bb.453:
	v_lshlrev_b32_e32 v113, 3, v113
	s_clause 0x3
	buffer_load_dword v114, v113, s[0:3], 0 offen
	buffer_load_dword v115, v113, s[0:3], 0 offen offset:4
	buffer_load_dword v116, off, s[0:3], 0 offset:8
	buffer_load_dword v117, off, s[0:3], 0 offset:12
	s_waitcnt vmcnt(3)
	buffer_store_dword v114, off, s[0:3], 0 offset:8
	s_waitcnt vmcnt(2)
	buffer_store_dword v115, off, s[0:3], 0 offset:12
	s_waitcnt vmcnt(1)
	buffer_store_dword v116, v113, s[0:3], 0 offen
	s_waitcnt vmcnt(0)
	buffer_store_dword v117, v113, s[0:3], 0 offen offset:4
.LBB119_454:
	global_load_dword v0, v0, s[12:13]
	s_clause 0x1
	buffer_load_dword v115, off, s[0:3], 0
	buffer_load_dword v116, off, s[0:3], 0 offset:4
	s_waitcnt vmcnt(2)
	v_add_nc_u32_e32 v0, -1, v0
	v_cmp_eq_u32_e32 vcc_lo, 0, v0
	s_cbranch_vccnz .LBB119_456
; %bb.455:
	v_lshlrev_b32_e32 v0, 3, v0
	s_clause 0x1
	buffer_load_dword v113, v0, s[0:3], 0 offen offset:4
	buffer_load_dword v114, v0, s[0:3], 0 offen
	s_waitcnt vmcnt(1)
	buffer_store_dword v113, off, s[0:3], 0 offset:4
	s_waitcnt vmcnt(0)
	buffer_store_dword v114, off, s[0:3], 0
	buffer_store_dword v116, v0, s[0:3], 0 offen offset:4
	buffer_store_dword v115, v0, s[0:3], 0 offen
	s_clause 0x1
	buffer_load_dword v115, off, s[0:3], 0
	buffer_load_dword v116, off, s[0:3], 0 offset:4
.LBB119_456:
	s_waitcnt vmcnt(0)
	flat_store_dwordx2 v[1:2], v[115:116]
	s_clause 0x1
	buffer_load_dword v0, off, s[0:3], 0 offset:8
	buffer_load_dword v1, off, s[0:3], 0 offset:12
	s_waitcnt vmcnt(0)
	flat_store_dwordx2 v[3:4], v[0:1]
	s_clause 0x1
	buffer_load_dword v0, off, s[0:3], 0 offset:16
	buffer_load_dword v1, off, s[0:3], 0 offset:20
	s_waitcnt vmcnt(0)
	flat_store_dwordx2 v[5:6], v[0:1]
	s_clause 0x1
	buffer_load_dword v0, off, s[0:3], 0 offset:24
	buffer_load_dword v1, off, s[0:3], 0 offset:28
	s_waitcnt vmcnt(0)
	flat_store_dwordx2 v[7:8], v[0:1]
	s_clause 0x1
	buffer_load_dword v0, off, s[0:3], 0 offset:32
	buffer_load_dword v1, off, s[0:3], 0 offset:36
	s_waitcnt vmcnt(0)
	flat_store_dwordx2 v[9:10], v[0:1]
	s_clause 0x1
	buffer_load_dword v0, off, s[0:3], 0 offset:40
	buffer_load_dword v1, off, s[0:3], 0 offset:44
	s_waitcnt vmcnt(0)
	flat_store_dwordx2 v[11:12], v[0:1]
	s_clause 0x1
	buffer_load_dword v0, off, s[0:3], 0 offset:48
	buffer_load_dword v1, off, s[0:3], 0 offset:52
	s_waitcnt vmcnt(0)
	flat_store_dwordx2 v[13:14], v[0:1]
	s_clause 0x1
	buffer_load_dword v0, off, s[0:3], 0 offset:56
	buffer_load_dword v1, off, s[0:3], 0 offset:60
	s_waitcnt vmcnt(0)
	flat_store_dwordx2 v[15:16], v[0:1]
	s_clause 0x1
	buffer_load_dword v0, off, s[0:3], 0 offset:64
	buffer_load_dword v1, off, s[0:3], 0 offset:68
	s_waitcnt vmcnt(0)
	flat_store_dwordx2 v[17:18], v[0:1]
	s_clause 0x1
	buffer_load_dword v0, off, s[0:3], 0 offset:72
	buffer_load_dword v1, off, s[0:3], 0 offset:76
	s_waitcnt vmcnt(0)
	flat_store_dwordx2 v[19:20], v[0:1]
	s_clause 0x1
	buffer_load_dword v0, off, s[0:3], 0 offset:80
	buffer_load_dword v1, off, s[0:3], 0 offset:84
	s_waitcnt vmcnt(0)
	flat_store_dwordx2 v[21:22], v[0:1]
	s_clause 0x1
	buffer_load_dword v0, off, s[0:3], 0 offset:88
	buffer_load_dword v1, off, s[0:3], 0 offset:92
	s_waitcnt vmcnt(0)
	flat_store_dwordx2 v[23:24], v[0:1]
	s_clause 0x1
	buffer_load_dword v0, off, s[0:3], 0 offset:96
	buffer_load_dword v1, off, s[0:3], 0 offset:100
	s_waitcnt vmcnt(0)
	flat_store_dwordx2 v[25:26], v[0:1]
	s_clause 0x1
	buffer_load_dword v0, off, s[0:3], 0 offset:104
	buffer_load_dword v1, off, s[0:3], 0 offset:108
	s_waitcnt vmcnt(0)
	flat_store_dwordx2 v[27:28], v[0:1]
	s_clause 0x1
	buffer_load_dword v0, off, s[0:3], 0 offset:112
	buffer_load_dword v1, off, s[0:3], 0 offset:116
	s_waitcnt vmcnt(0)
	flat_store_dwordx2 v[29:30], v[0:1]
	s_clause 0x1
	buffer_load_dword v0, off, s[0:3], 0 offset:120
	buffer_load_dword v1, off, s[0:3], 0 offset:124
	s_waitcnt vmcnt(0)
	flat_store_dwordx2 v[31:32], v[0:1]
	s_clause 0x1
	buffer_load_dword v0, off, s[0:3], 0 offset:128
	buffer_load_dword v1, off, s[0:3], 0 offset:132
	s_waitcnt vmcnt(0)
	flat_store_dwordx2 v[33:34], v[0:1]
	s_clause 0x1
	buffer_load_dword v0, off, s[0:3], 0 offset:136
	buffer_load_dword v1, off, s[0:3], 0 offset:140
	s_waitcnt vmcnt(0)
	flat_store_dwordx2 v[35:36], v[0:1]
	s_clause 0x1
	buffer_load_dword v0, off, s[0:3], 0 offset:144
	buffer_load_dword v1, off, s[0:3], 0 offset:148
	s_waitcnt vmcnt(0)
	flat_store_dwordx2 v[37:38], v[0:1]
	s_clause 0x1
	buffer_load_dword v0, off, s[0:3], 0 offset:152
	buffer_load_dword v1, off, s[0:3], 0 offset:156
	s_waitcnt vmcnt(0)
	flat_store_dwordx2 v[39:40], v[0:1]
	s_clause 0x1
	buffer_load_dword v0, off, s[0:3], 0 offset:160
	buffer_load_dword v1, off, s[0:3], 0 offset:164
	s_waitcnt vmcnt(0)
	flat_store_dwordx2 v[41:42], v[0:1]
	s_clause 0x1
	buffer_load_dword v0, off, s[0:3], 0 offset:168
	buffer_load_dword v1, off, s[0:3], 0 offset:172
	s_waitcnt vmcnt(0)
	flat_store_dwordx2 v[43:44], v[0:1]
	s_clause 0x1
	buffer_load_dword v0, off, s[0:3], 0 offset:176
	buffer_load_dword v1, off, s[0:3], 0 offset:180
	s_waitcnt vmcnt(0)
	flat_store_dwordx2 v[45:46], v[0:1]
	s_clause 0x1
	buffer_load_dword v0, off, s[0:3], 0 offset:184
	buffer_load_dword v1, off, s[0:3], 0 offset:188
	s_waitcnt vmcnt(0)
	flat_store_dwordx2 v[47:48], v[0:1]
	s_clause 0x1
	buffer_load_dword v0, off, s[0:3], 0 offset:192
	buffer_load_dword v1, off, s[0:3], 0 offset:196
	s_waitcnt vmcnt(0)
	flat_store_dwordx2 v[49:50], v[0:1]
	s_clause 0x1
	buffer_load_dword v0, off, s[0:3], 0 offset:200
	buffer_load_dword v1, off, s[0:3], 0 offset:204
	s_waitcnt vmcnt(0)
	flat_store_dwordx2 v[51:52], v[0:1]
	s_clause 0x1
	buffer_load_dword v0, off, s[0:3], 0 offset:208
	buffer_load_dword v1, off, s[0:3], 0 offset:212
	s_waitcnt vmcnt(0)
	flat_store_dwordx2 v[53:54], v[0:1]
	s_clause 0x1
	buffer_load_dword v0, off, s[0:3], 0 offset:216
	buffer_load_dword v1, off, s[0:3], 0 offset:220
	s_waitcnt vmcnt(0)
	flat_store_dwordx2 v[55:56], v[0:1]
	s_clause 0x1
	buffer_load_dword v0, off, s[0:3], 0 offset:224
	buffer_load_dword v1, off, s[0:3], 0 offset:228
	s_waitcnt vmcnt(0)
	flat_store_dwordx2 v[57:58], v[0:1]
	s_clause 0x1
	buffer_load_dword v0, off, s[0:3], 0 offset:232
	buffer_load_dword v1, off, s[0:3], 0 offset:236
	s_waitcnt vmcnt(0)
	flat_store_dwordx2 v[59:60], v[0:1]
	s_clause 0x1
	buffer_load_dword v0, off, s[0:3], 0 offset:240
	buffer_load_dword v1, off, s[0:3], 0 offset:244
	s_waitcnt vmcnt(0)
	flat_store_dwordx2 v[61:62], v[0:1]
	s_clause 0x1
	buffer_load_dword v0, off, s[0:3], 0 offset:248
	buffer_load_dword v1, off, s[0:3], 0 offset:252
	s_waitcnt vmcnt(0)
	flat_store_dwordx2 v[63:64], v[0:1]
	s_clause 0x1
	buffer_load_dword v0, off, s[0:3], 0 offset:256
	buffer_load_dword v1, off, s[0:3], 0 offset:260
	s_waitcnt vmcnt(0)
	flat_store_dwordx2 v[65:66], v[0:1]
	s_clause 0x1
	buffer_load_dword v0, off, s[0:3], 0 offset:264
	buffer_load_dword v1, off, s[0:3], 0 offset:268
	s_waitcnt vmcnt(0)
	flat_store_dwordx2 v[67:68], v[0:1]
	s_clause 0x1
	buffer_load_dword v0, off, s[0:3], 0 offset:272
	buffer_load_dword v1, off, s[0:3], 0 offset:276
	s_waitcnt vmcnt(0)
	flat_store_dwordx2 v[69:70], v[0:1]
	s_clause 0x1
	buffer_load_dword v0, off, s[0:3], 0 offset:280
	buffer_load_dword v1, off, s[0:3], 0 offset:284
	s_waitcnt vmcnt(0)
	flat_store_dwordx2 v[71:72], v[0:1]
	s_clause 0x1
	buffer_load_dword v0, off, s[0:3], 0 offset:288
	buffer_load_dword v1, off, s[0:3], 0 offset:292
	s_waitcnt vmcnt(0)
	flat_store_dwordx2 v[73:74], v[0:1]
	s_clause 0x1
	buffer_load_dword v0, off, s[0:3], 0 offset:296
	buffer_load_dword v1, off, s[0:3], 0 offset:300
	s_waitcnt vmcnt(0)
	flat_store_dwordx2 v[75:76], v[0:1]
	s_clause 0x1
	buffer_load_dword v0, off, s[0:3], 0 offset:304
	buffer_load_dword v1, off, s[0:3], 0 offset:308
	s_waitcnt vmcnt(0)
	flat_store_dwordx2 v[77:78], v[0:1]
	s_clause 0x1
	buffer_load_dword v0, off, s[0:3], 0 offset:312
	buffer_load_dword v1, off, s[0:3], 0 offset:316
	s_waitcnt vmcnt(0)
	flat_store_dwordx2 v[79:80], v[0:1]
	s_clause 0x1
	buffer_load_dword v0, off, s[0:3], 0 offset:320
	buffer_load_dword v1, off, s[0:3], 0 offset:324
	s_waitcnt vmcnt(0)
	flat_store_dwordx2 v[81:82], v[0:1]
	s_clause 0x1
	buffer_load_dword v0, off, s[0:3], 0 offset:328
	buffer_load_dword v1, off, s[0:3], 0 offset:332
	s_waitcnt vmcnt(0)
	flat_store_dwordx2 v[83:84], v[0:1]
	s_clause 0x1
	buffer_load_dword v0, off, s[0:3], 0 offset:336
	buffer_load_dword v1, off, s[0:3], 0 offset:340
	s_waitcnt vmcnt(0)
	flat_store_dwordx2 v[85:86], v[0:1]
	s_clause 0x1
	buffer_load_dword v0, off, s[0:3], 0 offset:344
	buffer_load_dword v1, off, s[0:3], 0 offset:348
	s_waitcnt vmcnt(0)
	flat_store_dwordx2 v[87:88], v[0:1]
	s_clause 0x1
	buffer_load_dword v0, off, s[0:3], 0 offset:352
	buffer_load_dword v1, off, s[0:3], 0 offset:356
	s_waitcnt vmcnt(0)
	flat_store_dwordx2 v[89:90], v[0:1]
	s_clause 0x1
	buffer_load_dword v0, off, s[0:3], 0 offset:360
	buffer_load_dword v1, off, s[0:3], 0 offset:364
	s_waitcnt vmcnt(0)
	flat_store_dwordx2 v[91:92], v[0:1]
	s_clause 0x1
	buffer_load_dword v0, off, s[0:3], 0 offset:368
	buffer_load_dword v1, off, s[0:3], 0 offset:372
	s_waitcnt vmcnt(0)
	flat_store_dwordx2 v[93:94], v[0:1]
	s_clause 0x1
	buffer_load_dword v0, off, s[0:3], 0 offset:376
	buffer_load_dword v1, off, s[0:3], 0 offset:380
	s_waitcnt vmcnt(0)
	flat_store_dwordx2 v[95:96], v[0:1]
	s_clause 0x1
	buffer_load_dword v0, off, s[0:3], 0 offset:384
	buffer_load_dword v1, off, s[0:3], 0 offset:388
	s_waitcnt vmcnt(0)
	flat_store_dwordx2 v[97:98], v[0:1]
	s_clause 0x1
	buffer_load_dword v0, off, s[0:3], 0 offset:392
	buffer_load_dword v1, off, s[0:3], 0 offset:396
	s_waitcnt vmcnt(0)
	flat_store_dwordx2 v[99:100], v[0:1]
	s_clause 0x1
	buffer_load_dword v0, off, s[0:3], 0 offset:400
	buffer_load_dword v1, off, s[0:3], 0 offset:404
	s_waitcnt vmcnt(0)
	flat_store_dwordx2 v[101:102], v[0:1]
	s_clause 0x1
	buffer_load_dword v0, off, s[0:3], 0 offset:408
	buffer_load_dword v1, off, s[0:3], 0 offset:412
	s_waitcnt vmcnt(0)
	flat_store_dwordx2 v[103:104], v[0:1]
	s_clause 0x1
	buffer_load_dword v0, off, s[0:3], 0 offset:416
	buffer_load_dword v1, off, s[0:3], 0 offset:420
	s_waitcnt vmcnt(0)
	flat_store_dwordx2 v[105:106], v[0:1]
	s_clause 0x1
	buffer_load_dword v0, off, s[0:3], 0 offset:424
	buffer_load_dword v1, off, s[0:3], 0 offset:428
	s_waitcnt vmcnt(0)
	flat_store_dwordx2 v[107:108], v[0:1]
	s_clause 0x1
	buffer_load_dword v0, off, s[0:3], 0 offset:432
	buffer_load_dword v1, off, s[0:3], 0 offset:436
	s_waitcnt vmcnt(0)
	flat_store_dwordx2 v[109:110], v[0:1]
	s_clause 0x1
	buffer_load_dword v0, off, s[0:3], 0 offset:440
	buffer_load_dword v1, off, s[0:3], 0 offset:444
	s_waitcnt vmcnt(0)
	flat_store_dwordx2 v[111:112], v[0:1]
	s_endpgm
	.section	.rodata,"a",@progbits
	.p2align	6, 0x0
	.amdhsa_kernel _ZN9rocsolver6v33100L18getri_kernel_smallILi56EdPKPdEEvT1_iilPiilS6_bb
		.amdhsa_group_segment_fixed_size 904
		.amdhsa_private_segment_fixed_size 464
		.amdhsa_kernarg_size 60
		.amdhsa_user_sgpr_count 6
		.amdhsa_user_sgpr_private_segment_buffer 1
		.amdhsa_user_sgpr_dispatch_ptr 0
		.amdhsa_user_sgpr_queue_ptr 0
		.amdhsa_user_sgpr_kernarg_segment_ptr 1
		.amdhsa_user_sgpr_dispatch_id 0
		.amdhsa_user_sgpr_flat_scratch_init 0
		.amdhsa_user_sgpr_private_segment_size 0
		.amdhsa_wavefront_size32 1
		.amdhsa_uses_dynamic_stack 0
		.amdhsa_system_sgpr_private_segment_wavefront_offset 1
		.amdhsa_system_sgpr_workgroup_id_x 1
		.amdhsa_system_sgpr_workgroup_id_y 0
		.amdhsa_system_sgpr_workgroup_id_z 0
		.amdhsa_system_sgpr_workgroup_info 0
		.amdhsa_system_vgpr_workitem_id 0
		.amdhsa_next_free_vgpr 159
		.amdhsa_next_free_sgpr 20
		.amdhsa_reserve_vcc 1
		.amdhsa_reserve_flat_scratch 0
		.amdhsa_float_round_mode_32 0
		.amdhsa_float_round_mode_16_64 0
		.amdhsa_float_denorm_mode_32 3
		.amdhsa_float_denorm_mode_16_64 3
		.amdhsa_dx10_clamp 1
		.amdhsa_ieee_mode 1
		.amdhsa_fp16_overflow 0
		.amdhsa_workgroup_processor_mode 1
		.amdhsa_memory_ordered 1
		.amdhsa_forward_progress 1
		.amdhsa_shared_vgpr_count 0
		.amdhsa_exception_fp_ieee_invalid_op 0
		.amdhsa_exception_fp_denorm_src 0
		.amdhsa_exception_fp_ieee_div_zero 0
		.amdhsa_exception_fp_ieee_overflow 0
		.amdhsa_exception_fp_ieee_underflow 0
		.amdhsa_exception_fp_ieee_inexact 0
		.amdhsa_exception_int_div_zero 0
	.end_amdhsa_kernel
	.section	.text._ZN9rocsolver6v33100L18getri_kernel_smallILi56EdPKPdEEvT1_iilPiilS6_bb,"axG",@progbits,_ZN9rocsolver6v33100L18getri_kernel_smallILi56EdPKPdEEvT1_iilPiilS6_bb,comdat
.Lfunc_end119:
	.size	_ZN9rocsolver6v33100L18getri_kernel_smallILi56EdPKPdEEvT1_iilPiilS6_bb, .Lfunc_end119-_ZN9rocsolver6v33100L18getri_kernel_smallILi56EdPKPdEEvT1_iilPiilS6_bb
                                        ; -- End function
	.set _ZN9rocsolver6v33100L18getri_kernel_smallILi56EdPKPdEEvT1_iilPiilS6_bb.num_vgpr, 159
	.set _ZN9rocsolver6v33100L18getri_kernel_smallILi56EdPKPdEEvT1_iilPiilS6_bb.num_agpr, 0
	.set _ZN9rocsolver6v33100L18getri_kernel_smallILi56EdPKPdEEvT1_iilPiilS6_bb.numbered_sgpr, 20
	.set _ZN9rocsolver6v33100L18getri_kernel_smallILi56EdPKPdEEvT1_iilPiilS6_bb.num_named_barrier, 0
	.set _ZN9rocsolver6v33100L18getri_kernel_smallILi56EdPKPdEEvT1_iilPiilS6_bb.private_seg_size, 464
	.set _ZN9rocsolver6v33100L18getri_kernel_smallILi56EdPKPdEEvT1_iilPiilS6_bb.uses_vcc, 1
	.set _ZN9rocsolver6v33100L18getri_kernel_smallILi56EdPKPdEEvT1_iilPiilS6_bb.uses_flat_scratch, 0
	.set _ZN9rocsolver6v33100L18getri_kernel_smallILi56EdPKPdEEvT1_iilPiilS6_bb.has_dyn_sized_stack, 0
	.set _ZN9rocsolver6v33100L18getri_kernel_smallILi56EdPKPdEEvT1_iilPiilS6_bb.has_recursion, 0
	.set _ZN9rocsolver6v33100L18getri_kernel_smallILi56EdPKPdEEvT1_iilPiilS6_bb.has_indirect_call, 0
	.section	.AMDGPU.csdata,"",@progbits
; Kernel info:
; codeLenInByte = 81988
; TotalNumSgprs: 22
; NumVgprs: 159
; ScratchSize: 464
; MemoryBound: 1
; FloatMode: 240
; IeeeMode: 1
; LDSByteSize: 904 bytes/workgroup (compile time only)
; SGPRBlocks: 0
; VGPRBlocks: 19
; NumSGPRsForWavesPerEU: 22
; NumVGPRsForWavesPerEU: 159
; Occupancy: 6
; WaveLimiterHint : 1
; COMPUTE_PGM_RSRC2:SCRATCH_EN: 1
; COMPUTE_PGM_RSRC2:USER_SGPR: 6
; COMPUTE_PGM_RSRC2:TRAP_HANDLER: 0
; COMPUTE_PGM_RSRC2:TGID_X_EN: 1
; COMPUTE_PGM_RSRC2:TGID_Y_EN: 0
; COMPUTE_PGM_RSRC2:TGID_Z_EN: 0
; COMPUTE_PGM_RSRC2:TIDIG_COMP_CNT: 0
	.section	.text._ZN9rocsolver6v33100L18getri_kernel_smallILi57EdPKPdEEvT1_iilPiilS6_bb,"axG",@progbits,_ZN9rocsolver6v33100L18getri_kernel_smallILi57EdPKPdEEvT1_iilPiilS6_bb,comdat
	.globl	_ZN9rocsolver6v33100L18getri_kernel_smallILi57EdPKPdEEvT1_iilPiilS6_bb ; -- Begin function _ZN9rocsolver6v33100L18getri_kernel_smallILi57EdPKPdEEvT1_iilPiilS6_bb
	.p2align	8
	.type	_ZN9rocsolver6v33100L18getri_kernel_smallILi57EdPKPdEEvT1_iilPiilS6_bb,@function
_ZN9rocsolver6v33100L18getri_kernel_smallILi57EdPKPdEEvT1_iilPiilS6_bb: ; @_ZN9rocsolver6v33100L18getri_kernel_smallILi57EdPKPdEEvT1_iilPiilS6_bb
; %bb.0:
	s_add_u32 s0, s0, s7
	s_addc_u32 s1, s1, 0
	s_mov_b32 s7, exec_lo
	v_cmpx_gt_u32_e32 57, v0
	s_cbranch_execz .LBB120_238
; %bb.1:
	s_clause 0x2
	s_load_dword s17, s[4:5], 0x38
	s_load_dwordx2 s[12:13], s[4:5], 0x0
	s_load_dwordx4 s[8:11], s[4:5], 0x28
	s_waitcnt lgkmcnt(0)
	s_bitcmp1_b32 s17, 8
	s_cselect_b32 s16, -1, 0
	s_ashr_i32 s7, s6, 31
	s_lshl_b64 s[14:15], s[6:7], 3
	s_add_u32 s12, s12, s14
	s_addc_u32 s13, s13, s15
	s_load_dwordx2 s[14:15], s[12:13], 0x0
	s_bfe_u32 s12, s17, 0x10008
	s_cmp_eq_u32 s12, 0
                                        ; implicit-def: $sgpr12_sgpr13
	s_cbranch_scc1 .LBB120_3
; %bb.2:
	s_clause 0x1
	s_load_dword s12, s[4:5], 0x20
	s_load_dwordx2 s[18:19], s[4:5], 0x18
	s_mul_i32 s13, s8, s7
	s_mul_hi_u32 s17, s8, s6
	s_mul_i32 s9, s9, s6
	s_add_i32 s13, s17, s13
	s_mul_i32 s8, s8, s6
	s_add_i32 s9, s13, s9
	s_lshl_b64 s[8:9], s[8:9], 2
	s_waitcnt lgkmcnt(0)
	s_ashr_i32 s13, s12, 31
	s_add_u32 s17, s18, s8
	s_addc_u32 s18, s19, s9
	s_lshl_b64 s[8:9], s[12:13], 2
	s_add_u32 s12, s17, s8
	s_addc_u32 s13, s18, s9
.LBB120_3:
	s_clause 0x1
	s_load_dwordx2 s[8:9], s[4:5], 0x8
	s_load_dword s17, s[4:5], 0x38
	v_lshlrev_b32_e32 v117, 3, v0
	s_waitcnt lgkmcnt(0)
	s_ashr_i32 s5, s8, 31
	s_mov_b32 s4, s8
	v_add3_u32 v9, s9, s9, v0
	s_lshl_b64 s[4:5], s[4:5], 3
	s_add_u32 s4, s14, s4
	s_addc_u32 s5, s15, s5
	v_add_co_u32 v1, s8, s4, v117
	v_add_co_ci_u32_e64 v2, null, s5, 0, s8
	s_mov_b32 s14, s9
	s_ashr_i32 s15, s9, 31
	v_ashrrev_i32_e32 v10, 31, v9
	flat_load_dwordx2 v[5:6], v[1:2]
	s_lshl_b64 s[14:15], s[14:15], 3
	v_add_nc_u32_e32 v12, s9, v9
	v_add_co_u32 v3, vcc_lo, v1, s14
	v_add_co_ci_u32_e64 v4, null, s15, v2, vcc_lo
	v_ashrrev_i32_e32 v13, 31, v12
	s_bitcmp0_b32 s17, 0
	s_waitcnt vmcnt(0) lgkmcnt(0)
	buffer_store_dword v6, off, s[0:3], 0 offset:4
	buffer_store_dword v5, off, s[0:3], 0
	flat_load_dwordx2 v[7:8], v[3:4]
	v_lshlrev_b64 v[5:6], 3, v[9:10]
	s_waitcnt vmcnt(0) lgkmcnt(0)
	buffer_store_dword v8, off, s[0:3], 0 offset:12
	buffer_store_dword v7, off, s[0:3], 0 offset:8
	v_add_co_u32 v5, vcc_lo, s4, v5
	v_add_co_ci_u32_e64 v6, null, s5, v6, vcc_lo
	v_lshlrev_b64 v[7:8], 3, v[12:13]
	flat_load_dwordx2 v[10:11], v[5:6]
	s_waitcnt vmcnt(0) lgkmcnt(0)
	buffer_store_dword v11, off, s[0:3], 0 offset:20
	buffer_store_dword v10, off, s[0:3], 0 offset:16
	v_add_co_u32 v7, vcc_lo, s4, v7
	v_add_co_ci_u32_e64 v8, null, s5, v8, vcc_lo
	v_add_nc_u32_e32 v11, s9, v12
	flat_load_dwordx2 v[13:14], v[7:8]
	s_waitcnt vmcnt(0) lgkmcnt(0)
	buffer_store_dword v14, off, s[0:3], 0 offset:28
	buffer_store_dword v13, off, s[0:3], 0 offset:24
	v_ashrrev_i32_e32 v12, 31, v11
	v_add_nc_u32_e32 v15, s9, v11
	v_lshlrev_b64 v[9:10], 3, v[11:12]
	v_ashrrev_i32_e32 v16, 31, v15
	v_add_nc_u32_e32 v18, s9, v15
	v_add_co_u32 v9, vcc_lo, s4, v9
	v_add_co_ci_u32_e64 v10, null, s5, v10, vcc_lo
	v_lshlrev_b64 v[11:12], 3, v[15:16]
	v_ashrrev_i32_e32 v19, 31, v18
	flat_load_dwordx2 v[13:14], v[9:10]
	s_waitcnt vmcnt(0) lgkmcnt(0)
	buffer_store_dword v14, off, s[0:3], 0 offset:36
	buffer_store_dword v13, off, s[0:3], 0 offset:32
	v_add_co_u32 v11, vcc_lo, s4, v11
	v_add_co_ci_u32_e64 v12, null, s5, v12, vcc_lo
	v_lshlrev_b64 v[13:14], 3, v[18:19]
	flat_load_dwordx2 v[16:17], v[11:12]
	s_waitcnt vmcnt(0) lgkmcnt(0)
	buffer_store_dword v17, off, s[0:3], 0 offset:44
	buffer_store_dword v16, off, s[0:3], 0 offset:40
	v_add_co_u32 v13, vcc_lo, s4, v13
	v_add_co_ci_u32_e64 v14, null, s5, v14, vcc_lo
	v_add_nc_u32_e32 v17, s9, v18
	flat_load_dwordx2 v[19:20], v[13:14]
	s_waitcnt vmcnt(0) lgkmcnt(0)
	buffer_store_dword v20, off, s[0:3], 0 offset:52
	buffer_store_dword v19, off, s[0:3], 0 offset:48
	v_ashrrev_i32_e32 v18, 31, v17
	v_add_nc_u32_e32 v21, s9, v17
	v_lshlrev_b64 v[15:16], 3, v[17:18]
	v_ashrrev_i32_e32 v22, 31, v21
	v_add_nc_u32_e32 v24, s9, v21
	v_add_co_u32 v15, vcc_lo, s4, v15
	v_add_co_ci_u32_e64 v16, null, s5, v16, vcc_lo
	v_lshlrev_b64 v[17:18], 3, v[21:22]
	v_ashrrev_i32_e32 v25, 31, v24
	flat_load_dwordx2 v[19:20], v[15:16]
	s_waitcnt vmcnt(0) lgkmcnt(0)
	buffer_store_dword v20, off, s[0:3], 0 offset:60
	buffer_store_dword v19, off, s[0:3], 0 offset:56
	v_add_co_u32 v17, vcc_lo, s4, v17
	v_add_co_ci_u32_e64 v18, null, s5, v18, vcc_lo
	v_lshlrev_b64 v[19:20], 3, v[24:25]
	flat_load_dwordx2 v[22:23], v[17:18]
	s_waitcnt vmcnt(0) lgkmcnt(0)
	buffer_store_dword v23, off, s[0:3], 0 offset:68
	buffer_store_dword v22, off, s[0:3], 0 offset:64
	v_add_co_u32 v19, vcc_lo, s4, v19
	v_add_co_ci_u32_e64 v20, null, s5, v20, vcc_lo
	v_add_nc_u32_e32 v23, s9, v24
	flat_load_dwordx2 v[25:26], v[19:20]
	s_waitcnt vmcnt(0) lgkmcnt(0)
	buffer_store_dword v26, off, s[0:3], 0 offset:76
	buffer_store_dword v25, off, s[0:3], 0 offset:72
	v_ashrrev_i32_e32 v24, 31, v23
	v_add_nc_u32_e32 v27, s9, v23
	v_lshlrev_b64 v[21:22], 3, v[23:24]
	v_ashrrev_i32_e32 v28, 31, v27
	v_add_nc_u32_e32 v30, s9, v27
	v_add_co_u32 v21, vcc_lo, s4, v21
	v_add_co_ci_u32_e64 v22, null, s5, v22, vcc_lo
	v_lshlrev_b64 v[23:24], 3, v[27:28]
	v_ashrrev_i32_e32 v31, 31, v30
	flat_load_dwordx2 v[25:26], v[21:22]
	s_waitcnt vmcnt(0) lgkmcnt(0)
	buffer_store_dword v26, off, s[0:3], 0 offset:84
	buffer_store_dword v25, off, s[0:3], 0 offset:80
	v_add_co_u32 v23, vcc_lo, s4, v23
	v_add_co_ci_u32_e64 v24, null, s5, v24, vcc_lo
	v_lshlrev_b64 v[25:26], 3, v[30:31]
	flat_load_dwordx2 v[28:29], v[23:24]
	s_waitcnt vmcnt(0) lgkmcnt(0)
	buffer_store_dword v29, off, s[0:3], 0 offset:92
	buffer_store_dword v28, off, s[0:3], 0 offset:88
	v_add_co_u32 v25, vcc_lo, s4, v25
	v_add_co_ci_u32_e64 v26, null, s5, v26, vcc_lo
	v_add_nc_u32_e32 v29, s9, v30
	flat_load_dwordx2 v[31:32], v[25:26]
	s_waitcnt vmcnt(0) lgkmcnt(0)
	buffer_store_dword v32, off, s[0:3], 0 offset:100
	buffer_store_dword v31, off, s[0:3], 0 offset:96
	v_ashrrev_i32_e32 v30, 31, v29
	v_add_nc_u32_e32 v33, s9, v29
	v_lshlrev_b64 v[27:28], 3, v[29:30]
	v_ashrrev_i32_e32 v34, 31, v33
	v_add_nc_u32_e32 v36, s9, v33
	v_add_co_u32 v27, vcc_lo, s4, v27
	v_add_co_ci_u32_e64 v28, null, s5, v28, vcc_lo
	v_lshlrev_b64 v[29:30], 3, v[33:34]
	v_ashrrev_i32_e32 v37, 31, v36
	flat_load_dwordx2 v[31:32], v[27:28]
	s_waitcnt vmcnt(0) lgkmcnt(0)
	buffer_store_dword v32, off, s[0:3], 0 offset:108
	buffer_store_dword v31, off, s[0:3], 0 offset:104
	v_add_co_u32 v29, vcc_lo, s4, v29
	v_add_co_ci_u32_e64 v30, null, s5, v30, vcc_lo
	v_lshlrev_b64 v[31:32], 3, v[36:37]
	flat_load_dwordx2 v[34:35], v[29:30]
	s_waitcnt vmcnt(0) lgkmcnt(0)
	buffer_store_dword v35, off, s[0:3], 0 offset:116
	buffer_store_dword v34, off, s[0:3], 0 offset:112
	v_add_co_u32 v31, vcc_lo, s4, v31
	v_add_co_ci_u32_e64 v32, null, s5, v32, vcc_lo
	v_add_nc_u32_e32 v35, s9, v36
	flat_load_dwordx2 v[37:38], v[31:32]
	s_waitcnt vmcnt(0) lgkmcnt(0)
	buffer_store_dword v38, off, s[0:3], 0 offset:124
	buffer_store_dword v37, off, s[0:3], 0 offset:120
	v_ashrrev_i32_e32 v36, 31, v35
	v_add_nc_u32_e32 v39, s9, v35
	v_lshlrev_b64 v[33:34], 3, v[35:36]
	v_ashrrev_i32_e32 v40, 31, v39
	v_add_nc_u32_e32 v42, s9, v39
	v_add_co_u32 v33, vcc_lo, s4, v33
	v_add_co_ci_u32_e64 v34, null, s5, v34, vcc_lo
	v_lshlrev_b64 v[35:36], 3, v[39:40]
	v_ashrrev_i32_e32 v43, 31, v42
	flat_load_dwordx2 v[37:38], v[33:34]
	s_waitcnt vmcnt(0) lgkmcnt(0)
	buffer_store_dword v38, off, s[0:3], 0 offset:132
	buffer_store_dword v37, off, s[0:3], 0 offset:128
	v_add_co_u32 v35, vcc_lo, s4, v35
	v_add_co_ci_u32_e64 v36, null, s5, v36, vcc_lo
	v_lshlrev_b64 v[37:38], 3, v[42:43]
	flat_load_dwordx2 v[40:41], v[35:36]
	s_waitcnt vmcnt(0) lgkmcnt(0)
	buffer_store_dword v41, off, s[0:3], 0 offset:140
	buffer_store_dword v40, off, s[0:3], 0 offset:136
	v_add_co_u32 v37, vcc_lo, s4, v37
	v_add_co_ci_u32_e64 v38, null, s5, v38, vcc_lo
	v_add_nc_u32_e32 v41, s9, v42
	flat_load_dwordx2 v[43:44], v[37:38]
	s_waitcnt vmcnt(0) lgkmcnt(0)
	buffer_store_dword v44, off, s[0:3], 0 offset:148
	buffer_store_dword v43, off, s[0:3], 0 offset:144
	v_ashrrev_i32_e32 v42, 31, v41
	v_add_nc_u32_e32 v45, s9, v41
	v_lshlrev_b64 v[39:40], 3, v[41:42]
	v_ashrrev_i32_e32 v46, 31, v45
	v_add_nc_u32_e32 v48, s9, v45
	v_add_co_u32 v39, vcc_lo, s4, v39
	v_add_co_ci_u32_e64 v40, null, s5, v40, vcc_lo
	v_lshlrev_b64 v[41:42], 3, v[45:46]
	v_ashrrev_i32_e32 v49, 31, v48
	flat_load_dwordx2 v[43:44], v[39:40]
	s_waitcnt vmcnt(0) lgkmcnt(0)
	buffer_store_dword v44, off, s[0:3], 0 offset:156
	buffer_store_dword v43, off, s[0:3], 0 offset:152
	v_add_co_u32 v41, vcc_lo, s4, v41
	v_add_co_ci_u32_e64 v42, null, s5, v42, vcc_lo
	v_lshlrev_b64 v[43:44], 3, v[48:49]
	flat_load_dwordx2 v[46:47], v[41:42]
	s_waitcnt vmcnt(0) lgkmcnt(0)
	buffer_store_dword v47, off, s[0:3], 0 offset:164
	buffer_store_dword v46, off, s[0:3], 0 offset:160
	v_add_co_u32 v43, vcc_lo, s4, v43
	v_add_co_ci_u32_e64 v44, null, s5, v44, vcc_lo
	v_add_nc_u32_e32 v47, s9, v48
	flat_load_dwordx2 v[49:50], v[43:44]
	s_waitcnt vmcnt(0) lgkmcnt(0)
	buffer_store_dword v50, off, s[0:3], 0 offset:172
	buffer_store_dword v49, off, s[0:3], 0 offset:168
	v_ashrrev_i32_e32 v48, 31, v47
	v_add_nc_u32_e32 v51, s9, v47
	v_lshlrev_b64 v[45:46], 3, v[47:48]
	v_ashrrev_i32_e32 v52, 31, v51
	v_add_nc_u32_e32 v54, s9, v51
	v_add_co_u32 v45, vcc_lo, s4, v45
	v_add_co_ci_u32_e64 v46, null, s5, v46, vcc_lo
	v_lshlrev_b64 v[47:48], 3, v[51:52]
	v_ashrrev_i32_e32 v55, 31, v54
	flat_load_dwordx2 v[49:50], v[45:46]
	s_waitcnt vmcnt(0) lgkmcnt(0)
	buffer_store_dword v50, off, s[0:3], 0 offset:180
	buffer_store_dword v49, off, s[0:3], 0 offset:176
	v_add_co_u32 v47, vcc_lo, s4, v47
	v_add_co_ci_u32_e64 v48, null, s5, v48, vcc_lo
	v_lshlrev_b64 v[49:50], 3, v[54:55]
	flat_load_dwordx2 v[52:53], v[47:48]
	s_waitcnt vmcnt(0) lgkmcnt(0)
	buffer_store_dword v53, off, s[0:3], 0 offset:188
	buffer_store_dword v52, off, s[0:3], 0 offset:184
	v_add_co_u32 v49, vcc_lo, s4, v49
	v_add_co_ci_u32_e64 v50, null, s5, v50, vcc_lo
	v_add_nc_u32_e32 v53, s9, v54
	flat_load_dwordx2 v[55:56], v[49:50]
	s_waitcnt vmcnt(0) lgkmcnt(0)
	buffer_store_dword v56, off, s[0:3], 0 offset:196
	buffer_store_dword v55, off, s[0:3], 0 offset:192
	v_ashrrev_i32_e32 v54, 31, v53
	v_add_nc_u32_e32 v57, s9, v53
	v_lshlrev_b64 v[51:52], 3, v[53:54]
	v_ashrrev_i32_e32 v58, 31, v57
	v_add_nc_u32_e32 v60, s9, v57
	v_add_co_u32 v51, vcc_lo, s4, v51
	v_add_co_ci_u32_e64 v52, null, s5, v52, vcc_lo
	v_lshlrev_b64 v[53:54], 3, v[57:58]
	v_ashrrev_i32_e32 v61, 31, v60
	flat_load_dwordx2 v[55:56], v[51:52]
	s_waitcnt vmcnt(0) lgkmcnt(0)
	buffer_store_dword v56, off, s[0:3], 0 offset:204
	buffer_store_dword v55, off, s[0:3], 0 offset:200
	v_add_co_u32 v53, vcc_lo, s4, v53
	v_add_co_ci_u32_e64 v54, null, s5, v54, vcc_lo
	v_lshlrev_b64 v[55:56], 3, v[60:61]
	flat_load_dwordx2 v[58:59], v[53:54]
	s_waitcnt vmcnt(0) lgkmcnt(0)
	buffer_store_dword v59, off, s[0:3], 0 offset:212
	buffer_store_dword v58, off, s[0:3], 0 offset:208
	v_add_co_u32 v55, vcc_lo, s4, v55
	v_add_co_ci_u32_e64 v56, null, s5, v56, vcc_lo
	v_add_nc_u32_e32 v59, s9, v60
	flat_load_dwordx2 v[61:62], v[55:56]
	s_waitcnt vmcnt(0) lgkmcnt(0)
	buffer_store_dword v62, off, s[0:3], 0 offset:220
	buffer_store_dword v61, off, s[0:3], 0 offset:216
	v_ashrrev_i32_e32 v60, 31, v59
	v_add_nc_u32_e32 v63, s9, v59
	v_lshlrev_b64 v[57:58], 3, v[59:60]
	v_ashrrev_i32_e32 v64, 31, v63
	v_add_nc_u32_e32 v66, s9, v63
	v_add_co_u32 v57, vcc_lo, s4, v57
	v_add_co_ci_u32_e64 v58, null, s5, v58, vcc_lo
	v_lshlrev_b64 v[59:60], 3, v[63:64]
	v_ashrrev_i32_e32 v67, 31, v66
	flat_load_dwordx2 v[61:62], v[57:58]
	s_waitcnt vmcnt(0) lgkmcnt(0)
	buffer_store_dword v62, off, s[0:3], 0 offset:228
	buffer_store_dword v61, off, s[0:3], 0 offset:224
	v_add_co_u32 v59, vcc_lo, s4, v59
	v_add_co_ci_u32_e64 v60, null, s5, v60, vcc_lo
	v_lshlrev_b64 v[61:62], 3, v[66:67]
	flat_load_dwordx2 v[64:65], v[59:60]
	s_waitcnt vmcnt(0) lgkmcnt(0)
	buffer_store_dword v65, off, s[0:3], 0 offset:236
	buffer_store_dword v64, off, s[0:3], 0 offset:232
	v_add_co_u32 v61, vcc_lo, s4, v61
	v_add_co_ci_u32_e64 v62, null, s5, v62, vcc_lo
	v_add_nc_u32_e32 v65, s9, v66
	flat_load_dwordx2 v[67:68], v[61:62]
	s_waitcnt vmcnt(0) lgkmcnt(0)
	buffer_store_dword v68, off, s[0:3], 0 offset:244
	buffer_store_dword v67, off, s[0:3], 0 offset:240
	v_ashrrev_i32_e32 v66, 31, v65
	v_add_nc_u32_e32 v69, s9, v65
	v_lshlrev_b64 v[63:64], 3, v[65:66]
	v_ashrrev_i32_e32 v70, 31, v69
	v_add_nc_u32_e32 v72, s9, v69
	v_add_co_u32 v63, vcc_lo, s4, v63
	v_add_co_ci_u32_e64 v64, null, s5, v64, vcc_lo
	v_lshlrev_b64 v[65:66], 3, v[69:70]
	v_ashrrev_i32_e32 v73, 31, v72
	flat_load_dwordx2 v[67:68], v[63:64]
	s_waitcnt vmcnt(0) lgkmcnt(0)
	buffer_store_dword v68, off, s[0:3], 0 offset:252
	buffer_store_dword v67, off, s[0:3], 0 offset:248
	v_add_co_u32 v65, vcc_lo, s4, v65
	v_add_co_ci_u32_e64 v66, null, s5, v66, vcc_lo
	v_lshlrev_b64 v[67:68], 3, v[72:73]
	flat_load_dwordx2 v[70:71], v[65:66]
	s_waitcnt vmcnt(0) lgkmcnt(0)
	buffer_store_dword v71, off, s[0:3], 0 offset:260
	buffer_store_dword v70, off, s[0:3], 0 offset:256
	v_add_co_u32 v67, vcc_lo, s4, v67
	v_add_co_ci_u32_e64 v68, null, s5, v68, vcc_lo
	v_add_nc_u32_e32 v71, s9, v72
	flat_load_dwordx2 v[73:74], v[67:68]
	s_waitcnt vmcnt(0) lgkmcnt(0)
	buffer_store_dword v74, off, s[0:3], 0 offset:268
	buffer_store_dword v73, off, s[0:3], 0 offset:264
	v_ashrrev_i32_e32 v72, 31, v71
	v_add_nc_u32_e32 v75, s9, v71
	v_lshlrev_b64 v[69:70], 3, v[71:72]
	v_ashrrev_i32_e32 v76, 31, v75
	v_add_nc_u32_e32 v78, s9, v75
	v_add_co_u32 v69, vcc_lo, s4, v69
	v_add_co_ci_u32_e64 v70, null, s5, v70, vcc_lo
	v_lshlrev_b64 v[71:72], 3, v[75:76]
	v_ashrrev_i32_e32 v79, 31, v78
	flat_load_dwordx2 v[73:74], v[69:70]
	s_waitcnt vmcnt(0) lgkmcnt(0)
	buffer_store_dword v74, off, s[0:3], 0 offset:276
	buffer_store_dword v73, off, s[0:3], 0 offset:272
	v_add_co_u32 v71, vcc_lo, s4, v71
	v_add_co_ci_u32_e64 v72, null, s5, v72, vcc_lo
	v_lshlrev_b64 v[73:74], 3, v[78:79]
	flat_load_dwordx2 v[76:77], v[71:72]
	s_waitcnt vmcnt(0) lgkmcnt(0)
	buffer_store_dword v77, off, s[0:3], 0 offset:284
	buffer_store_dword v76, off, s[0:3], 0 offset:280
	v_add_co_u32 v73, vcc_lo, s4, v73
	v_add_co_ci_u32_e64 v74, null, s5, v74, vcc_lo
	v_add_nc_u32_e32 v77, s9, v78
	flat_load_dwordx2 v[79:80], v[73:74]
	s_waitcnt vmcnt(0) lgkmcnt(0)
	buffer_store_dword v80, off, s[0:3], 0 offset:292
	buffer_store_dword v79, off, s[0:3], 0 offset:288
	v_ashrrev_i32_e32 v78, 31, v77
	v_add_nc_u32_e32 v81, s9, v77
	v_lshlrev_b64 v[75:76], 3, v[77:78]
	v_ashrrev_i32_e32 v82, 31, v81
	v_add_nc_u32_e32 v84, s9, v81
	v_add_co_u32 v75, vcc_lo, s4, v75
	v_add_co_ci_u32_e64 v76, null, s5, v76, vcc_lo
	v_lshlrev_b64 v[77:78], 3, v[81:82]
	v_ashrrev_i32_e32 v85, 31, v84
	flat_load_dwordx2 v[79:80], v[75:76]
	s_waitcnt vmcnt(0) lgkmcnt(0)
	buffer_store_dword v80, off, s[0:3], 0 offset:300
	buffer_store_dword v79, off, s[0:3], 0 offset:296
	v_add_co_u32 v77, vcc_lo, s4, v77
	v_add_co_ci_u32_e64 v78, null, s5, v78, vcc_lo
	v_lshlrev_b64 v[79:80], 3, v[84:85]
	flat_load_dwordx2 v[82:83], v[77:78]
	s_waitcnt vmcnt(0) lgkmcnt(0)
	buffer_store_dword v83, off, s[0:3], 0 offset:308
	buffer_store_dword v82, off, s[0:3], 0 offset:304
	v_add_co_u32 v79, vcc_lo, s4, v79
	v_add_co_ci_u32_e64 v80, null, s5, v80, vcc_lo
	v_add_nc_u32_e32 v83, s9, v84
	flat_load_dwordx2 v[85:86], v[79:80]
	s_waitcnt vmcnt(0) lgkmcnt(0)
	buffer_store_dword v86, off, s[0:3], 0 offset:316
	buffer_store_dword v85, off, s[0:3], 0 offset:312
	v_ashrrev_i32_e32 v84, 31, v83
	v_add_nc_u32_e32 v87, s9, v83
	v_lshlrev_b64 v[81:82], 3, v[83:84]
	v_ashrrev_i32_e32 v88, 31, v87
	v_add_nc_u32_e32 v90, s9, v87
	v_add_co_u32 v81, vcc_lo, s4, v81
	v_add_co_ci_u32_e64 v82, null, s5, v82, vcc_lo
	v_lshlrev_b64 v[83:84], 3, v[87:88]
	v_ashrrev_i32_e32 v91, 31, v90
	flat_load_dwordx2 v[85:86], v[81:82]
	s_waitcnt vmcnt(0) lgkmcnt(0)
	buffer_store_dword v86, off, s[0:3], 0 offset:324
	buffer_store_dword v85, off, s[0:3], 0 offset:320
	v_add_co_u32 v83, vcc_lo, s4, v83
	v_add_co_ci_u32_e64 v84, null, s5, v84, vcc_lo
	v_lshlrev_b64 v[85:86], 3, v[90:91]
	flat_load_dwordx2 v[88:89], v[83:84]
	s_waitcnt vmcnt(0) lgkmcnt(0)
	buffer_store_dword v89, off, s[0:3], 0 offset:332
	buffer_store_dword v88, off, s[0:3], 0 offset:328
	v_add_co_u32 v85, vcc_lo, s4, v85
	v_add_co_ci_u32_e64 v86, null, s5, v86, vcc_lo
	v_add_nc_u32_e32 v89, s9, v90
	flat_load_dwordx2 v[91:92], v[85:86]
	s_waitcnt vmcnt(0) lgkmcnt(0)
	buffer_store_dword v92, off, s[0:3], 0 offset:340
	buffer_store_dword v91, off, s[0:3], 0 offset:336
	v_ashrrev_i32_e32 v90, 31, v89
	v_add_nc_u32_e32 v93, s9, v89
	v_lshlrev_b64 v[87:88], 3, v[89:90]
	v_ashrrev_i32_e32 v94, 31, v93
	v_add_nc_u32_e32 v96, s9, v93
	v_add_co_u32 v87, vcc_lo, s4, v87
	v_add_co_ci_u32_e64 v88, null, s5, v88, vcc_lo
	v_lshlrev_b64 v[89:90], 3, v[93:94]
	v_ashrrev_i32_e32 v97, 31, v96
	flat_load_dwordx2 v[91:92], v[87:88]
	s_waitcnt vmcnt(0) lgkmcnt(0)
	buffer_store_dword v92, off, s[0:3], 0 offset:348
	buffer_store_dword v91, off, s[0:3], 0 offset:344
	v_add_co_u32 v89, vcc_lo, s4, v89
	v_add_co_ci_u32_e64 v90, null, s5, v90, vcc_lo
	v_lshlrev_b64 v[91:92], 3, v[96:97]
	flat_load_dwordx2 v[94:95], v[89:90]
	s_waitcnt vmcnt(0) lgkmcnt(0)
	buffer_store_dword v95, off, s[0:3], 0 offset:356
	buffer_store_dword v94, off, s[0:3], 0 offset:352
	v_add_co_u32 v91, vcc_lo, s4, v91
	v_add_co_ci_u32_e64 v92, null, s5, v92, vcc_lo
	v_add_nc_u32_e32 v95, s9, v96
	flat_load_dwordx2 v[97:98], v[91:92]
	s_waitcnt vmcnt(0) lgkmcnt(0)
	buffer_store_dword v98, off, s[0:3], 0 offset:364
	buffer_store_dword v97, off, s[0:3], 0 offset:360
	v_ashrrev_i32_e32 v96, 31, v95
	v_add_nc_u32_e32 v99, s9, v95
	v_lshlrev_b64 v[93:94], 3, v[95:96]
	v_ashrrev_i32_e32 v100, 31, v99
	v_add_nc_u32_e32 v102, s9, v99
	v_add_co_u32 v93, vcc_lo, s4, v93
	v_add_co_ci_u32_e64 v94, null, s5, v94, vcc_lo
	v_lshlrev_b64 v[95:96], 3, v[99:100]
	v_ashrrev_i32_e32 v103, 31, v102
	flat_load_dwordx2 v[97:98], v[93:94]
	s_waitcnt vmcnt(0) lgkmcnt(0)
	buffer_store_dword v98, off, s[0:3], 0 offset:372
	buffer_store_dword v97, off, s[0:3], 0 offset:368
	v_add_co_u32 v95, vcc_lo, s4, v95
	v_add_co_ci_u32_e64 v96, null, s5, v96, vcc_lo
	v_lshlrev_b64 v[97:98], 3, v[102:103]
	flat_load_dwordx2 v[100:101], v[95:96]
	s_waitcnt vmcnt(0) lgkmcnt(0)
	buffer_store_dword v101, off, s[0:3], 0 offset:380
	buffer_store_dword v100, off, s[0:3], 0 offset:376
	v_add_co_u32 v97, vcc_lo, s4, v97
	v_add_co_ci_u32_e64 v98, null, s5, v98, vcc_lo
	v_add_nc_u32_e32 v101, s9, v102
	flat_load_dwordx2 v[103:104], v[97:98]
	s_waitcnt vmcnt(0) lgkmcnt(0)
	buffer_store_dword v104, off, s[0:3], 0 offset:388
	buffer_store_dword v103, off, s[0:3], 0 offset:384
	v_ashrrev_i32_e32 v102, 31, v101
	v_add_nc_u32_e32 v105, s9, v101
	v_lshlrev_b64 v[99:100], 3, v[101:102]
	v_ashrrev_i32_e32 v106, 31, v105
	v_add_nc_u32_e32 v108, s9, v105
	v_add_co_u32 v99, vcc_lo, s4, v99
	v_add_co_ci_u32_e64 v100, null, s5, v100, vcc_lo
	v_lshlrev_b64 v[101:102], 3, v[105:106]
	v_ashrrev_i32_e32 v109, 31, v108
	flat_load_dwordx2 v[103:104], v[99:100]
	s_waitcnt vmcnt(0) lgkmcnt(0)
	buffer_store_dword v104, off, s[0:3], 0 offset:396
	buffer_store_dword v103, off, s[0:3], 0 offset:392
	v_add_co_u32 v101, vcc_lo, s4, v101
	v_add_co_ci_u32_e64 v102, null, s5, v102, vcc_lo
	v_lshlrev_b64 v[103:104], 3, v[108:109]
	flat_load_dwordx2 v[106:107], v[101:102]
	s_waitcnt vmcnt(0) lgkmcnt(0)
	buffer_store_dword v107, off, s[0:3], 0 offset:404
	buffer_store_dword v106, off, s[0:3], 0 offset:400
	v_add_co_u32 v103, vcc_lo, s4, v103
	v_add_co_ci_u32_e64 v104, null, s5, v104, vcc_lo
	v_add_nc_u32_e32 v107, s9, v108
	flat_load_dwordx2 v[109:110], v[103:104]
	s_waitcnt vmcnt(0) lgkmcnt(0)
	buffer_store_dword v110, off, s[0:3], 0 offset:412
	buffer_store_dword v109, off, s[0:3], 0 offset:408
	v_ashrrev_i32_e32 v108, 31, v107
	v_add_nc_u32_e32 v111, s9, v107
	v_lshlrev_b64 v[105:106], 3, v[107:108]
	v_ashrrev_i32_e32 v112, 31, v111
	v_add_nc_u32_e32 v114, s9, v111
	v_add_co_u32 v105, vcc_lo, s4, v105
	v_add_co_ci_u32_e64 v106, null, s5, v106, vcc_lo
	v_lshlrev_b64 v[107:108], 3, v[111:112]
	v_ashrrev_i32_e32 v115, 31, v114
	flat_load_dwordx2 v[109:110], v[105:106]
	s_waitcnt vmcnt(0) lgkmcnt(0)
	buffer_store_dword v110, off, s[0:3], 0 offset:420
	buffer_store_dword v109, off, s[0:3], 0 offset:416
	v_add_co_u32 v107, vcc_lo, s4, v107
	v_add_co_ci_u32_e64 v108, null, s5, v108, vcc_lo
	v_lshlrev_b64 v[109:110], 3, v[114:115]
	flat_load_dwordx2 v[112:113], v[107:108]
	s_waitcnt vmcnt(0) lgkmcnt(0)
	buffer_store_dword v113, off, s[0:3], 0 offset:428
	buffer_store_dword v112, off, s[0:3], 0 offset:424
	v_add_co_u32 v109, vcc_lo, s4, v109
	v_add_co_ci_u32_e64 v110, null, s5, v110, vcc_lo
	v_add_nc_u32_e32 v113, s9, v114
	flat_load_dwordx2 v[115:116], v[109:110]
	s_waitcnt vmcnt(0) lgkmcnt(0)
	buffer_store_dword v116, off, s[0:3], 0 offset:436
	buffer_store_dword v115, off, s[0:3], 0 offset:432
	v_ashrrev_i32_e32 v114, 31, v113
	v_lshlrev_b64 v[111:112], 3, v[113:114]
	v_add_nc_u32_e32 v113, s9, v113
	v_add_co_u32 v111, vcc_lo, s4, v111
	v_add_co_ci_u32_e64 v112, null, s5, v112, vcc_lo
	v_ashrrev_i32_e32 v114, 31, v113
	flat_load_dwordx2 v[115:116], v[111:112]
	s_waitcnt vmcnt(0) lgkmcnt(0)
	buffer_store_dword v116, off, s[0:3], 0 offset:444
	buffer_store_dword v115, off, s[0:3], 0 offset:440
	v_lshlrev_b64 v[113:114], 3, v[113:114]
	v_add_co_u32 v113, vcc_lo, s4, v113
	v_add_co_ci_u32_e64 v114, null, s5, v114, vcc_lo
	s_mov_b32 s5, -1
	flat_load_dwordx2 v[115:116], v[113:114]
	s_waitcnt vmcnt(0) lgkmcnt(0)
	buffer_store_dword v116, off, s[0:3], 0 offset:452
	buffer_store_dword v115, off, s[0:3], 0 offset:448
	s_cbranch_scc1 .LBB120_236
; %bb.4:
	v_cmp_eq_u32_e64 s4, 0, v0
	s_and_saveexec_b32 s5, s4
; %bb.5:
	v_mov_b32_e32 v115, 0
	ds_write_b32 v115, v115 offset:456
; %bb.6:
	s_or_b32 exec_lo, exec_lo, s5
	v_lshl_add_u32 v115, v0, 3, 0
	s_waitcnt lgkmcnt(0)
	s_waitcnt_vscnt null, 0x0
	s_barrier
	buffer_gl0_inv
	s_mov_b32 s8, exec_lo
	s_clause 0x1
	buffer_load_dword v118, v115, s[0:3], 0 offen
	buffer_load_dword v119, v115, s[0:3], 0 offen offset:4
	s_waitcnt vmcnt(0)
	v_cmpx_eq_f64_e32 0, v[118:119]
	s_cbranch_execz .LBB120_10
; %bb.7:
	v_mov_b32_e32 v116, 0
	s_mov_b32 s9, 0
	ds_read_b32 v118, v116 offset:456
	s_waitcnt lgkmcnt(0)
	v_readfirstlane_b32 s5, v118
	v_add_nc_u32_e32 v118, 1, v0
	s_cmp_eq_u32 s5, 0
	v_cmp_gt_i32_e32 vcc_lo, s5, v118
	s_cselect_b32 s14, -1, 0
	s_or_b32 s14, s14, vcc_lo
	s_and_b32 exec_lo, exec_lo, s14
	s_cbranch_execz .LBB120_10
; %bb.8:
	v_mov_b32_e32 v119, s5
.LBB120_9:                              ; =>This Inner Loop Header: Depth=1
	ds_cmpst_rtn_b32 v119, v116, v119, v118 offset:456
	s_waitcnt lgkmcnt(0)
	v_cmp_ne_u32_e32 vcc_lo, 0, v119
	v_cmp_le_i32_e64 s5, v119, v118
	s_and_b32 s5, vcc_lo, s5
	s_and_b32 s5, exec_lo, s5
	s_or_b32 s9, s5, s9
	s_andn2_b32 exec_lo, exec_lo, s9
	s_cbranch_execnz .LBB120_9
.LBB120_10:
	s_or_b32 exec_lo, exec_lo, s8
	v_mov_b32_e32 v116, 0
	s_barrier
	buffer_gl0_inv
	ds_read_b32 v118, v116 offset:456
	s_and_saveexec_b32 s5, s4
	s_cbranch_execz .LBB120_12
; %bb.11:
	s_lshl_b64 s[8:9], s[6:7], 2
	s_add_u32 s8, s10, s8
	s_addc_u32 s9, s11, s9
	s_waitcnt lgkmcnt(0)
	global_store_dword v116, v118, s[8:9]
.LBB120_12:
	s_or_b32 exec_lo, exec_lo, s5
	s_waitcnt lgkmcnt(0)
	v_cmp_ne_u32_e32 vcc_lo, 0, v118
	s_mov_b32 s5, 0
	s_cbranch_vccnz .LBB120_236
; %bb.13:
	s_clause 0x1
	buffer_load_dword v118, v115, s[0:3], 0 offen
	buffer_load_dword v119, v115, s[0:3], 0 offen offset:4
	s_waitcnt vmcnt(0)
	v_div_scale_f64 v[120:121], null, v[118:119], v[118:119], 1.0
	v_div_scale_f64 v[126:127], vcc_lo, 1.0, v[118:119], 1.0
	v_rcp_f64_e32 v[122:123], v[120:121]
	v_fma_f64 v[124:125], -v[120:121], v[122:123], 1.0
	v_fma_f64 v[122:123], v[122:123], v[124:125], v[122:123]
	v_fma_f64 v[124:125], -v[120:121], v[122:123], 1.0
	v_fma_f64 v[122:123], v[122:123], v[124:125], v[122:123]
	v_mul_f64 v[124:125], v[126:127], v[122:123]
	v_fma_f64 v[120:121], -v[120:121], v[124:125], v[126:127]
	v_div_fmas_f64 v[120:121], v[120:121], v[122:123], v[124:125]
	v_div_fixup_f64 v[119:120], v[120:121], v[118:119], 1.0
	v_add_nc_u32_e32 v118, 0x1d0, v117
	buffer_store_dword v120, v115, s[0:3], 0 offen offset:4
	buffer_store_dword v119, v115, s[0:3], 0 offen
	s_clause 0x1
	buffer_load_dword v122, off, s[0:3], 0 offset:12
	buffer_load_dword v121, off, s[0:3], 0 offset:8
	v_xor_b32_e32 v120, 0x80000000, v120
	s_waitcnt vmcnt(0)
	ds_write2_b64 v117, v[119:120], v[121:122] offset1:58
	s_waitcnt lgkmcnt(0)
	s_waitcnt_vscnt null, 0x0
	s_barrier
	buffer_gl0_inv
	s_and_saveexec_b32 s5, s4
	s_cbranch_execz .LBB120_15
; %bb.14:
	s_clause 0x1
	buffer_load_dword v119, v115, s[0:3], 0 offen
	buffer_load_dword v120, v115, s[0:3], 0 offen offset:4
	ds_read_b64 v[121:122], v118
	v_mov_b32_e32 v116, 0
	ds_read_b64 v[123:124], v116 offset:8
	s_waitcnt vmcnt(0) lgkmcnt(1)
	v_fma_f64 v[119:120], v[119:120], v[121:122], 0
	s_waitcnt lgkmcnt(0)
	v_mul_f64 v[119:120], v[119:120], v[123:124]
	buffer_store_dword v119, off, s[0:3], 0 offset:8
	buffer_store_dword v120, off, s[0:3], 0 offset:12
.LBB120_15:
	s_or_b32 exec_lo, exec_lo, s5
	s_waitcnt_vscnt null, 0x0
	s_barrier
	buffer_gl0_inv
	s_clause 0x1
	buffer_load_dword v119, off, s[0:3], 0 offset:16
	buffer_load_dword v120, off, s[0:3], 0 offset:20
	s_mov_b32 s5, exec_lo
	s_waitcnt vmcnt(0)
	ds_write_b64 v118, v[119:120]
	s_waitcnt lgkmcnt(0)
	s_barrier
	buffer_gl0_inv
	v_cmpx_gt_u32_e32 2, v0
	s_cbranch_execz .LBB120_19
; %bb.16:
	s_clause 0x1
	buffer_load_dword v119, v115, s[0:3], 0 offen
	buffer_load_dword v120, v115, s[0:3], 0 offen offset:4
	ds_read_b64 v[115:116], v118
	s_waitcnt vmcnt(0) lgkmcnt(0)
	v_fma_f64 v[115:116], v[119:120], v[115:116], 0
	s_and_saveexec_b32 s8, s4
	s_cbranch_execz .LBB120_18
; %bb.17:
	s_clause 0x1
	buffer_load_dword v119, off, s[0:3], 0 offset:8
	buffer_load_dword v120, off, s[0:3], 0 offset:12
	v_mov_b32_e32 v121, 0
	ds_read_b64 v[121:122], v121 offset:472
	s_waitcnt vmcnt(0) lgkmcnt(0)
	v_fma_f64 v[115:116], v[119:120], v[121:122], v[115:116]
.LBB120_18:
	s_or_b32 exec_lo, exec_lo, s8
	v_mov_b32_e32 v119, 0
	ds_read_b64 v[119:120], v119 offset:16
	s_waitcnt lgkmcnt(0)
	v_mul_f64 v[115:116], v[115:116], v[119:120]
	buffer_store_dword v116, off, s[0:3], 0 offset:20
	buffer_store_dword v115, off, s[0:3], 0 offset:16
.LBB120_19:
	s_or_b32 exec_lo, exec_lo, s5
	s_waitcnt_vscnt null, 0x0
	s_barrier
	buffer_gl0_inv
	s_clause 0x1
	buffer_load_dword v115, off, s[0:3], 0 offset:24
	buffer_load_dword v116, off, s[0:3], 0 offset:28
	v_add_nc_u32_e32 v119, -1, v0
	s_mov_b32 s4, exec_lo
	s_waitcnt vmcnt(0)
	ds_write_b64 v118, v[115:116]
	s_waitcnt lgkmcnt(0)
	s_barrier
	buffer_gl0_inv
	v_cmpx_gt_u32_e32 3, v0
	s_cbranch_execz .LBB120_23
; %bb.20:
	v_mov_b32_e32 v115, 0
	v_add_nc_u32_e32 v120, -1, v0
	v_add_nc_u32_e32 v121, 0x1d0, v117
	v_mov_b32_e32 v116, 0
	v_mov_b32_e32 v122, v117
	s_mov_b32 s5, 0
.LBB120_21:                             ; =>This Inner Loop Header: Depth=1
	s_clause 0x1
	buffer_load_dword v123, v122, s[0:3], 0 offen
	buffer_load_dword v124, v122, s[0:3], 0 offen offset:4
	ds_read_b64 v[125:126], v121
	v_add_nc_u32_e32 v120, 1, v120
	v_add_nc_u32_e32 v121, 8, v121
	v_add_nc_u32_e32 v122, 8, v122
	v_cmp_lt_u32_e32 vcc_lo, 1, v120
	s_or_b32 s5, vcc_lo, s5
	s_waitcnt vmcnt(0) lgkmcnt(0)
	v_fma_f64 v[115:116], v[123:124], v[125:126], v[115:116]
	s_andn2_b32 exec_lo, exec_lo, s5
	s_cbranch_execnz .LBB120_21
; %bb.22:
	s_or_b32 exec_lo, exec_lo, s5
	v_mov_b32_e32 v120, 0
	ds_read_b64 v[120:121], v120 offset:24
	s_waitcnt lgkmcnt(0)
	v_mul_f64 v[115:116], v[115:116], v[120:121]
	buffer_store_dword v116, off, s[0:3], 0 offset:28
	buffer_store_dword v115, off, s[0:3], 0 offset:24
.LBB120_23:
	s_or_b32 exec_lo, exec_lo, s4
	s_waitcnt_vscnt null, 0x0
	s_barrier
	buffer_gl0_inv
	s_clause 0x1
	buffer_load_dword v115, off, s[0:3], 0 offset:32
	buffer_load_dword v116, off, s[0:3], 0 offset:36
	s_mov_b32 s4, exec_lo
	s_waitcnt vmcnt(0)
	ds_write_b64 v118, v[115:116]
	s_waitcnt lgkmcnt(0)
	s_barrier
	buffer_gl0_inv
	v_cmpx_gt_u32_e32 4, v0
	s_cbranch_execz .LBB120_27
; %bb.24:
	v_mov_b32_e32 v115, 0
	v_add_nc_u32_e32 v120, -1, v0
	v_add_nc_u32_e32 v121, 0x1d0, v117
	v_mov_b32_e32 v116, 0
	v_mov_b32_e32 v122, v117
	s_mov_b32 s5, 0
.LBB120_25:                             ; =>This Inner Loop Header: Depth=1
	s_clause 0x1
	buffer_load_dword v123, v122, s[0:3], 0 offen
	buffer_load_dword v124, v122, s[0:3], 0 offen offset:4
	ds_read_b64 v[125:126], v121
	v_add_nc_u32_e32 v120, 1, v120
	v_add_nc_u32_e32 v121, 8, v121
	v_add_nc_u32_e32 v122, 8, v122
	v_cmp_lt_u32_e32 vcc_lo, 2, v120
	s_or_b32 s5, vcc_lo, s5
	s_waitcnt vmcnt(0) lgkmcnt(0)
	v_fma_f64 v[115:116], v[123:124], v[125:126], v[115:116]
	s_andn2_b32 exec_lo, exec_lo, s5
	s_cbranch_execnz .LBB120_25
; %bb.26:
	s_or_b32 exec_lo, exec_lo, s5
	v_mov_b32_e32 v120, 0
	ds_read_b64 v[120:121], v120 offset:32
	s_waitcnt lgkmcnt(0)
	v_mul_f64 v[115:116], v[115:116], v[120:121]
	buffer_store_dword v116, off, s[0:3], 0 offset:36
	buffer_store_dword v115, off, s[0:3], 0 offset:32
.LBB120_27:
	s_or_b32 exec_lo, exec_lo, s4
	s_waitcnt_vscnt null, 0x0
	s_barrier
	buffer_gl0_inv
	s_clause 0x1
	buffer_load_dword v115, off, s[0:3], 0 offset:40
	buffer_load_dword v116, off, s[0:3], 0 offset:44
	;; [unrolled: 45-line block ×20, first 2 shown]
	s_mov_b32 s4, exec_lo
	s_waitcnt vmcnt(0)
	ds_write_b64 v118, v[115:116]
	s_waitcnt lgkmcnt(0)
	s_barrier
	buffer_gl0_inv
	v_cmpx_gt_u32_e32 23, v0
	s_cbranch_execz .LBB120_103
; %bb.100:
	v_mov_b32_e32 v115, 0
	v_add_nc_u32_e32 v120, -1, v0
	v_add_nc_u32_e32 v121, 0x1d0, v117
	v_mov_b32_e32 v116, 0
	v_mov_b32_e32 v122, v117
	s_mov_b32 s5, 0
.LBB120_101:                            ; =>This Inner Loop Header: Depth=1
	s_clause 0x1
	buffer_load_dword v123, v122, s[0:3], 0 offen
	buffer_load_dword v124, v122, s[0:3], 0 offen offset:4
	ds_read_b64 v[125:126], v121
	v_add_nc_u32_e32 v120, 1, v120
	v_add_nc_u32_e32 v121, 8, v121
	v_add_nc_u32_e32 v122, 8, v122
	v_cmp_lt_u32_e32 vcc_lo, 21, v120
	s_or_b32 s5, vcc_lo, s5
	s_waitcnt vmcnt(0) lgkmcnt(0)
	v_fma_f64 v[115:116], v[123:124], v[125:126], v[115:116]
	s_andn2_b32 exec_lo, exec_lo, s5
	s_cbranch_execnz .LBB120_101
; %bb.102:
	s_or_b32 exec_lo, exec_lo, s5
	v_mov_b32_e32 v120, 0
	ds_read_b64 v[120:121], v120 offset:184
	s_waitcnt lgkmcnt(0)
	v_mul_f64 v[115:116], v[115:116], v[120:121]
	buffer_store_dword v116, off, s[0:3], 0 offset:188
	buffer_store_dword v115, off, s[0:3], 0 offset:184
.LBB120_103:
	s_or_b32 exec_lo, exec_lo, s4
	s_waitcnt_vscnt null, 0x0
	s_barrier
	buffer_gl0_inv
	s_clause 0x1
	buffer_load_dword v115, off, s[0:3], 0 offset:192
	buffer_load_dword v116, off, s[0:3], 0 offset:196
	s_mov_b32 s4, exec_lo
	s_waitcnt vmcnt(0)
	ds_write_b64 v118, v[115:116]
	s_waitcnt lgkmcnt(0)
	s_barrier
	buffer_gl0_inv
	v_cmpx_gt_u32_e32 24, v0
	s_cbranch_execz .LBB120_107
; %bb.104:
	v_mov_b32_e32 v115, 0
	v_add_nc_u32_e32 v120, -1, v0
	v_add_nc_u32_e32 v121, 0x1d0, v117
	v_mov_b32_e32 v116, 0
	v_mov_b32_e32 v122, v117
	s_mov_b32 s5, 0
.LBB120_105:                            ; =>This Inner Loop Header: Depth=1
	s_clause 0x1
	buffer_load_dword v123, v122, s[0:3], 0 offen
	buffer_load_dword v124, v122, s[0:3], 0 offen offset:4
	ds_read_b64 v[125:126], v121
	v_add_nc_u32_e32 v120, 1, v120
	v_add_nc_u32_e32 v121, 8, v121
	v_add_nc_u32_e32 v122, 8, v122
	v_cmp_lt_u32_e32 vcc_lo, 22, v120
	s_or_b32 s5, vcc_lo, s5
	s_waitcnt vmcnt(0) lgkmcnt(0)
	v_fma_f64 v[115:116], v[123:124], v[125:126], v[115:116]
	s_andn2_b32 exec_lo, exec_lo, s5
	s_cbranch_execnz .LBB120_105
; %bb.106:
	s_or_b32 exec_lo, exec_lo, s5
	v_mov_b32_e32 v120, 0
	ds_read_b64 v[120:121], v120 offset:192
	s_waitcnt lgkmcnt(0)
	v_mul_f64 v[115:116], v[115:116], v[120:121]
	buffer_store_dword v116, off, s[0:3], 0 offset:196
	buffer_store_dword v115, off, s[0:3], 0 offset:192
.LBB120_107:
	s_or_b32 exec_lo, exec_lo, s4
	s_waitcnt_vscnt null, 0x0
	s_barrier
	buffer_gl0_inv
	s_clause 0x1
	buffer_load_dword v115, off, s[0:3], 0 offset:200
	buffer_load_dword v116, off, s[0:3], 0 offset:204
	;; [unrolled: 45-line block ×33, first 2 shown]
	s_mov_b32 s4, exec_lo
	s_waitcnt vmcnt(0)
	ds_write_b64 v118, v[115:116]
	s_waitcnt lgkmcnt(0)
	s_barrier
	buffer_gl0_inv
	v_cmpx_ne_u32_e32 56, v0
	s_cbranch_execz .LBB120_235
; %bb.232:
	v_mov_b32_e32 v115, 0
	v_mov_b32_e32 v116, 0
	s_mov_b32 s5, 0
.LBB120_233:                            ; =>This Inner Loop Header: Depth=1
	s_clause 0x1
	buffer_load_dword v120, v117, s[0:3], 0 offen
	buffer_load_dword v121, v117, s[0:3], 0 offen offset:4
	ds_read_b64 v[122:123], v118
	v_add_nc_u32_e32 v119, 1, v119
	v_add_nc_u32_e32 v118, 8, v118
	;; [unrolled: 1-line block ×3, first 2 shown]
	v_cmp_lt_u32_e32 vcc_lo, 54, v119
	s_or_b32 s5, vcc_lo, s5
	s_waitcnt vmcnt(0) lgkmcnt(0)
	v_fma_f64 v[115:116], v[120:121], v[122:123], v[115:116]
	s_andn2_b32 exec_lo, exec_lo, s5
	s_cbranch_execnz .LBB120_233
; %bb.234:
	s_or_b32 exec_lo, exec_lo, s5
	v_mov_b32_e32 v117, 0
	ds_read_b64 v[117:118], v117 offset:448
	s_waitcnt lgkmcnt(0)
	v_mul_f64 v[115:116], v[115:116], v[117:118]
	buffer_store_dword v116, off, s[0:3], 0 offset:452
	buffer_store_dword v115, off, s[0:3], 0 offset:448
.LBB120_235:
	s_or_b32 exec_lo, exec_lo, s4
	s_mov_b32 s5, -1
	s_waitcnt_vscnt null, 0x0
	s_barrier
	buffer_gl0_inv
.LBB120_236:
	s_and_b32 vcc_lo, exec_lo, s5
	s_cbranch_vccz .LBB120_238
; %bb.237:
	s_lshl_b64 s[4:5], s[6:7], 2
	v_mov_b32_e32 v115, 0
	s_add_u32 s4, s10, s4
	s_addc_u32 s5, s11, s5
	global_load_dword v115, v115, s[4:5]
	s_waitcnt vmcnt(0)
	v_cmp_ne_u32_e32 vcc_lo, 0, v115
	s_cbranch_vccz .LBB120_239
.LBB120_238:
	s_endpgm
.LBB120_239:
	v_lshl_add_u32 v115, v0, 3, 0x1d0
	s_mov_b32 s4, exec_lo
	v_cmpx_eq_u32_e32 56, v0
	s_cbranch_execz .LBB120_241
; %bb.240:
	s_clause 0x1
	buffer_load_dword v116, off, s[0:3], 0 offset:440
	buffer_load_dword v117, off, s[0:3], 0 offset:444
	v_mov_b32_e32 v118, 0
	buffer_store_dword v118, off, s[0:3], 0 offset:440
	buffer_store_dword v118, off, s[0:3], 0 offset:444
	s_waitcnt vmcnt(0)
	ds_write_b64 v115, v[116:117]
.LBB120_241:
	s_or_b32 exec_lo, exec_lo, s4
	s_waitcnt lgkmcnt(0)
	s_waitcnt_vscnt null, 0x0
	s_barrier
	buffer_gl0_inv
	s_clause 0x3
	buffer_load_dword v117, off, s[0:3], 0 offset:448
	buffer_load_dword v118, off, s[0:3], 0 offset:452
	;; [unrolled: 1-line block ×4, first 2 shown]
	v_mov_b32_e32 v116, 0
	s_mov_b32 s4, exec_lo
	ds_read_b64 v[121:122], v116 offset:912
	s_waitcnt vmcnt(2) lgkmcnt(0)
	v_fma_f64 v[117:118], v[117:118], v[121:122], 0
	s_waitcnt vmcnt(0)
	v_add_f64 v[117:118], v[119:120], -v[117:118]
	buffer_store_dword v117, off, s[0:3], 0 offset:440
	buffer_store_dword v118, off, s[0:3], 0 offset:444
	v_cmpx_lt_u32_e32 54, v0
	s_cbranch_execz .LBB120_243
; %bb.242:
	s_clause 0x1
	buffer_load_dword v117, off, s[0:3], 0 offset:432
	buffer_load_dword v118, off, s[0:3], 0 offset:436
	buffer_store_dword v116, off, s[0:3], 0 offset:432
	buffer_store_dword v116, off, s[0:3], 0 offset:436
	s_waitcnt vmcnt(0)
	ds_write_b64 v115, v[117:118]
.LBB120_243:
	s_or_b32 exec_lo, exec_lo, s4
	s_waitcnt lgkmcnt(0)
	s_waitcnt_vscnt null, 0x0
	s_barrier
	buffer_gl0_inv
	s_clause 0x5
	buffer_load_dword v120, off, s[0:3], 0 offset:440
	buffer_load_dword v121, off, s[0:3], 0 offset:444
	;; [unrolled: 1-line block ×6, first 2 shown]
	ds_read2_b64 v[116:119], v116 offset0:113 offset1:114
	s_mov_b32 s4, exec_lo
	s_waitcnt vmcnt(4) lgkmcnt(0)
	v_fma_f64 v[116:117], v[120:121], v[116:117], 0
	s_waitcnt vmcnt(2)
	v_fma_f64 v[116:117], v[122:123], v[118:119], v[116:117]
	s_waitcnt vmcnt(0)
	v_add_f64 v[116:117], v[124:125], -v[116:117]
	buffer_store_dword v116, off, s[0:3], 0 offset:432
	buffer_store_dword v117, off, s[0:3], 0 offset:436
	v_cmpx_lt_u32_e32 53, v0
	s_cbranch_execz .LBB120_245
; %bb.244:
	s_clause 0x1
	buffer_load_dword v116, off, s[0:3], 0 offset:424
	buffer_load_dword v117, off, s[0:3], 0 offset:428
	v_mov_b32_e32 v118, 0
	buffer_store_dword v118, off, s[0:3], 0 offset:424
	buffer_store_dword v118, off, s[0:3], 0 offset:428
	s_waitcnt vmcnt(0)
	ds_write_b64 v115, v[116:117]
.LBB120_245:
	s_or_b32 exec_lo, exec_lo, s4
	s_waitcnt lgkmcnt(0)
	s_waitcnt_vscnt null, 0x0
	s_barrier
	buffer_gl0_inv
	s_clause 0x7
	buffer_load_dword v121, off, s[0:3], 0 offset:432
	buffer_load_dword v122, off, s[0:3], 0 offset:436
	;; [unrolled: 1-line block ×8, first 2 shown]
	v_mov_b32_e32 v116, 0
	ds_read_b128 v[117:120], v116 offset:896
	ds_read_b64 v[129:130], v116 offset:912
	s_mov_b32 s4, exec_lo
	s_waitcnt vmcnt(6) lgkmcnt(1)
	v_fma_f64 v[117:118], v[121:122], v[117:118], 0
	s_waitcnt vmcnt(4)
	v_fma_f64 v[117:118], v[123:124], v[119:120], v[117:118]
	s_waitcnt vmcnt(2) lgkmcnt(0)
	v_fma_f64 v[117:118], v[125:126], v[129:130], v[117:118]
	s_waitcnt vmcnt(0)
	v_add_f64 v[117:118], v[127:128], -v[117:118]
	buffer_store_dword v117, off, s[0:3], 0 offset:424
	buffer_store_dword v118, off, s[0:3], 0 offset:428
	v_cmpx_lt_u32_e32 52, v0
	s_cbranch_execz .LBB120_247
; %bb.246:
	s_clause 0x1
	buffer_load_dword v117, off, s[0:3], 0 offset:416
	buffer_load_dword v118, off, s[0:3], 0 offset:420
	buffer_store_dword v116, off, s[0:3], 0 offset:416
	buffer_store_dword v116, off, s[0:3], 0 offset:420
	s_waitcnt vmcnt(0)
	ds_write_b64 v115, v[117:118]
.LBB120_247:
	s_or_b32 exec_lo, exec_lo, s4
	s_waitcnt lgkmcnt(0)
	s_waitcnt_vscnt null, 0x0
	s_barrier
	buffer_gl0_inv
	s_clause 0x9
	buffer_load_dword v125, off, s[0:3], 0 offset:424
	buffer_load_dword v126, off, s[0:3], 0 offset:428
	buffer_load_dword v127, off, s[0:3], 0 offset:432
	buffer_load_dword v128, off, s[0:3], 0 offset:436
	buffer_load_dword v129, off, s[0:3], 0 offset:440
	buffer_load_dword v130, off, s[0:3], 0 offset:444
	buffer_load_dword v131, off, s[0:3], 0 offset:448
	buffer_load_dword v132, off, s[0:3], 0 offset:452
	buffer_load_dword v133, off, s[0:3], 0 offset:416
	buffer_load_dword v134, off, s[0:3], 0 offset:420
	ds_read2_b64 v[117:120], v116 offset0:111 offset1:112
	ds_read2_b64 v[121:124], v116 offset0:113 offset1:114
	s_mov_b32 s4, exec_lo
	s_waitcnt vmcnt(8) lgkmcnt(1)
	v_fma_f64 v[116:117], v[125:126], v[117:118], 0
	s_waitcnt vmcnt(6)
	v_fma_f64 v[116:117], v[127:128], v[119:120], v[116:117]
	s_waitcnt vmcnt(4) lgkmcnt(0)
	v_fma_f64 v[116:117], v[129:130], v[121:122], v[116:117]
	s_waitcnt vmcnt(2)
	v_fma_f64 v[116:117], v[131:132], v[123:124], v[116:117]
	s_waitcnt vmcnt(0)
	v_add_f64 v[116:117], v[133:134], -v[116:117]
	buffer_store_dword v116, off, s[0:3], 0 offset:416
	buffer_store_dword v117, off, s[0:3], 0 offset:420
	v_cmpx_lt_u32_e32 51, v0
	s_cbranch_execz .LBB120_249
; %bb.248:
	s_clause 0x1
	buffer_load_dword v116, off, s[0:3], 0 offset:408
	buffer_load_dword v117, off, s[0:3], 0 offset:412
	v_mov_b32_e32 v118, 0
	buffer_store_dword v118, off, s[0:3], 0 offset:408
	buffer_store_dword v118, off, s[0:3], 0 offset:412
	s_waitcnt vmcnt(0)
	ds_write_b64 v115, v[116:117]
.LBB120_249:
	s_or_b32 exec_lo, exec_lo, s4
	s_waitcnt lgkmcnt(0)
	s_waitcnt_vscnt null, 0x0
	s_barrier
	buffer_gl0_inv
	s_clause 0xb
	buffer_load_dword v125, off, s[0:3], 0 offset:416
	buffer_load_dword v126, off, s[0:3], 0 offset:420
	;; [unrolled: 1-line block ×12, first 2 shown]
	v_mov_b32_e32 v116, 0
	ds_read_b128 v[117:120], v116 offset:880
	ds_read_b128 v[121:124], v116 offset:896
	s_mov_b32 s4, exec_lo
	s_waitcnt vmcnt(10) lgkmcnt(1)
	v_fma_f64 v[117:118], v[125:126], v[117:118], 0
	s_waitcnt vmcnt(8)
	v_fma_f64 v[117:118], v[127:128], v[119:120], v[117:118]
	ds_read_b64 v[119:120], v116 offset:912
	s_waitcnt vmcnt(6) lgkmcnt(1)
	v_fma_f64 v[117:118], v[129:130], v[121:122], v[117:118]
	s_waitcnt vmcnt(4)
	v_fma_f64 v[117:118], v[131:132], v[123:124], v[117:118]
	s_waitcnt vmcnt(2) lgkmcnt(0)
	v_fma_f64 v[117:118], v[133:134], v[119:120], v[117:118]
	s_waitcnt vmcnt(0)
	v_add_f64 v[117:118], v[135:136], -v[117:118]
	buffer_store_dword v117, off, s[0:3], 0 offset:408
	buffer_store_dword v118, off, s[0:3], 0 offset:412
	v_cmpx_lt_u32_e32 50, v0
	s_cbranch_execz .LBB120_251
; %bb.250:
	s_clause 0x1
	buffer_load_dword v117, off, s[0:3], 0 offset:400
	buffer_load_dword v118, off, s[0:3], 0 offset:404
	buffer_store_dword v116, off, s[0:3], 0 offset:400
	buffer_store_dword v116, off, s[0:3], 0 offset:404
	s_waitcnt vmcnt(0)
	ds_write_b64 v115, v[117:118]
.LBB120_251:
	s_or_b32 exec_lo, exec_lo, s4
	s_waitcnt lgkmcnt(0)
	s_waitcnt_vscnt null, 0x0
	s_barrier
	buffer_gl0_inv
	s_clause 0xd
	buffer_load_dword v125, off, s[0:3], 0 offset:408
	buffer_load_dword v126, off, s[0:3], 0 offset:412
	;; [unrolled: 1-line block ×14, first 2 shown]
	ds_read2_b64 v[117:120], v116 offset0:109 offset1:110
	ds_read2_b64 v[121:124], v116 offset0:111 offset1:112
	s_mov_b32 s4, exec_lo
	s_waitcnt vmcnt(12) lgkmcnt(1)
	v_fma_f64 v[117:118], v[125:126], v[117:118], 0
	s_waitcnt vmcnt(10)
	v_fma_f64 v[117:118], v[127:128], v[119:120], v[117:118]
	s_waitcnt vmcnt(8) lgkmcnt(0)
	v_fma_f64 v[117:118], v[129:130], v[121:122], v[117:118]
	s_waitcnt vmcnt(6)
	v_fma_f64 v[120:121], v[131:132], v[123:124], v[117:118]
	ds_read2_b64 v[116:119], v116 offset0:113 offset1:114
	s_waitcnt vmcnt(4) lgkmcnt(0)
	v_fma_f64 v[116:117], v[133:134], v[116:117], v[120:121]
	s_waitcnt vmcnt(2)
	v_fma_f64 v[116:117], v[135:136], v[118:119], v[116:117]
	s_waitcnt vmcnt(0)
	v_add_f64 v[116:117], v[137:138], -v[116:117]
	buffer_store_dword v116, off, s[0:3], 0 offset:400
	buffer_store_dword v117, off, s[0:3], 0 offset:404
	v_cmpx_lt_u32_e32 49, v0
	s_cbranch_execz .LBB120_253
; %bb.252:
	s_clause 0x1
	buffer_load_dword v116, off, s[0:3], 0 offset:392
	buffer_load_dword v117, off, s[0:3], 0 offset:396
	v_mov_b32_e32 v118, 0
	buffer_store_dword v118, off, s[0:3], 0 offset:392
	buffer_store_dword v118, off, s[0:3], 0 offset:396
	s_waitcnt vmcnt(0)
	ds_write_b64 v115, v[116:117]
.LBB120_253:
	s_or_b32 exec_lo, exec_lo, s4
	s_waitcnt lgkmcnt(0)
	s_waitcnt_vscnt null, 0x0
	s_barrier
	buffer_gl0_inv
	s_clause 0xf
	buffer_load_dword v125, off, s[0:3], 0 offset:400
	buffer_load_dword v126, off, s[0:3], 0 offset:404
	;; [unrolled: 1-line block ×16, first 2 shown]
	v_mov_b32_e32 v116, 0
	ds_read_b128 v[117:120], v116 offset:864
	ds_read_b128 v[121:124], v116 offset:880
	s_mov_b32 s4, exec_lo
	s_waitcnt vmcnt(14) lgkmcnt(1)
	v_fma_f64 v[117:118], v[125:126], v[117:118], 0
	s_waitcnt vmcnt(12)
	v_fma_f64 v[117:118], v[127:128], v[119:120], v[117:118]
	s_waitcnt vmcnt(10) lgkmcnt(0)
	v_fma_f64 v[117:118], v[129:130], v[121:122], v[117:118]
	s_waitcnt vmcnt(8)
	v_fma_f64 v[121:122], v[131:132], v[123:124], v[117:118]
	ds_read_b128 v[117:120], v116 offset:896
	ds_read_b64 v[123:124], v116 offset:912
	s_waitcnt vmcnt(6) lgkmcnt(1)
	v_fma_f64 v[117:118], v[133:134], v[117:118], v[121:122]
	s_waitcnt vmcnt(4)
	v_fma_f64 v[117:118], v[135:136], v[119:120], v[117:118]
	s_waitcnt vmcnt(2) lgkmcnt(0)
	v_fma_f64 v[117:118], v[137:138], v[123:124], v[117:118]
	s_waitcnt vmcnt(0)
	v_add_f64 v[117:118], v[139:140], -v[117:118]
	buffer_store_dword v117, off, s[0:3], 0 offset:392
	buffer_store_dword v118, off, s[0:3], 0 offset:396
	v_cmpx_lt_u32_e32 48, v0
	s_cbranch_execz .LBB120_255
; %bb.254:
	s_clause 0x1
	buffer_load_dword v117, off, s[0:3], 0 offset:384
	buffer_load_dword v118, off, s[0:3], 0 offset:388
	buffer_store_dword v116, off, s[0:3], 0 offset:384
	buffer_store_dword v116, off, s[0:3], 0 offset:388
	s_waitcnt vmcnt(0)
	ds_write_b64 v115, v[117:118]
.LBB120_255:
	s_or_b32 exec_lo, exec_lo, s4
	s_waitcnt lgkmcnt(0)
	s_waitcnt_vscnt null, 0x0
	s_barrier
	buffer_gl0_inv
	s_clause 0x11
	buffer_load_dword v121, off, s[0:3], 0 offset:392
	buffer_load_dword v122, off, s[0:3], 0 offset:396
	;; [unrolled: 1-line block ×18, first 2 shown]
	ds_read2_b64 v[117:120], v116 offset0:107 offset1:108
	s_mov_b32 s4, exec_lo
	s_waitcnt vmcnt(16) lgkmcnt(0)
	v_fma_f64 v[117:118], v[121:122], v[117:118], 0
	s_waitcnt vmcnt(14)
	v_fma_f64 v[121:122], v[123:124], v[119:120], v[117:118]
	ds_read2_b64 v[117:120], v116 offset0:109 offset1:110
	s_waitcnt vmcnt(12) lgkmcnt(0)
	v_fma_f64 v[117:118], v[125:126], v[117:118], v[121:122]
	s_waitcnt vmcnt(10)
	v_fma_f64 v[121:122], v[127:128], v[119:120], v[117:118]
	ds_read2_b64 v[117:120], v116 offset0:111 offset1:112
	;; [unrolled: 5-line block ×3, first 2 shown]
	s_waitcnt vmcnt(4) lgkmcnt(0)
	v_fma_f64 v[116:117], v[133:134], v[116:117], v[120:121]
	s_waitcnt vmcnt(2)
	v_fma_f64 v[116:117], v[135:136], v[118:119], v[116:117]
	s_waitcnt vmcnt(0)
	v_add_f64 v[116:117], v[137:138], -v[116:117]
	buffer_store_dword v116, off, s[0:3], 0 offset:384
	buffer_store_dword v117, off, s[0:3], 0 offset:388
	v_cmpx_lt_u32_e32 47, v0
	s_cbranch_execz .LBB120_257
; %bb.256:
	s_clause 0x1
	buffer_load_dword v116, off, s[0:3], 0 offset:376
	buffer_load_dword v117, off, s[0:3], 0 offset:380
	v_mov_b32_e32 v118, 0
	buffer_store_dword v118, off, s[0:3], 0 offset:376
	buffer_store_dword v118, off, s[0:3], 0 offset:380
	s_waitcnt vmcnt(0)
	ds_write_b64 v115, v[116:117]
.LBB120_257:
	s_or_b32 exec_lo, exec_lo, s4
	s_waitcnt lgkmcnt(0)
	s_waitcnt_vscnt null, 0x0
	s_barrier
	buffer_gl0_inv
	s_clause 0x13
	buffer_load_dword v121, off, s[0:3], 0 offset:384
	buffer_load_dword v122, off, s[0:3], 0 offset:388
	;; [unrolled: 1-line block ×20, first 2 shown]
	v_mov_b32_e32 v116, 0
	s_mov_b32 s4, exec_lo
	ds_read_b128 v[117:120], v116 offset:848
	s_waitcnt vmcnt(18) lgkmcnt(0)
	v_fma_f64 v[117:118], v[121:122], v[117:118], 0
	s_waitcnt vmcnt(16)
	v_fma_f64 v[121:122], v[123:124], v[119:120], v[117:118]
	ds_read_b128 v[117:120], v116 offset:864
	s_waitcnt vmcnt(14) lgkmcnt(0)
	v_fma_f64 v[117:118], v[125:126], v[117:118], v[121:122]
	s_waitcnt vmcnt(12)
	v_fma_f64 v[121:122], v[127:128], v[119:120], v[117:118]
	;; [unrolled: 5-line block ×4, first 2 shown]
	ds_read_b64 v[119:120], v116 offset:912
	s_waitcnt vmcnt(2) lgkmcnt(0)
	v_fma_f64 v[117:118], v[137:138], v[119:120], v[117:118]
	s_waitcnt vmcnt(0)
	v_add_f64 v[117:118], v[139:140], -v[117:118]
	buffer_store_dword v117, off, s[0:3], 0 offset:376
	buffer_store_dword v118, off, s[0:3], 0 offset:380
	v_cmpx_lt_u32_e32 46, v0
	s_cbranch_execz .LBB120_259
; %bb.258:
	s_clause 0x1
	buffer_load_dword v117, off, s[0:3], 0 offset:368
	buffer_load_dword v118, off, s[0:3], 0 offset:372
	buffer_store_dword v116, off, s[0:3], 0 offset:368
	buffer_store_dword v116, off, s[0:3], 0 offset:372
	s_waitcnt vmcnt(0)
	ds_write_b64 v115, v[117:118]
.LBB120_259:
	s_or_b32 exec_lo, exec_lo, s4
	s_waitcnt lgkmcnt(0)
	s_waitcnt_vscnt null, 0x0
	s_barrier
	buffer_gl0_inv
	s_clause 0x15
	buffer_load_dword v121, off, s[0:3], 0 offset:376
	buffer_load_dword v122, off, s[0:3], 0 offset:380
	;; [unrolled: 1-line block ×22, first 2 shown]
	ds_read2_b64 v[117:120], v116 offset0:105 offset1:106
	s_mov_b32 s4, exec_lo
	s_waitcnt vmcnt(20) lgkmcnt(0)
	v_fma_f64 v[117:118], v[121:122], v[117:118], 0
	s_waitcnt vmcnt(18)
	v_fma_f64 v[121:122], v[123:124], v[119:120], v[117:118]
	ds_read2_b64 v[117:120], v116 offset0:107 offset1:108
	s_waitcnt vmcnt(16) lgkmcnt(0)
	v_fma_f64 v[117:118], v[125:126], v[117:118], v[121:122]
	s_waitcnt vmcnt(14)
	v_fma_f64 v[121:122], v[127:128], v[119:120], v[117:118]
	ds_read2_b64 v[117:120], v116 offset0:109 offset1:110
	s_waitcnt vmcnt(12) lgkmcnt(0)
	v_fma_f64 v[117:118], v[129:130], v[117:118], v[121:122]
	s_waitcnt vmcnt(10)
	v_fma_f64 v[121:122], v[131:132], v[119:120], v[117:118]
	ds_read2_b64 v[117:120], v116 offset0:111 offset1:112
	s_waitcnt vmcnt(8) lgkmcnt(0)
	v_fma_f64 v[117:118], v[133:134], v[117:118], v[121:122]
	s_waitcnt vmcnt(6)
	v_fma_f64 v[120:121], v[135:136], v[119:120], v[117:118]
	ds_read2_b64 v[116:119], v116 offset0:113 offset1:114
	s_waitcnt vmcnt(4) lgkmcnt(0)
	v_fma_f64 v[116:117], v[137:138], v[116:117], v[120:121]
	s_waitcnt vmcnt(2)
	v_fma_f64 v[116:117], v[139:140], v[118:119], v[116:117]
	s_waitcnt vmcnt(0)
	v_add_f64 v[116:117], v[141:142], -v[116:117]
	buffer_store_dword v116, off, s[0:3], 0 offset:368
	buffer_store_dword v117, off, s[0:3], 0 offset:372
	v_cmpx_lt_u32_e32 45, v0
	s_cbranch_execz .LBB120_261
; %bb.260:
	s_clause 0x1
	buffer_load_dword v116, off, s[0:3], 0 offset:360
	buffer_load_dword v117, off, s[0:3], 0 offset:364
	v_mov_b32_e32 v118, 0
	buffer_store_dword v118, off, s[0:3], 0 offset:360
	buffer_store_dword v118, off, s[0:3], 0 offset:364
	s_waitcnt vmcnt(0)
	ds_write_b64 v115, v[116:117]
.LBB120_261:
	s_or_b32 exec_lo, exec_lo, s4
	s_waitcnt lgkmcnt(0)
	s_waitcnt_vscnt null, 0x0
	s_barrier
	buffer_gl0_inv
	s_clause 0x17
	buffer_load_dword v125, off, s[0:3], 0 offset:368
	buffer_load_dword v126, off, s[0:3], 0 offset:372
	;; [unrolled: 1-line block ×24, first 2 shown]
	v_mov_b32_e32 v116, 0
	ds_read_b128 v[117:120], v116 offset:832
	ds_read_b128 v[121:124], v116 offset:848
	s_mov_b32 s4, exec_lo
	s_waitcnt vmcnt(22) lgkmcnt(1)
	v_fma_f64 v[117:118], v[125:126], v[117:118], 0
	s_waitcnt vmcnt(20)
	v_fma_f64 v[117:118], v[127:128], v[119:120], v[117:118]
	s_waitcnt vmcnt(18) lgkmcnt(0)
	v_fma_f64 v[117:118], v[129:130], v[121:122], v[117:118]
	s_waitcnt vmcnt(16)
	v_fma_f64 v[125:126], v[131:132], v[123:124], v[117:118]
	ds_read_b128 v[117:120], v116 offset:864
	ds_read_b128 v[121:124], v116 offset:880
	s_waitcnt vmcnt(14) lgkmcnt(1)
	v_fma_f64 v[117:118], v[133:134], v[117:118], v[125:126]
	s_waitcnt vmcnt(12)
	v_fma_f64 v[117:118], v[135:136], v[119:120], v[117:118]
	s_waitcnt vmcnt(10) lgkmcnt(0)
	v_fma_f64 v[117:118], v[137:138], v[121:122], v[117:118]
	s_waitcnt vmcnt(5)
	v_fma_f64 v[121:122], v[139:140], v[123:124], v[117:118]
	ds_read_b128 v[117:120], v116 offset:896
	ds_read_b64 v[123:124], v116 offset:912
	s_waitcnt vmcnt(4) lgkmcnt(1)
	v_fma_f64 v[117:118], v[145:146], v[117:118], v[121:122]
	s_waitcnt vmcnt(3)
	v_fma_f64 v[117:118], v[143:144], v[119:120], v[117:118]
	s_waitcnt vmcnt(2) lgkmcnt(0)
	v_fma_f64 v[117:118], v[141:142], v[123:124], v[117:118]
	s_waitcnt vmcnt(0)
	v_add_f64 v[117:118], v[147:148], -v[117:118]
	buffer_store_dword v118, off, s[0:3], 0 offset:364
	buffer_store_dword v117, off, s[0:3], 0 offset:360
	v_cmpx_lt_u32_e32 44, v0
	s_cbranch_execz .LBB120_263
; %bb.262:
	s_clause 0x1
	buffer_load_dword v117, off, s[0:3], 0 offset:352
	buffer_load_dword v118, off, s[0:3], 0 offset:356
	buffer_store_dword v116, off, s[0:3], 0 offset:352
	buffer_store_dword v116, off, s[0:3], 0 offset:356
	s_waitcnt vmcnt(0)
	ds_write_b64 v115, v[117:118]
.LBB120_263:
	s_or_b32 exec_lo, exec_lo, s4
	s_waitcnt lgkmcnt(0)
	s_waitcnt_vscnt null, 0x0
	s_barrier
	buffer_gl0_inv
	s_clause 0x19
	buffer_load_dword v125, off, s[0:3], 0 offset:360
	buffer_load_dword v126, off, s[0:3], 0 offset:364
	;; [unrolled: 1-line block ×26, first 2 shown]
	ds_read2_b64 v[117:120], v116 offset0:103 offset1:104
	ds_read2_b64 v[121:124], v116 offset0:105 offset1:106
	s_mov_b32 s4, exec_lo
	s_waitcnt vmcnt(24) lgkmcnt(1)
	v_fma_f64 v[117:118], v[125:126], v[117:118], 0
	s_waitcnt vmcnt(22)
	v_fma_f64 v[117:118], v[127:128], v[119:120], v[117:118]
	s_waitcnt vmcnt(20) lgkmcnt(0)
	v_fma_f64 v[117:118], v[129:130], v[121:122], v[117:118]
	s_waitcnt vmcnt(18)
	v_fma_f64 v[125:126], v[131:132], v[123:124], v[117:118]
	ds_read2_b64 v[117:120], v116 offset0:107 offset1:108
	ds_read2_b64 v[121:124], v116 offset0:109 offset1:110
	s_waitcnt vmcnt(16) lgkmcnt(1)
	v_fma_f64 v[117:118], v[133:134], v[117:118], v[125:126]
	s_waitcnt vmcnt(14)
	v_fma_f64 v[117:118], v[135:136], v[119:120], v[117:118]
	s_waitcnt vmcnt(12) lgkmcnt(0)
	v_fma_f64 v[117:118], v[137:138], v[121:122], v[117:118]
	s_waitcnt vmcnt(7)
	v_fma_f64 v[125:126], v[139:140], v[123:124], v[117:118]
	ds_read2_b64 v[117:120], v116 offset0:111 offset1:112
	ds_read2_b64 v[121:124], v116 offset0:113 offset1:114
	s_waitcnt vmcnt(6) lgkmcnt(1)
	v_fma_f64 v[116:117], v[145:146], v[117:118], v[125:126]
	s_waitcnt vmcnt(5)
	v_fma_f64 v[116:117], v[143:144], v[119:120], v[116:117]
	s_waitcnt vmcnt(4) lgkmcnt(0)
	v_fma_f64 v[116:117], v[141:142], v[121:122], v[116:117]
	s_waitcnt vmcnt(2)
	v_fma_f64 v[116:117], v[147:148], v[123:124], v[116:117]
	s_waitcnt vmcnt(0)
	v_add_f64 v[116:117], v[149:150], -v[116:117]
	buffer_store_dword v117, off, s[0:3], 0 offset:356
	buffer_store_dword v116, off, s[0:3], 0 offset:352
	v_cmpx_lt_u32_e32 43, v0
	s_cbranch_execz .LBB120_265
; %bb.264:
	s_clause 0x1
	buffer_load_dword v116, off, s[0:3], 0 offset:344
	buffer_load_dword v117, off, s[0:3], 0 offset:348
	v_mov_b32_e32 v118, 0
	buffer_store_dword v118, off, s[0:3], 0 offset:344
	buffer_store_dword v118, off, s[0:3], 0 offset:348
	s_waitcnt vmcnt(0)
	ds_write_b64 v115, v[116:117]
.LBB120_265:
	s_or_b32 exec_lo, exec_lo, s4
	s_waitcnt lgkmcnt(0)
	s_waitcnt_vscnt null, 0x0
	s_barrier
	buffer_gl0_inv
	s_clause 0x1b
	buffer_load_dword v125, off, s[0:3], 0 offset:352
	buffer_load_dword v126, off, s[0:3], 0 offset:356
	;; [unrolled: 1-line block ×28, first 2 shown]
	v_mov_b32_e32 v116, 0
	ds_read_b128 v[117:120], v116 offset:816
	ds_read_b128 v[121:124], v116 offset:832
	s_mov_b32 s4, exec_lo
	s_waitcnt vmcnt(26) lgkmcnt(1)
	v_fma_f64 v[117:118], v[125:126], v[117:118], 0
	s_waitcnt vmcnt(24)
	v_fma_f64 v[117:118], v[127:128], v[119:120], v[117:118]
	s_waitcnt vmcnt(22) lgkmcnt(0)
	v_fma_f64 v[117:118], v[129:130], v[121:122], v[117:118]
	s_waitcnt vmcnt(20)
	v_fma_f64 v[125:126], v[131:132], v[123:124], v[117:118]
	ds_read_b128 v[117:120], v116 offset:848
	ds_read_b128 v[121:124], v116 offset:864
	s_waitcnt vmcnt(18) lgkmcnt(1)
	v_fma_f64 v[117:118], v[133:134], v[117:118], v[125:126]
	s_waitcnt vmcnt(16)
	v_fma_f64 v[117:118], v[135:136], v[119:120], v[117:118]
	s_waitcnt vmcnt(14) lgkmcnt(0)
	v_fma_f64 v[117:118], v[137:138], v[121:122], v[117:118]
	s_waitcnt vmcnt(9)
	v_fma_f64 v[125:126], v[139:140], v[123:124], v[117:118]
	ds_read_b128 v[117:120], v116 offset:880
	ds_read_b128 v[121:124], v116 offset:896
	s_waitcnt vmcnt(8) lgkmcnt(1)
	v_fma_f64 v[117:118], v[145:146], v[117:118], v[125:126]
	s_waitcnt vmcnt(7)
	v_fma_f64 v[117:118], v[143:144], v[119:120], v[117:118]
	ds_read_b64 v[119:120], v116 offset:912
	s_waitcnt vmcnt(6) lgkmcnt(1)
	v_fma_f64 v[117:118], v[141:142], v[121:122], v[117:118]
	s_waitcnt vmcnt(3)
	v_fma_f64 v[117:118], v[147:148], v[123:124], v[117:118]
	s_waitcnt vmcnt(2) lgkmcnt(0)
	v_fma_f64 v[117:118], v[149:150], v[119:120], v[117:118]
	s_waitcnt vmcnt(0)
	v_add_f64 v[117:118], v[151:152], -v[117:118]
	buffer_store_dword v118, off, s[0:3], 0 offset:348
	buffer_store_dword v117, off, s[0:3], 0 offset:344
	v_cmpx_lt_u32_e32 42, v0
	s_cbranch_execz .LBB120_267
; %bb.266:
	s_clause 0x1
	buffer_load_dword v117, off, s[0:3], 0 offset:336
	buffer_load_dword v118, off, s[0:3], 0 offset:340
	buffer_store_dword v116, off, s[0:3], 0 offset:336
	buffer_store_dword v116, off, s[0:3], 0 offset:340
	s_waitcnt vmcnt(0)
	ds_write_b64 v115, v[117:118]
.LBB120_267:
	s_or_b32 exec_lo, exec_lo, s4
	s_waitcnt lgkmcnt(0)
	s_waitcnt_vscnt null, 0x0
	s_barrier
	buffer_gl0_inv
	s_clause 0x1b
	buffer_load_dword v125, off, s[0:3], 0 offset:344
	buffer_load_dword v126, off, s[0:3], 0 offset:348
	;; [unrolled: 1-line block ×28, first 2 shown]
	ds_read2_b64 v[117:120], v116 offset0:101 offset1:102
	s_clause 0x1
	buffer_load_dword v153, off, s[0:3], 0 offset:336
	buffer_load_dword v154, off, s[0:3], 0 offset:340
	ds_read2_b64 v[121:124], v116 offset0:103 offset1:104
	s_mov_b32 s4, exec_lo
	s_waitcnt vmcnt(28) lgkmcnt(1)
	v_fma_f64 v[117:118], v[125:126], v[117:118], 0
	s_waitcnt vmcnt(26)
	v_fma_f64 v[117:118], v[127:128], v[119:120], v[117:118]
	s_waitcnt vmcnt(24) lgkmcnt(0)
	v_fma_f64 v[117:118], v[129:130], v[121:122], v[117:118]
	s_waitcnt vmcnt(22)
	v_fma_f64 v[125:126], v[131:132], v[123:124], v[117:118]
	ds_read2_b64 v[117:120], v116 offset0:105 offset1:106
	ds_read2_b64 v[121:124], v116 offset0:107 offset1:108
	s_waitcnt vmcnt(20) lgkmcnt(1)
	v_fma_f64 v[117:118], v[133:134], v[117:118], v[125:126]
	s_waitcnt vmcnt(18)
	v_fma_f64 v[117:118], v[135:136], v[119:120], v[117:118]
	s_waitcnt vmcnt(16) lgkmcnt(0)
	v_fma_f64 v[117:118], v[137:138], v[121:122], v[117:118]
	s_waitcnt vmcnt(11)
	v_fma_f64 v[125:126], v[139:140], v[123:124], v[117:118]
	ds_read2_b64 v[117:120], v116 offset0:109 offset1:110
	ds_read2_b64 v[121:124], v116 offset0:111 offset1:112
	s_waitcnt vmcnt(10) lgkmcnt(1)
	v_fma_f64 v[117:118], v[145:146], v[117:118], v[125:126]
	s_waitcnt vmcnt(9)
	v_fma_f64 v[117:118], v[143:144], v[119:120], v[117:118]
	s_waitcnt vmcnt(8) lgkmcnt(0)
	v_fma_f64 v[117:118], v[141:142], v[121:122], v[117:118]
	s_waitcnt vmcnt(4)
	v_fma_f64 v[120:121], v[147:148], v[123:124], v[117:118]
	ds_read2_b64 v[116:119], v116 offset0:113 offset1:114
	s_waitcnt vmcnt(3) lgkmcnt(0)
	v_fma_f64 v[116:117], v[151:152], v[116:117], v[120:121]
	s_waitcnt vmcnt(2)
	v_fma_f64 v[116:117], v[149:150], v[118:119], v[116:117]
	s_waitcnt vmcnt(0)
	v_add_f64 v[116:117], v[153:154], -v[116:117]
	buffer_store_dword v117, off, s[0:3], 0 offset:340
	buffer_store_dword v116, off, s[0:3], 0 offset:336
	v_cmpx_lt_u32_e32 41, v0
	s_cbranch_execz .LBB120_269
; %bb.268:
	s_clause 0x1
	buffer_load_dword v116, off, s[0:3], 0 offset:328
	buffer_load_dword v117, off, s[0:3], 0 offset:332
	v_mov_b32_e32 v118, 0
	buffer_store_dword v118, off, s[0:3], 0 offset:328
	buffer_store_dword v118, off, s[0:3], 0 offset:332
	s_waitcnt vmcnt(0)
	ds_write_b64 v115, v[116:117]
.LBB120_269:
	s_or_b32 exec_lo, exec_lo, s4
	s_waitcnt lgkmcnt(0)
	s_waitcnt_vscnt null, 0x0
	s_barrier
	buffer_gl0_inv
	s_clause 0x1c
	buffer_load_dword v125, off, s[0:3], 0 offset:336
	buffer_load_dword v126, off, s[0:3], 0 offset:340
	;; [unrolled: 1-line block ×29, first 2 shown]
	v_mov_b32_e32 v116, 0
	buffer_load_dword v150, off, s[0:3], 0 offset:452
	s_mov_b32 s4, exec_lo
	ds_read_b128 v[117:120], v116 offset:800
	ds_read_b128 v[121:124], v116 offset:816
	s_waitcnt vmcnt(28) lgkmcnt(1)
	v_fma_f64 v[117:118], v[125:126], v[117:118], 0
	s_clause 0x1
	buffer_load_dword v125, off, s[0:3], 0 offset:328
	buffer_load_dword v126, off, s[0:3], 0 offset:332
	s_waitcnt vmcnt(28)
	v_fma_f64 v[117:118], v[127:128], v[119:120], v[117:118]
	s_waitcnt vmcnt(26) lgkmcnt(0)
	v_fma_f64 v[117:118], v[129:130], v[121:122], v[117:118]
	s_waitcnt vmcnt(24)
	v_fma_f64 v[127:128], v[131:132], v[123:124], v[117:118]
	ds_read_b128 v[117:120], v116 offset:832
	ds_read_b128 v[121:124], v116 offset:848
	s_waitcnt vmcnt(22) lgkmcnt(1)
	v_fma_f64 v[117:118], v[133:134], v[117:118], v[127:128]
	s_waitcnt vmcnt(20)
	v_fma_f64 v[117:118], v[135:136], v[119:120], v[117:118]
	s_waitcnt vmcnt(18) lgkmcnt(0)
	v_fma_f64 v[117:118], v[137:138], v[121:122], v[117:118]
	s_waitcnt vmcnt(13)
	v_fma_f64 v[127:128], v[139:140], v[123:124], v[117:118]
	ds_read_b128 v[117:120], v116 offset:864
	ds_read_b128 v[121:124], v116 offset:880
	s_waitcnt vmcnt(12) lgkmcnt(1)
	v_fma_f64 v[117:118], v[145:146], v[117:118], v[127:128]
	s_waitcnt vmcnt(11)
	v_fma_f64 v[117:118], v[143:144], v[119:120], v[117:118]
	s_waitcnt vmcnt(10) lgkmcnt(0)
	v_fma_f64 v[117:118], v[141:142], v[121:122], v[117:118]
	s_waitcnt vmcnt(5)
	v_fma_f64 v[121:122], v[147:148], v[123:124], v[117:118]
	ds_read_b128 v[117:120], v116 offset:896
	ds_read_b64 v[123:124], v116 offset:912
	s_waitcnt vmcnt(4) lgkmcnt(1)
	v_fma_f64 v[117:118], v[153:154], v[117:118], v[121:122]
	s_waitcnt vmcnt(3)
	v_fma_f64 v[117:118], v[151:152], v[119:120], v[117:118]
	s_waitcnt vmcnt(2) lgkmcnt(0)
	v_fma_f64 v[117:118], v[149:150], v[123:124], v[117:118]
	s_waitcnt vmcnt(0)
	v_add_f64 v[117:118], v[125:126], -v[117:118]
	buffer_store_dword v118, off, s[0:3], 0 offset:332
	buffer_store_dword v117, off, s[0:3], 0 offset:328
	v_cmpx_lt_u32_e32 40, v0
	s_cbranch_execz .LBB120_271
; %bb.270:
	s_clause 0x1
	buffer_load_dword v117, off, s[0:3], 0 offset:320
	buffer_load_dword v118, off, s[0:3], 0 offset:324
	buffer_store_dword v116, off, s[0:3], 0 offset:320
	buffer_store_dword v116, off, s[0:3], 0 offset:324
	s_waitcnt vmcnt(0)
	ds_write_b64 v115, v[117:118]
.LBB120_271:
	s_or_b32 exec_lo, exec_lo, s4
	s_waitcnt lgkmcnt(0)
	s_waitcnt_vscnt null, 0x0
	s_barrier
	buffer_gl0_inv
	s_clause 0x1c
	buffer_load_dword v125, off, s[0:3], 0 offset:328
	buffer_load_dword v126, off, s[0:3], 0 offset:332
	;; [unrolled: 1-line block ×29, first 2 shown]
	ds_read2_b64 v[117:120], v116 offset0:99 offset1:100
	ds_read2_b64 v[121:124], v116 offset0:101 offset1:102
	buffer_load_dword v150, off, s[0:3], 0 offset:444
	s_mov_b32 s4, exec_lo
	s_waitcnt vmcnt(28) lgkmcnt(1)
	v_fma_f64 v[117:118], v[125:126], v[117:118], 0
	s_clause 0x1
	buffer_load_dword v126, off, s[0:3], 0 offset:452
	buffer_load_dword v125, off, s[0:3], 0 offset:448
	s_waitcnt vmcnt(28)
	v_fma_f64 v[117:118], v[127:128], v[119:120], v[117:118]
	s_clause 0x1
	buffer_load_dword v127, off, s[0:3], 0 offset:320
	buffer_load_dword v128, off, s[0:3], 0 offset:324
	s_waitcnt vmcnt(28) lgkmcnt(0)
	v_fma_f64 v[117:118], v[129:130], v[121:122], v[117:118]
	s_waitcnt vmcnt(26)
	v_fma_f64 v[129:130], v[131:132], v[123:124], v[117:118]
	ds_read2_b64 v[117:120], v116 offset0:103 offset1:104
	ds_read2_b64 v[121:124], v116 offset0:105 offset1:106
	s_waitcnt vmcnt(24) lgkmcnt(1)
	v_fma_f64 v[117:118], v[133:134], v[117:118], v[129:130]
	s_waitcnt vmcnt(22)
	v_fma_f64 v[117:118], v[135:136], v[119:120], v[117:118]
	s_waitcnt vmcnt(20) lgkmcnt(0)
	v_fma_f64 v[117:118], v[137:138], v[121:122], v[117:118]
	s_waitcnt vmcnt(15)
	v_fma_f64 v[129:130], v[139:140], v[123:124], v[117:118]
	ds_read2_b64 v[117:120], v116 offset0:107 offset1:108
	ds_read2_b64 v[121:124], v116 offset0:109 offset1:110
	s_waitcnt vmcnt(14) lgkmcnt(1)
	v_fma_f64 v[117:118], v[145:146], v[117:118], v[129:130]
	s_waitcnt vmcnt(13)
	v_fma_f64 v[117:118], v[143:144], v[119:120], v[117:118]
	;; [unrolled: 10-line block ×3, first 2 shown]
	s_waitcnt vmcnt(4) lgkmcnt(0)
	v_fma_f64 v[116:117], v[149:150], v[121:122], v[116:117]
	s_waitcnt vmcnt(2)
	v_fma_f64 v[116:117], v[125:126], v[123:124], v[116:117]
	s_waitcnt vmcnt(0)
	v_add_f64 v[116:117], v[127:128], -v[116:117]
	buffer_store_dword v117, off, s[0:3], 0 offset:324
	buffer_store_dword v116, off, s[0:3], 0 offset:320
	v_cmpx_lt_u32_e32 39, v0
	s_cbranch_execz .LBB120_273
; %bb.272:
	s_clause 0x1
	buffer_load_dword v116, off, s[0:3], 0 offset:312
	buffer_load_dword v117, off, s[0:3], 0 offset:316
	v_mov_b32_e32 v118, 0
	buffer_store_dword v118, off, s[0:3], 0 offset:312
	buffer_store_dword v118, off, s[0:3], 0 offset:316
	s_waitcnt vmcnt(0)
	ds_write_b64 v115, v[116:117]
.LBB120_273:
	s_or_b32 exec_lo, exec_lo, s4
	s_waitcnt lgkmcnt(0)
	s_waitcnt_vscnt null, 0x0
	s_barrier
	buffer_gl0_inv
	s_clause 0x1c
	buffer_load_dword v125, off, s[0:3], 0 offset:320
	buffer_load_dword v126, off, s[0:3], 0 offset:324
	;; [unrolled: 1-line block ×29, first 2 shown]
	v_mov_b32_e32 v116, 0
	buffer_load_dword v150, off, s[0:3], 0 offset:436
	s_mov_b32 s4, exec_lo
	ds_read_b128 v[117:120], v116 offset:784
	ds_read_b128 v[121:124], v116 offset:800
	s_waitcnt vmcnt(28) lgkmcnt(1)
	v_fma_f64 v[117:118], v[125:126], v[117:118], 0
	s_clause 0x3
	buffer_load_dword v126, off, s[0:3], 0 offset:444
	buffer_load_dword v155, off, s[0:3], 0 offset:448
	;; [unrolled: 1-line block ×4, first 2 shown]
	s_waitcnt vmcnt(30)
	v_fma_f64 v[117:118], v[127:128], v[119:120], v[117:118]
	s_clause 0x1
	buffer_load_dword v127, off, s[0:3], 0 offset:312
	buffer_load_dword v128, off, s[0:3], 0 offset:316
	s_waitcnt vmcnt(30) lgkmcnt(0)
	v_fma_f64 v[117:118], v[129:130], v[121:122], v[117:118]
	s_waitcnt vmcnt(28)
	v_fma_f64 v[129:130], v[131:132], v[123:124], v[117:118]
	ds_read_b128 v[117:120], v116 offset:816
	ds_read_b128 v[121:124], v116 offset:832
	s_waitcnt vmcnt(26) lgkmcnt(1)
	v_fma_f64 v[117:118], v[133:134], v[117:118], v[129:130]
	s_waitcnt vmcnt(24)
	v_fma_f64 v[117:118], v[135:136], v[119:120], v[117:118]
	s_waitcnt vmcnt(22) lgkmcnt(0)
	v_fma_f64 v[117:118], v[137:138], v[121:122], v[117:118]
	s_waitcnt vmcnt(17)
	v_fma_f64 v[129:130], v[139:140], v[123:124], v[117:118]
	ds_read_b128 v[117:120], v116 offset:848
	ds_read_b128 v[121:124], v116 offset:864
	s_waitcnt vmcnt(16) lgkmcnt(1)
	v_fma_f64 v[117:118], v[145:146], v[117:118], v[129:130]
	s_waitcnt vmcnt(15)
	v_fma_f64 v[117:118], v[143:144], v[119:120], v[117:118]
	;; [unrolled: 10-line block ×3, first 2 shown]
	ds_read_b64 v[119:120], v116 offset:912
	s_waitcnt vmcnt(6) lgkmcnt(1)
	v_fma_f64 v[117:118], v[149:150], v[121:122], v[117:118]
	s_waitcnt vmcnt(3)
	v_fma_f64 v[117:118], v[125:126], v[123:124], v[117:118]
	s_waitcnt vmcnt(2) lgkmcnt(0)
	v_fma_f64 v[117:118], v[155:156], v[119:120], v[117:118]
	s_waitcnt vmcnt(0)
	v_add_f64 v[117:118], v[127:128], -v[117:118]
	buffer_store_dword v118, off, s[0:3], 0 offset:316
	buffer_store_dword v117, off, s[0:3], 0 offset:312
	v_cmpx_lt_u32_e32 38, v0
	s_cbranch_execz .LBB120_275
; %bb.274:
	s_clause 0x1
	buffer_load_dword v117, off, s[0:3], 0 offset:304
	buffer_load_dword v118, off, s[0:3], 0 offset:308
	buffer_store_dword v116, off, s[0:3], 0 offset:304
	buffer_store_dword v116, off, s[0:3], 0 offset:308
	s_waitcnt vmcnt(0)
	ds_write_b64 v115, v[117:118]
.LBB120_275:
	s_or_b32 exec_lo, exec_lo, s4
	s_waitcnt lgkmcnt(0)
	s_waitcnt_vscnt null, 0x0
	s_barrier
	buffer_gl0_inv
	s_clause 0x1c
	buffer_load_dword v125, off, s[0:3], 0 offset:312
	buffer_load_dword v126, off, s[0:3], 0 offset:316
	;; [unrolled: 1-line block ×29, first 2 shown]
	ds_read2_b64 v[117:120], v116 offset0:97 offset1:98
	ds_read2_b64 v[121:124], v116 offset0:99 offset1:100
	buffer_load_dword v150, off, s[0:3], 0 offset:428
	s_mov_b32 s4, exec_lo
	s_waitcnt vmcnt(28) lgkmcnt(1)
	v_fma_f64 v[117:118], v[125:126], v[117:118], 0
	s_clause 0x5
	buffer_load_dword v126, off, s[0:3], 0 offset:436
	buffer_load_dword v155, off, s[0:3], 0 offset:448
	;; [unrolled: 1-line block ×6, first 2 shown]
	s_waitcnt vmcnt(32)
	v_fma_f64 v[117:118], v[127:128], v[119:120], v[117:118]
	s_waitcnt vmcnt(30) lgkmcnt(0)
	v_fma_f64 v[117:118], v[129:130], v[121:122], v[117:118]
	s_waitcnt vmcnt(28)
	v_fma_f64 v[127:128], v[131:132], v[123:124], v[117:118]
	ds_read2_b64 v[117:120], v116 offset0:101 offset1:102
	s_clause 0x1
	buffer_load_dword v129, off, s[0:3], 0 offset:304
	buffer_load_dword v130, off, s[0:3], 0 offset:308
	ds_read2_b64 v[121:124], v116 offset0:103 offset1:104
	s_waitcnt vmcnt(28) lgkmcnt(1)
	v_fma_f64 v[117:118], v[133:134], v[117:118], v[127:128]
	s_waitcnt vmcnt(26)
	v_fma_f64 v[117:118], v[135:136], v[119:120], v[117:118]
	s_waitcnt vmcnt(24) lgkmcnt(0)
	v_fma_f64 v[117:118], v[137:138], v[121:122], v[117:118]
	s_waitcnt vmcnt(19)
	v_fma_f64 v[127:128], v[139:140], v[123:124], v[117:118]
	ds_read2_b64 v[117:120], v116 offset0:105 offset1:106
	ds_read2_b64 v[121:124], v116 offset0:107 offset1:108
	s_waitcnt vmcnt(18) lgkmcnt(1)
	v_fma_f64 v[117:118], v[145:146], v[117:118], v[127:128]
	s_waitcnt vmcnt(17)
	v_fma_f64 v[117:118], v[143:144], v[119:120], v[117:118]
	s_waitcnt vmcnt(16) lgkmcnt(0)
	v_fma_f64 v[117:118], v[141:142], v[121:122], v[117:118]
	s_waitcnt vmcnt(11)
	v_fma_f64 v[127:128], v[147:148], v[123:124], v[117:118]
	ds_read2_b64 v[117:120], v116 offset0:109 offset1:110
	;; [unrolled: 10-line block ×3, first 2 shown]
	s_waitcnt vmcnt(3) lgkmcnt(0)
	v_fma_f64 v[116:117], v[157:158], v[116:117], v[120:121]
	s_waitcnt vmcnt(2)
	v_fma_f64 v[116:117], v[155:156], v[118:119], v[116:117]
	s_waitcnt vmcnt(0)
	v_add_f64 v[116:117], v[129:130], -v[116:117]
	buffer_store_dword v117, off, s[0:3], 0 offset:308
	buffer_store_dword v116, off, s[0:3], 0 offset:304
	v_cmpx_lt_u32_e32 37, v0
	s_cbranch_execz .LBB120_277
; %bb.276:
	s_clause 0x1
	buffer_load_dword v116, off, s[0:3], 0 offset:296
	buffer_load_dword v117, off, s[0:3], 0 offset:300
	v_mov_b32_e32 v118, 0
	buffer_store_dword v118, off, s[0:3], 0 offset:296
	buffer_store_dword v118, off, s[0:3], 0 offset:300
	s_waitcnt vmcnt(0)
	ds_write_b64 v115, v[116:117]
.LBB120_277:
	s_or_b32 exec_lo, exec_lo, s4
	s_waitcnt lgkmcnt(0)
	s_waitcnt_vscnt null, 0x0
	s_barrier
	buffer_gl0_inv
	s_clause 0x1c
	buffer_load_dword v125, off, s[0:3], 0 offset:304
	buffer_load_dword v126, off, s[0:3], 0 offset:308
	;; [unrolled: 1-line block ×29, first 2 shown]
	v_mov_b32_e32 v116, 0
	buffer_load_dword v150, off, s[0:3], 0 offset:420
	s_mov_b32 s4, exec_lo
	ds_read_b128 v[117:120], v116 offset:768
	ds_read_b128 v[121:124], v116 offset:784
	s_waitcnt vmcnt(28) lgkmcnt(1)
	v_fma_f64 v[117:118], v[125:126], v[117:118], 0
	s_clause 0x7
	buffer_load_dword v126, off, s[0:3], 0 offset:428
	buffer_load_dword v155, off, s[0:3], 0 offset:448
	buffer_load_dword v157, off, s[0:3], 0 offset:440
	buffer_load_dword v159, off, s[0:3], 0 offset:432
	buffer_load_dword v125, off, s[0:3], 0 offset:424
	buffer_load_dword v160, off, s[0:3], 0 offset:436
	buffer_load_dword v158, off, s[0:3], 0 offset:444
	buffer_load_dword v156, off, s[0:3], 0 offset:452
	s_waitcnt vmcnt(34)
	v_fma_f64 v[117:118], v[127:128], v[119:120], v[117:118]
	s_waitcnt vmcnt(32) lgkmcnt(0)
	v_fma_f64 v[117:118], v[129:130], v[121:122], v[117:118]
	s_waitcnt vmcnt(30)
	v_fma_f64 v[127:128], v[131:132], v[123:124], v[117:118]
	ds_read_b128 v[117:120], v116 offset:800
	ds_read_b128 v[121:124], v116 offset:816
	s_waitcnt vmcnt(28) lgkmcnt(1)
	v_fma_f64 v[117:118], v[133:134], v[117:118], v[127:128]
	s_clause 0x1
	buffer_load_dword v127, off, s[0:3], 0 offset:296
	buffer_load_dword v128, off, s[0:3], 0 offset:300
	s_waitcnt vmcnt(28)
	v_fma_f64 v[117:118], v[135:136], v[119:120], v[117:118]
	s_waitcnt vmcnt(26) lgkmcnt(0)
	v_fma_f64 v[117:118], v[137:138], v[121:122], v[117:118]
	s_waitcnt vmcnt(21)
	v_fma_f64 v[129:130], v[139:140], v[123:124], v[117:118]
	ds_read_b128 v[117:120], v116 offset:832
	ds_read_b128 v[121:124], v116 offset:848
	s_waitcnt vmcnt(20) lgkmcnt(1)
	v_fma_f64 v[117:118], v[145:146], v[117:118], v[129:130]
	s_waitcnt vmcnt(19)
	v_fma_f64 v[117:118], v[143:144], v[119:120], v[117:118]
	s_waitcnt vmcnt(18) lgkmcnt(0)
	v_fma_f64 v[117:118], v[141:142], v[121:122], v[117:118]
	s_waitcnt vmcnt(13)
	v_fma_f64 v[129:130], v[147:148], v[123:124], v[117:118]
	ds_read_b128 v[117:120], v116 offset:864
	ds_read_b128 v[121:124], v116 offset:880
	s_waitcnt vmcnt(12) lgkmcnt(1)
	v_fma_f64 v[117:118], v[153:154], v[117:118], v[129:130]
	s_waitcnt vmcnt(11)
	v_fma_f64 v[117:118], v[151:152], v[119:120], v[117:118]
	s_waitcnt vmcnt(10) lgkmcnt(0)
	v_fma_f64 v[117:118], v[149:150], v[121:122], v[117:118]
	s_waitcnt vmcnt(5)
	v_fma_f64 v[121:122], v[125:126], v[123:124], v[117:118]
	ds_read_b128 v[117:120], v116 offset:896
	ds_read_b64 v[123:124], v116 offset:912
	s_waitcnt vmcnt(4) lgkmcnt(1)
	v_fma_f64 v[117:118], v[159:160], v[117:118], v[121:122]
	s_waitcnt vmcnt(3)
	v_fma_f64 v[117:118], v[157:158], v[119:120], v[117:118]
	s_waitcnt vmcnt(2) lgkmcnt(0)
	v_fma_f64 v[117:118], v[155:156], v[123:124], v[117:118]
	s_waitcnt vmcnt(0)
	v_add_f64 v[117:118], v[127:128], -v[117:118]
	buffer_store_dword v118, off, s[0:3], 0 offset:300
	buffer_store_dword v117, off, s[0:3], 0 offset:296
	v_cmpx_lt_u32_e32 36, v0
	s_cbranch_execz .LBB120_279
; %bb.278:
	s_clause 0x1
	buffer_load_dword v117, off, s[0:3], 0 offset:288
	buffer_load_dword v118, off, s[0:3], 0 offset:292
	buffer_store_dword v116, off, s[0:3], 0 offset:288
	buffer_store_dword v116, off, s[0:3], 0 offset:292
	s_waitcnt vmcnt(0)
	ds_write_b64 v115, v[117:118]
.LBB120_279:
	s_or_b32 exec_lo, exec_lo, s4
	s_waitcnt lgkmcnt(0)
	s_waitcnt_vscnt null, 0x0
	s_barrier
	buffer_gl0_inv
	s_clause 0x1c
	buffer_load_dword v125, off, s[0:3], 0 offset:296
	buffer_load_dword v126, off, s[0:3], 0 offset:300
	;; [unrolled: 1-line block ×29, first 2 shown]
	ds_read2_b64 v[117:120], v116 offset0:95 offset1:96
	ds_read2_b64 v[121:124], v116 offset0:97 offset1:98
	buffer_load_dword v150, off, s[0:3], 0 offset:412
	s_mov_b32 s4, exec_lo
	s_waitcnt vmcnt(28) lgkmcnt(1)
	v_fma_f64 v[117:118], v[125:126], v[117:118], 0
	s_clause 0x7
	buffer_load_dword v126, off, s[0:3], 0 offset:420
	buffer_load_dword v155, off, s[0:3], 0 offset:440
	;; [unrolled: 1-line block ×8, first 2 shown]
	s_waitcnt vmcnt(34)
	v_fma_f64 v[117:118], v[127:128], v[119:120], v[117:118]
	s_waitcnt vmcnt(32) lgkmcnt(0)
	v_fma_f64 v[117:118], v[129:130], v[121:122], v[117:118]
	s_waitcnt vmcnt(30)
	v_fma_f64 v[127:128], v[131:132], v[123:124], v[117:118]
	ds_read2_b64 v[117:120], v116 offset0:99 offset1:100
	ds_read2_b64 v[121:124], v116 offset0:101 offset1:102
	s_waitcnt vmcnt(28) lgkmcnt(1)
	v_fma_f64 v[117:118], v[133:134], v[117:118], v[127:128]
	s_clause 0x3
	buffer_load_dword v128, off, s[0:3], 0 offset:452
	buffer_load_dword v127, off, s[0:3], 0 offset:448
	;; [unrolled: 1-line block ×4, first 2 shown]
	s_waitcnt vmcnt(30)
	v_fma_f64 v[117:118], v[135:136], v[119:120], v[117:118]
	s_waitcnt vmcnt(28) lgkmcnt(0)
	v_fma_f64 v[117:118], v[137:138], v[121:122], v[117:118]
	s_waitcnt vmcnt(23)
	v_fma_f64 v[131:132], v[139:140], v[123:124], v[117:118]
	ds_read2_b64 v[117:120], v116 offset0:103 offset1:104
	ds_read2_b64 v[121:124], v116 offset0:105 offset1:106
	s_waitcnt vmcnt(22) lgkmcnt(1)
	v_fma_f64 v[117:118], v[145:146], v[117:118], v[131:132]
	s_waitcnt vmcnt(21)
	v_fma_f64 v[117:118], v[143:144], v[119:120], v[117:118]
	s_waitcnt vmcnt(20) lgkmcnt(0)
	v_fma_f64 v[117:118], v[141:142], v[121:122], v[117:118]
	s_waitcnt vmcnt(15)
	v_fma_f64 v[131:132], v[147:148], v[123:124], v[117:118]
	ds_read2_b64 v[117:120], v116 offset0:107 offset1:108
	ds_read2_b64 v[121:124], v116 offset0:109 offset1:110
	s_waitcnt vmcnt(14) lgkmcnt(1)
	v_fma_f64 v[117:118], v[153:154], v[117:118], v[131:132]
	;; [unrolled: 10-line block ×3, first 2 shown]
	s_waitcnt vmcnt(5)
	v_fma_f64 v[116:117], v[157:158], v[119:120], v[116:117]
	s_waitcnt vmcnt(4) lgkmcnt(0)
	v_fma_f64 v[116:117], v[155:156], v[121:122], v[116:117]
	s_waitcnt vmcnt(2)
	v_fma_f64 v[116:117], v[127:128], v[123:124], v[116:117]
	s_waitcnt vmcnt(0)
	v_add_f64 v[116:117], v[129:130], -v[116:117]
	buffer_store_dword v117, off, s[0:3], 0 offset:292
	buffer_store_dword v116, off, s[0:3], 0 offset:288
	v_cmpx_lt_u32_e32 35, v0
	s_cbranch_execz .LBB120_281
; %bb.280:
	s_clause 0x1
	buffer_load_dword v116, off, s[0:3], 0 offset:280
	buffer_load_dword v117, off, s[0:3], 0 offset:284
	v_mov_b32_e32 v118, 0
	buffer_store_dword v118, off, s[0:3], 0 offset:280
	buffer_store_dword v118, off, s[0:3], 0 offset:284
	s_waitcnt vmcnt(0)
	ds_write_b64 v115, v[116:117]
.LBB120_281:
	s_or_b32 exec_lo, exec_lo, s4
	s_waitcnt lgkmcnt(0)
	s_waitcnt_vscnt null, 0x0
	s_barrier
	buffer_gl0_inv
	s_clause 0x1c
	buffer_load_dword v125, off, s[0:3], 0 offset:288
	buffer_load_dword v126, off, s[0:3], 0 offset:292
	;; [unrolled: 1-line block ×29, first 2 shown]
	v_mov_b32_e32 v116, 0
	buffer_load_dword v150, off, s[0:3], 0 offset:404
	s_mov_b32 s4, exec_lo
	ds_read_b128 v[117:120], v116 offset:752
	ds_read_b128 v[121:124], v116 offset:768
	s_waitcnt vmcnt(28) lgkmcnt(1)
	v_fma_f64 v[117:118], v[125:126], v[117:118], 0
	s_clause 0x7
	buffer_load_dword v126, off, s[0:3], 0 offset:412
	buffer_load_dword v155, off, s[0:3], 0 offset:432
	;; [unrolled: 1-line block ×8, first 2 shown]
	s_waitcnt vmcnt(34)
	v_fma_f64 v[117:118], v[127:128], v[119:120], v[117:118]
	s_waitcnt vmcnt(32) lgkmcnt(0)
	v_fma_f64 v[117:118], v[129:130], v[121:122], v[117:118]
	s_waitcnt vmcnt(30)
	v_fma_f64 v[127:128], v[131:132], v[123:124], v[117:118]
	ds_read_b128 v[117:120], v116 offset:784
	ds_read_b128 v[121:124], v116 offset:800
	s_waitcnt vmcnt(28) lgkmcnt(1)
	v_fma_f64 v[117:118], v[133:134], v[117:118], v[127:128]
	s_clause 0x5
	buffer_load_dword v128, off, s[0:3], 0 offset:444
	buffer_load_dword v129, off, s[0:3], 0 offset:448
	buffer_load_dword v127, off, s[0:3], 0 offset:440
	buffer_load_dword v130, off, s[0:3], 0 offset:452
	buffer_load_dword v131, off, s[0:3], 0 offset:280
	buffer_load_dword v132, off, s[0:3], 0 offset:284
	s_waitcnt vmcnt(32)
	v_fma_f64 v[117:118], v[135:136], v[119:120], v[117:118]
	s_waitcnt vmcnt(30) lgkmcnt(0)
	v_fma_f64 v[117:118], v[137:138], v[121:122], v[117:118]
	s_waitcnt vmcnt(25)
	v_fma_f64 v[133:134], v[139:140], v[123:124], v[117:118]
	ds_read_b128 v[117:120], v116 offset:816
	ds_read_b128 v[121:124], v116 offset:832
	s_waitcnt vmcnt(24) lgkmcnt(1)
	v_fma_f64 v[117:118], v[145:146], v[117:118], v[133:134]
	s_waitcnt vmcnt(23)
	v_fma_f64 v[117:118], v[143:144], v[119:120], v[117:118]
	s_waitcnt vmcnt(22) lgkmcnt(0)
	v_fma_f64 v[117:118], v[141:142], v[121:122], v[117:118]
	s_waitcnt vmcnt(17)
	v_fma_f64 v[133:134], v[147:148], v[123:124], v[117:118]
	ds_read_b128 v[117:120], v116 offset:848
	ds_read_b128 v[121:124], v116 offset:864
	s_waitcnt vmcnt(16) lgkmcnt(1)
	v_fma_f64 v[117:118], v[153:154], v[117:118], v[133:134]
	;; [unrolled: 10-line block ×3, first 2 shown]
	s_waitcnt vmcnt(7)
	v_fma_f64 v[117:118], v[157:158], v[119:120], v[117:118]
	ds_read_b64 v[119:120], v116 offset:912
	s_waitcnt vmcnt(6) lgkmcnt(1)
	v_fma_f64 v[117:118], v[155:156], v[121:122], v[117:118]
	s_waitcnt vmcnt(3)
	v_fma_f64 v[117:118], v[127:128], v[123:124], v[117:118]
	s_waitcnt vmcnt(2) lgkmcnt(0)
	v_fma_f64 v[117:118], v[129:130], v[119:120], v[117:118]
	s_waitcnt vmcnt(0)
	v_add_f64 v[117:118], v[131:132], -v[117:118]
	buffer_store_dword v118, off, s[0:3], 0 offset:284
	buffer_store_dword v117, off, s[0:3], 0 offset:280
	v_cmpx_lt_u32_e32 34, v0
	s_cbranch_execz .LBB120_283
; %bb.282:
	s_clause 0x1
	buffer_load_dword v117, off, s[0:3], 0 offset:272
	buffer_load_dword v118, off, s[0:3], 0 offset:276
	buffer_store_dword v116, off, s[0:3], 0 offset:272
	buffer_store_dword v116, off, s[0:3], 0 offset:276
	s_waitcnt vmcnt(0)
	ds_write_b64 v115, v[117:118]
.LBB120_283:
	s_or_b32 exec_lo, exec_lo, s4
	s_waitcnt lgkmcnt(0)
	s_waitcnt_vscnt null, 0x0
	s_barrier
	buffer_gl0_inv
	s_clause 0x1c
	buffer_load_dword v125, off, s[0:3], 0 offset:280
	buffer_load_dword v126, off, s[0:3], 0 offset:284
	buffer_load_dword v127, off, s[0:3], 0 offset:288
	buffer_load_dword v128, off, s[0:3], 0 offset:292
	buffer_load_dword v129, off, s[0:3], 0 offset:296
	buffer_load_dword v130, off, s[0:3], 0 offset:300
	buffer_load_dword v131, off, s[0:3], 0 offset:304
	buffer_load_dword v132, off, s[0:3], 0 offset:308
	buffer_load_dword v133, off, s[0:3], 0 offset:312
	buffer_load_dword v134, off, s[0:3], 0 offset:316
	buffer_load_dword v135, off, s[0:3], 0 offset:320
	buffer_load_dword v136, off, s[0:3], 0 offset:324
	buffer_load_dword v137, off, s[0:3], 0 offset:328
	buffer_load_dword v138, off, s[0:3], 0 offset:332
	buffer_load_dword v140, off, s[0:3], 0 offset:340
	buffer_load_dword v141, off, s[0:3], 0 offset:360
	buffer_load_dword v143, off, s[0:3], 0 offset:352
	buffer_load_dword v145, off, s[0:3], 0 offset:344
	buffer_load_dword v139, off, s[0:3], 0 offset:336
	buffer_load_dword v146, off, s[0:3], 0 offset:348
	buffer_load_dword v144, off, s[0:3], 0 offset:356
	buffer_load_dword v142, off, s[0:3], 0 offset:364
	buffer_load_dword v148, off, s[0:3], 0 offset:372
	buffer_load_dword v149, off, s[0:3], 0 offset:392
	buffer_load_dword v151, off, s[0:3], 0 offset:384
	buffer_load_dword v153, off, s[0:3], 0 offset:376
	buffer_load_dword v147, off, s[0:3], 0 offset:368
	buffer_load_dword v154, off, s[0:3], 0 offset:380
	buffer_load_dword v152, off, s[0:3], 0 offset:388
	ds_read2_b64 v[117:120], v116 offset0:93 offset1:94
	ds_read2_b64 v[121:124], v116 offset0:95 offset1:96
	buffer_load_dword v150, off, s[0:3], 0 offset:396
	s_mov_b32 s4, exec_lo
	s_waitcnt vmcnt(28) lgkmcnt(1)
	v_fma_f64 v[117:118], v[125:126], v[117:118], 0
	s_clause 0x7
	buffer_load_dword v126, off, s[0:3], 0 offset:404
	buffer_load_dword v155, off, s[0:3], 0 offset:424
	;; [unrolled: 1-line block ×8, first 2 shown]
	s_waitcnt vmcnt(34)
	v_fma_f64 v[117:118], v[127:128], v[119:120], v[117:118]
	s_waitcnt vmcnt(32) lgkmcnt(0)
	v_fma_f64 v[117:118], v[129:130], v[121:122], v[117:118]
	s_waitcnt vmcnt(30)
	v_fma_f64 v[127:128], v[131:132], v[123:124], v[117:118]
	ds_read2_b64 v[117:120], v116 offset0:97 offset1:98
	ds_read2_b64 v[121:124], v116 offset0:99 offset1:100
	s_waitcnt vmcnt(28) lgkmcnt(1)
	v_fma_f64 v[117:118], v[133:134], v[117:118], v[127:128]
	s_clause 0x5
	buffer_load_dword v128, off, s[0:3], 0 offset:436
	buffer_load_dword v129, off, s[0:3], 0 offset:448
	;; [unrolled: 1-line block ×6, first 2 shown]
	s_waitcnt vmcnt(32)
	v_fma_f64 v[117:118], v[135:136], v[119:120], v[117:118]
	s_waitcnt vmcnt(30) lgkmcnt(0)
	v_fma_f64 v[117:118], v[137:138], v[121:122], v[117:118]
	s_waitcnt vmcnt(25)
	v_fma_f64 v[133:134], v[139:140], v[123:124], v[117:118]
	ds_read2_b64 v[117:120], v116 offset0:101 offset1:102
	s_clause 0x1
	buffer_load_dword v135, off, s[0:3], 0 offset:272
	buffer_load_dword v136, off, s[0:3], 0 offset:276
	ds_read2_b64 v[121:124], v116 offset0:103 offset1:104
	s_waitcnt vmcnt(26) lgkmcnt(1)
	v_fma_f64 v[117:118], v[145:146], v[117:118], v[133:134]
	s_waitcnt vmcnt(25)
	v_fma_f64 v[117:118], v[143:144], v[119:120], v[117:118]
	s_waitcnt vmcnt(24) lgkmcnt(0)
	v_fma_f64 v[117:118], v[141:142], v[121:122], v[117:118]
	s_waitcnt vmcnt(19)
	v_fma_f64 v[133:134], v[147:148], v[123:124], v[117:118]
	ds_read2_b64 v[117:120], v116 offset0:105 offset1:106
	ds_read2_b64 v[121:124], v116 offset0:107 offset1:108
	s_waitcnt vmcnt(18) lgkmcnt(1)
	v_fma_f64 v[117:118], v[153:154], v[117:118], v[133:134]
	s_waitcnt vmcnt(17)
	v_fma_f64 v[117:118], v[151:152], v[119:120], v[117:118]
	s_waitcnt vmcnt(16) lgkmcnt(0)
	v_fma_f64 v[117:118], v[149:150], v[121:122], v[117:118]
	s_waitcnt vmcnt(11)
	v_fma_f64 v[125:126], v[125:126], v[123:124], v[117:118]
	ds_read2_b64 v[117:120], v116 offset0:109 offset1:110
	;; [unrolled: 10-line block ×3, first 2 shown]
	s_waitcnt vmcnt(3) lgkmcnt(0)
	v_fma_f64 v[116:117], v[131:132], v[116:117], v[120:121]
	s_waitcnt vmcnt(2)
	v_fma_f64 v[116:117], v[129:130], v[118:119], v[116:117]
	s_waitcnt vmcnt(0)
	v_add_f64 v[116:117], v[135:136], -v[116:117]
	buffer_store_dword v117, off, s[0:3], 0 offset:276
	buffer_store_dword v116, off, s[0:3], 0 offset:272
	v_cmpx_lt_u32_e32 33, v0
	s_cbranch_execz .LBB120_285
; %bb.284:
	s_clause 0x1
	buffer_load_dword v116, off, s[0:3], 0 offset:264
	buffer_load_dword v117, off, s[0:3], 0 offset:268
	v_mov_b32_e32 v118, 0
	buffer_store_dword v118, off, s[0:3], 0 offset:264
	buffer_store_dword v118, off, s[0:3], 0 offset:268
	s_waitcnt vmcnt(0)
	ds_write_b64 v115, v[116:117]
.LBB120_285:
	s_or_b32 exec_lo, exec_lo, s4
	s_waitcnt lgkmcnt(0)
	s_waitcnt_vscnt null, 0x0
	s_barrier
	buffer_gl0_inv
	s_clause 0x1c
	buffer_load_dword v125, off, s[0:3], 0 offset:272
	buffer_load_dword v126, off, s[0:3], 0 offset:276
	;; [unrolled: 1-line block ×29, first 2 shown]
	v_mov_b32_e32 v116, 0
	buffer_load_dword v150, off, s[0:3], 0 offset:388
	s_mov_b32 s4, exec_lo
	ds_read_b128 v[117:120], v116 offset:736
	ds_read_b128 v[121:124], v116 offset:752
	s_waitcnt vmcnt(28) lgkmcnt(1)
	v_fma_f64 v[117:118], v[125:126], v[117:118], 0
	s_clause 0x7
	buffer_load_dword v126, off, s[0:3], 0 offset:396
	buffer_load_dword v155, off, s[0:3], 0 offset:416
	;; [unrolled: 1-line block ×8, first 2 shown]
	s_waitcnt vmcnt(34)
	v_fma_f64 v[117:118], v[127:128], v[119:120], v[117:118]
	s_waitcnt vmcnt(32) lgkmcnt(0)
	v_fma_f64 v[117:118], v[129:130], v[121:122], v[117:118]
	s_waitcnt vmcnt(30)
	v_fma_f64 v[127:128], v[131:132], v[123:124], v[117:118]
	ds_read_b128 v[117:120], v116 offset:768
	ds_read_b128 v[121:124], v116 offset:784
	s_waitcnt vmcnt(28) lgkmcnt(1)
	v_fma_f64 v[117:118], v[133:134], v[117:118], v[127:128]
	s_clause 0x7
	buffer_load_dword v128, off, s[0:3], 0 offset:428
	buffer_load_dword v129, off, s[0:3], 0 offset:448
	;; [unrolled: 1-line block ×8, first 2 shown]
	s_waitcnt vmcnt(34)
	v_fma_f64 v[117:118], v[135:136], v[119:120], v[117:118]
	s_waitcnt vmcnt(32) lgkmcnt(0)
	v_fma_f64 v[117:118], v[137:138], v[121:122], v[117:118]
	s_waitcnt vmcnt(27)
	v_fma_f64 v[135:136], v[139:140], v[123:124], v[117:118]
	ds_read_b128 v[117:120], v116 offset:800
	ds_read_b128 v[121:124], v116 offset:816
	s_waitcnt vmcnt(26) lgkmcnt(1)
	v_fma_f64 v[117:118], v[145:146], v[117:118], v[135:136]
	s_clause 0x1
	buffer_load_dword v135, off, s[0:3], 0 offset:264
	buffer_load_dword v136, off, s[0:3], 0 offset:268
	s_waitcnt vmcnt(27)
	v_fma_f64 v[117:118], v[143:144], v[119:120], v[117:118]
	s_waitcnt vmcnt(26) lgkmcnt(0)
	v_fma_f64 v[117:118], v[141:142], v[121:122], v[117:118]
	s_waitcnt vmcnt(21)
	v_fma_f64 v[137:138], v[147:148], v[123:124], v[117:118]
	ds_read_b128 v[117:120], v116 offset:832
	ds_read_b128 v[121:124], v116 offset:848
	s_waitcnt vmcnt(20) lgkmcnt(1)
	v_fma_f64 v[117:118], v[153:154], v[117:118], v[137:138]
	s_waitcnt vmcnt(19)
	v_fma_f64 v[117:118], v[151:152], v[119:120], v[117:118]
	s_waitcnt vmcnt(18) lgkmcnt(0)
	v_fma_f64 v[117:118], v[149:150], v[121:122], v[117:118]
	s_waitcnt vmcnt(13)
	v_fma_f64 v[125:126], v[125:126], v[123:124], v[117:118]
	ds_read_b128 v[117:120], v116 offset:864
	ds_read_b128 v[121:124], v116 offset:880
	s_waitcnt vmcnt(12) lgkmcnt(1)
	v_fma_f64 v[117:118], v[159:160], v[117:118], v[125:126]
	s_waitcnt vmcnt(11)
	v_fma_f64 v[117:118], v[157:158], v[119:120], v[117:118]
	s_waitcnt vmcnt(10) lgkmcnt(0)
	v_fma_f64 v[117:118], v[155:156], v[121:122], v[117:118]
	s_waitcnt vmcnt(5)
	v_fma_f64 v[121:122], v[127:128], v[123:124], v[117:118]
	ds_read_b128 v[117:120], v116 offset:896
	ds_read_b64 v[123:124], v116 offset:912
	s_waitcnt vmcnt(4) lgkmcnt(1)
	v_fma_f64 v[117:118], v[133:134], v[117:118], v[121:122]
	s_waitcnt vmcnt(3)
	v_fma_f64 v[117:118], v[131:132], v[119:120], v[117:118]
	s_waitcnt vmcnt(2) lgkmcnt(0)
	v_fma_f64 v[117:118], v[129:130], v[123:124], v[117:118]
	s_waitcnt vmcnt(0)
	v_add_f64 v[117:118], v[135:136], -v[117:118]
	buffer_store_dword v118, off, s[0:3], 0 offset:268
	buffer_store_dword v117, off, s[0:3], 0 offset:264
	v_cmpx_lt_u32_e32 32, v0
	s_cbranch_execz .LBB120_287
; %bb.286:
	s_clause 0x1
	buffer_load_dword v117, off, s[0:3], 0 offset:256
	buffer_load_dword v118, off, s[0:3], 0 offset:260
	buffer_store_dword v116, off, s[0:3], 0 offset:256
	buffer_store_dword v116, off, s[0:3], 0 offset:260
	s_waitcnt vmcnt(0)
	ds_write_b64 v115, v[117:118]
.LBB120_287:
	s_or_b32 exec_lo, exec_lo, s4
	s_waitcnt lgkmcnt(0)
	s_waitcnt_vscnt null, 0x0
	s_barrier
	buffer_gl0_inv
	s_clause 0x1c
	buffer_load_dword v125, off, s[0:3], 0 offset:264
	buffer_load_dword v126, off, s[0:3], 0 offset:268
	;; [unrolled: 1-line block ×29, first 2 shown]
	ds_read2_b64 v[117:120], v116 offset0:91 offset1:92
	ds_read2_b64 v[121:124], v116 offset0:93 offset1:94
	buffer_load_dword v150, off, s[0:3], 0 offset:380
	s_mov_b32 s4, exec_lo
	s_waitcnt vmcnt(28) lgkmcnt(1)
	v_fma_f64 v[117:118], v[125:126], v[117:118], 0
	s_clause 0x7
	buffer_load_dword v126, off, s[0:3], 0 offset:388
	buffer_load_dword v155, off, s[0:3], 0 offset:408
	;; [unrolled: 1-line block ×8, first 2 shown]
	s_waitcnt vmcnt(34)
	v_fma_f64 v[117:118], v[127:128], v[119:120], v[117:118]
	s_waitcnt vmcnt(32) lgkmcnt(0)
	v_fma_f64 v[117:118], v[129:130], v[121:122], v[117:118]
	s_waitcnt vmcnt(30)
	v_fma_f64 v[127:128], v[131:132], v[123:124], v[117:118]
	ds_read2_b64 v[117:120], v116 offset0:95 offset1:96
	ds_read2_b64 v[121:124], v116 offset0:97 offset1:98
	s_waitcnt vmcnt(28) lgkmcnt(1)
	v_fma_f64 v[117:118], v[133:134], v[117:118], v[127:128]
	s_clause 0x7
	buffer_load_dword v128, off, s[0:3], 0 offset:420
	buffer_load_dword v129, off, s[0:3], 0 offset:440
	;; [unrolled: 1-line block ×8, first 2 shown]
	s_waitcnt vmcnt(34)
	v_fma_f64 v[117:118], v[135:136], v[119:120], v[117:118]
	s_waitcnt vmcnt(32) lgkmcnt(0)
	v_fma_f64 v[117:118], v[137:138], v[121:122], v[117:118]
	s_waitcnt vmcnt(27)
	v_fma_f64 v[135:136], v[139:140], v[123:124], v[117:118]
	ds_read2_b64 v[117:120], v116 offset0:99 offset1:100
	ds_read2_b64 v[121:124], v116 offset0:101 offset1:102
	s_waitcnt vmcnt(26) lgkmcnt(1)
	v_fma_f64 v[117:118], v[145:146], v[117:118], v[135:136]
	s_clause 0x3
	buffer_load_dword v136, off, s[0:3], 0 offset:452
	buffer_load_dword v135, off, s[0:3], 0 offset:448
	;; [unrolled: 1-line block ×4, first 2 shown]
	s_waitcnt vmcnt(29)
	v_fma_f64 v[117:118], v[143:144], v[119:120], v[117:118]
	s_waitcnt vmcnt(28) lgkmcnt(0)
	v_fma_f64 v[117:118], v[141:142], v[121:122], v[117:118]
	s_waitcnt vmcnt(23)
	v_fma_f64 v[139:140], v[147:148], v[123:124], v[117:118]
	ds_read2_b64 v[117:120], v116 offset0:103 offset1:104
	ds_read2_b64 v[121:124], v116 offset0:105 offset1:106
	s_waitcnt vmcnt(22) lgkmcnt(1)
	v_fma_f64 v[117:118], v[153:154], v[117:118], v[139:140]
	s_waitcnt vmcnt(21)
	v_fma_f64 v[117:118], v[151:152], v[119:120], v[117:118]
	s_waitcnt vmcnt(20) lgkmcnt(0)
	v_fma_f64 v[117:118], v[149:150], v[121:122], v[117:118]
	s_waitcnt vmcnt(15)
	v_fma_f64 v[125:126], v[125:126], v[123:124], v[117:118]
	ds_read2_b64 v[117:120], v116 offset0:107 offset1:108
	ds_read2_b64 v[121:124], v116 offset0:109 offset1:110
	s_waitcnt vmcnt(14) lgkmcnt(1)
	v_fma_f64 v[117:118], v[159:160], v[117:118], v[125:126]
	;; [unrolled: 10-line block ×3, first 2 shown]
	s_waitcnt vmcnt(5)
	v_fma_f64 v[116:117], v[131:132], v[119:120], v[116:117]
	s_waitcnt vmcnt(4) lgkmcnt(0)
	v_fma_f64 v[116:117], v[129:130], v[121:122], v[116:117]
	s_waitcnt vmcnt(2)
	v_fma_f64 v[116:117], v[135:136], v[123:124], v[116:117]
	s_waitcnt vmcnt(0)
	v_add_f64 v[116:117], v[137:138], -v[116:117]
	buffer_store_dword v117, off, s[0:3], 0 offset:260
	buffer_store_dword v116, off, s[0:3], 0 offset:256
	v_cmpx_lt_u32_e32 31, v0
	s_cbranch_execz .LBB120_289
; %bb.288:
	s_clause 0x1
	buffer_load_dword v116, off, s[0:3], 0 offset:248
	buffer_load_dword v117, off, s[0:3], 0 offset:252
	v_mov_b32_e32 v118, 0
	buffer_store_dword v118, off, s[0:3], 0 offset:248
	buffer_store_dword v118, off, s[0:3], 0 offset:252
	s_waitcnt vmcnt(0)
	ds_write_b64 v115, v[116:117]
.LBB120_289:
	s_or_b32 exec_lo, exec_lo, s4
	s_waitcnt lgkmcnt(0)
	s_waitcnt_vscnt null, 0x0
	s_barrier
	buffer_gl0_inv
	s_clause 0x1c
	buffer_load_dword v125, off, s[0:3], 0 offset:256
	buffer_load_dword v126, off, s[0:3], 0 offset:260
	;; [unrolled: 1-line block ×29, first 2 shown]
	v_mov_b32_e32 v116, 0
	buffer_load_dword v150, off, s[0:3], 0 offset:372
	s_mov_b32 s4, exec_lo
	ds_read_b128 v[117:120], v116 offset:720
	ds_read_b128 v[121:124], v116 offset:736
	s_waitcnt vmcnt(28) lgkmcnt(1)
	v_fma_f64 v[117:118], v[125:126], v[117:118], 0
	s_clause 0x7
	buffer_load_dword v126, off, s[0:3], 0 offset:380
	buffer_load_dword v155, off, s[0:3], 0 offset:400
	buffer_load_dword v157, off, s[0:3], 0 offset:392
	buffer_load_dword v159, off, s[0:3], 0 offset:384
	buffer_load_dword v125, off, s[0:3], 0 offset:376
	buffer_load_dword v160, off, s[0:3], 0 offset:388
	buffer_load_dword v158, off, s[0:3], 0 offset:396
	buffer_load_dword v156, off, s[0:3], 0 offset:404
	s_waitcnt vmcnt(34)
	v_fma_f64 v[117:118], v[127:128], v[119:120], v[117:118]
	s_waitcnt vmcnt(32) lgkmcnt(0)
	v_fma_f64 v[117:118], v[129:130], v[121:122], v[117:118]
	s_waitcnt vmcnt(30)
	v_fma_f64 v[127:128], v[131:132], v[123:124], v[117:118]
	ds_read_b128 v[117:120], v116 offset:752
	ds_read_b128 v[121:124], v116 offset:768
	s_waitcnt vmcnt(28) lgkmcnt(1)
	v_fma_f64 v[117:118], v[133:134], v[117:118], v[127:128]
	s_clause 0x7
	buffer_load_dword v128, off, s[0:3], 0 offset:412
	buffer_load_dword v129, off, s[0:3], 0 offset:432
	;; [unrolled: 1-line block ×8, first 2 shown]
	s_waitcnt vmcnt(34)
	v_fma_f64 v[117:118], v[135:136], v[119:120], v[117:118]
	s_waitcnt vmcnt(32) lgkmcnt(0)
	v_fma_f64 v[117:118], v[137:138], v[121:122], v[117:118]
	s_waitcnt vmcnt(27)
	v_fma_f64 v[135:136], v[139:140], v[123:124], v[117:118]
	ds_read_b128 v[117:120], v116 offset:784
	ds_read_b128 v[121:124], v116 offset:800
	s_waitcnt vmcnt(26) lgkmcnt(1)
	v_fma_f64 v[117:118], v[145:146], v[117:118], v[135:136]
	s_clause 0x5
	buffer_load_dword v136, off, s[0:3], 0 offset:444
	buffer_load_dword v137, off, s[0:3], 0 offset:448
	;; [unrolled: 1-line block ×6, first 2 shown]
	s_waitcnt vmcnt(31)
	v_fma_f64 v[117:118], v[143:144], v[119:120], v[117:118]
	s_waitcnt vmcnt(30) lgkmcnt(0)
	v_fma_f64 v[117:118], v[141:142], v[121:122], v[117:118]
	s_waitcnt vmcnt(25)
	v_fma_f64 v[141:142], v[147:148], v[123:124], v[117:118]
	ds_read_b128 v[117:120], v116 offset:816
	ds_read_b128 v[121:124], v116 offset:832
	s_waitcnt vmcnt(24) lgkmcnt(1)
	v_fma_f64 v[117:118], v[153:154], v[117:118], v[141:142]
	s_waitcnt vmcnt(23)
	v_fma_f64 v[117:118], v[151:152], v[119:120], v[117:118]
	s_waitcnt vmcnt(22) lgkmcnt(0)
	v_fma_f64 v[117:118], v[149:150], v[121:122], v[117:118]
	s_waitcnt vmcnt(17)
	v_fma_f64 v[125:126], v[125:126], v[123:124], v[117:118]
	ds_read_b128 v[117:120], v116 offset:848
	ds_read_b128 v[121:124], v116 offset:864
	s_waitcnt vmcnt(16) lgkmcnt(1)
	v_fma_f64 v[117:118], v[159:160], v[117:118], v[125:126]
	;; [unrolled: 10-line block ×3, first 2 shown]
	s_waitcnt vmcnt(7)
	v_fma_f64 v[117:118], v[131:132], v[119:120], v[117:118]
	ds_read_b64 v[119:120], v116 offset:912
	s_waitcnt vmcnt(6) lgkmcnt(1)
	v_fma_f64 v[117:118], v[129:130], v[121:122], v[117:118]
	s_waitcnt vmcnt(3)
	v_fma_f64 v[117:118], v[135:136], v[123:124], v[117:118]
	s_waitcnt vmcnt(2) lgkmcnt(0)
	v_fma_f64 v[117:118], v[137:138], v[119:120], v[117:118]
	s_waitcnt vmcnt(0)
	v_add_f64 v[117:118], v[139:140], -v[117:118]
	buffer_store_dword v118, off, s[0:3], 0 offset:252
	buffer_store_dword v117, off, s[0:3], 0 offset:248
	v_cmpx_lt_u32_e32 30, v0
	s_cbranch_execz .LBB120_291
; %bb.290:
	s_clause 0x1
	buffer_load_dword v117, off, s[0:3], 0 offset:240
	buffer_load_dword v118, off, s[0:3], 0 offset:244
	buffer_store_dword v116, off, s[0:3], 0 offset:240
	buffer_store_dword v116, off, s[0:3], 0 offset:244
	s_waitcnt vmcnt(0)
	ds_write_b64 v115, v[117:118]
.LBB120_291:
	s_or_b32 exec_lo, exec_lo, s4
	s_waitcnt lgkmcnt(0)
	s_waitcnt_vscnt null, 0x0
	s_barrier
	buffer_gl0_inv
	s_clause 0x1c
	buffer_load_dword v125, off, s[0:3], 0 offset:248
	buffer_load_dword v126, off, s[0:3], 0 offset:252
	;; [unrolled: 1-line block ×29, first 2 shown]
	ds_read2_b64 v[117:120], v116 offset0:89 offset1:90
	ds_read2_b64 v[121:124], v116 offset0:91 offset1:92
	buffer_load_dword v150, off, s[0:3], 0 offset:364
	s_mov_b32 s4, exec_lo
	s_waitcnt vmcnt(28) lgkmcnt(1)
	v_fma_f64 v[117:118], v[125:126], v[117:118], 0
	s_clause 0x7
	buffer_load_dword v126, off, s[0:3], 0 offset:372
	buffer_load_dword v155, off, s[0:3], 0 offset:392
	;; [unrolled: 1-line block ×8, first 2 shown]
	s_waitcnt vmcnt(34)
	v_fma_f64 v[117:118], v[127:128], v[119:120], v[117:118]
	s_waitcnt vmcnt(32) lgkmcnt(0)
	v_fma_f64 v[117:118], v[129:130], v[121:122], v[117:118]
	s_waitcnt vmcnt(30)
	v_fma_f64 v[127:128], v[131:132], v[123:124], v[117:118]
	ds_read2_b64 v[117:120], v116 offset0:93 offset1:94
	ds_read2_b64 v[121:124], v116 offset0:95 offset1:96
	s_waitcnt vmcnt(28) lgkmcnt(1)
	v_fma_f64 v[117:118], v[133:134], v[117:118], v[127:128]
	s_clause 0x7
	buffer_load_dword v128, off, s[0:3], 0 offset:404
	buffer_load_dword v129, off, s[0:3], 0 offset:424
	;; [unrolled: 1-line block ×8, first 2 shown]
	s_waitcnt vmcnt(34)
	v_fma_f64 v[117:118], v[135:136], v[119:120], v[117:118]
	s_waitcnt vmcnt(32) lgkmcnt(0)
	v_fma_f64 v[117:118], v[137:138], v[121:122], v[117:118]
	s_waitcnt vmcnt(27)
	v_fma_f64 v[135:136], v[139:140], v[123:124], v[117:118]
	ds_read2_b64 v[117:120], v116 offset0:97 offset1:98
	ds_read2_b64 v[121:124], v116 offset0:99 offset1:100
	s_waitcnt vmcnt(26) lgkmcnt(1)
	v_fma_f64 v[117:118], v[145:146], v[117:118], v[135:136]
	s_clause 0x5
	buffer_load_dword v136, off, s[0:3], 0 offset:436
	buffer_load_dword v137, off, s[0:3], 0 offset:448
	;; [unrolled: 1-line block ×6, first 2 shown]
	s_waitcnt vmcnt(31)
	v_fma_f64 v[117:118], v[143:144], v[119:120], v[117:118]
	s_waitcnt vmcnt(30) lgkmcnt(0)
	v_fma_f64 v[117:118], v[141:142], v[121:122], v[117:118]
	s_waitcnt vmcnt(25)
	v_fma_f64 v[141:142], v[147:148], v[123:124], v[117:118]
	ds_read2_b64 v[117:120], v116 offset0:101 offset1:102
	s_clause 0x1
	buffer_load_dword v143, off, s[0:3], 0 offset:240
	buffer_load_dword v144, off, s[0:3], 0 offset:244
	ds_read2_b64 v[121:124], v116 offset0:103 offset1:104
	s_waitcnt vmcnt(26) lgkmcnt(1)
	v_fma_f64 v[117:118], v[153:154], v[117:118], v[141:142]
	s_waitcnt vmcnt(25)
	v_fma_f64 v[117:118], v[151:152], v[119:120], v[117:118]
	s_waitcnt vmcnt(24) lgkmcnt(0)
	v_fma_f64 v[117:118], v[149:150], v[121:122], v[117:118]
	s_waitcnt vmcnt(19)
	v_fma_f64 v[125:126], v[125:126], v[123:124], v[117:118]
	ds_read2_b64 v[117:120], v116 offset0:105 offset1:106
	ds_read2_b64 v[121:124], v116 offset0:107 offset1:108
	s_waitcnt vmcnt(18) lgkmcnt(1)
	v_fma_f64 v[117:118], v[159:160], v[117:118], v[125:126]
	s_waitcnt vmcnt(17)
	v_fma_f64 v[117:118], v[157:158], v[119:120], v[117:118]
	s_waitcnt vmcnt(16) lgkmcnt(0)
	v_fma_f64 v[117:118], v[155:156], v[121:122], v[117:118]
	s_waitcnt vmcnt(11)
	v_fma_f64 v[125:126], v[127:128], v[123:124], v[117:118]
	ds_read2_b64 v[117:120], v116 offset0:109 offset1:110
	;; [unrolled: 10-line block ×3, first 2 shown]
	s_waitcnt vmcnt(3) lgkmcnt(0)
	v_fma_f64 v[116:117], v[139:140], v[116:117], v[120:121]
	s_waitcnt vmcnt(2)
	v_fma_f64 v[116:117], v[137:138], v[118:119], v[116:117]
	s_waitcnt vmcnt(0)
	v_add_f64 v[116:117], v[143:144], -v[116:117]
	buffer_store_dword v117, off, s[0:3], 0 offset:244
	buffer_store_dword v116, off, s[0:3], 0 offset:240
	v_cmpx_lt_u32_e32 29, v0
	s_cbranch_execz .LBB120_293
; %bb.292:
	s_clause 0x1
	buffer_load_dword v116, off, s[0:3], 0 offset:232
	buffer_load_dword v117, off, s[0:3], 0 offset:236
	v_mov_b32_e32 v118, 0
	buffer_store_dword v118, off, s[0:3], 0 offset:232
	buffer_store_dword v118, off, s[0:3], 0 offset:236
	s_waitcnt vmcnt(0)
	ds_write_b64 v115, v[116:117]
.LBB120_293:
	s_or_b32 exec_lo, exec_lo, s4
	s_waitcnt lgkmcnt(0)
	s_waitcnt_vscnt null, 0x0
	s_barrier
	buffer_gl0_inv
	s_clause 0x1c
	buffer_load_dword v125, off, s[0:3], 0 offset:240
	buffer_load_dword v126, off, s[0:3], 0 offset:244
	;; [unrolled: 1-line block ×29, first 2 shown]
	v_mov_b32_e32 v116, 0
	buffer_load_dword v150, off, s[0:3], 0 offset:356
	s_mov_b32 s4, exec_lo
	ds_read_b128 v[117:120], v116 offset:704
	ds_read_b128 v[121:124], v116 offset:720
	s_waitcnt vmcnt(28) lgkmcnt(1)
	v_fma_f64 v[117:118], v[125:126], v[117:118], 0
	s_clause 0x7
	buffer_load_dword v126, off, s[0:3], 0 offset:364
	buffer_load_dword v155, off, s[0:3], 0 offset:384
	buffer_load_dword v157, off, s[0:3], 0 offset:376
	buffer_load_dword v159, off, s[0:3], 0 offset:368
	buffer_load_dword v125, off, s[0:3], 0 offset:360
	buffer_load_dword v160, off, s[0:3], 0 offset:372
	buffer_load_dword v158, off, s[0:3], 0 offset:380
	buffer_load_dword v156, off, s[0:3], 0 offset:388
	s_waitcnt vmcnt(34)
	v_fma_f64 v[117:118], v[127:128], v[119:120], v[117:118]
	s_waitcnt vmcnt(32) lgkmcnt(0)
	v_fma_f64 v[117:118], v[129:130], v[121:122], v[117:118]
	s_waitcnt vmcnt(30)
	v_fma_f64 v[127:128], v[131:132], v[123:124], v[117:118]
	ds_read_b128 v[117:120], v116 offset:736
	ds_read_b128 v[121:124], v116 offset:752
	s_waitcnt vmcnt(28) lgkmcnt(1)
	v_fma_f64 v[117:118], v[133:134], v[117:118], v[127:128]
	s_clause 0x7
	buffer_load_dword v128, off, s[0:3], 0 offset:396
	buffer_load_dword v129, off, s[0:3], 0 offset:416
	buffer_load_dword v131, off, s[0:3], 0 offset:408
	buffer_load_dword v133, off, s[0:3], 0 offset:400
	buffer_load_dword v127, off, s[0:3], 0 offset:392
	buffer_load_dword v134, off, s[0:3], 0 offset:404
	buffer_load_dword v132, off, s[0:3], 0 offset:412
	buffer_load_dword v130, off, s[0:3], 0 offset:420
	s_waitcnt vmcnt(34)
	v_fma_f64 v[117:118], v[135:136], v[119:120], v[117:118]
	s_waitcnt vmcnt(32) lgkmcnt(0)
	v_fma_f64 v[117:118], v[137:138], v[121:122], v[117:118]
	s_waitcnt vmcnt(27)
	v_fma_f64 v[135:136], v[139:140], v[123:124], v[117:118]
	;; [unrolled: 19-line block ×3, first 2 shown]
	ds_read_b128 v[117:120], v116 offset:800
	ds_read_b128 v[121:124], v116 offset:816
	s_waitcnt vmcnt(26) lgkmcnt(1)
	v_fma_f64 v[117:118], v[153:154], v[117:118], v[141:142]
	s_clause 0x1
	buffer_load_dword v141, off, s[0:3], 0 offset:232
	buffer_load_dword v142, off, s[0:3], 0 offset:236
	s_waitcnt vmcnt(27)
	v_fma_f64 v[117:118], v[151:152], v[119:120], v[117:118]
	s_waitcnt vmcnt(26) lgkmcnt(0)
	v_fma_f64 v[117:118], v[149:150], v[121:122], v[117:118]
	s_waitcnt vmcnt(21)
	v_fma_f64 v[125:126], v[125:126], v[123:124], v[117:118]
	ds_read_b128 v[117:120], v116 offset:832
	ds_read_b128 v[121:124], v116 offset:848
	s_waitcnt vmcnt(20) lgkmcnt(1)
	v_fma_f64 v[117:118], v[159:160], v[117:118], v[125:126]
	s_waitcnt vmcnt(19)
	v_fma_f64 v[117:118], v[157:158], v[119:120], v[117:118]
	s_waitcnt vmcnt(18) lgkmcnt(0)
	v_fma_f64 v[117:118], v[155:156], v[121:122], v[117:118]
	s_waitcnt vmcnt(13)
	v_fma_f64 v[125:126], v[127:128], v[123:124], v[117:118]
	ds_read_b128 v[117:120], v116 offset:864
	ds_read_b128 v[121:124], v116 offset:880
	s_waitcnt vmcnt(12) lgkmcnt(1)
	v_fma_f64 v[117:118], v[133:134], v[117:118], v[125:126]
	s_waitcnt vmcnt(11)
	v_fma_f64 v[117:118], v[131:132], v[119:120], v[117:118]
	s_waitcnt vmcnt(10) lgkmcnt(0)
	v_fma_f64 v[117:118], v[129:130], v[121:122], v[117:118]
	s_waitcnt vmcnt(5)
	v_fma_f64 v[121:122], v[135:136], v[123:124], v[117:118]
	ds_read_b128 v[117:120], v116 offset:896
	ds_read_b64 v[123:124], v116 offset:912
	s_waitcnt vmcnt(4) lgkmcnt(1)
	v_fma_f64 v[117:118], v[145:146], v[117:118], v[121:122]
	s_waitcnt vmcnt(3)
	v_fma_f64 v[117:118], v[139:140], v[119:120], v[117:118]
	s_waitcnt vmcnt(2) lgkmcnt(0)
	v_fma_f64 v[117:118], v[137:138], v[123:124], v[117:118]
	s_waitcnt vmcnt(0)
	v_add_f64 v[117:118], v[141:142], -v[117:118]
	buffer_store_dword v118, off, s[0:3], 0 offset:236
	buffer_store_dword v117, off, s[0:3], 0 offset:232
	v_cmpx_lt_u32_e32 28, v0
	s_cbranch_execz .LBB120_295
; %bb.294:
	s_clause 0x1
	buffer_load_dword v117, off, s[0:3], 0 offset:224
	buffer_load_dword v118, off, s[0:3], 0 offset:228
	buffer_store_dword v116, off, s[0:3], 0 offset:224
	buffer_store_dword v116, off, s[0:3], 0 offset:228
	s_waitcnt vmcnt(0)
	ds_write_b64 v115, v[117:118]
.LBB120_295:
	s_or_b32 exec_lo, exec_lo, s4
	s_waitcnt lgkmcnt(0)
	s_waitcnt_vscnt null, 0x0
	s_barrier
	buffer_gl0_inv
	s_clause 0x1c
	buffer_load_dword v125, off, s[0:3], 0 offset:232
	buffer_load_dword v126, off, s[0:3], 0 offset:236
	;; [unrolled: 1-line block ×29, first 2 shown]
	ds_read2_b64 v[117:120], v116 offset0:87 offset1:88
	ds_read2_b64 v[121:124], v116 offset0:89 offset1:90
	buffer_load_dword v150, off, s[0:3], 0 offset:348
	s_mov_b32 s4, exec_lo
	s_waitcnt vmcnt(28) lgkmcnt(1)
	v_fma_f64 v[117:118], v[125:126], v[117:118], 0
	s_clause 0x7
	buffer_load_dword v126, off, s[0:3], 0 offset:356
	buffer_load_dword v155, off, s[0:3], 0 offset:376
	buffer_load_dword v157, off, s[0:3], 0 offset:368
	buffer_load_dword v159, off, s[0:3], 0 offset:360
	buffer_load_dword v125, off, s[0:3], 0 offset:352
	buffer_load_dword v160, off, s[0:3], 0 offset:364
	buffer_load_dword v158, off, s[0:3], 0 offset:372
	buffer_load_dword v156, off, s[0:3], 0 offset:380
	s_waitcnt vmcnt(34)
	v_fma_f64 v[117:118], v[127:128], v[119:120], v[117:118]
	s_waitcnt vmcnt(32) lgkmcnt(0)
	v_fma_f64 v[117:118], v[129:130], v[121:122], v[117:118]
	s_waitcnt vmcnt(30)
	v_fma_f64 v[127:128], v[131:132], v[123:124], v[117:118]
	ds_read2_b64 v[117:120], v116 offset0:91 offset1:92
	ds_read2_b64 v[121:124], v116 offset0:93 offset1:94
	s_waitcnt vmcnt(28) lgkmcnt(1)
	v_fma_f64 v[117:118], v[133:134], v[117:118], v[127:128]
	s_clause 0x7
	buffer_load_dword v128, off, s[0:3], 0 offset:388
	buffer_load_dword v129, off, s[0:3], 0 offset:408
	buffer_load_dword v131, off, s[0:3], 0 offset:400
	buffer_load_dword v133, off, s[0:3], 0 offset:392
	buffer_load_dword v127, off, s[0:3], 0 offset:384
	buffer_load_dword v134, off, s[0:3], 0 offset:396
	buffer_load_dword v132, off, s[0:3], 0 offset:404
	buffer_load_dword v130, off, s[0:3], 0 offset:412
	s_waitcnt vmcnt(34)
	v_fma_f64 v[117:118], v[135:136], v[119:120], v[117:118]
	s_waitcnt vmcnt(32) lgkmcnt(0)
	v_fma_f64 v[117:118], v[137:138], v[121:122], v[117:118]
	s_waitcnt vmcnt(27)
	v_fma_f64 v[135:136], v[139:140], v[123:124], v[117:118]
	ds_read2_b64 v[117:120], v116 offset0:95 offset1:96
	ds_read2_b64 v[121:124], v116 offset0:97 offset1:98
	;; [unrolled: 19-line block ×3, first 2 shown]
	s_waitcnt vmcnt(26) lgkmcnt(1)
	v_fma_f64 v[117:118], v[153:154], v[117:118], v[141:142]
	s_clause 0x3
	buffer_load_dword v142, off, s[0:3], 0 offset:452
	buffer_load_dword v141, off, s[0:3], 0 offset:448
	buffer_load_dword v143, off, s[0:3], 0 offset:224
	buffer_load_dword v144, off, s[0:3], 0 offset:228
	s_waitcnt vmcnt(29)
	v_fma_f64 v[117:118], v[151:152], v[119:120], v[117:118]
	s_waitcnt vmcnt(28) lgkmcnt(0)
	v_fma_f64 v[117:118], v[149:150], v[121:122], v[117:118]
	s_waitcnt vmcnt(23)
	v_fma_f64 v[125:126], v[125:126], v[123:124], v[117:118]
	ds_read2_b64 v[117:120], v116 offset0:103 offset1:104
	ds_read2_b64 v[121:124], v116 offset0:105 offset1:106
	s_waitcnt vmcnt(22) lgkmcnt(1)
	v_fma_f64 v[117:118], v[159:160], v[117:118], v[125:126]
	s_waitcnt vmcnt(21)
	v_fma_f64 v[117:118], v[157:158], v[119:120], v[117:118]
	s_waitcnt vmcnt(20) lgkmcnt(0)
	v_fma_f64 v[117:118], v[155:156], v[121:122], v[117:118]
	s_waitcnt vmcnt(15)
	v_fma_f64 v[125:126], v[127:128], v[123:124], v[117:118]
	ds_read2_b64 v[117:120], v116 offset0:107 offset1:108
	ds_read2_b64 v[121:124], v116 offset0:109 offset1:110
	s_waitcnt vmcnt(14) lgkmcnt(1)
	v_fma_f64 v[117:118], v[133:134], v[117:118], v[125:126]
	;; [unrolled: 10-line block ×3, first 2 shown]
	s_waitcnt vmcnt(5)
	v_fma_f64 v[116:117], v[139:140], v[119:120], v[116:117]
	s_waitcnt vmcnt(4) lgkmcnt(0)
	v_fma_f64 v[116:117], v[137:138], v[121:122], v[116:117]
	s_waitcnt vmcnt(2)
	v_fma_f64 v[116:117], v[141:142], v[123:124], v[116:117]
	s_waitcnt vmcnt(0)
	v_add_f64 v[116:117], v[143:144], -v[116:117]
	buffer_store_dword v117, off, s[0:3], 0 offset:228
	buffer_store_dword v116, off, s[0:3], 0 offset:224
	v_cmpx_lt_u32_e32 27, v0
	s_cbranch_execz .LBB120_297
; %bb.296:
	s_clause 0x1
	buffer_load_dword v116, off, s[0:3], 0 offset:216
	buffer_load_dword v117, off, s[0:3], 0 offset:220
	v_mov_b32_e32 v118, 0
	buffer_store_dword v118, off, s[0:3], 0 offset:216
	buffer_store_dword v118, off, s[0:3], 0 offset:220
	s_waitcnt vmcnt(0)
	ds_write_b64 v115, v[116:117]
.LBB120_297:
	s_or_b32 exec_lo, exec_lo, s4
	s_waitcnt lgkmcnt(0)
	s_waitcnt_vscnt null, 0x0
	s_barrier
	buffer_gl0_inv
	s_clause 0x1c
	buffer_load_dword v125, off, s[0:3], 0 offset:224
	buffer_load_dword v126, off, s[0:3], 0 offset:228
	;; [unrolled: 1-line block ×29, first 2 shown]
	v_mov_b32_e32 v116, 0
	buffer_load_dword v150, off, s[0:3], 0 offset:340
	s_mov_b32 s4, exec_lo
	ds_read_b128 v[117:120], v116 offset:688
	ds_read_b128 v[121:124], v116 offset:704
	s_waitcnt vmcnt(28) lgkmcnt(1)
	v_fma_f64 v[117:118], v[125:126], v[117:118], 0
	s_clause 0x7
	buffer_load_dword v126, off, s[0:3], 0 offset:348
	buffer_load_dword v155, off, s[0:3], 0 offset:368
	buffer_load_dword v157, off, s[0:3], 0 offset:360
	buffer_load_dword v159, off, s[0:3], 0 offset:352
	buffer_load_dword v125, off, s[0:3], 0 offset:344
	buffer_load_dword v160, off, s[0:3], 0 offset:356
	buffer_load_dword v158, off, s[0:3], 0 offset:364
	buffer_load_dword v156, off, s[0:3], 0 offset:372
	s_waitcnt vmcnt(34)
	v_fma_f64 v[117:118], v[127:128], v[119:120], v[117:118]
	s_waitcnt vmcnt(32) lgkmcnt(0)
	v_fma_f64 v[117:118], v[129:130], v[121:122], v[117:118]
	s_waitcnt vmcnt(30)
	v_fma_f64 v[127:128], v[131:132], v[123:124], v[117:118]
	ds_read_b128 v[117:120], v116 offset:720
	ds_read_b128 v[121:124], v116 offset:736
	s_waitcnt vmcnt(28) lgkmcnt(1)
	v_fma_f64 v[117:118], v[133:134], v[117:118], v[127:128]
	s_clause 0x7
	buffer_load_dword v128, off, s[0:3], 0 offset:380
	buffer_load_dword v129, off, s[0:3], 0 offset:400
	buffer_load_dword v131, off, s[0:3], 0 offset:392
	buffer_load_dword v133, off, s[0:3], 0 offset:384
	buffer_load_dword v127, off, s[0:3], 0 offset:376
	buffer_load_dword v134, off, s[0:3], 0 offset:388
	buffer_load_dword v132, off, s[0:3], 0 offset:396
	buffer_load_dword v130, off, s[0:3], 0 offset:404
	s_waitcnt vmcnt(34)
	v_fma_f64 v[117:118], v[135:136], v[119:120], v[117:118]
	s_waitcnt vmcnt(32) lgkmcnt(0)
	v_fma_f64 v[117:118], v[137:138], v[121:122], v[117:118]
	s_waitcnt vmcnt(27)
	v_fma_f64 v[135:136], v[139:140], v[123:124], v[117:118]
	;; [unrolled: 19-line block ×3, first 2 shown]
	ds_read_b128 v[117:120], v116 offset:784
	ds_read_b128 v[121:124], v116 offset:800
	s_waitcnt vmcnt(26) lgkmcnt(1)
	v_fma_f64 v[117:118], v[153:154], v[117:118], v[141:142]
	s_clause 0x5
	buffer_load_dword v142, off, s[0:3], 0 offset:444
	buffer_load_dword v143, off, s[0:3], 0 offset:448
	;; [unrolled: 1-line block ×6, first 2 shown]
	s_waitcnt vmcnt(31)
	v_fma_f64 v[117:118], v[151:152], v[119:120], v[117:118]
	s_waitcnt vmcnt(30) lgkmcnt(0)
	v_fma_f64 v[117:118], v[149:150], v[121:122], v[117:118]
	s_waitcnt vmcnt(25)
	v_fma_f64 v[125:126], v[125:126], v[123:124], v[117:118]
	ds_read_b128 v[117:120], v116 offset:816
	ds_read_b128 v[121:124], v116 offset:832
	s_waitcnt vmcnt(24) lgkmcnt(1)
	v_fma_f64 v[117:118], v[159:160], v[117:118], v[125:126]
	s_waitcnt vmcnt(23)
	v_fma_f64 v[117:118], v[157:158], v[119:120], v[117:118]
	s_waitcnt vmcnt(22) lgkmcnt(0)
	v_fma_f64 v[117:118], v[155:156], v[121:122], v[117:118]
	s_waitcnt vmcnt(17)
	v_fma_f64 v[125:126], v[127:128], v[123:124], v[117:118]
	ds_read_b128 v[117:120], v116 offset:848
	ds_read_b128 v[121:124], v116 offset:864
	s_waitcnt vmcnt(16) lgkmcnt(1)
	v_fma_f64 v[117:118], v[133:134], v[117:118], v[125:126]
	;; [unrolled: 10-line block ×3, first 2 shown]
	s_waitcnt vmcnt(7)
	v_fma_f64 v[117:118], v[139:140], v[119:120], v[117:118]
	ds_read_b64 v[119:120], v116 offset:912
	s_waitcnt vmcnt(6) lgkmcnt(1)
	v_fma_f64 v[117:118], v[137:138], v[121:122], v[117:118]
	s_waitcnt vmcnt(3)
	v_fma_f64 v[117:118], v[141:142], v[123:124], v[117:118]
	s_waitcnt vmcnt(2) lgkmcnt(0)
	v_fma_f64 v[117:118], v[143:144], v[119:120], v[117:118]
	s_waitcnt vmcnt(0)
	v_add_f64 v[117:118], v[147:148], -v[117:118]
	buffer_store_dword v118, off, s[0:3], 0 offset:220
	buffer_store_dword v117, off, s[0:3], 0 offset:216
	v_cmpx_lt_u32_e32 26, v0
	s_cbranch_execz .LBB120_299
; %bb.298:
	s_clause 0x1
	buffer_load_dword v117, off, s[0:3], 0 offset:208
	buffer_load_dword v118, off, s[0:3], 0 offset:212
	buffer_store_dword v116, off, s[0:3], 0 offset:208
	buffer_store_dword v116, off, s[0:3], 0 offset:212
	s_waitcnt vmcnt(0)
	ds_write_b64 v115, v[117:118]
.LBB120_299:
	s_or_b32 exec_lo, exec_lo, s4
	s_waitcnt lgkmcnt(0)
	s_waitcnt_vscnt null, 0x0
	s_barrier
	buffer_gl0_inv
	s_clause 0x1c
	buffer_load_dword v125, off, s[0:3], 0 offset:216
	buffer_load_dword v126, off, s[0:3], 0 offset:220
	;; [unrolled: 1-line block ×29, first 2 shown]
	ds_read2_b64 v[117:120], v116 offset0:85 offset1:86
	ds_read2_b64 v[121:124], v116 offset0:87 offset1:88
	buffer_load_dword v150, off, s[0:3], 0 offset:332
	s_mov_b32 s4, exec_lo
	s_waitcnt vmcnt(28) lgkmcnt(1)
	v_fma_f64 v[117:118], v[125:126], v[117:118], 0
	s_clause 0x7
	buffer_load_dword v126, off, s[0:3], 0 offset:340
	buffer_load_dword v155, off, s[0:3], 0 offset:360
	buffer_load_dword v157, off, s[0:3], 0 offset:352
	buffer_load_dword v159, off, s[0:3], 0 offset:344
	buffer_load_dword v125, off, s[0:3], 0 offset:336
	buffer_load_dword v160, off, s[0:3], 0 offset:348
	buffer_load_dword v158, off, s[0:3], 0 offset:356
	buffer_load_dword v156, off, s[0:3], 0 offset:364
	s_waitcnt vmcnt(34)
	v_fma_f64 v[117:118], v[127:128], v[119:120], v[117:118]
	s_waitcnt vmcnt(32) lgkmcnt(0)
	v_fma_f64 v[117:118], v[129:130], v[121:122], v[117:118]
	s_waitcnt vmcnt(30)
	v_fma_f64 v[127:128], v[131:132], v[123:124], v[117:118]
	ds_read2_b64 v[117:120], v116 offset0:89 offset1:90
	ds_read2_b64 v[121:124], v116 offset0:91 offset1:92
	s_waitcnt vmcnt(28) lgkmcnt(1)
	v_fma_f64 v[117:118], v[133:134], v[117:118], v[127:128]
	s_clause 0x7
	buffer_load_dword v128, off, s[0:3], 0 offset:372
	buffer_load_dword v129, off, s[0:3], 0 offset:392
	buffer_load_dword v131, off, s[0:3], 0 offset:384
	buffer_load_dword v133, off, s[0:3], 0 offset:376
	buffer_load_dword v127, off, s[0:3], 0 offset:368
	buffer_load_dword v134, off, s[0:3], 0 offset:380
	buffer_load_dword v132, off, s[0:3], 0 offset:388
	buffer_load_dword v130, off, s[0:3], 0 offset:396
	s_waitcnt vmcnt(34)
	v_fma_f64 v[117:118], v[135:136], v[119:120], v[117:118]
	s_waitcnt vmcnt(32) lgkmcnt(0)
	v_fma_f64 v[117:118], v[137:138], v[121:122], v[117:118]
	s_waitcnt vmcnt(27)
	v_fma_f64 v[135:136], v[139:140], v[123:124], v[117:118]
	ds_read2_b64 v[117:120], v116 offset0:93 offset1:94
	ds_read2_b64 v[121:124], v116 offset0:95 offset1:96
	;; [unrolled: 19-line block ×3, first 2 shown]
	s_waitcnt vmcnt(26) lgkmcnt(1)
	v_fma_f64 v[117:118], v[153:154], v[117:118], v[141:142]
	s_clause 0x5
	buffer_load_dword v142, off, s[0:3], 0 offset:436
	buffer_load_dword v143, off, s[0:3], 0 offset:448
	;; [unrolled: 1-line block ×6, first 2 shown]
	s_waitcnt vmcnt(31)
	v_fma_f64 v[117:118], v[151:152], v[119:120], v[117:118]
	s_waitcnt vmcnt(30) lgkmcnt(0)
	v_fma_f64 v[117:118], v[149:150], v[121:122], v[117:118]
	s_waitcnt vmcnt(25)
	v_fma_f64 v[125:126], v[125:126], v[123:124], v[117:118]
	ds_read2_b64 v[117:120], v116 offset0:101 offset1:102
	s_clause 0x1
	buffer_load_dword v149, off, s[0:3], 0 offset:208
	buffer_load_dword v150, off, s[0:3], 0 offset:212
	ds_read2_b64 v[121:124], v116 offset0:103 offset1:104
	s_waitcnt vmcnt(26) lgkmcnt(1)
	v_fma_f64 v[117:118], v[159:160], v[117:118], v[125:126]
	s_waitcnt vmcnt(25)
	v_fma_f64 v[117:118], v[157:158], v[119:120], v[117:118]
	s_waitcnt vmcnt(24) lgkmcnt(0)
	v_fma_f64 v[117:118], v[155:156], v[121:122], v[117:118]
	s_waitcnt vmcnt(19)
	v_fma_f64 v[125:126], v[127:128], v[123:124], v[117:118]
	ds_read2_b64 v[117:120], v116 offset0:105 offset1:106
	ds_read2_b64 v[121:124], v116 offset0:107 offset1:108
	s_waitcnt vmcnt(18) lgkmcnt(1)
	v_fma_f64 v[117:118], v[133:134], v[117:118], v[125:126]
	s_waitcnt vmcnt(17)
	v_fma_f64 v[117:118], v[131:132], v[119:120], v[117:118]
	s_waitcnt vmcnt(16) lgkmcnt(0)
	v_fma_f64 v[117:118], v[129:130], v[121:122], v[117:118]
	s_waitcnt vmcnt(11)
	v_fma_f64 v[125:126], v[135:136], v[123:124], v[117:118]
	ds_read2_b64 v[117:120], v116 offset0:109 offset1:110
	;; [unrolled: 10-line block ×3, first 2 shown]
	s_waitcnt vmcnt(3) lgkmcnt(0)
	v_fma_f64 v[116:117], v[147:148], v[116:117], v[120:121]
	s_waitcnt vmcnt(2)
	v_fma_f64 v[116:117], v[143:144], v[118:119], v[116:117]
	s_waitcnt vmcnt(0)
	v_add_f64 v[116:117], v[149:150], -v[116:117]
	buffer_store_dword v117, off, s[0:3], 0 offset:212
	buffer_store_dword v116, off, s[0:3], 0 offset:208
	v_cmpx_lt_u32_e32 25, v0
	s_cbranch_execz .LBB120_301
; %bb.300:
	s_clause 0x1
	buffer_load_dword v116, off, s[0:3], 0 offset:200
	buffer_load_dword v117, off, s[0:3], 0 offset:204
	v_mov_b32_e32 v118, 0
	buffer_store_dword v118, off, s[0:3], 0 offset:200
	buffer_store_dword v118, off, s[0:3], 0 offset:204
	s_waitcnt vmcnt(0)
	ds_write_b64 v115, v[116:117]
.LBB120_301:
	s_or_b32 exec_lo, exec_lo, s4
	s_waitcnt lgkmcnt(0)
	s_waitcnt_vscnt null, 0x0
	s_barrier
	buffer_gl0_inv
	s_clause 0x1c
	buffer_load_dword v125, off, s[0:3], 0 offset:208
	buffer_load_dword v126, off, s[0:3], 0 offset:212
	;; [unrolled: 1-line block ×29, first 2 shown]
	v_mov_b32_e32 v116, 0
	buffer_load_dword v150, off, s[0:3], 0 offset:324
	s_mov_b32 s4, exec_lo
	ds_read_b128 v[117:120], v116 offset:672
	ds_read_b128 v[121:124], v116 offset:688
	s_waitcnt vmcnt(28) lgkmcnt(1)
	v_fma_f64 v[117:118], v[125:126], v[117:118], 0
	s_clause 0x7
	buffer_load_dword v126, off, s[0:3], 0 offset:332
	buffer_load_dword v155, off, s[0:3], 0 offset:352
	buffer_load_dword v157, off, s[0:3], 0 offset:344
	buffer_load_dword v159, off, s[0:3], 0 offset:336
	buffer_load_dword v125, off, s[0:3], 0 offset:328
	buffer_load_dword v160, off, s[0:3], 0 offset:340
	buffer_load_dword v158, off, s[0:3], 0 offset:348
	buffer_load_dword v156, off, s[0:3], 0 offset:356
	s_waitcnt vmcnt(34)
	v_fma_f64 v[117:118], v[127:128], v[119:120], v[117:118]
	s_waitcnt vmcnt(32) lgkmcnt(0)
	v_fma_f64 v[117:118], v[129:130], v[121:122], v[117:118]
	s_waitcnt vmcnt(30)
	v_fma_f64 v[127:128], v[131:132], v[123:124], v[117:118]
	ds_read_b128 v[117:120], v116 offset:704
	ds_read_b128 v[121:124], v116 offset:720
	s_waitcnt vmcnt(28) lgkmcnt(1)
	v_fma_f64 v[117:118], v[133:134], v[117:118], v[127:128]
	s_clause 0x7
	buffer_load_dword v128, off, s[0:3], 0 offset:364
	buffer_load_dword v129, off, s[0:3], 0 offset:384
	buffer_load_dword v131, off, s[0:3], 0 offset:376
	buffer_load_dword v133, off, s[0:3], 0 offset:368
	buffer_load_dword v127, off, s[0:3], 0 offset:360
	buffer_load_dword v134, off, s[0:3], 0 offset:372
	buffer_load_dword v132, off, s[0:3], 0 offset:380
	buffer_load_dword v130, off, s[0:3], 0 offset:388
	s_waitcnt vmcnt(34)
	v_fma_f64 v[117:118], v[135:136], v[119:120], v[117:118]
	s_waitcnt vmcnt(32) lgkmcnt(0)
	v_fma_f64 v[117:118], v[137:138], v[121:122], v[117:118]
	s_waitcnt vmcnt(27)
	v_fma_f64 v[135:136], v[139:140], v[123:124], v[117:118]
	;; [unrolled: 19-line block ×4, first 2 shown]
	ds_read_b128 v[117:120], v116 offset:800
	ds_read_b128 v[121:124], v116 offset:816
	s_waitcnt vmcnt(26) lgkmcnt(1)
	v_fma_f64 v[117:118], v[159:160], v[117:118], v[125:126]
	s_clause 0x1
	buffer_load_dword v125, off, s[0:3], 0 offset:200
	buffer_load_dword v126, off, s[0:3], 0 offset:204
	s_waitcnt vmcnt(27)
	v_fma_f64 v[117:118], v[157:158], v[119:120], v[117:118]
	s_waitcnt vmcnt(26) lgkmcnt(0)
	v_fma_f64 v[117:118], v[155:156], v[121:122], v[117:118]
	s_waitcnt vmcnt(21)
	v_fma_f64 v[127:128], v[127:128], v[123:124], v[117:118]
	ds_read_b128 v[117:120], v116 offset:832
	ds_read_b128 v[121:124], v116 offset:848
	s_waitcnt vmcnt(20) lgkmcnt(1)
	v_fma_f64 v[117:118], v[133:134], v[117:118], v[127:128]
	s_waitcnt vmcnt(19)
	v_fma_f64 v[117:118], v[131:132], v[119:120], v[117:118]
	s_waitcnt vmcnt(18) lgkmcnt(0)
	v_fma_f64 v[117:118], v[129:130], v[121:122], v[117:118]
	s_waitcnt vmcnt(13)
	v_fma_f64 v[127:128], v[135:136], v[123:124], v[117:118]
	ds_read_b128 v[117:120], v116 offset:864
	ds_read_b128 v[121:124], v116 offset:880
	s_waitcnt vmcnt(12) lgkmcnt(1)
	v_fma_f64 v[117:118], v[145:146], v[117:118], v[127:128]
	s_waitcnt vmcnt(11)
	v_fma_f64 v[117:118], v[139:140], v[119:120], v[117:118]
	s_waitcnt vmcnt(10) lgkmcnt(0)
	v_fma_f64 v[117:118], v[137:138], v[121:122], v[117:118]
	s_waitcnt vmcnt(5)
	v_fma_f64 v[121:122], v[141:142], v[123:124], v[117:118]
	ds_read_b128 v[117:120], v116 offset:896
	ds_read_b64 v[123:124], v116 offset:912
	s_waitcnt vmcnt(4) lgkmcnt(1)
	v_fma_f64 v[117:118], v[153:154], v[117:118], v[121:122]
	s_waitcnt vmcnt(3)
	v_fma_f64 v[117:118], v[147:148], v[119:120], v[117:118]
	s_waitcnt vmcnt(2) lgkmcnt(0)
	v_fma_f64 v[117:118], v[143:144], v[123:124], v[117:118]
	s_waitcnt vmcnt(0)
	v_add_f64 v[117:118], v[125:126], -v[117:118]
	buffer_store_dword v118, off, s[0:3], 0 offset:204
	buffer_store_dword v117, off, s[0:3], 0 offset:200
	v_cmpx_lt_u32_e32 24, v0
	s_cbranch_execz .LBB120_303
; %bb.302:
	s_clause 0x1
	buffer_load_dword v117, off, s[0:3], 0 offset:192
	buffer_load_dword v118, off, s[0:3], 0 offset:196
	buffer_store_dword v116, off, s[0:3], 0 offset:192
	buffer_store_dword v116, off, s[0:3], 0 offset:196
	s_waitcnt vmcnt(0)
	ds_write_b64 v115, v[117:118]
.LBB120_303:
	s_or_b32 exec_lo, exec_lo, s4
	s_waitcnt lgkmcnt(0)
	s_waitcnt_vscnt null, 0x0
	s_barrier
	buffer_gl0_inv
	s_clause 0x1c
	buffer_load_dword v125, off, s[0:3], 0 offset:200
	buffer_load_dword v126, off, s[0:3], 0 offset:204
	;; [unrolled: 1-line block ×29, first 2 shown]
	ds_read2_b64 v[117:120], v116 offset0:83 offset1:84
	ds_read2_b64 v[121:124], v116 offset0:85 offset1:86
	buffer_load_dword v150, off, s[0:3], 0 offset:316
	s_mov_b32 s4, exec_lo
	s_waitcnt vmcnt(28) lgkmcnt(1)
	v_fma_f64 v[117:118], v[125:126], v[117:118], 0
	s_clause 0x7
	buffer_load_dword v126, off, s[0:3], 0 offset:324
	buffer_load_dword v155, off, s[0:3], 0 offset:344
	buffer_load_dword v157, off, s[0:3], 0 offset:336
	buffer_load_dword v159, off, s[0:3], 0 offset:328
	buffer_load_dword v125, off, s[0:3], 0 offset:320
	buffer_load_dword v160, off, s[0:3], 0 offset:332
	buffer_load_dword v158, off, s[0:3], 0 offset:340
	buffer_load_dword v156, off, s[0:3], 0 offset:348
	s_waitcnt vmcnt(34)
	v_fma_f64 v[117:118], v[127:128], v[119:120], v[117:118]
	s_waitcnt vmcnt(32) lgkmcnt(0)
	v_fma_f64 v[117:118], v[129:130], v[121:122], v[117:118]
	s_waitcnt vmcnt(30)
	v_fma_f64 v[127:128], v[131:132], v[123:124], v[117:118]
	ds_read2_b64 v[117:120], v116 offset0:87 offset1:88
	ds_read2_b64 v[121:124], v116 offset0:89 offset1:90
	s_waitcnt vmcnt(28) lgkmcnt(1)
	v_fma_f64 v[117:118], v[133:134], v[117:118], v[127:128]
	s_clause 0x7
	buffer_load_dword v128, off, s[0:3], 0 offset:356
	buffer_load_dword v129, off, s[0:3], 0 offset:376
	buffer_load_dword v131, off, s[0:3], 0 offset:368
	buffer_load_dword v133, off, s[0:3], 0 offset:360
	buffer_load_dword v127, off, s[0:3], 0 offset:352
	buffer_load_dword v134, off, s[0:3], 0 offset:364
	buffer_load_dword v132, off, s[0:3], 0 offset:372
	buffer_load_dword v130, off, s[0:3], 0 offset:380
	s_waitcnt vmcnt(34)
	v_fma_f64 v[117:118], v[135:136], v[119:120], v[117:118]
	s_waitcnt vmcnt(32) lgkmcnt(0)
	v_fma_f64 v[117:118], v[137:138], v[121:122], v[117:118]
	s_waitcnt vmcnt(27)
	v_fma_f64 v[135:136], v[139:140], v[123:124], v[117:118]
	ds_read2_b64 v[117:120], v116 offset0:91 offset1:92
	ds_read2_b64 v[121:124], v116 offset0:93 offset1:94
	;; [unrolled: 19-line block ×4, first 2 shown]
	s_waitcnt vmcnt(26) lgkmcnt(1)
	v_fma_f64 v[117:118], v[159:160], v[117:118], v[125:126]
	s_clause 0x3
	buffer_load_dword v126, off, s[0:3], 0 offset:452
	buffer_load_dword v125, off, s[0:3], 0 offset:448
	;; [unrolled: 1-line block ×4, first 2 shown]
	s_waitcnt vmcnt(29)
	v_fma_f64 v[117:118], v[157:158], v[119:120], v[117:118]
	s_waitcnt vmcnt(28) lgkmcnt(0)
	v_fma_f64 v[117:118], v[155:156], v[121:122], v[117:118]
	s_waitcnt vmcnt(23)
	v_fma_f64 v[127:128], v[127:128], v[123:124], v[117:118]
	ds_read2_b64 v[117:120], v116 offset0:103 offset1:104
	ds_read2_b64 v[121:124], v116 offset0:105 offset1:106
	s_waitcnt vmcnt(22) lgkmcnt(1)
	v_fma_f64 v[117:118], v[133:134], v[117:118], v[127:128]
	s_waitcnt vmcnt(21)
	v_fma_f64 v[117:118], v[131:132], v[119:120], v[117:118]
	s_waitcnt vmcnt(20) lgkmcnt(0)
	v_fma_f64 v[117:118], v[129:130], v[121:122], v[117:118]
	s_waitcnt vmcnt(15)
	v_fma_f64 v[127:128], v[135:136], v[123:124], v[117:118]
	ds_read2_b64 v[117:120], v116 offset0:107 offset1:108
	ds_read2_b64 v[121:124], v116 offset0:109 offset1:110
	s_waitcnt vmcnt(14) lgkmcnt(1)
	v_fma_f64 v[117:118], v[145:146], v[117:118], v[127:128]
	;; [unrolled: 10-line block ×3, first 2 shown]
	s_waitcnt vmcnt(5)
	v_fma_f64 v[116:117], v[147:148], v[119:120], v[116:117]
	s_waitcnt vmcnt(4) lgkmcnt(0)
	v_fma_f64 v[116:117], v[143:144], v[121:122], v[116:117]
	s_waitcnt vmcnt(2)
	v_fma_f64 v[116:117], v[125:126], v[123:124], v[116:117]
	s_waitcnt vmcnt(0)
	v_add_f64 v[116:117], v[149:150], -v[116:117]
	buffer_store_dword v117, off, s[0:3], 0 offset:196
	buffer_store_dword v116, off, s[0:3], 0 offset:192
	v_cmpx_lt_u32_e32 23, v0
	s_cbranch_execz .LBB120_305
; %bb.304:
	s_clause 0x1
	buffer_load_dword v116, off, s[0:3], 0 offset:184
	buffer_load_dword v117, off, s[0:3], 0 offset:188
	v_mov_b32_e32 v118, 0
	buffer_store_dword v118, off, s[0:3], 0 offset:184
	buffer_store_dword v118, off, s[0:3], 0 offset:188
	s_waitcnt vmcnt(0)
	ds_write_b64 v115, v[116:117]
.LBB120_305:
	s_or_b32 exec_lo, exec_lo, s4
	s_waitcnt lgkmcnt(0)
	s_waitcnt_vscnt null, 0x0
	s_barrier
	buffer_gl0_inv
	s_clause 0x1c
	buffer_load_dword v125, off, s[0:3], 0 offset:192
	buffer_load_dword v126, off, s[0:3], 0 offset:196
	;; [unrolled: 1-line block ×29, first 2 shown]
	v_mov_b32_e32 v116, 0
	buffer_load_dword v150, off, s[0:3], 0 offset:308
	s_mov_b32 s4, exec_lo
	ds_read_b128 v[117:120], v116 offset:656
	ds_read_b128 v[121:124], v116 offset:672
	s_waitcnt vmcnt(28) lgkmcnt(1)
	v_fma_f64 v[117:118], v[125:126], v[117:118], 0
	s_clause 0x7
	buffer_load_dword v126, off, s[0:3], 0 offset:316
	buffer_load_dword v155, off, s[0:3], 0 offset:336
	buffer_load_dword v157, off, s[0:3], 0 offset:328
	buffer_load_dword v159, off, s[0:3], 0 offset:320
	buffer_load_dword v125, off, s[0:3], 0 offset:312
	buffer_load_dword v160, off, s[0:3], 0 offset:324
	buffer_load_dword v158, off, s[0:3], 0 offset:332
	buffer_load_dword v156, off, s[0:3], 0 offset:340
	s_waitcnt vmcnt(34)
	v_fma_f64 v[117:118], v[127:128], v[119:120], v[117:118]
	s_waitcnt vmcnt(32) lgkmcnt(0)
	v_fma_f64 v[117:118], v[129:130], v[121:122], v[117:118]
	s_waitcnt vmcnt(30)
	v_fma_f64 v[127:128], v[131:132], v[123:124], v[117:118]
	ds_read_b128 v[117:120], v116 offset:688
	ds_read_b128 v[121:124], v116 offset:704
	s_waitcnt vmcnt(28) lgkmcnt(1)
	v_fma_f64 v[117:118], v[133:134], v[117:118], v[127:128]
	s_clause 0x7
	buffer_load_dword v128, off, s[0:3], 0 offset:348
	buffer_load_dword v129, off, s[0:3], 0 offset:368
	buffer_load_dword v131, off, s[0:3], 0 offset:360
	buffer_load_dword v133, off, s[0:3], 0 offset:352
	buffer_load_dword v127, off, s[0:3], 0 offset:344
	buffer_load_dword v134, off, s[0:3], 0 offset:356
	buffer_load_dword v132, off, s[0:3], 0 offset:364
	buffer_load_dword v130, off, s[0:3], 0 offset:372
	s_waitcnt vmcnt(34)
	v_fma_f64 v[117:118], v[135:136], v[119:120], v[117:118]
	s_waitcnt vmcnt(32) lgkmcnt(0)
	v_fma_f64 v[117:118], v[137:138], v[121:122], v[117:118]
	s_waitcnt vmcnt(27)
	v_fma_f64 v[135:136], v[139:140], v[123:124], v[117:118]
	;; [unrolled: 19-line block ×4, first 2 shown]
	ds_read_b128 v[117:120], v116 offset:784
	ds_read_b128 v[121:124], v116 offset:800
	s_waitcnt vmcnt(26) lgkmcnt(1)
	v_fma_f64 v[117:118], v[159:160], v[117:118], v[125:126]
	s_clause 0x5
	buffer_load_dword v126, off, s[0:3], 0 offset:444
	buffer_load_dword v149, off, s[0:3], 0 offset:448
	;; [unrolled: 1-line block ×6, first 2 shown]
	s_waitcnt vmcnt(31)
	v_fma_f64 v[117:118], v[157:158], v[119:120], v[117:118]
	s_waitcnt vmcnt(30) lgkmcnt(0)
	v_fma_f64 v[117:118], v[155:156], v[121:122], v[117:118]
	s_waitcnt vmcnt(25)
	v_fma_f64 v[127:128], v[127:128], v[123:124], v[117:118]
	ds_read_b128 v[117:120], v116 offset:816
	ds_read_b128 v[121:124], v116 offset:832
	s_waitcnt vmcnt(24) lgkmcnt(1)
	v_fma_f64 v[117:118], v[133:134], v[117:118], v[127:128]
	s_waitcnt vmcnt(23)
	v_fma_f64 v[117:118], v[131:132], v[119:120], v[117:118]
	s_waitcnt vmcnt(22) lgkmcnt(0)
	v_fma_f64 v[117:118], v[129:130], v[121:122], v[117:118]
	s_waitcnt vmcnt(17)
	v_fma_f64 v[127:128], v[135:136], v[123:124], v[117:118]
	ds_read_b128 v[117:120], v116 offset:848
	ds_read_b128 v[121:124], v116 offset:864
	s_waitcnt vmcnt(16) lgkmcnt(1)
	v_fma_f64 v[117:118], v[145:146], v[117:118], v[127:128]
	;; [unrolled: 10-line block ×3, first 2 shown]
	s_waitcnt vmcnt(7)
	v_fma_f64 v[117:118], v[147:148], v[119:120], v[117:118]
	ds_read_b64 v[119:120], v116 offset:912
	s_waitcnt vmcnt(6) lgkmcnt(1)
	v_fma_f64 v[117:118], v[143:144], v[121:122], v[117:118]
	s_waitcnt vmcnt(3)
	v_fma_f64 v[117:118], v[125:126], v[123:124], v[117:118]
	s_waitcnt vmcnt(2) lgkmcnt(0)
	v_fma_f64 v[117:118], v[149:150], v[119:120], v[117:118]
	s_waitcnt vmcnt(0)
	v_add_f64 v[117:118], v[151:152], -v[117:118]
	buffer_store_dword v118, off, s[0:3], 0 offset:188
	buffer_store_dword v117, off, s[0:3], 0 offset:184
	v_cmpx_lt_u32_e32 22, v0
	s_cbranch_execz .LBB120_307
; %bb.306:
	s_clause 0x1
	buffer_load_dword v117, off, s[0:3], 0 offset:176
	buffer_load_dword v118, off, s[0:3], 0 offset:180
	buffer_store_dword v116, off, s[0:3], 0 offset:176
	buffer_store_dword v116, off, s[0:3], 0 offset:180
	s_waitcnt vmcnt(0)
	ds_write_b64 v115, v[117:118]
.LBB120_307:
	s_or_b32 exec_lo, exec_lo, s4
	s_waitcnt lgkmcnt(0)
	s_waitcnt_vscnt null, 0x0
	s_barrier
	buffer_gl0_inv
	s_clause 0x1c
	buffer_load_dword v125, off, s[0:3], 0 offset:184
	buffer_load_dword v126, off, s[0:3], 0 offset:188
	;; [unrolled: 1-line block ×29, first 2 shown]
	ds_read2_b64 v[117:120], v116 offset0:81 offset1:82
	ds_read2_b64 v[121:124], v116 offset0:83 offset1:84
	buffer_load_dword v150, off, s[0:3], 0 offset:300
	s_mov_b32 s4, exec_lo
	s_waitcnt vmcnt(28) lgkmcnt(1)
	v_fma_f64 v[117:118], v[125:126], v[117:118], 0
	s_clause 0x7
	buffer_load_dword v126, off, s[0:3], 0 offset:308
	buffer_load_dword v155, off, s[0:3], 0 offset:328
	buffer_load_dword v157, off, s[0:3], 0 offset:320
	buffer_load_dword v159, off, s[0:3], 0 offset:312
	buffer_load_dword v125, off, s[0:3], 0 offset:304
	buffer_load_dword v160, off, s[0:3], 0 offset:316
	buffer_load_dword v158, off, s[0:3], 0 offset:324
	buffer_load_dword v156, off, s[0:3], 0 offset:332
	s_waitcnt vmcnt(34)
	v_fma_f64 v[117:118], v[127:128], v[119:120], v[117:118]
	s_waitcnt vmcnt(32) lgkmcnt(0)
	v_fma_f64 v[117:118], v[129:130], v[121:122], v[117:118]
	s_waitcnt vmcnt(30)
	v_fma_f64 v[127:128], v[131:132], v[123:124], v[117:118]
	ds_read2_b64 v[117:120], v116 offset0:85 offset1:86
	ds_read2_b64 v[121:124], v116 offset0:87 offset1:88
	s_waitcnt vmcnt(28) lgkmcnt(1)
	v_fma_f64 v[117:118], v[133:134], v[117:118], v[127:128]
	s_clause 0x7
	buffer_load_dword v128, off, s[0:3], 0 offset:340
	buffer_load_dword v129, off, s[0:3], 0 offset:360
	buffer_load_dword v131, off, s[0:3], 0 offset:352
	buffer_load_dword v133, off, s[0:3], 0 offset:344
	buffer_load_dword v127, off, s[0:3], 0 offset:336
	buffer_load_dword v134, off, s[0:3], 0 offset:348
	buffer_load_dword v132, off, s[0:3], 0 offset:356
	buffer_load_dword v130, off, s[0:3], 0 offset:364
	s_waitcnt vmcnt(34)
	v_fma_f64 v[117:118], v[135:136], v[119:120], v[117:118]
	s_waitcnt vmcnt(32) lgkmcnt(0)
	v_fma_f64 v[117:118], v[137:138], v[121:122], v[117:118]
	s_waitcnt vmcnt(27)
	v_fma_f64 v[135:136], v[139:140], v[123:124], v[117:118]
	ds_read2_b64 v[117:120], v116 offset0:89 offset1:90
	ds_read2_b64 v[121:124], v116 offset0:91 offset1:92
	;; [unrolled: 19-line block ×4, first 2 shown]
	s_waitcnt vmcnt(26) lgkmcnt(1)
	v_fma_f64 v[117:118], v[159:160], v[117:118], v[125:126]
	s_clause 0x5
	buffer_load_dword v126, off, s[0:3], 0 offset:436
	buffer_load_dword v149, off, s[0:3], 0 offset:448
	;; [unrolled: 1-line block ×6, first 2 shown]
	s_waitcnt vmcnt(31)
	v_fma_f64 v[117:118], v[157:158], v[119:120], v[117:118]
	s_waitcnt vmcnt(30) lgkmcnt(0)
	v_fma_f64 v[117:118], v[155:156], v[121:122], v[117:118]
	s_waitcnt vmcnt(25)
	v_fma_f64 v[127:128], v[127:128], v[123:124], v[117:118]
	ds_read2_b64 v[117:120], v116 offset0:101 offset1:102
	s_clause 0x1
	buffer_load_dword v155, off, s[0:3], 0 offset:176
	buffer_load_dword v156, off, s[0:3], 0 offset:180
	ds_read2_b64 v[121:124], v116 offset0:103 offset1:104
	s_waitcnt vmcnt(26) lgkmcnt(1)
	v_fma_f64 v[117:118], v[133:134], v[117:118], v[127:128]
	s_waitcnt vmcnt(25)
	v_fma_f64 v[117:118], v[131:132], v[119:120], v[117:118]
	s_waitcnt vmcnt(24) lgkmcnt(0)
	v_fma_f64 v[117:118], v[129:130], v[121:122], v[117:118]
	s_waitcnt vmcnt(19)
	v_fma_f64 v[127:128], v[135:136], v[123:124], v[117:118]
	ds_read2_b64 v[117:120], v116 offset0:105 offset1:106
	ds_read2_b64 v[121:124], v116 offset0:107 offset1:108
	s_waitcnt vmcnt(18) lgkmcnt(1)
	v_fma_f64 v[117:118], v[145:146], v[117:118], v[127:128]
	s_waitcnt vmcnt(17)
	v_fma_f64 v[117:118], v[139:140], v[119:120], v[117:118]
	s_waitcnt vmcnt(16) lgkmcnt(0)
	v_fma_f64 v[117:118], v[137:138], v[121:122], v[117:118]
	s_waitcnt vmcnt(11)
	v_fma_f64 v[127:128], v[141:142], v[123:124], v[117:118]
	ds_read2_b64 v[117:120], v116 offset0:109 offset1:110
	;; [unrolled: 10-line block ×3, first 2 shown]
	s_waitcnt vmcnt(3) lgkmcnt(0)
	v_fma_f64 v[116:117], v[151:152], v[116:117], v[120:121]
	s_waitcnt vmcnt(2)
	v_fma_f64 v[116:117], v[149:150], v[118:119], v[116:117]
	s_waitcnt vmcnt(0)
	v_add_f64 v[116:117], v[155:156], -v[116:117]
	buffer_store_dword v117, off, s[0:3], 0 offset:180
	buffer_store_dword v116, off, s[0:3], 0 offset:176
	v_cmpx_lt_u32_e32 21, v0
	s_cbranch_execz .LBB120_309
; %bb.308:
	s_clause 0x1
	buffer_load_dword v116, off, s[0:3], 0 offset:168
	buffer_load_dword v117, off, s[0:3], 0 offset:172
	v_mov_b32_e32 v118, 0
	buffer_store_dword v118, off, s[0:3], 0 offset:168
	buffer_store_dword v118, off, s[0:3], 0 offset:172
	s_waitcnt vmcnt(0)
	ds_write_b64 v115, v[116:117]
.LBB120_309:
	s_or_b32 exec_lo, exec_lo, s4
	s_waitcnt lgkmcnt(0)
	s_waitcnt_vscnt null, 0x0
	s_barrier
	buffer_gl0_inv
	s_clause 0x1c
	buffer_load_dword v125, off, s[0:3], 0 offset:176
	buffer_load_dword v126, off, s[0:3], 0 offset:180
	;; [unrolled: 1-line block ×29, first 2 shown]
	v_mov_b32_e32 v116, 0
	buffer_load_dword v150, off, s[0:3], 0 offset:292
	s_mov_b32 s4, exec_lo
	ds_read_b128 v[117:120], v116 offset:640
	ds_read_b128 v[121:124], v116 offset:656
	s_waitcnt vmcnt(28) lgkmcnt(1)
	v_fma_f64 v[117:118], v[125:126], v[117:118], 0
	s_clause 0x7
	buffer_load_dword v126, off, s[0:3], 0 offset:300
	buffer_load_dword v155, off, s[0:3], 0 offset:320
	buffer_load_dword v157, off, s[0:3], 0 offset:312
	buffer_load_dword v159, off, s[0:3], 0 offset:304
	buffer_load_dword v125, off, s[0:3], 0 offset:296
	buffer_load_dword v160, off, s[0:3], 0 offset:308
	buffer_load_dword v158, off, s[0:3], 0 offset:316
	buffer_load_dword v156, off, s[0:3], 0 offset:324
	s_waitcnt vmcnt(34)
	v_fma_f64 v[117:118], v[127:128], v[119:120], v[117:118]
	s_waitcnt vmcnt(32) lgkmcnt(0)
	v_fma_f64 v[117:118], v[129:130], v[121:122], v[117:118]
	s_waitcnt vmcnt(30)
	v_fma_f64 v[127:128], v[131:132], v[123:124], v[117:118]
	ds_read_b128 v[117:120], v116 offset:672
	ds_read_b128 v[121:124], v116 offset:688
	s_waitcnt vmcnt(28) lgkmcnt(1)
	v_fma_f64 v[117:118], v[133:134], v[117:118], v[127:128]
	s_clause 0x7
	buffer_load_dword v128, off, s[0:3], 0 offset:332
	buffer_load_dword v129, off, s[0:3], 0 offset:352
	buffer_load_dword v131, off, s[0:3], 0 offset:344
	buffer_load_dword v133, off, s[0:3], 0 offset:336
	buffer_load_dword v127, off, s[0:3], 0 offset:328
	buffer_load_dword v134, off, s[0:3], 0 offset:340
	buffer_load_dword v132, off, s[0:3], 0 offset:348
	buffer_load_dword v130, off, s[0:3], 0 offset:356
	s_waitcnt vmcnt(34)
	v_fma_f64 v[117:118], v[135:136], v[119:120], v[117:118]
	s_waitcnt vmcnt(32) lgkmcnt(0)
	v_fma_f64 v[117:118], v[137:138], v[121:122], v[117:118]
	s_waitcnt vmcnt(27)
	v_fma_f64 v[135:136], v[139:140], v[123:124], v[117:118]
	;; [unrolled: 19-line block ×5, first 2 shown]
	ds_read_b128 v[117:120], v116 offset:800
	ds_read_b128 v[121:124], v116 offset:816
	s_waitcnt vmcnt(26) lgkmcnt(1)
	v_fma_f64 v[117:118], v[133:134], v[117:118], v[127:128]
	s_clause 0x1
	buffer_load_dword v127, off, s[0:3], 0 offset:168
	buffer_load_dword v128, off, s[0:3], 0 offset:172
	s_waitcnt vmcnt(27)
	v_fma_f64 v[117:118], v[131:132], v[119:120], v[117:118]
	s_waitcnt vmcnt(26) lgkmcnt(0)
	v_fma_f64 v[117:118], v[129:130], v[121:122], v[117:118]
	s_waitcnt vmcnt(21)
	v_fma_f64 v[129:130], v[135:136], v[123:124], v[117:118]
	ds_read_b128 v[117:120], v116 offset:832
	ds_read_b128 v[121:124], v116 offset:848
	s_waitcnt vmcnt(20) lgkmcnt(1)
	v_fma_f64 v[117:118], v[145:146], v[117:118], v[129:130]
	s_waitcnt vmcnt(19)
	v_fma_f64 v[117:118], v[139:140], v[119:120], v[117:118]
	s_waitcnt vmcnt(18) lgkmcnt(0)
	v_fma_f64 v[117:118], v[137:138], v[121:122], v[117:118]
	s_waitcnt vmcnt(13)
	v_fma_f64 v[129:130], v[141:142], v[123:124], v[117:118]
	ds_read_b128 v[117:120], v116 offset:864
	ds_read_b128 v[121:124], v116 offset:880
	s_waitcnt vmcnt(12) lgkmcnt(1)
	v_fma_f64 v[117:118], v[153:154], v[117:118], v[129:130]
	s_waitcnt vmcnt(11)
	v_fma_f64 v[117:118], v[147:148], v[119:120], v[117:118]
	s_waitcnt vmcnt(10) lgkmcnt(0)
	v_fma_f64 v[117:118], v[143:144], v[121:122], v[117:118]
	s_waitcnt vmcnt(5)
	v_fma_f64 v[121:122], v[125:126], v[123:124], v[117:118]
	ds_read_b128 v[117:120], v116 offset:896
	ds_read_b64 v[123:124], v116 offset:912
	s_waitcnt vmcnt(4) lgkmcnt(1)
	v_fma_f64 v[117:118], v[159:160], v[117:118], v[121:122]
	s_waitcnt vmcnt(3)
	v_fma_f64 v[117:118], v[151:152], v[119:120], v[117:118]
	s_waitcnt vmcnt(2) lgkmcnt(0)
	v_fma_f64 v[117:118], v[149:150], v[123:124], v[117:118]
	s_waitcnt vmcnt(0)
	v_add_f64 v[117:118], v[127:128], -v[117:118]
	buffer_store_dword v118, off, s[0:3], 0 offset:172
	buffer_store_dword v117, off, s[0:3], 0 offset:168
	v_cmpx_lt_u32_e32 20, v0
	s_cbranch_execz .LBB120_311
; %bb.310:
	s_clause 0x1
	buffer_load_dword v117, off, s[0:3], 0 offset:160
	buffer_load_dword v118, off, s[0:3], 0 offset:164
	buffer_store_dword v116, off, s[0:3], 0 offset:160
	buffer_store_dword v116, off, s[0:3], 0 offset:164
	s_waitcnt vmcnt(0)
	ds_write_b64 v115, v[117:118]
.LBB120_311:
	s_or_b32 exec_lo, exec_lo, s4
	s_waitcnt lgkmcnt(0)
	s_waitcnt_vscnt null, 0x0
	s_barrier
	buffer_gl0_inv
	s_clause 0x1c
	buffer_load_dword v125, off, s[0:3], 0 offset:168
	buffer_load_dword v126, off, s[0:3], 0 offset:172
	buffer_load_dword v127, off, s[0:3], 0 offset:176
	buffer_load_dword v128, off, s[0:3], 0 offset:180
	buffer_load_dword v129, off, s[0:3], 0 offset:184
	buffer_load_dword v130, off, s[0:3], 0 offset:188
	buffer_load_dword v131, off, s[0:3], 0 offset:192
	buffer_load_dword v132, off, s[0:3], 0 offset:196
	buffer_load_dword v133, off, s[0:3], 0 offset:200
	buffer_load_dword v134, off, s[0:3], 0 offset:204
	buffer_load_dword v135, off, s[0:3], 0 offset:208
	buffer_load_dword v136, off, s[0:3], 0 offset:212
	buffer_load_dword v137, off, s[0:3], 0 offset:216
	buffer_load_dword v138, off, s[0:3], 0 offset:220
	buffer_load_dword v140, off, s[0:3], 0 offset:228
	buffer_load_dword v141, off, s[0:3], 0 offset:248
	buffer_load_dword v143, off, s[0:3], 0 offset:240
	buffer_load_dword v145, off, s[0:3], 0 offset:232
	buffer_load_dword v139, off, s[0:3], 0 offset:224
	buffer_load_dword v146, off, s[0:3], 0 offset:236
	buffer_load_dword v144, off, s[0:3], 0 offset:244
	buffer_load_dword v142, off, s[0:3], 0 offset:252
	buffer_load_dword v148, off, s[0:3], 0 offset:260
	buffer_load_dword v149, off, s[0:3], 0 offset:280
	buffer_load_dword v151, off, s[0:3], 0 offset:272
	buffer_load_dword v153, off, s[0:3], 0 offset:264
	buffer_load_dword v147, off, s[0:3], 0 offset:256
	buffer_load_dword v154, off, s[0:3], 0 offset:268
	buffer_load_dword v152, off, s[0:3], 0 offset:276
	ds_read2_b64 v[117:120], v116 offset0:79 offset1:80
	ds_read2_b64 v[121:124], v116 offset0:81 offset1:82
	buffer_load_dword v150, off, s[0:3], 0 offset:284
	s_mov_b32 s4, exec_lo
	s_waitcnt vmcnt(28) lgkmcnt(1)
	v_fma_f64 v[117:118], v[125:126], v[117:118], 0
	s_clause 0x7
	buffer_load_dword v126, off, s[0:3], 0 offset:292
	buffer_load_dword v155, off, s[0:3], 0 offset:312
	buffer_load_dword v157, off, s[0:3], 0 offset:304
	buffer_load_dword v159, off, s[0:3], 0 offset:296
	buffer_load_dword v125, off, s[0:3], 0 offset:288
	buffer_load_dword v160, off, s[0:3], 0 offset:300
	buffer_load_dword v158, off, s[0:3], 0 offset:308
	buffer_load_dword v156, off, s[0:3], 0 offset:316
	s_waitcnt vmcnt(34)
	v_fma_f64 v[117:118], v[127:128], v[119:120], v[117:118]
	s_waitcnt vmcnt(32) lgkmcnt(0)
	v_fma_f64 v[117:118], v[129:130], v[121:122], v[117:118]
	s_waitcnt vmcnt(30)
	v_fma_f64 v[127:128], v[131:132], v[123:124], v[117:118]
	ds_read2_b64 v[117:120], v116 offset0:83 offset1:84
	ds_read2_b64 v[121:124], v116 offset0:85 offset1:86
	s_waitcnt vmcnt(28) lgkmcnt(1)
	v_fma_f64 v[117:118], v[133:134], v[117:118], v[127:128]
	s_clause 0x7
	buffer_load_dword v128, off, s[0:3], 0 offset:324
	buffer_load_dword v129, off, s[0:3], 0 offset:344
	buffer_load_dword v131, off, s[0:3], 0 offset:336
	buffer_load_dword v133, off, s[0:3], 0 offset:328
	buffer_load_dword v127, off, s[0:3], 0 offset:320
	buffer_load_dword v134, off, s[0:3], 0 offset:332
	buffer_load_dword v132, off, s[0:3], 0 offset:340
	buffer_load_dword v130, off, s[0:3], 0 offset:348
	s_waitcnt vmcnt(34)
	v_fma_f64 v[117:118], v[135:136], v[119:120], v[117:118]
	s_waitcnt vmcnt(32) lgkmcnt(0)
	v_fma_f64 v[117:118], v[137:138], v[121:122], v[117:118]
	s_waitcnt vmcnt(27)
	v_fma_f64 v[135:136], v[139:140], v[123:124], v[117:118]
	ds_read2_b64 v[117:120], v116 offset0:87 offset1:88
	ds_read2_b64 v[121:124], v116 offset0:89 offset1:90
	;; [unrolled: 19-line block ×5, first 2 shown]
	s_waitcnt vmcnt(26) lgkmcnt(1)
	v_fma_f64 v[117:118], v[133:134], v[117:118], v[127:128]
	s_clause 0x1
	buffer_load_dword v128, off, s[0:3], 0 offset:452
	buffer_load_dword v127, off, s[0:3], 0 offset:448
	s_waitcnt vmcnt(27)
	v_fma_f64 v[117:118], v[131:132], v[119:120], v[117:118]
	s_clause 0x1
	buffer_load_dword v131, off, s[0:3], 0 offset:160
	buffer_load_dword v132, off, s[0:3], 0 offset:164
	s_waitcnt vmcnt(28) lgkmcnt(0)
	v_fma_f64 v[117:118], v[129:130], v[121:122], v[117:118]
	s_waitcnt vmcnt(23)
	v_fma_f64 v[129:130], v[135:136], v[123:124], v[117:118]
	ds_read2_b64 v[117:120], v116 offset0:103 offset1:104
	ds_read2_b64 v[121:124], v116 offset0:105 offset1:106
	s_waitcnt vmcnt(22) lgkmcnt(1)
	v_fma_f64 v[117:118], v[145:146], v[117:118], v[129:130]
	s_waitcnt vmcnt(21)
	v_fma_f64 v[117:118], v[139:140], v[119:120], v[117:118]
	s_waitcnt vmcnt(20) lgkmcnt(0)
	v_fma_f64 v[117:118], v[137:138], v[121:122], v[117:118]
	s_waitcnt vmcnt(15)
	v_fma_f64 v[129:130], v[141:142], v[123:124], v[117:118]
	ds_read2_b64 v[117:120], v116 offset0:107 offset1:108
	ds_read2_b64 v[121:124], v116 offset0:109 offset1:110
	s_waitcnt vmcnt(14) lgkmcnt(1)
	v_fma_f64 v[117:118], v[153:154], v[117:118], v[129:130]
	s_waitcnt vmcnt(13)
	v_fma_f64 v[117:118], v[147:148], v[119:120], v[117:118]
	s_waitcnt vmcnt(12) lgkmcnt(0)
	v_fma_f64 v[117:118], v[143:144], v[121:122], v[117:118]
	s_waitcnt vmcnt(7)
	v_fma_f64 v[125:126], v[125:126], v[123:124], v[117:118]
	ds_read2_b64 v[117:120], v116 offset0:111 offset1:112
	ds_read2_b64 v[121:124], v116 offset0:113 offset1:114
	s_waitcnt vmcnt(6) lgkmcnt(1)
	v_fma_f64 v[116:117], v[159:160], v[117:118], v[125:126]
	s_waitcnt vmcnt(5)
	v_fma_f64 v[116:117], v[151:152], v[119:120], v[116:117]
	s_waitcnt vmcnt(4) lgkmcnt(0)
	v_fma_f64 v[116:117], v[149:150], v[121:122], v[116:117]
	s_waitcnt vmcnt(2)
	v_fma_f64 v[116:117], v[127:128], v[123:124], v[116:117]
	s_waitcnt vmcnt(0)
	v_add_f64 v[116:117], v[131:132], -v[116:117]
	buffer_store_dword v117, off, s[0:3], 0 offset:164
	buffer_store_dword v116, off, s[0:3], 0 offset:160
	v_cmpx_lt_u32_e32 19, v0
	s_cbranch_execz .LBB120_313
; %bb.312:
	s_clause 0x1
	buffer_load_dword v116, off, s[0:3], 0 offset:152
	buffer_load_dword v117, off, s[0:3], 0 offset:156
	v_mov_b32_e32 v118, 0
	buffer_store_dword v118, off, s[0:3], 0 offset:152
	buffer_store_dword v118, off, s[0:3], 0 offset:156
	s_waitcnt vmcnt(0)
	ds_write_b64 v115, v[116:117]
.LBB120_313:
	s_or_b32 exec_lo, exec_lo, s4
	s_waitcnt lgkmcnt(0)
	s_waitcnt_vscnt null, 0x0
	s_barrier
	buffer_gl0_inv
	s_clause 0x1c
	buffer_load_dword v125, off, s[0:3], 0 offset:160
	buffer_load_dword v126, off, s[0:3], 0 offset:164
	;; [unrolled: 1-line block ×29, first 2 shown]
	v_mov_b32_e32 v116, 0
	buffer_load_dword v150, off, s[0:3], 0 offset:276
	s_mov_b32 s4, exec_lo
	ds_read_b128 v[117:120], v116 offset:624
	ds_read_b128 v[121:124], v116 offset:640
	s_waitcnt vmcnt(28) lgkmcnt(1)
	v_fma_f64 v[117:118], v[125:126], v[117:118], 0
	s_clause 0x7
	buffer_load_dword v126, off, s[0:3], 0 offset:284
	buffer_load_dword v155, off, s[0:3], 0 offset:304
	buffer_load_dword v157, off, s[0:3], 0 offset:296
	buffer_load_dword v159, off, s[0:3], 0 offset:288
	buffer_load_dword v125, off, s[0:3], 0 offset:280
	buffer_load_dword v160, off, s[0:3], 0 offset:292
	buffer_load_dword v158, off, s[0:3], 0 offset:300
	buffer_load_dword v156, off, s[0:3], 0 offset:308
	s_waitcnt vmcnt(34)
	v_fma_f64 v[117:118], v[127:128], v[119:120], v[117:118]
	s_waitcnt vmcnt(32) lgkmcnt(0)
	v_fma_f64 v[117:118], v[129:130], v[121:122], v[117:118]
	s_waitcnt vmcnt(30)
	v_fma_f64 v[127:128], v[131:132], v[123:124], v[117:118]
	ds_read_b128 v[117:120], v116 offset:656
	ds_read_b128 v[121:124], v116 offset:672
	s_waitcnt vmcnt(28) lgkmcnt(1)
	v_fma_f64 v[117:118], v[133:134], v[117:118], v[127:128]
	s_clause 0x7
	buffer_load_dword v128, off, s[0:3], 0 offset:316
	buffer_load_dword v129, off, s[0:3], 0 offset:336
	buffer_load_dword v131, off, s[0:3], 0 offset:328
	buffer_load_dword v133, off, s[0:3], 0 offset:320
	buffer_load_dword v127, off, s[0:3], 0 offset:312
	buffer_load_dword v134, off, s[0:3], 0 offset:324
	buffer_load_dword v132, off, s[0:3], 0 offset:332
	buffer_load_dword v130, off, s[0:3], 0 offset:340
	s_waitcnt vmcnt(34)
	v_fma_f64 v[117:118], v[135:136], v[119:120], v[117:118]
	s_waitcnt vmcnt(32) lgkmcnt(0)
	v_fma_f64 v[117:118], v[137:138], v[121:122], v[117:118]
	s_waitcnt vmcnt(27)
	v_fma_f64 v[135:136], v[139:140], v[123:124], v[117:118]
	;; [unrolled: 19-line block ×5, first 2 shown]
	ds_read_b128 v[117:120], v116 offset:784
	ds_read_b128 v[121:124], v116 offset:800
	s_waitcnt vmcnt(26) lgkmcnt(1)
	v_fma_f64 v[117:118], v[133:134], v[117:118], v[127:128]
	s_clause 0x3
	buffer_load_dword v128, off, s[0:3], 0 offset:444
	buffer_load_dword v133, off, s[0:3], 0 offset:448
	;; [unrolled: 1-line block ×4, first 2 shown]
	s_waitcnt vmcnt(29)
	v_fma_f64 v[117:118], v[131:132], v[119:120], v[117:118]
	s_waitcnt vmcnt(28) lgkmcnt(0)
	v_fma_f64 v[117:118], v[129:130], v[121:122], v[117:118]
	s_clause 0x1
	buffer_load_dword v129, off, s[0:3], 0 offset:152
	buffer_load_dword v130, off, s[0:3], 0 offset:156
	s_waitcnt vmcnt(25)
	v_fma_f64 v[131:132], v[135:136], v[123:124], v[117:118]
	ds_read_b128 v[117:120], v116 offset:816
	ds_read_b128 v[121:124], v116 offset:832
	s_waitcnt vmcnt(24) lgkmcnt(1)
	v_fma_f64 v[117:118], v[145:146], v[117:118], v[131:132]
	s_waitcnt vmcnt(23)
	v_fma_f64 v[117:118], v[139:140], v[119:120], v[117:118]
	s_waitcnt vmcnt(22) lgkmcnt(0)
	v_fma_f64 v[117:118], v[137:138], v[121:122], v[117:118]
	s_waitcnt vmcnt(17)
	v_fma_f64 v[131:132], v[141:142], v[123:124], v[117:118]
	ds_read_b128 v[117:120], v116 offset:848
	ds_read_b128 v[121:124], v116 offset:864
	s_waitcnt vmcnt(16) lgkmcnt(1)
	v_fma_f64 v[117:118], v[153:154], v[117:118], v[131:132]
	s_waitcnt vmcnt(15)
	v_fma_f64 v[117:118], v[147:148], v[119:120], v[117:118]
	s_waitcnt vmcnt(14) lgkmcnt(0)
	v_fma_f64 v[117:118], v[143:144], v[121:122], v[117:118]
	s_waitcnt vmcnt(9)
	v_fma_f64 v[125:126], v[125:126], v[123:124], v[117:118]
	ds_read_b128 v[117:120], v116 offset:880
	ds_read_b128 v[121:124], v116 offset:896
	s_waitcnt vmcnt(8) lgkmcnt(1)
	v_fma_f64 v[117:118], v[159:160], v[117:118], v[125:126]
	s_waitcnt vmcnt(7)
	v_fma_f64 v[117:118], v[151:152], v[119:120], v[117:118]
	ds_read_b64 v[119:120], v116 offset:912
	s_waitcnt vmcnt(6) lgkmcnt(1)
	v_fma_f64 v[117:118], v[149:150], v[121:122], v[117:118]
	s_waitcnt vmcnt(3)
	v_fma_f64 v[117:118], v[127:128], v[123:124], v[117:118]
	s_waitcnt vmcnt(2) lgkmcnt(0)
	v_fma_f64 v[117:118], v[133:134], v[119:120], v[117:118]
	s_waitcnt vmcnt(0)
	v_add_f64 v[117:118], v[129:130], -v[117:118]
	buffer_store_dword v118, off, s[0:3], 0 offset:156
	buffer_store_dword v117, off, s[0:3], 0 offset:152
	v_cmpx_lt_u32_e32 18, v0
	s_cbranch_execz .LBB120_315
; %bb.314:
	s_clause 0x1
	buffer_load_dword v117, off, s[0:3], 0 offset:144
	buffer_load_dword v118, off, s[0:3], 0 offset:148
	buffer_store_dword v116, off, s[0:3], 0 offset:144
	buffer_store_dword v116, off, s[0:3], 0 offset:148
	s_waitcnt vmcnt(0)
	ds_write_b64 v115, v[117:118]
.LBB120_315:
	s_or_b32 exec_lo, exec_lo, s4
	s_waitcnt lgkmcnt(0)
	s_waitcnt_vscnt null, 0x0
	s_barrier
	buffer_gl0_inv
	s_clause 0x1c
	buffer_load_dword v125, off, s[0:3], 0 offset:152
	buffer_load_dword v126, off, s[0:3], 0 offset:156
	;; [unrolled: 1-line block ×29, first 2 shown]
	ds_read2_b64 v[117:120], v116 offset0:77 offset1:78
	ds_read2_b64 v[121:124], v116 offset0:79 offset1:80
	buffer_load_dword v150, off, s[0:3], 0 offset:268
	s_mov_b32 s4, exec_lo
	s_waitcnt vmcnt(28) lgkmcnt(1)
	v_fma_f64 v[117:118], v[125:126], v[117:118], 0
	s_clause 0x7
	buffer_load_dword v126, off, s[0:3], 0 offset:276
	buffer_load_dword v155, off, s[0:3], 0 offset:296
	buffer_load_dword v157, off, s[0:3], 0 offset:288
	buffer_load_dword v159, off, s[0:3], 0 offset:280
	buffer_load_dword v125, off, s[0:3], 0 offset:272
	buffer_load_dword v160, off, s[0:3], 0 offset:284
	buffer_load_dword v158, off, s[0:3], 0 offset:292
	buffer_load_dword v156, off, s[0:3], 0 offset:300
	s_waitcnt vmcnt(34)
	v_fma_f64 v[117:118], v[127:128], v[119:120], v[117:118]
	s_waitcnt vmcnt(32) lgkmcnt(0)
	v_fma_f64 v[117:118], v[129:130], v[121:122], v[117:118]
	s_waitcnt vmcnt(30)
	v_fma_f64 v[127:128], v[131:132], v[123:124], v[117:118]
	ds_read2_b64 v[117:120], v116 offset0:81 offset1:82
	ds_read2_b64 v[121:124], v116 offset0:83 offset1:84
	s_waitcnt vmcnt(28) lgkmcnt(1)
	v_fma_f64 v[117:118], v[133:134], v[117:118], v[127:128]
	s_clause 0x7
	buffer_load_dword v128, off, s[0:3], 0 offset:308
	buffer_load_dword v129, off, s[0:3], 0 offset:328
	buffer_load_dword v131, off, s[0:3], 0 offset:320
	buffer_load_dword v133, off, s[0:3], 0 offset:312
	buffer_load_dword v127, off, s[0:3], 0 offset:304
	buffer_load_dword v134, off, s[0:3], 0 offset:316
	buffer_load_dword v132, off, s[0:3], 0 offset:324
	buffer_load_dword v130, off, s[0:3], 0 offset:332
	s_waitcnt vmcnt(34)
	v_fma_f64 v[117:118], v[135:136], v[119:120], v[117:118]
	s_waitcnt vmcnt(32) lgkmcnt(0)
	v_fma_f64 v[117:118], v[137:138], v[121:122], v[117:118]
	s_waitcnt vmcnt(27)
	v_fma_f64 v[135:136], v[139:140], v[123:124], v[117:118]
	ds_read2_b64 v[117:120], v116 offset0:85 offset1:86
	ds_read2_b64 v[121:124], v116 offset0:87 offset1:88
	;; [unrolled: 19-line block ×5, first 2 shown]
	s_waitcnt vmcnt(26) lgkmcnt(1)
	v_fma_f64 v[117:118], v[133:134], v[117:118], v[127:128]
	s_clause 0x5
	buffer_load_dword v128, off, s[0:3], 0 offset:436
	buffer_load_dword v133, off, s[0:3], 0 offset:448
	;; [unrolled: 1-line block ×6, first 2 shown]
	s_waitcnt vmcnt(31)
	v_fma_f64 v[117:118], v[131:132], v[119:120], v[117:118]
	s_waitcnt vmcnt(30) lgkmcnt(0)
	v_fma_f64 v[117:118], v[129:130], v[121:122], v[117:118]
	s_waitcnt vmcnt(25)
	v_fma_f64 v[129:130], v[135:136], v[123:124], v[117:118]
	ds_read2_b64 v[117:120], v116 offset0:101 offset1:102
	s_clause 0x1
	buffer_load_dword v131, off, s[0:3], 0 offset:144
	buffer_load_dword v132, off, s[0:3], 0 offset:148
	ds_read2_b64 v[121:124], v116 offset0:103 offset1:104
	s_waitcnt vmcnt(26) lgkmcnt(1)
	v_fma_f64 v[117:118], v[145:146], v[117:118], v[129:130]
	s_waitcnt vmcnt(25)
	v_fma_f64 v[117:118], v[139:140], v[119:120], v[117:118]
	s_waitcnt vmcnt(24) lgkmcnt(0)
	v_fma_f64 v[117:118], v[137:138], v[121:122], v[117:118]
	s_waitcnt vmcnt(19)
	v_fma_f64 v[129:130], v[141:142], v[123:124], v[117:118]
	ds_read2_b64 v[117:120], v116 offset0:105 offset1:106
	ds_read2_b64 v[121:124], v116 offset0:107 offset1:108
	s_waitcnt vmcnt(18) lgkmcnt(1)
	v_fma_f64 v[117:118], v[153:154], v[117:118], v[129:130]
	s_waitcnt vmcnt(17)
	v_fma_f64 v[117:118], v[147:148], v[119:120], v[117:118]
	s_waitcnt vmcnt(16) lgkmcnt(0)
	v_fma_f64 v[117:118], v[143:144], v[121:122], v[117:118]
	s_waitcnt vmcnt(11)
	v_fma_f64 v[125:126], v[125:126], v[123:124], v[117:118]
	ds_read2_b64 v[117:120], v116 offset0:109 offset1:110
	;; [unrolled: 10-line block ×3, first 2 shown]
	s_waitcnt vmcnt(3) lgkmcnt(0)
	v_fma_f64 v[116:117], v[155:156], v[116:117], v[120:121]
	s_waitcnt vmcnt(2)
	v_fma_f64 v[116:117], v[133:134], v[118:119], v[116:117]
	s_waitcnt vmcnt(0)
	v_add_f64 v[116:117], v[131:132], -v[116:117]
	buffer_store_dword v117, off, s[0:3], 0 offset:148
	buffer_store_dword v116, off, s[0:3], 0 offset:144
	v_cmpx_lt_u32_e32 17, v0
	s_cbranch_execz .LBB120_317
; %bb.316:
	s_clause 0x1
	buffer_load_dword v116, off, s[0:3], 0 offset:136
	buffer_load_dword v117, off, s[0:3], 0 offset:140
	v_mov_b32_e32 v118, 0
	buffer_store_dword v118, off, s[0:3], 0 offset:136
	buffer_store_dword v118, off, s[0:3], 0 offset:140
	s_waitcnt vmcnt(0)
	ds_write_b64 v115, v[116:117]
.LBB120_317:
	s_or_b32 exec_lo, exec_lo, s4
	s_waitcnt lgkmcnt(0)
	s_waitcnt_vscnt null, 0x0
	s_barrier
	buffer_gl0_inv
	s_clause 0x1c
	buffer_load_dword v125, off, s[0:3], 0 offset:144
	buffer_load_dword v126, off, s[0:3], 0 offset:148
	;; [unrolled: 1-line block ×29, first 2 shown]
	v_mov_b32_e32 v116, 0
	buffer_load_dword v150, off, s[0:3], 0 offset:260
	s_mov_b32 s4, exec_lo
	ds_read_b128 v[117:120], v116 offset:608
	ds_read_b128 v[121:124], v116 offset:624
	s_waitcnt vmcnt(28) lgkmcnt(1)
	v_fma_f64 v[117:118], v[125:126], v[117:118], 0
	s_clause 0x7
	buffer_load_dword v126, off, s[0:3], 0 offset:268
	buffer_load_dword v155, off, s[0:3], 0 offset:288
	buffer_load_dword v157, off, s[0:3], 0 offset:280
	buffer_load_dword v159, off, s[0:3], 0 offset:272
	buffer_load_dword v125, off, s[0:3], 0 offset:264
	buffer_load_dword v160, off, s[0:3], 0 offset:276
	buffer_load_dword v158, off, s[0:3], 0 offset:284
	buffer_load_dword v156, off, s[0:3], 0 offset:292
	s_waitcnt vmcnt(34)
	v_fma_f64 v[117:118], v[127:128], v[119:120], v[117:118]
	s_waitcnt vmcnt(32) lgkmcnt(0)
	v_fma_f64 v[117:118], v[129:130], v[121:122], v[117:118]
	s_waitcnt vmcnt(30)
	v_fma_f64 v[127:128], v[131:132], v[123:124], v[117:118]
	ds_read_b128 v[117:120], v116 offset:640
	ds_read_b128 v[121:124], v116 offset:656
	s_waitcnt vmcnt(28) lgkmcnt(1)
	v_fma_f64 v[117:118], v[133:134], v[117:118], v[127:128]
	s_clause 0x7
	buffer_load_dword v128, off, s[0:3], 0 offset:300
	buffer_load_dword v129, off, s[0:3], 0 offset:320
	buffer_load_dword v131, off, s[0:3], 0 offset:312
	buffer_load_dword v133, off, s[0:3], 0 offset:304
	buffer_load_dword v127, off, s[0:3], 0 offset:296
	buffer_load_dword v134, off, s[0:3], 0 offset:308
	buffer_load_dword v132, off, s[0:3], 0 offset:316
	buffer_load_dword v130, off, s[0:3], 0 offset:324
	s_waitcnt vmcnt(34)
	v_fma_f64 v[117:118], v[135:136], v[119:120], v[117:118]
	s_waitcnt vmcnt(32) lgkmcnt(0)
	v_fma_f64 v[117:118], v[137:138], v[121:122], v[117:118]
	s_waitcnt vmcnt(27)
	v_fma_f64 v[135:136], v[139:140], v[123:124], v[117:118]
	;; [unrolled: 19-line block ×6, first 2 shown]
	ds_read_b128 v[117:120], v116 offset:800
	ds_read_b128 v[121:124], v116 offset:816
	s_waitcnt vmcnt(26) lgkmcnt(1)
	v_fma_f64 v[117:118], v[145:146], v[117:118], v[129:130]
	s_clause 0x1
	buffer_load_dword v129, off, s[0:3], 0 offset:136
	buffer_load_dword v130, off, s[0:3], 0 offset:140
	s_waitcnt vmcnt(27)
	v_fma_f64 v[117:118], v[139:140], v[119:120], v[117:118]
	s_waitcnt vmcnt(26) lgkmcnt(0)
	v_fma_f64 v[117:118], v[137:138], v[121:122], v[117:118]
	s_waitcnt vmcnt(21)
	v_fma_f64 v[131:132], v[141:142], v[123:124], v[117:118]
	ds_read_b128 v[117:120], v116 offset:832
	ds_read_b128 v[121:124], v116 offset:848
	s_waitcnt vmcnt(20) lgkmcnt(1)
	v_fma_f64 v[117:118], v[153:154], v[117:118], v[131:132]
	s_waitcnt vmcnt(19)
	v_fma_f64 v[117:118], v[147:148], v[119:120], v[117:118]
	s_waitcnt vmcnt(18) lgkmcnt(0)
	v_fma_f64 v[117:118], v[143:144], v[121:122], v[117:118]
	s_waitcnt vmcnt(13)
	v_fma_f64 v[125:126], v[125:126], v[123:124], v[117:118]
	ds_read_b128 v[117:120], v116 offset:864
	ds_read_b128 v[121:124], v116 offset:880
	s_waitcnt vmcnt(12) lgkmcnt(1)
	v_fma_f64 v[117:118], v[159:160], v[117:118], v[125:126]
	s_waitcnt vmcnt(11)
	v_fma_f64 v[117:118], v[151:152], v[119:120], v[117:118]
	s_waitcnt vmcnt(10) lgkmcnt(0)
	v_fma_f64 v[117:118], v[149:150], v[121:122], v[117:118]
	s_waitcnt vmcnt(5)
	v_fma_f64 v[121:122], v[127:128], v[123:124], v[117:118]
	ds_read_b128 v[117:120], v116 offset:896
	ds_read_b64 v[123:124], v116 offset:912
	s_waitcnt vmcnt(4) lgkmcnt(1)
	v_fma_f64 v[117:118], v[157:158], v[117:118], v[121:122]
	s_waitcnt vmcnt(3)
	v_fma_f64 v[117:118], v[155:156], v[119:120], v[117:118]
	s_waitcnt vmcnt(2) lgkmcnt(0)
	v_fma_f64 v[117:118], v[133:134], v[123:124], v[117:118]
	s_waitcnt vmcnt(0)
	v_add_f64 v[117:118], v[129:130], -v[117:118]
	buffer_store_dword v118, off, s[0:3], 0 offset:140
	buffer_store_dword v117, off, s[0:3], 0 offset:136
	v_cmpx_lt_u32_e32 16, v0
	s_cbranch_execz .LBB120_319
; %bb.318:
	s_clause 0x1
	buffer_load_dword v117, off, s[0:3], 0 offset:128
	buffer_load_dword v118, off, s[0:3], 0 offset:132
	buffer_store_dword v116, off, s[0:3], 0 offset:128
	buffer_store_dword v116, off, s[0:3], 0 offset:132
	s_waitcnt vmcnt(0)
	ds_write_b64 v115, v[117:118]
.LBB120_319:
	s_or_b32 exec_lo, exec_lo, s4
	s_waitcnt lgkmcnt(0)
	s_waitcnt_vscnt null, 0x0
	s_barrier
	buffer_gl0_inv
	s_clause 0x1c
	buffer_load_dword v125, off, s[0:3], 0 offset:136
	buffer_load_dword v126, off, s[0:3], 0 offset:140
	;; [unrolled: 1-line block ×29, first 2 shown]
	ds_read2_b64 v[117:120], v116 offset0:75 offset1:76
	ds_read2_b64 v[121:124], v116 offset0:77 offset1:78
	buffer_load_dword v150, off, s[0:3], 0 offset:252
	s_mov_b32 s4, exec_lo
	s_waitcnt vmcnt(28) lgkmcnt(1)
	v_fma_f64 v[117:118], v[125:126], v[117:118], 0
	s_clause 0x7
	buffer_load_dword v126, off, s[0:3], 0 offset:260
	buffer_load_dword v155, off, s[0:3], 0 offset:280
	buffer_load_dword v157, off, s[0:3], 0 offset:272
	buffer_load_dword v159, off, s[0:3], 0 offset:264
	buffer_load_dword v125, off, s[0:3], 0 offset:256
	buffer_load_dword v160, off, s[0:3], 0 offset:268
	buffer_load_dword v158, off, s[0:3], 0 offset:276
	buffer_load_dword v156, off, s[0:3], 0 offset:284
	s_waitcnt vmcnt(34)
	v_fma_f64 v[117:118], v[127:128], v[119:120], v[117:118]
	s_waitcnt vmcnt(32) lgkmcnt(0)
	v_fma_f64 v[117:118], v[129:130], v[121:122], v[117:118]
	s_waitcnt vmcnt(30)
	v_fma_f64 v[127:128], v[131:132], v[123:124], v[117:118]
	ds_read2_b64 v[117:120], v116 offset0:79 offset1:80
	ds_read2_b64 v[121:124], v116 offset0:81 offset1:82
	s_waitcnt vmcnt(28) lgkmcnt(1)
	v_fma_f64 v[117:118], v[133:134], v[117:118], v[127:128]
	s_clause 0x7
	buffer_load_dword v128, off, s[0:3], 0 offset:292
	buffer_load_dword v129, off, s[0:3], 0 offset:312
	buffer_load_dword v131, off, s[0:3], 0 offset:304
	buffer_load_dword v133, off, s[0:3], 0 offset:296
	buffer_load_dword v127, off, s[0:3], 0 offset:288
	buffer_load_dword v134, off, s[0:3], 0 offset:300
	buffer_load_dword v132, off, s[0:3], 0 offset:308
	buffer_load_dword v130, off, s[0:3], 0 offset:316
	s_waitcnt vmcnt(34)
	v_fma_f64 v[117:118], v[135:136], v[119:120], v[117:118]
	s_waitcnt vmcnt(32) lgkmcnt(0)
	v_fma_f64 v[117:118], v[137:138], v[121:122], v[117:118]
	s_waitcnt vmcnt(27)
	v_fma_f64 v[135:136], v[139:140], v[123:124], v[117:118]
	ds_read2_b64 v[117:120], v116 offset0:83 offset1:84
	ds_read2_b64 v[121:124], v116 offset0:85 offset1:86
	;; [unrolled: 19-line block ×6, first 2 shown]
	s_waitcnt vmcnt(26) lgkmcnt(1)
	v_fma_f64 v[117:118], v[145:146], v[117:118], v[129:130]
	s_clause 0x3
	buffer_load_dword v130, off, s[0:3], 0 offset:452
	buffer_load_dword v129, off, s[0:3], 0 offset:448
	;; [unrolled: 1-line block ×4, first 2 shown]
	s_waitcnt vmcnt(29)
	v_fma_f64 v[117:118], v[139:140], v[119:120], v[117:118]
	s_waitcnt vmcnt(28) lgkmcnt(0)
	v_fma_f64 v[117:118], v[137:138], v[121:122], v[117:118]
	s_waitcnt vmcnt(23)
	v_fma_f64 v[135:136], v[141:142], v[123:124], v[117:118]
	ds_read2_b64 v[117:120], v116 offset0:103 offset1:104
	ds_read2_b64 v[121:124], v116 offset0:105 offset1:106
	s_waitcnt vmcnt(22) lgkmcnt(1)
	v_fma_f64 v[117:118], v[153:154], v[117:118], v[135:136]
	s_waitcnt vmcnt(21)
	v_fma_f64 v[117:118], v[147:148], v[119:120], v[117:118]
	s_waitcnt vmcnt(20) lgkmcnt(0)
	v_fma_f64 v[117:118], v[143:144], v[121:122], v[117:118]
	s_waitcnt vmcnt(15)
	v_fma_f64 v[125:126], v[125:126], v[123:124], v[117:118]
	ds_read2_b64 v[117:120], v116 offset0:107 offset1:108
	ds_read2_b64 v[121:124], v116 offset0:109 offset1:110
	s_waitcnt vmcnt(14) lgkmcnt(1)
	v_fma_f64 v[117:118], v[159:160], v[117:118], v[125:126]
	;; [unrolled: 10-line block ×3, first 2 shown]
	s_waitcnt vmcnt(5)
	v_fma_f64 v[116:117], v[155:156], v[119:120], v[116:117]
	s_waitcnt vmcnt(4) lgkmcnt(0)
	v_fma_f64 v[116:117], v[133:134], v[121:122], v[116:117]
	s_waitcnt vmcnt(2)
	v_fma_f64 v[116:117], v[129:130], v[123:124], v[116:117]
	s_waitcnt vmcnt(0)
	v_add_f64 v[116:117], v[131:132], -v[116:117]
	buffer_store_dword v117, off, s[0:3], 0 offset:132
	buffer_store_dword v116, off, s[0:3], 0 offset:128
	v_cmpx_lt_u32_e32 15, v0
	s_cbranch_execz .LBB120_321
; %bb.320:
	s_clause 0x1
	buffer_load_dword v116, off, s[0:3], 0 offset:120
	buffer_load_dword v117, off, s[0:3], 0 offset:124
	v_mov_b32_e32 v118, 0
	buffer_store_dword v118, off, s[0:3], 0 offset:120
	buffer_store_dword v118, off, s[0:3], 0 offset:124
	s_waitcnt vmcnt(0)
	ds_write_b64 v115, v[116:117]
.LBB120_321:
	s_or_b32 exec_lo, exec_lo, s4
	s_waitcnt lgkmcnt(0)
	s_waitcnt_vscnt null, 0x0
	s_barrier
	buffer_gl0_inv
	s_clause 0x1c
	buffer_load_dword v125, off, s[0:3], 0 offset:128
	buffer_load_dword v126, off, s[0:3], 0 offset:132
	;; [unrolled: 1-line block ×29, first 2 shown]
	v_mov_b32_e32 v116, 0
	buffer_load_dword v150, off, s[0:3], 0 offset:244
	s_mov_b32 s4, exec_lo
	ds_read_b128 v[117:120], v116 offset:592
	ds_read_b128 v[121:124], v116 offset:608
	s_waitcnt vmcnt(28) lgkmcnt(1)
	v_fma_f64 v[117:118], v[125:126], v[117:118], 0
	s_clause 0x7
	buffer_load_dword v126, off, s[0:3], 0 offset:252
	buffer_load_dword v155, off, s[0:3], 0 offset:272
	buffer_load_dword v157, off, s[0:3], 0 offset:264
	buffer_load_dword v159, off, s[0:3], 0 offset:256
	buffer_load_dword v125, off, s[0:3], 0 offset:248
	buffer_load_dword v160, off, s[0:3], 0 offset:260
	buffer_load_dword v158, off, s[0:3], 0 offset:268
	buffer_load_dword v156, off, s[0:3], 0 offset:276
	s_waitcnt vmcnt(34)
	v_fma_f64 v[117:118], v[127:128], v[119:120], v[117:118]
	s_waitcnt vmcnt(32) lgkmcnt(0)
	v_fma_f64 v[117:118], v[129:130], v[121:122], v[117:118]
	s_waitcnt vmcnt(30)
	v_fma_f64 v[127:128], v[131:132], v[123:124], v[117:118]
	ds_read_b128 v[117:120], v116 offset:624
	ds_read_b128 v[121:124], v116 offset:640
	s_waitcnt vmcnt(28) lgkmcnt(1)
	v_fma_f64 v[117:118], v[133:134], v[117:118], v[127:128]
	s_clause 0x7
	buffer_load_dword v128, off, s[0:3], 0 offset:284
	buffer_load_dword v129, off, s[0:3], 0 offset:304
	buffer_load_dword v131, off, s[0:3], 0 offset:296
	buffer_load_dword v133, off, s[0:3], 0 offset:288
	buffer_load_dword v127, off, s[0:3], 0 offset:280
	buffer_load_dword v134, off, s[0:3], 0 offset:292
	buffer_load_dword v132, off, s[0:3], 0 offset:300
	buffer_load_dword v130, off, s[0:3], 0 offset:308
	s_waitcnt vmcnt(34)
	v_fma_f64 v[117:118], v[135:136], v[119:120], v[117:118]
	s_waitcnt vmcnt(32) lgkmcnt(0)
	v_fma_f64 v[117:118], v[137:138], v[121:122], v[117:118]
	s_waitcnt vmcnt(27)
	v_fma_f64 v[135:136], v[139:140], v[123:124], v[117:118]
	;; [unrolled: 19-line block ×6, first 2 shown]
	ds_read_b128 v[117:120], v116 offset:784
	ds_read_b128 v[121:124], v116 offset:800
	s_waitcnt vmcnt(26) lgkmcnt(1)
	v_fma_f64 v[117:118], v[145:146], v[117:118], v[129:130]
	s_clause 0x5
	buffer_load_dword v130, off, s[0:3], 0 offset:444
	buffer_load_dword v131, off, s[0:3], 0 offset:448
	;; [unrolled: 1-line block ×6, first 2 shown]
	s_waitcnt vmcnt(31)
	v_fma_f64 v[117:118], v[139:140], v[119:120], v[117:118]
	s_waitcnt vmcnt(30) lgkmcnt(0)
	v_fma_f64 v[117:118], v[137:138], v[121:122], v[117:118]
	s_waitcnt vmcnt(25)
	v_fma_f64 v[137:138], v[141:142], v[123:124], v[117:118]
	ds_read_b128 v[117:120], v116 offset:816
	ds_read_b128 v[121:124], v116 offset:832
	s_waitcnt vmcnt(24) lgkmcnt(1)
	v_fma_f64 v[117:118], v[153:154], v[117:118], v[137:138]
	s_waitcnt vmcnt(23)
	v_fma_f64 v[117:118], v[147:148], v[119:120], v[117:118]
	s_waitcnt vmcnt(22) lgkmcnt(0)
	v_fma_f64 v[117:118], v[143:144], v[121:122], v[117:118]
	s_waitcnt vmcnt(17)
	v_fma_f64 v[125:126], v[125:126], v[123:124], v[117:118]
	ds_read_b128 v[117:120], v116 offset:848
	ds_read_b128 v[121:124], v116 offset:864
	s_waitcnt vmcnt(16) lgkmcnt(1)
	v_fma_f64 v[117:118], v[159:160], v[117:118], v[125:126]
	;; [unrolled: 10-line block ×3, first 2 shown]
	s_waitcnt vmcnt(7)
	v_fma_f64 v[117:118], v[155:156], v[119:120], v[117:118]
	ds_read_b64 v[119:120], v116 offset:912
	s_waitcnt vmcnt(6) lgkmcnt(1)
	v_fma_f64 v[117:118], v[133:134], v[121:122], v[117:118]
	s_waitcnt vmcnt(3)
	v_fma_f64 v[117:118], v[129:130], v[123:124], v[117:118]
	s_waitcnt vmcnt(2) lgkmcnt(0)
	v_fma_f64 v[117:118], v[131:132], v[119:120], v[117:118]
	s_waitcnt vmcnt(0)
	v_add_f64 v[117:118], v[135:136], -v[117:118]
	buffer_store_dword v118, off, s[0:3], 0 offset:124
	buffer_store_dword v117, off, s[0:3], 0 offset:120
	v_cmpx_lt_u32_e32 14, v0
	s_cbranch_execz .LBB120_323
; %bb.322:
	s_clause 0x1
	buffer_load_dword v117, off, s[0:3], 0 offset:112
	buffer_load_dword v118, off, s[0:3], 0 offset:116
	buffer_store_dword v116, off, s[0:3], 0 offset:112
	buffer_store_dword v116, off, s[0:3], 0 offset:116
	s_waitcnt vmcnt(0)
	ds_write_b64 v115, v[117:118]
.LBB120_323:
	s_or_b32 exec_lo, exec_lo, s4
	s_waitcnt lgkmcnt(0)
	s_waitcnt_vscnt null, 0x0
	s_barrier
	buffer_gl0_inv
	s_clause 0x1c
	buffer_load_dword v125, off, s[0:3], 0 offset:120
	buffer_load_dword v126, off, s[0:3], 0 offset:124
	;; [unrolled: 1-line block ×29, first 2 shown]
	ds_read2_b64 v[117:120], v116 offset0:73 offset1:74
	ds_read2_b64 v[121:124], v116 offset0:75 offset1:76
	buffer_load_dword v150, off, s[0:3], 0 offset:236
	s_mov_b32 s4, exec_lo
	s_waitcnt vmcnt(28) lgkmcnt(1)
	v_fma_f64 v[117:118], v[125:126], v[117:118], 0
	s_clause 0x7
	buffer_load_dword v126, off, s[0:3], 0 offset:244
	buffer_load_dword v155, off, s[0:3], 0 offset:264
	buffer_load_dword v157, off, s[0:3], 0 offset:256
	buffer_load_dword v159, off, s[0:3], 0 offset:248
	buffer_load_dword v125, off, s[0:3], 0 offset:240
	buffer_load_dword v160, off, s[0:3], 0 offset:252
	buffer_load_dword v158, off, s[0:3], 0 offset:260
	buffer_load_dword v156, off, s[0:3], 0 offset:268
	s_waitcnt vmcnt(34)
	v_fma_f64 v[117:118], v[127:128], v[119:120], v[117:118]
	s_waitcnt vmcnt(32) lgkmcnt(0)
	v_fma_f64 v[117:118], v[129:130], v[121:122], v[117:118]
	s_waitcnt vmcnt(30)
	v_fma_f64 v[127:128], v[131:132], v[123:124], v[117:118]
	ds_read2_b64 v[117:120], v116 offset0:77 offset1:78
	ds_read2_b64 v[121:124], v116 offset0:79 offset1:80
	s_waitcnt vmcnt(28) lgkmcnt(1)
	v_fma_f64 v[117:118], v[133:134], v[117:118], v[127:128]
	s_clause 0x7
	buffer_load_dword v128, off, s[0:3], 0 offset:276
	buffer_load_dword v129, off, s[0:3], 0 offset:296
	buffer_load_dword v131, off, s[0:3], 0 offset:288
	buffer_load_dword v133, off, s[0:3], 0 offset:280
	buffer_load_dword v127, off, s[0:3], 0 offset:272
	buffer_load_dword v134, off, s[0:3], 0 offset:284
	buffer_load_dword v132, off, s[0:3], 0 offset:292
	buffer_load_dword v130, off, s[0:3], 0 offset:300
	s_waitcnt vmcnt(34)
	v_fma_f64 v[117:118], v[135:136], v[119:120], v[117:118]
	s_waitcnt vmcnt(32) lgkmcnt(0)
	v_fma_f64 v[117:118], v[137:138], v[121:122], v[117:118]
	s_waitcnt vmcnt(27)
	v_fma_f64 v[135:136], v[139:140], v[123:124], v[117:118]
	ds_read2_b64 v[117:120], v116 offset0:81 offset1:82
	ds_read2_b64 v[121:124], v116 offset0:83 offset1:84
	;; [unrolled: 19-line block ×6, first 2 shown]
	s_waitcnt vmcnt(26) lgkmcnt(1)
	v_fma_f64 v[117:118], v[145:146], v[117:118], v[129:130]
	s_clause 0x5
	buffer_load_dword v130, off, s[0:3], 0 offset:436
	buffer_load_dword v131, off, s[0:3], 0 offset:448
	;; [unrolled: 1-line block ×6, first 2 shown]
	s_waitcnt vmcnt(31)
	v_fma_f64 v[117:118], v[139:140], v[119:120], v[117:118]
	s_waitcnt vmcnt(30) lgkmcnt(0)
	v_fma_f64 v[117:118], v[137:138], v[121:122], v[117:118]
	s_waitcnt vmcnt(25)
	v_fma_f64 v[137:138], v[141:142], v[123:124], v[117:118]
	ds_read2_b64 v[117:120], v116 offset0:101 offset1:102
	s_clause 0x1
	buffer_load_dword v139, off, s[0:3], 0 offset:112
	buffer_load_dword v140, off, s[0:3], 0 offset:116
	ds_read2_b64 v[121:124], v116 offset0:103 offset1:104
	s_waitcnt vmcnt(26) lgkmcnt(1)
	v_fma_f64 v[117:118], v[153:154], v[117:118], v[137:138]
	s_waitcnt vmcnt(25)
	v_fma_f64 v[117:118], v[147:148], v[119:120], v[117:118]
	s_waitcnt vmcnt(24) lgkmcnt(0)
	v_fma_f64 v[117:118], v[143:144], v[121:122], v[117:118]
	s_waitcnt vmcnt(19)
	v_fma_f64 v[125:126], v[125:126], v[123:124], v[117:118]
	ds_read2_b64 v[117:120], v116 offset0:105 offset1:106
	ds_read2_b64 v[121:124], v116 offset0:107 offset1:108
	s_waitcnt vmcnt(18) lgkmcnt(1)
	v_fma_f64 v[117:118], v[159:160], v[117:118], v[125:126]
	s_waitcnt vmcnt(17)
	v_fma_f64 v[117:118], v[151:152], v[119:120], v[117:118]
	s_waitcnt vmcnt(16) lgkmcnt(0)
	v_fma_f64 v[117:118], v[149:150], v[121:122], v[117:118]
	s_waitcnt vmcnt(11)
	v_fma_f64 v[125:126], v[127:128], v[123:124], v[117:118]
	ds_read2_b64 v[117:120], v116 offset0:109 offset1:110
	;; [unrolled: 10-line block ×3, first 2 shown]
	s_waitcnt vmcnt(3) lgkmcnt(0)
	v_fma_f64 v[116:117], v[135:136], v[116:117], v[120:121]
	s_waitcnt vmcnt(2)
	v_fma_f64 v[116:117], v[131:132], v[118:119], v[116:117]
	s_waitcnt vmcnt(0)
	v_add_f64 v[116:117], v[139:140], -v[116:117]
	buffer_store_dword v117, off, s[0:3], 0 offset:116
	buffer_store_dword v116, off, s[0:3], 0 offset:112
	v_cmpx_lt_u32_e32 13, v0
	s_cbranch_execz .LBB120_325
; %bb.324:
	s_clause 0x1
	buffer_load_dword v116, off, s[0:3], 0 offset:104
	buffer_load_dword v117, off, s[0:3], 0 offset:108
	v_mov_b32_e32 v118, 0
	buffer_store_dword v118, off, s[0:3], 0 offset:104
	buffer_store_dword v118, off, s[0:3], 0 offset:108
	s_waitcnt vmcnt(0)
	ds_write_b64 v115, v[116:117]
.LBB120_325:
	s_or_b32 exec_lo, exec_lo, s4
	s_waitcnt lgkmcnt(0)
	s_waitcnt_vscnt null, 0x0
	s_barrier
	buffer_gl0_inv
	s_clause 0x1c
	buffer_load_dword v125, off, s[0:3], 0 offset:112
	buffer_load_dword v126, off, s[0:3], 0 offset:116
	;; [unrolled: 1-line block ×29, first 2 shown]
	v_mov_b32_e32 v116, 0
	buffer_load_dword v150, off, s[0:3], 0 offset:228
	s_mov_b32 s4, exec_lo
	ds_read_b128 v[117:120], v116 offset:576
	ds_read_b128 v[121:124], v116 offset:592
	s_waitcnt vmcnt(28) lgkmcnt(1)
	v_fma_f64 v[117:118], v[125:126], v[117:118], 0
	s_clause 0x7
	buffer_load_dword v126, off, s[0:3], 0 offset:236
	buffer_load_dword v155, off, s[0:3], 0 offset:256
	buffer_load_dword v157, off, s[0:3], 0 offset:248
	buffer_load_dword v159, off, s[0:3], 0 offset:240
	buffer_load_dword v125, off, s[0:3], 0 offset:232
	buffer_load_dword v160, off, s[0:3], 0 offset:244
	buffer_load_dword v158, off, s[0:3], 0 offset:252
	buffer_load_dword v156, off, s[0:3], 0 offset:260
	s_waitcnt vmcnt(34)
	v_fma_f64 v[117:118], v[127:128], v[119:120], v[117:118]
	s_waitcnt vmcnt(32) lgkmcnt(0)
	v_fma_f64 v[117:118], v[129:130], v[121:122], v[117:118]
	s_waitcnt vmcnt(30)
	v_fma_f64 v[127:128], v[131:132], v[123:124], v[117:118]
	ds_read_b128 v[117:120], v116 offset:608
	ds_read_b128 v[121:124], v116 offset:624
	s_waitcnt vmcnt(28) lgkmcnt(1)
	v_fma_f64 v[117:118], v[133:134], v[117:118], v[127:128]
	s_clause 0x7
	buffer_load_dword v128, off, s[0:3], 0 offset:268
	buffer_load_dword v129, off, s[0:3], 0 offset:288
	buffer_load_dword v131, off, s[0:3], 0 offset:280
	buffer_load_dword v133, off, s[0:3], 0 offset:272
	buffer_load_dword v127, off, s[0:3], 0 offset:264
	buffer_load_dword v134, off, s[0:3], 0 offset:276
	buffer_load_dword v132, off, s[0:3], 0 offset:284
	buffer_load_dword v130, off, s[0:3], 0 offset:292
	s_waitcnt vmcnt(34)
	v_fma_f64 v[117:118], v[135:136], v[119:120], v[117:118]
	s_waitcnt vmcnt(32) lgkmcnt(0)
	v_fma_f64 v[117:118], v[137:138], v[121:122], v[117:118]
	s_waitcnt vmcnt(27)
	v_fma_f64 v[135:136], v[139:140], v[123:124], v[117:118]
	;; [unrolled: 19-line block ×7, first 2 shown]
	ds_read_b128 v[117:120], v116 offset:800
	ds_read_b128 v[121:124], v116 offset:816
	s_waitcnt vmcnt(26) lgkmcnt(1)
	v_fma_f64 v[117:118], v[153:154], v[117:118], v[137:138]
	s_clause 0x1
	buffer_load_dword v137, off, s[0:3], 0 offset:104
	buffer_load_dword v138, off, s[0:3], 0 offset:108
	s_waitcnt vmcnt(27)
	v_fma_f64 v[117:118], v[147:148], v[119:120], v[117:118]
	s_waitcnt vmcnt(26) lgkmcnt(0)
	v_fma_f64 v[117:118], v[143:144], v[121:122], v[117:118]
	s_waitcnt vmcnt(21)
	v_fma_f64 v[125:126], v[125:126], v[123:124], v[117:118]
	ds_read_b128 v[117:120], v116 offset:832
	ds_read_b128 v[121:124], v116 offset:848
	s_waitcnt vmcnt(20) lgkmcnt(1)
	v_fma_f64 v[117:118], v[159:160], v[117:118], v[125:126]
	s_waitcnt vmcnt(19)
	v_fma_f64 v[117:118], v[151:152], v[119:120], v[117:118]
	s_waitcnt vmcnt(18) lgkmcnt(0)
	v_fma_f64 v[117:118], v[149:150], v[121:122], v[117:118]
	s_waitcnt vmcnt(13)
	v_fma_f64 v[125:126], v[127:128], v[123:124], v[117:118]
	ds_read_b128 v[117:120], v116 offset:864
	ds_read_b128 v[121:124], v116 offset:880
	s_waitcnt vmcnt(12) lgkmcnt(1)
	v_fma_f64 v[117:118], v[157:158], v[117:118], v[125:126]
	s_waitcnt vmcnt(11)
	v_fma_f64 v[117:118], v[155:156], v[119:120], v[117:118]
	s_waitcnt vmcnt(10) lgkmcnt(0)
	v_fma_f64 v[117:118], v[133:134], v[121:122], v[117:118]
	s_waitcnt vmcnt(5)
	v_fma_f64 v[121:122], v[129:130], v[123:124], v[117:118]
	ds_read_b128 v[117:120], v116 offset:896
	ds_read_b64 v[123:124], v116 offset:912
	s_waitcnt vmcnt(4) lgkmcnt(1)
	v_fma_f64 v[117:118], v[145:146], v[117:118], v[121:122]
	s_waitcnt vmcnt(3)
	v_fma_f64 v[117:118], v[135:136], v[119:120], v[117:118]
	s_waitcnt vmcnt(2) lgkmcnt(0)
	v_fma_f64 v[117:118], v[131:132], v[123:124], v[117:118]
	s_waitcnt vmcnt(0)
	v_add_f64 v[117:118], v[137:138], -v[117:118]
	buffer_store_dword v118, off, s[0:3], 0 offset:108
	buffer_store_dword v117, off, s[0:3], 0 offset:104
	v_cmpx_lt_u32_e32 12, v0
	s_cbranch_execz .LBB120_327
; %bb.326:
	s_clause 0x1
	buffer_load_dword v117, off, s[0:3], 0 offset:96
	buffer_load_dword v118, off, s[0:3], 0 offset:100
	buffer_store_dword v116, off, s[0:3], 0 offset:96
	buffer_store_dword v116, off, s[0:3], 0 offset:100
	s_waitcnt vmcnt(0)
	ds_write_b64 v115, v[117:118]
.LBB120_327:
	s_or_b32 exec_lo, exec_lo, s4
	s_waitcnt lgkmcnt(0)
	s_waitcnt_vscnt null, 0x0
	s_barrier
	buffer_gl0_inv
	s_clause 0x1c
	buffer_load_dword v125, off, s[0:3], 0 offset:104
	buffer_load_dword v126, off, s[0:3], 0 offset:108
	;; [unrolled: 1-line block ×29, first 2 shown]
	ds_read2_b64 v[117:120], v116 offset0:71 offset1:72
	ds_read2_b64 v[121:124], v116 offset0:73 offset1:74
	buffer_load_dword v150, off, s[0:3], 0 offset:220
	s_mov_b32 s4, exec_lo
	s_waitcnt vmcnt(28) lgkmcnt(1)
	v_fma_f64 v[117:118], v[125:126], v[117:118], 0
	s_clause 0x7
	buffer_load_dword v126, off, s[0:3], 0 offset:228
	buffer_load_dword v155, off, s[0:3], 0 offset:248
	buffer_load_dword v157, off, s[0:3], 0 offset:240
	buffer_load_dword v159, off, s[0:3], 0 offset:232
	buffer_load_dword v125, off, s[0:3], 0 offset:224
	buffer_load_dword v160, off, s[0:3], 0 offset:236
	buffer_load_dword v158, off, s[0:3], 0 offset:244
	buffer_load_dword v156, off, s[0:3], 0 offset:252
	s_waitcnt vmcnt(34)
	v_fma_f64 v[117:118], v[127:128], v[119:120], v[117:118]
	s_waitcnt vmcnt(32) lgkmcnt(0)
	v_fma_f64 v[117:118], v[129:130], v[121:122], v[117:118]
	s_waitcnt vmcnt(30)
	v_fma_f64 v[127:128], v[131:132], v[123:124], v[117:118]
	ds_read2_b64 v[117:120], v116 offset0:75 offset1:76
	ds_read2_b64 v[121:124], v116 offset0:77 offset1:78
	s_waitcnt vmcnt(28) lgkmcnt(1)
	v_fma_f64 v[117:118], v[133:134], v[117:118], v[127:128]
	s_clause 0x7
	buffer_load_dword v128, off, s[0:3], 0 offset:260
	buffer_load_dword v129, off, s[0:3], 0 offset:280
	buffer_load_dword v131, off, s[0:3], 0 offset:272
	buffer_load_dword v133, off, s[0:3], 0 offset:264
	buffer_load_dword v127, off, s[0:3], 0 offset:256
	buffer_load_dword v134, off, s[0:3], 0 offset:268
	buffer_load_dword v132, off, s[0:3], 0 offset:276
	buffer_load_dword v130, off, s[0:3], 0 offset:284
	s_waitcnt vmcnt(34)
	v_fma_f64 v[117:118], v[135:136], v[119:120], v[117:118]
	s_waitcnt vmcnt(32) lgkmcnt(0)
	v_fma_f64 v[117:118], v[137:138], v[121:122], v[117:118]
	s_waitcnt vmcnt(27)
	v_fma_f64 v[135:136], v[139:140], v[123:124], v[117:118]
	ds_read2_b64 v[117:120], v116 offset0:79 offset1:80
	ds_read2_b64 v[121:124], v116 offset0:81 offset1:82
	;; [unrolled: 19-line block ×7, first 2 shown]
	s_waitcnt vmcnt(26) lgkmcnt(1)
	v_fma_f64 v[117:118], v[153:154], v[117:118], v[137:138]
	s_clause 0x3
	buffer_load_dword v138, off, s[0:3], 0 offset:452
	buffer_load_dword v137, off, s[0:3], 0 offset:448
	;; [unrolled: 1-line block ×4, first 2 shown]
	s_waitcnt vmcnt(29)
	v_fma_f64 v[117:118], v[147:148], v[119:120], v[117:118]
	s_waitcnt vmcnt(28) lgkmcnt(0)
	v_fma_f64 v[117:118], v[143:144], v[121:122], v[117:118]
	s_waitcnt vmcnt(23)
	v_fma_f64 v[125:126], v[125:126], v[123:124], v[117:118]
	ds_read2_b64 v[117:120], v116 offset0:103 offset1:104
	ds_read2_b64 v[121:124], v116 offset0:105 offset1:106
	s_waitcnt vmcnt(22) lgkmcnt(1)
	v_fma_f64 v[117:118], v[159:160], v[117:118], v[125:126]
	s_waitcnt vmcnt(21)
	v_fma_f64 v[117:118], v[151:152], v[119:120], v[117:118]
	s_waitcnt vmcnt(20) lgkmcnt(0)
	v_fma_f64 v[117:118], v[149:150], v[121:122], v[117:118]
	s_waitcnt vmcnt(15)
	v_fma_f64 v[125:126], v[127:128], v[123:124], v[117:118]
	ds_read2_b64 v[117:120], v116 offset0:107 offset1:108
	ds_read2_b64 v[121:124], v116 offset0:109 offset1:110
	s_waitcnt vmcnt(14) lgkmcnt(1)
	v_fma_f64 v[117:118], v[157:158], v[117:118], v[125:126]
	;; [unrolled: 10-line block ×3, first 2 shown]
	s_waitcnt vmcnt(5)
	v_fma_f64 v[116:117], v[135:136], v[119:120], v[116:117]
	s_waitcnt vmcnt(4) lgkmcnt(0)
	v_fma_f64 v[116:117], v[131:132], v[121:122], v[116:117]
	s_waitcnt vmcnt(2)
	v_fma_f64 v[116:117], v[137:138], v[123:124], v[116:117]
	s_waitcnt vmcnt(0)
	v_add_f64 v[116:117], v[139:140], -v[116:117]
	buffer_store_dword v117, off, s[0:3], 0 offset:100
	buffer_store_dword v116, off, s[0:3], 0 offset:96
	v_cmpx_lt_u32_e32 11, v0
	s_cbranch_execz .LBB120_329
; %bb.328:
	s_clause 0x1
	buffer_load_dword v116, off, s[0:3], 0 offset:88
	buffer_load_dword v117, off, s[0:3], 0 offset:92
	v_mov_b32_e32 v118, 0
	buffer_store_dword v118, off, s[0:3], 0 offset:88
	buffer_store_dword v118, off, s[0:3], 0 offset:92
	s_waitcnt vmcnt(0)
	ds_write_b64 v115, v[116:117]
.LBB120_329:
	s_or_b32 exec_lo, exec_lo, s4
	s_waitcnt lgkmcnt(0)
	s_waitcnt_vscnt null, 0x0
	s_barrier
	buffer_gl0_inv
	s_clause 0x1c
	buffer_load_dword v125, off, s[0:3], 0 offset:96
	buffer_load_dword v126, off, s[0:3], 0 offset:100
	;; [unrolled: 1-line block ×29, first 2 shown]
	v_mov_b32_e32 v116, 0
	buffer_load_dword v150, off, s[0:3], 0 offset:212
	s_mov_b32 s4, exec_lo
	ds_read_b128 v[117:120], v116 offset:560
	ds_read_b128 v[121:124], v116 offset:576
	s_waitcnt vmcnt(28) lgkmcnt(1)
	v_fma_f64 v[117:118], v[125:126], v[117:118], 0
	s_clause 0x7
	buffer_load_dword v126, off, s[0:3], 0 offset:220
	buffer_load_dword v155, off, s[0:3], 0 offset:240
	buffer_load_dword v157, off, s[0:3], 0 offset:232
	buffer_load_dword v159, off, s[0:3], 0 offset:224
	buffer_load_dword v125, off, s[0:3], 0 offset:216
	buffer_load_dword v160, off, s[0:3], 0 offset:228
	buffer_load_dword v158, off, s[0:3], 0 offset:236
	buffer_load_dword v156, off, s[0:3], 0 offset:244
	s_waitcnt vmcnt(34)
	v_fma_f64 v[117:118], v[127:128], v[119:120], v[117:118]
	s_waitcnt vmcnt(32) lgkmcnt(0)
	v_fma_f64 v[117:118], v[129:130], v[121:122], v[117:118]
	s_waitcnt vmcnt(30)
	v_fma_f64 v[127:128], v[131:132], v[123:124], v[117:118]
	ds_read_b128 v[117:120], v116 offset:592
	ds_read_b128 v[121:124], v116 offset:608
	s_waitcnt vmcnt(28) lgkmcnt(1)
	v_fma_f64 v[117:118], v[133:134], v[117:118], v[127:128]
	s_clause 0x7
	buffer_load_dword v128, off, s[0:3], 0 offset:252
	buffer_load_dword v129, off, s[0:3], 0 offset:272
	buffer_load_dword v131, off, s[0:3], 0 offset:264
	buffer_load_dword v133, off, s[0:3], 0 offset:256
	buffer_load_dword v127, off, s[0:3], 0 offset:248
	buffer_load_dword v134, off, s[0:3], 0 offset:260
	buffer_load_dword v132, off, s[0:3], 0 offset:268
	buffer_load_dword v130, off, s[0:3], 0 offset:276
	s_waitcnt vmcnt(34)
	v_fma_f64 v[117:118], v[135:136], v[119:120], v[117:118]
	s_waitcnt vmcnt(32) lgkmcnt(0)
	v_fma_f64 v[117:118], v[137:138], v[121:122], v[117:118]
	s_waitcnt vmcnt(27)
	v_fma_f64 v[135:136], v[139:140], v[123:124], v[117:118]
	;; [unrolled: 19-line block ×7, first 2 shown]
	ds_read_b128 v[117:120], v116 offset:784
	ds_read_b128 v[121:124], v116 offset:800
	s_waitcnt vmcnt(26) lgkmcnt(1)
	v_fma_f64 v[117:118], v[153:154], v[117:118], v[137:138]
	s_clause 0x5
	buffer_load_dword v138, off, s[0:3], 0 offset:444
	buffer_load_dword v139, off, s[0:3], 0 offset:448
	;; [unrolled: 1-line block ×6, first 2 shown]
	s_waitcnt vmcnt(31)
	v_fma_f64 v[117:118], v[147:148], v[119:120], v[117:118]
	s_waitcnt vmcnt(30) lgkmcnt(0)
	v_fma_f64 v[117:118], v[143:144], v[121:122], v[117:118]
	s_waitcnt vmcnt(25)
	v_fma_f64 v[125:126], v[125:126], v[123:124], v[117:118]
	ds_read_b128 v[117:120], v116 offset:816
	ds_read_b128 v[121:124], v116 offset:832
	s_waitcnt vmcnt(24) lgkmcnt(1)
	v_fma_f64 v[117:118], v[159:160], v[117:118], v[125:126]
	s_waitcnt vmcnt(23)
	v_fma_f64 v[117:118], v[151:152], v[119:120], v[117:118]
	s_waitcnt vmcnt(22) lgkmcnt(0)
	v_fma_f64 v[117:118], v[149:150], v[121:122], v[117:118]
	s_waitcnt vmcnt(17)
	v_fma_f64 v[125:126], v[127:128], v[123:124], v[117:118]
	ds_read_b128 v[117:120], v116 offset:848
	ds_read_b128 v[121:124], v116 offset:864
	s_waitcnt vmcnt(16) lgkmcnt(1)
	v_fma_f64 v[117:118], v[157:158], v[117:118], v[125:126]
	;; [unrolled: 10-line block ×3, first 2 shown]
	s_waitcnt vmcnt(7)
	v_fma_f64 v[117:118], v[135:136], v[119:120], v[117:118]
	ds_read_b64 v[119:120], v116 offset:912
	s_waitcnt vmcnt(6) lgkmcnt(1)
	v_fma_f64 v[117:118], v[131:132], v[121:122], v[117:118]
	s_waitcnt vmcnt(3)
	v_fma_f64 v[117:118], v[137:138], v[123:124], v[117:118]
	s_waitcnt vmcnt(2) lgkmcnt(0)
	v_fma_f64 v[117:118], v[139:140], v[119:120], v[117:118]
	s_waitcnt vmcnt(0)
	v_add_f64 v[117:118], v[141:142], -v[117:118]
	buffer_store_dword v118, off, s[0:3], 0 offset:92
	buffer_store_dword v117, off, s[0:3], 0 offset:88
	v_cmpx_lt_u32_e32 10, v0
	s_cbranch_execz .LBB120_331
; %bb.330:
	s_clause 0x1
	buffer_load_dword v117, off, s[0:3], 0 offset:80
	buffer_load_dword v118, off, s[0:3], 0 offset:84
	buffer_store_dword v116, off, s[0:3], 0 offset:80
	buffer_store_dword v116, off, s[0:3], 0 offset:84
	s_waitcnt vmcnt(0)
	ds_write_b64 v115, v[117:118]
.LBB120_331:
	s_or_b32 exec_lo, exec_lo, s4
	s_waitcnt lgkmcnt(0)
	s_waitcnt_vscnt null, 0x0
	s_barrier
	buffer_gl0_inv
	s_clause 0x1c
	buffer_load_dword v125, off, s[0:3], 0 offset:88
	buffer_load_dword v126, off, s[0:3], 0 offset:92
	;; [unrolled: 1-line block ×29, first 2 shown]
	ds_read2_b64 v[117:120], v116 offset0:69 offset1:70
	ds_read2_b64 v[121:124], v116 offset0:71 offset1:72
	buffer_load_dword v150, off, s[0:3], 0 offset:204
	s_mov_b32 s4, exec_lo
	s_waitcnt vmcnt(28) lgkmcnt(1)
	v_fma_f64 v[117:118], v[125:126], v[117:118], 0
	s_clause 0x7
	buffer_load_dword v126, off, s[0:3], 0 offset:212
	buffer_load_dword v155, off, s[0:3], 0 offset:232
	buffer_load_dword v157, off, s[0:3], 0 offset:224
	buffer_load_dword v159, off, s[0:3], 0 offset:216
	buffer_load_dword v125, off, s[0:3], 0 offset:208
	buffer_load_dword v160, off, s[0:3], 0 offset:220
	buffer_load_dword v158, off, s[0:3], 0 offset:228
	buffer_load_dword v156, off, s[0:3], 0 offset:236
	s_waitcnt vmcnt(34)
	v_fma_f64 v[117:118], v[127:128], v[119:120], v[117:118]
	s_waitcnt vmcnt(32) lgkmcnt(0)
	v_fma_f64 v[117:118], v[129:130], v[121:122], v[117:118]
	s_waitcnt vmcnt(30)
	v_fma_f64 v[127:128], v[131:132], v[123:124], v[117:118]
	ds_read2_b64 v[117:120], v116 offset0:73 offset1:74
	ds_read2_b64 v[121:124], v116 offset0:75 offset1:76
	s_waitcnt vmcnt(28) lgkmcnt(1)
	v_fma_f64 v[117:118], v[133:134], v[117:118], v[127:128]
	s_clause 0x7
	buffer_load_dword v128, off, s[0:3], 0 offset:244
	buffer_load_dword v129, off, s[0:3], 0 offset:264
	buffer_load_dword v131, off, s[0:3], 0 offset:256
	buffer_load_dword v133, off, s[0:3], 0 offset:248
	buffer_load_dword v127, off, s[0:3], 0 offset:240
	buffer_load_dword v134, off, s[0:3], 0 offset:252
	buffer_load_dword v132, off, s[0:3], 0 offset:260
	buffer_load_dword v130, off, s[0:3], 0 offset:268
	s_waitcnt vmcnt(34)
	v_fma_f64 v[117:118], v[135:136], v[119:120], v[117:118]
	s_waitcnt vmcnt(32) lgkmcnt(0)
	v_fma_f64 v[117:118], v[137:138], v[121:122], v[117:118]
	s_waitcnt vmcnt(27)
	v_fma_f64 v[135:136], v[139:140], v[123:124], v[117:118]
	ds_read2_b64 v[117:120], v116 offset0:77 offset1:78
	ds_read2_b64 v[121:124], v116 offset0:79 offset1:80
	;; [unrolled: 19-line block ×7, first 2 shown]
	s_waitcnt vmcnt(26) lgkmcnt(1)
	v_fma_f64 v[117:118], v[153:154], v[117:118], v[137:138]
	s_clause 0x5
	buffer_load_dword v138, off, s[0:3], 0 offset:436
	buffer_load_dword v139, off, s[0:3], 0 offset:448
	buffer_load_dword v141, off, s[0:3], 0 offset:440
	buffer_load_dword v137, off, s[0:3], 0 offset:432
	buffer_load_dword v142, off, s[0:3], 0 offset:444
	buffer_load_dword v140, off, s[0:3], 0 offset:452
	s_waitcnt vmcnt(31)
	v_fma_f64 v[117:118], v[147:148], v[119:120], v[117:118]
	s_waitcnt vmcnt(30) lgkmcnt(0)
	v_fma_f64 v[117:118], v[143:144], v[121:122], v[117:118]
	s_waitcnt vmcnt(25)
	v_fma_f64 v[125:126], v[125:126], v[123:124], v[117:118]
	ds_read2_b64 v[117:120], v116 offset0:101 offset1:102
	s_clause 0x1
	buffer_load_dword v143, off, s[0:3], 0 offset:80
	buffer_load_dword v144, off, s[0:3], 0 offset:84
	ds_read2_b64 v[121:124], v116 offset0:103 offset1:104
	s_waitcnt vmcnt(26) lgkmcnt(1)
	v_fma_f64 v[117:118], v[159:160], v[117:118], v[125:126]
	s_waitcnt vmcnt(25)
	v_fma_f64 v[117:118], v[151:152], v[119:120], v[117:118]
	s_waitcnt vmcnt(24) lgkmcnt(0)
	v_fma_f64 v[117:118], v[149:150], v[121:122], v[117:118]
	s_waitcnt vmcnt(19)
	v_fma_f64 v[125:126], v[127:128], v[123:124], v[117:118]
	ds_read2_b64 v[117:120], v116 offset0:105 offset1:106
	ds_read2_b64 v[121:124], v116 offset0:107 offset1:108
	s_waitcnt vmcnt(18) lgkmcnt(1)
	v_fma_f64 v[117:118], v[157:158], v[117:118], v[125:126]
	s_waitcnt vmcnt(17)
	v_fma_f64 v[117:118], v[155:156], v[119:120], v[117:118]
	s_waitcnt vmcnt(16) lgkmcnt(0)
	v_fma_f64 v[117:118], v[133:134], v[121:122], v[117:118]
	s_waitcnt vmcnt(11)
	v_fma_f64 v[125:126], v[129:130], v[123:124], v[117:118]
	ds_read2_b64 v[117:120], v116 offset0:109 offset1:110
	;; [unrolled: 10-line block ×3, first 2 shown]
	s_waitcnt vmcnt(3) lgkmcnt(0)
	v_fma_f64 v[116:117], v[141:142], v[116:117], v[120:121]
	s_waitcnt vmcnt(2)
	v_fma_f64 v[116:117], v[139:140], v[118:119], v[116:117]
	s_waitcnt vmcnt(0)
	v_add_f64 v[116:117], v[143:144], -v[116:117]
	buffer_store_dword v117, off, s[0:3], 0 offset:84
	buffer_store_dword v116, off, s[0:3], 0 offset:80
	v_cmpx_lt_u32_e32 9, v0
	s_cbranch_execz .LBB120_333
; %bb.332:
	s_clause 0x1
	buffer_load_dword v116, off, s[0:3], 0 offset:72
	buffer_load_dword v117, off, s[0:3], 0 offset:76
	v_mov_b32_e32 v118, 0
	buffer_store_dword v118, off, s[0:3], 0 offset:72
	buffer_store_dword v118, off, s[0:3], 0 offset:76
	s_waitcnt vmcnt(0)
	ds_write_b64 v115, v[116:117]
.LBB120_333:
	s_or_b32 exec_lo, exec_lo, s4
	s_waitcnt lgkmcnt(0)
	s_waitcnt_vscnt null, 0x0
	s_barrier
	buffer_gl0_inv
	s_clause 0x1c
	buffer_load_dword v125, off, s[0:3], 0 offset:80
	buffer_load_dword v126, off, s[0:3], 0 offset:84
	;; [unrolled: 1-line block ×29, first 2 shown]
	v_mov_b32_e32 v116, 0
	buffer_load_dword v150, off, s[0:3], 0 offset:196
	s_mov_b32 s4, exec_lo
	ds_read_b128 v[117:120], v116 offset:544
	ds_read_b128 v[121:124], v116 offset:560
	s_waitcnt vmcnt(28) lgkmcnt(1)
	v_fma_f64 v[117:118], v[125:126], v[117:118], 0
	s_clause 0x7
	buffer_load_dword v126, off, s[0:3], 0 offset:204
	buffer_load_dword v155, off, s[0:3], 0 offset:224
	buffer_load_dword v157, off, s[0:3], 0 offset:216
	buffer_load_dword v159, off, s[0:3], 0 offset:208
	buffer_load_dword v125, off, s[0:3], 0 offset:200
	buffer_load_dword v160, off, s[0:3], 0 offset:212
	buffer_load_dword v158, off, s[0:3], 0 offset:220
	buffer_load_dword v156, off, s[0:3], 0 offset:228
	s_waitcnt vmcnt(34)
	v_fma_f64 v[117:118], v[127:128], v[119:120], v[117:118]
	s_waitcnt vmcnt(32) lgkmcnt(0)
	v_fma_f64 v[117:118], v[129:130], v[121:122], v[117:118]
	s_waitcnt vmcnt(30)
	v_fma_f64 v[127:128], v[131:132], v[123:124], v[117:118]
	ds_read_b128 v[117:120], v116 offset:576
	ds_read_b128 v[121:124], v116 offset:592
	s_waitcnt vmcnt(28) lgkmcnt(1)
	v_fma_f64 v[117:118], v[133:134], v[117:118], v[127:128]
	s_clause 0x7
	buffer_load_dword v128, off, s[0:3], 0 offset:236
	buffer_load_dword v129, off, s[0:3], 0 offset:256
	buffer_load_dword v131, off, s[0:3], 0 offset:248
	buffer_load_dword v133, off, s[0:3], 0 offset:240
	buffer_load_dword v127, off, s[0:3], 0 offset:232
	buffer_load_dword v134, off, s[0:3], 0 offset:244
	buffer_load_dword v132, off, s[0:3], 0 offset:252
	buffer_load_dword v130, off, s[0:3], 0 offset:260
	s_waitcnt vmcnt(34)
	v_fma_f64 v[117:118], v[135:136], v[119:120], v[117:118]
	s_waitcnt vmcnt(32) lgkmcnt(0)
	v_fma_f64 v[117:118], v[137:138], v[121:122], v[117:118]
	s_waitcnt vmcnt(27)
	v_fma_f64 v[135:136], v[139:140], v[123:124], v[117:118]
	;; [unrolled: 19-line block ×8, first 2 shown]
	ds_read_b128 v[117:120], v116 offset:800
	ds_read_b128 v[121:124], v116 offset:816
	s_waitcnt vmcnt(26) lgkmcnt(1)
	v_fma_f64 v[117:118], v[159:160], v[117:118], v[125:126]
	s_clause 0x1
	buffer_load_dword v125, off, s[0:3], 0 offset:72
	buffer_load_dword v126, off, s[0:3], 0 offset:76
	s_waitcnt vmcnt(27)
	v_fma_f64 v[117:118], v[151:152], v[119:120], v[117:118]
	s_waitcnt vmcnt(26) lgkmcnt(0)
	v_fma_f64 v[117:118], v[149:150], v[121:122], v[117:118]
	s_waitcnt vmcnt(21)
	v_fma_f64 v[127:128], v[127:128], v[123:124], v[117:118]
	ds_read_b128 v[117:120], v116 offset:832
	ds_read_b128 v[121:124], v116 offset:848
	s_waitcnt vmcnt(20) lgkmcnt(1)
	v_fma_f64 v[117:118], v[157:158], v[117:118], v[127:128]
	s_waitcnt vmcnt(19)
	v_fma_f64 v[117:118], v[155:156], v[119:120], v[117:118]
	s_waitcnt vmcnt(18) lgkmcnt(0)
	v_fma_f64 v[117:118], v[133:134], v[121:122], v[117:118]
	s_waitcnt vmcnt(13)
	v_fma_f64 v[127:128], v[129:130], v[123:124], v[117:118]
	ds_read_b128 v[117:120], v116 offset:864
	ds_read_b128 v[121:124], v116 offset:880
	s_waitcnt vmcnt(12) lgkmcnt(1)
	v_fma_f64 v[117:118], v[145:146], v[117:118], v[127:128]
	s_waitcnt vmcnt(11)
	v_fma_f64 v[117:118], v[135:136], v[119:120], v[117:118]
	s_waitcnt vmcnt(10) lgkmcnt(0)
	v_fma_f64 v[117:118], v[131:132], v[121:122], v[117:118]
	s_waitcnt vmcnt(5)
	v_fma_f64 v[121:122], v[137:138], v[123:124], v[117:118]
	ds_read_b128 v[117:120], v116 offset:896
	ds_read_b64 v[123:124], v116 offset:912
	s_waitcnt vmcnt(4) lgkmcnt(1)
	v_fma_f64 v[117:118], v[153:154], v[117:118], v[121:122]
	s_waitcnt vmcnt(3)
	v_fma_f64 v[117:118], v[141:142], v[119:120], v[117:118]
	s_waitcnt vmcnt(2) lgkmcnt(0)
	v_fma_f64 v[117:118], v[139:140], v[123:124], v[117:118]
	s_waitcnt vmcnt(0)
	v_add_f64 v[117:118], v[125:126], -v[117:118]
	buffer_store_dword v118, off, s[0:3], 0 offset:76
	buffer_store_dword v117, off, s[0:3], 0 offset:72
	v_cmpx_lt_u32_e32 8, v0
	s_cbranch_execz .LBB120_335
; %bb.334:
	s_clause 0x1
	buffer_load_dword v117, off, s[0:3], 0 offset:64
	buffer_load_dword v118, off, s[0:3], 0 offset:68
	buffer_store_dword v116, off, s[0:3], 0 offset:64
	buffer_store_dword v116, off, s[0:3], 0 offset:68
	s_waitcnt vmcnt(0)
	ds_write_b64 v115, v[117:118]
.LBB120_335:
	s_or_b32 exec_lo, exec_lo, s4
	s_waitcnt lgkmcnt(0)
	s_waitcnt_vscnt null, 0x0
	s_barrier
	buffer_gl0_inv
	s_clause 0x1c
	buffer_load_dword v125, off, s[0:3], 0 offset:72
	buffer_load_dword v126, off, s[0:3], 0 offset:76
	;; [unrolled: 1-line block ×29, first 2 shown]
	ds_read2_b64 v[117:120], v116 offset0:67 offset1:68
	ds_read2_b64 v[121:124], v116 offset0:69 offset1:70
	buffer_load_dword v150, off, s[0:3], 0 offset:188
	s_mov_b32 s4, exec_lo
	s_waitcnt vmcnt(28) lgkmcnt(1)
	v_fma_f64 v[117:118], v[125:126], v[117:118], 0
	s_clause 0x7
	buffer_load_dword v126, off, s[0:3], 0 offset:196
	buffer_load_dword v155, off, s[0:3], 0 offset:216
	buffer_load_dword v157, off, s[0:3], 0 offset:208
	buffer_load_dword v159, off, s[0:3], 0 offset:200
	buffer_load_dword v125, off, s[0:3], 0 offset:192
	buffer_load_dword v160, off, s[0:3], 0 offset:204
	buffer_load_dword v158, off, s[0:3], 0 offset:212
	buffer_load_dword v156, off, s[0:3], 0 offset:220
	s_waitcnt vmcnt(34)
	v_fma_f64 v[117:118], v[127:128], v[119:120], v[117:118]
	s_waitcnt vmcnt(32) lgkmcnt(0)
	v_fma_f64 v[117:118], v[129:130], v[121:122], v[117:118]
	s_waitcnt vmcnt(30)
	v_fma_f64 v[127:128], v[131:132], v[123:124], v[117:118]
	ds_read2_b64 v[117:120], v116 offset0:71 offset1:72
	ds_read2_b64 v[121:124], v116 offset0:73 offset1:74
	s_waitcnt vmcnt(28) lgkmcnt(1)
	v_fma_f64 v[117:118], v[133:134], v[117:118], v[127:128]
	s_clause 0x7
	buffer_load_dword v128, off, s[0:3], 0 offset:228
	buffer_load_dword v129, off, s[0:3], 0 offset:248
	buffer_load_dword v131, off, s[0:3], 0 offset:240
	buffer_load_dword v133, off, s[0:3], 0 offset:232
	buffer_load_dword v127, off, s[0:3], 0 offset:224
	buffer_load_dword v134, off, s[0:3], 0 offset:236
	buffer_load_dword v132, off, s[0:3], 0 offset:244
	buffer_load_dword v130, off, s[0:3], 0 offset:252
	s_waitcnt vmcnt(34)
	v_fma_f64 v[117:118], v[135:136], v[119:120], v[117:118]
	s_waitcnt vmcnt(32) lgkmcnt(0)
	v_fma_f64 v[117:118], v[137:138], v[121:122], v[117:118]
	s_waitcnt vmcnt(27)
	v_fma_f64 v[135:136], v[139:140], v[123:124], v[117:118]
	ds_read2_b64 v[117:120], v116 offset0:75 offset1:76
	ds_read2_b64 v[121:124], v116 offset0:77 offset1:78
	;; [unrolled: 19-line block ×8, first 2 shown]
	s_waitcnt vmcnt(26) lgkmcnt(1)
	v_fma_f64 v[117:118], v[159:160], v[117:118], v[125:126]
	s_clause 0x3
	buffer_load_dword v126, off, s[0:3], 0 offset:452
	buffer_load_dword v125, off, s[0:3], 0 offset:448
	;; [unrolled: 1-line block ×4, first 2 shown]
	s_waitcnt vmcnt(29)
	v_fma_f64 v[117:118], v[151:152], v[119:120], v[117:118]
	s_waitcnt vmcnt(28) lgkmcnt(0)
	v_fma_f64 v[117:118], v[149:150], v[121:122], v[117:118]
	s_waitcnt vmcnt(23)
	v_fma_f64 v[127:128], v[127:128], v[123:124], v[117:118]
	ds_read2_b64 v[117:120], v116 offset0:103 offset1:104
	ds_read2_b64 v[121:124], v116 offset0:105 offset1:106
	s_waitcnt vmcnt(22) lgkmcnt(1)
	v_fma_f64 v[117:118], v[157:158], v[117:118], v[127:128]
	s_waitcnt vmcnt(21)
	v_fma_f64 v[117:118], v[155:156], v[119:120], v[117:118]
	s_waitcnt vmcnt(20) lgkmcnt(0)
	v_fma_f64 v[117:118], v[133:134], v[121:122], v[117:118]
	s_waitcnt vmcnt(15)
	v_fma_f64 v[127:128], v[129:130], v[123:124], v[117:118]
	ds_read2_b64 v[117:120], v116 offset0:107 offset1:108
	ds_read2_b64 v[121:124], v116 offset0:109 offset1:110
	s_waitcnt vmcnt(14) lgkmcnt(1)
	v_fma_f64 v[117:118], v[145:146], v[117:118], v[127:128]
	;; [unrolled: 10-line block ×3, first 2 shown]
	s_waitcnt vmcnt(5)
	v_fma_f64 v[116:117], v[141:142], v[119:120], v[116:117]
	s_waitcnt vmcnt(4) lgkmcnt(0)
	v_fma_f64 v[116:117], v[139:140], v[121:122], v[116:117]
	s_waitcnt vmcnt(2)
	v_fma_f64 v[116:117], v[125:126], v[123:124], v[116:117]
	s_waitcnt vmcnt(0)
	v_add_f64 v[116:117], v[143:144], -v[116:117]
	buffer_store_dword v117, off, s[0:3], 0 offset:68
	buffer_store_dword v116, off, s[0:3], 0 offset:64
	v_cmpx_lt_u32_e32 7, v0
	s_cbranch_execz .LBB120_337
; %bb.336:
	s_clause 0x1
	buffer_load_dword v116, off, s[0:3], 0 offset:56
	buffer_load_dword v117, off, s[0:3], 0 offset:60
	v_mov_b32_e32 v118, 0
	buffer_store_dword v118, off, s[0:3], 0 offset:56
	buffer_store_dword v118, off, s[0:3], 0 offset:60
	s_waitcnt vmcnt(0)
	ds_write_b64 v115, v[116:117]
.LBB120_337:
	s_or_b32 exec_lo, exec_lo, s4
	s_waitcnt lgkmcnt(0)
	s_waitcnt_vscnt null, 0x0
	s_barrier
	buffer_gl0_inv
	s_clause 0x1c
	buffer_load_dword v125, off, s[0:3], 0 offset:64
	buffer_load_dword v126, off, s[0:3], 0 offset:68
	;; [unrolled: 1-line block ×29, first 2 shown]
	v_mov_b32_e32 v116, 0
	buffer_load_dword v150, off, s[0:3], 0 offset:180
	s_mov_b32 s4, exec_lo
	ds_read_b128 v[117:120], v116 offset:528
	ds_read_b128 v[121:124], v116 offset:544
	s_waitcnt vmcnt(28) lgkmcnt(1)
	v_fma_f64 v[117:118], v[125:126], v[117:118], 0
	s_clause 0x7
	buffer_load_dword v126, off, s[0:3], 0 offset:188
	buffer_load_dword v155, off, s[0:3], 0 offset:208
	buffer_load_dword v157, off, s[0:3], 0 offset:200
	buffer_load_dword v159, off, s[0:3], 0 offset:192
	buffer_load_dword v125, off, s[0:3], 0 offset:184
	buffer_load_dword v160, off, s[0:3], 0 offset:196
	buffer_load_dword v158, off, s[0:3], 0 offset:204
	buffer_load_dword v156, off, s[0:3], 0 offset:212
	s_waitcnt vmcnt(34)
	v_fma_f64 v[117:118], v[127:128], v[119:120], v[117:118]
	s_waitcnt vmcnt(32) lgkmcnt(0)
	v_fma_f64 v[117:118], v[129:130], v[121:122], v[117:118]
	s_waitcnt vmcnt(30)
	v_fma_f64 v[127:128], v[131:132], v[123:124], v[117:118]
	ds_read_b128 v[117:120], v116 offset:560
	ds_read_b128 v[121:124], v116 offset:576
	s_waitcnt vmcnt(28) lgkmcnt(1)
	v_fma_f64 v[117:118], v[133:134], v[117:118], v[127:128]
	s_clause 0x7
	buffer_load_dword v128, off, s[0:3], 0 offset:220
	buffer_load_dword v129, off, s[0:3], 0 offset:240
	buffer_load_dword v131, off, s[0:3], 0 offset:232
	buffer_load_dword v133, off, s[0:3], 0 offset:224
	buffer_load_dword v127, off, s[0:3], 0 offset:216
	buffer_load_dword v134, off, s[0:3], 0 offset:228
	buffer_load_dword v132, off, s[0:3], 0 offset:236
	buffer_load_dword v130, off, s[0:3], 0 offset:244
	s_waitcnt vmcnt(34)
	v_fma_f64 v[117:118], v[135:136], v[119:120], v[117:118]
	s_waitcnt vmcnt(32) lgkmcnt(0)
	v_fma_f64 v[117:118], v[137:138], v[121:122], v[117:118]
	s_waitcnt vmcnt(27)
	v_fma_f64 v[135:136], v[139:140], v[123:124], v[117:118]
	;; [unrolled: 19-line block ×8, first 2 shown]
	ds_read_b128 v[117:120], v116 offset:784
	ds_read_b128 v[121:124], v116 offset:800
	s_waitcnt vmcnt(26) lgkmcnt(1)
	v_fma_f64 v[117:118], v[159:160], v[117:118], v[125:126]
	s_clause 0x5
	buffer_load_dword v126, off, s[0:3], 0 offset:444
	buffer_load_dword v143, off, s[0:3], 0 offset:448
	;; [unrolled: 1-line block ×6, first 2 shown]
	s_waitcnt vmcnt(31)
	v_fma_f64 v[117:118], v[151:152], v[119:120], v[117:118]
	s_waitcnt vmcnt(30) lgkmcnt(0)
	v_fma_f64 v[117:118], v[149:150], v[121:122], v[117:118]
	s_waitcnt vmcnt(25)
	v_fma_f64 v[127:128], v[127:128], v[123:124], v[117:118]
	ds_read_b128 v[117:120], v116 offset:816
	ds_read_b128 v[121:124], v116 offset:832
	s_waitcnt vmcnt(24) lgkmcnt(1)
	v_fma_f64 v[117:118], v[157:158], v[117:118], v[127:128]
	s_waitcnt vmcnt(23)
	v_fma_f64 v[117:118], v[155:156], v[119:120], v[117:118]
	s_waitcnt vmcnt(22) lgkmcnt(0)
	v_fma_f64 v[117:118], v[133:134], v[121:122], v[117:118]
	s_waitcnt vmcnt(17)
	v_fma_f64 v[127:128], v[129:130], v[123:124], v[117:118]
	ds_read_b128 v[117:120], v116 offset:848
	ds_read_b128 v[121:124], v116 offset:864
	s_waitcnt vmcnt(16) lgkmcnt(1)
	v_fma_f64 v[117:118], v[145:146], v[117:118], v[127:128]
	;; [unrolled: 10-line block ×3, first 2 shown]
	s_waitcnt vmcnt(7)
	v_fma_f64 v[117:118], v[141:142], v[119:120], v[117:118]
	ds_read_b64 v[119:120], v116 offset:912
	s_waitcnt vmcnt(6) lgkmcnt(1)
	v_fma_f64 v[117:118], v[139:140], v[121:122], v[117:118]
	s_waitcnt vmcnt(3)
	v_fma_f64 v[117:118], v[125:126], v[123:124], v[117:118]
	s_waitcnt vmcnt(2) lgkmcnt(0)
	v_fma_f64 v[117:118], v[143:144], v[119:120], v[117:118]
	s_waitcnt vmcnt(0)
	v_add_f64 v[117:118], v[147:148], -v[117:118]
	buffer_store_dword v118, off, s[0:3], 0 offset:60
	buffer_store_dword v117, off, s[0:3], 0 offset:56
	v_cmpx_lt_u32_e32 6, v0
	s_cbranch_execz .LBB120_339
; %bb.338:
	s_clause 0x1
	buffer_load_dword v117, off, s[0:3], 0 offset:48
	buffer_load_dword v118, off, s[0:3], 0 offset:52
	buffer_store_dword v116, off, s[0:3], 0 offset:48
	buffer_store_dword v116, off, s[0:3], 0 offset:52
	s_waitcnt vmcnt(0)
	ds_write_b64 v115, v[117:118]
.LBB120_339:
	s_or_b32 exec_lo, exec_lo, s4
	s_waitcnt lgkmcnt(0)
	s_waitcnt_vscnt null, 0x0
	s_barrier
	buffer_gl0_inv
	s_clause 0x1c
	buffer_load_dword v125, off, s[0:3], 0 offset:56
	buffer_load_dword v126, off, s[0:3], 0 offset:60
	;; [unrolled: 1-line block ×29, first 2 shown]
	ds_read2_b64 v[117:120], v116 offset0:65 offset1:66
	ds_read2_b64 v[121:124], v116 offset0:67 offset1:68
	buffer_load_dword v150, off, s[0:3], 0 offset:172
	s_mov_b32 s4, exec_lo
	s_waitcnt vmcnt(28) lgkmcnt(1)
	v_fma_f64 v[117:118], v[125:126], v[117:118], 0
	s_clause 0x7
	buffer_load_dword v126, off, s[0:3], 0 offset:180
	buffer_load_dword v155, off, s[0:3], 0 offset:200
	buffer_load_dword v157, off, s[0:3], 0 offset:192
	buffer_load_dword v159, off, s[0:3], 0 offset:184
	buffer_load_dword v125, off, s[0:3], 0 offset:176
	buffer_load_dword v160, off, s[0:3], 0 offset:188
	buffer_load_dword v158, off, s[0:3], 0 offset:196
	buffer_load_dword v156, off, s[0:3], 0 offset:204
	s_waitcnt vmcnt(34)
	v_fma_f64 v[117:118], v[127:128], v[119:120], v[117:118]
	s_waitcnt vmcnt(32) lgkmcnt(0)
	v_fma_f64 v[117:118], v[129:130], v[121:122], v[117:118]
	s_waitcnt vmcnt(30)
	v_fma_f64 v[127:128], v[131:132], v[123:124], v[117:118]
	ds_read2_b64 v[117:120], v116 offset0:69 offset1:70
	ds_read2_b64 v[121:124], v116 offset0:71 offset1:72
	s_waitcnt vmcnt(28) lgkmcnt(1)
	v_fma_f64 v[117:118], v[133:134], v[117:118], v[127:128]
	s_clause 0x7
	buffer_load_dword v128, off, s[0:3], 0 offset:212
	buffer_load_dword v129, off, s[0:3], 0 offset:232
	buffer_load_dword v131, off, s[0:3], 0 offset:224
	buffer_load_dword v133, off, s[0:3], 0 offset:216
	buffer_load_dword v127, off, s[0:3], 0 offset:208
	buffer_load_dword v134, off, s[0:3], 0 offset:220
	buffer_load_dword v132, off, s[0:3], 0 offset:228
	buffer_load_dword v130, off, s[0:3], 0 offset:236
	s_waitcnt vmcnt(34)
	v_fma_f64 v[117:118], v[135:136], v[119:120], v[117:118]
	s_waitcnt vmcnt(32) lgkmcnt(0)
	v_fma_f64 v[117:118], v[137:138], v[121:122], v[117:118]
	s_waitcnt vmcnt(27)
	v_fma_f64 v[135:136], v[139:140], v[123:124], v[117:118]
	ds_read2_b64 v[117:120], v116 offset0:73 offset1:74
	ds_read2_b64 v[121:124], v116 offset0:75 offset1:76
	;; [unrolled: 19-line block ×8, first 2 shown]
	s_waitcnt vmcnt(26) lgkmcnt(1)
	v_fma_f64 v[117:118], v[159:160], v[117:118], v[125:126]
	s_clause 0x5
	buffer_load_dword v126, off, s[0:3], 0 offset:436
	buffer_load_dword v143, off, s[0:3], 0 offset:448
	;; [unrolled: 1-line block ×6, first 2 shown]
	s_waitcnt vmcnt(31)
	v_fma_f64 v[117:118], v[151:152], v[119:120], v[117:118]
	s_waitcnt vmcnt(30) lgkmcnt(0)
	v_fma_f64 v[117:118], v[149:150], v[121:122], v[117:118]
	s_waitcnt vmcnt(25)
	v_fma_f64 v[127:128], v[127:128], v[123:124], v[117:118]
	ds_read2_b64 v[117:120], v116 offset0:101 offset1:102
	s_clause 0x1
	buffer_load_dword v149, off, s[0:3], 0 offset:48
	buffer_load_dword v150, off, s[0:3], 0 offset:52
	ds_read2_b64 v[121:124], v116 offset0:103 offset1:104
	s_waitcnt vmcnt(26) lgkmcnt(1)
	v_fma_f64 v[117:118], v[157:158], v[117:118], v[127:128]
	s_waitcnt vmcnt(25)
	v_fma_f64 v[117:118], v[155:156], v[119:120], v[117:118]
	s_waitcnt vmcnt(24) lgkmcnt(0)
	v_fma_f64 v[117:118], v[133:134], v[121:122], v[117:118]
	s_waitcnt vmcnt(19)
	v_fma_f64 v[127:128], v[129:130], v[123:124], v[117:118]
	ds_read2_b64 v[117:120], v116 offset0:105 offset1:106
	ds_read2_b64 v[121:124], v116 offset0:107 offset1:108
	s_waitcnt vmcnt(18) lgkmcnt(1)
	v_fma_f64 v[117:118], v[145:146], v[117:118], v[127:128]
	s_waitcnt vmcnt(17)
	v_fma_f64 v[117:118], v[135:136], v[119:120], v[117:118]
	s_waitcnt vmcnt(16) lgkmcnt(0)
	v_fma_f64 v[117:118], v[131:132], v[121:122], v[117:118]
	s_waitcnt vmcnt(11)
	v_fma_f64 v[127:128], v[137:138], v[123:124], v[117:118]
	ds_read2_b64 v[117:120], v116 offset0:109 offset1:110
	;; [unrolled: 10-line block ×3, first 2 shown]
	s_waitcnt vmcnt(3) lgkmcnt(0)
	v_fma_f64 v[116:117], v[147:148], v[116:117], v[120:121]
	s_waitcnt vmcnt(2)
	v_fma_f64 v[116:117], v[143:144], v[118:119], v[116:117]
	s_waitcnt vmcnt(0)
	v_add_f64 v[116:117], v[149:150], -v[116:117]
	buffer_store_dword v117, off, s[0:3], 0 offset:52
	buffer_store_dword v116, off, s[0:3], 0 offset:48
	v_cmpx_lt_u32_e32 5, v0
	s_cbranch_execz .LBB120_341
; %bb.340:
	s_clause 0x1
	buffer_load_dword v116, off, s[0:3], 0 offset:40
	buffer_load_dword v117, off, s[0:3], 0 offset:44
	v_mov_b32_e32 v118, 0
	buffer_store_dword v118, off, s[0:3], 0 offset:40
	buffer_store_dword v118, off, s[0:3], 0 offset:44
	s_waitcnt vmcnt(0)
	ds_write_b64 v115, v[116:117]
.LBB120_341:
	s_or_b32 exec_lo, exec_lo, s4
	s_waitcnt lgkmcnt(0)
	s_waitcnt_vscnt null, 0x0
	s_barrier
	buffer_gl0_inv
	s_clause 0x1c
	buffer_load_dword v125, off, s[0:3], 0 offset:48
	buffer_load_dword v126, off, s[0:3], 0 offset:52
	;; [unrolled: 1-line block ×29, first 2 shown]
	v_mov_b32_e32 v116, 0
	buffer_load_dword v150, off, s[0:3], 0 offset:164
	s_mov_b32 s4, exec_lo
	ds_read_b128 v[117:120], v116 offset:512
	ds_read_b128 v[121:124], v116 offset:528
	s_waitcnt vmcnt(28) lgkmcnt(1)
	v_fma_f64 v[117:118], v[125:126], v[117:118], 0
	s_clause 0x7
	buffer_load_dword v126, off, s[0:3], 0 offset:172
	buffer_load_dword v155, off, s[0:3], 0 offset:192
	buffer_load_dword v157, off, s[0:3], 0 offset:184
	buffer_load_dword v159, off, s[0:3], 0 offset:176
	buffer_load_dword v125, off, s[0:3], 0 offset:168
	buffer_load_dword v160, off, s[0:3], 0 offset:180
	buffer_load_dword v158, off, s[0:3], 0 offset:188
	buffer_load_dword v156, off, s[0:3], 0 offset:196
	s_waitcnt vmcnt(34)
	v_fma_f64 v[117:118], v[127:128], v[119:120], v[117:118]
	s_waitcnt vmcnt(32) lgkmcnt(0)
	v_fma_f64 v[117:118], v[129:130], v[121:122], v[117:118]
	s_waitcnt vmcnt(30)
	v_fma_f64 v[127:128], v[131:132], v[123:124], v[117:118]
	ds_read_b128 v[117:120], v116 offset:544
	ds_read_b128 v[121:124], v116 offset:560
	s_waitcnt vmcnt(28) lgkmcnt(1)
	v_fma_f64 v[117:118], v[133:134], v[117:118], v[127:128]
	s_clause 0x7
	buffer_load_dword v128, off, s[0:3], 0 offset:204
	buffer_load_dword v129, off, s[0:3], 0 offset:224
	buffer_load_dword v131, off, s[0:3], 0 offset:216
	buffer_load_dword v133, off, s[0:3], 0 offset:208
	buffer_load_dword v127, off, s[0:3], 0 offset:200
	buffer_load_dword v134, off, s[0:3], 0 offset:212
	buffer_load_dword v132, off, s[0:3], 0 offset:220
	buffer_load_dword v130, off, s[0:3], 0 offset:228
	s_waitcnt vmcnt(34)
	v_fma_f64 v[117:118], v[135:136], v[119:120], v[117:118]
	s_waitcnt vmcnt(32) lgkmcnt(0)
	v_fma_f64 v[117:118], v[137:138], v[121:122], v[117:118]
	s_waitcnt vmcnt(27)
	v_fma_f64 v[135:136], v[139:140], v[123:124], v[117:118]
	;; [unrolled: 19-line block ×9, first 2 shown]
	ds_read_b128 v[117:120], v116 offset:800
	ds_read_b128 v[121:124], v116 offset:816
	s_waitcnt vmcnt(26) lgkmcnt(1)
	v_fma_f64 v[117:118], v[157:158], v[117:118], v[127:128]
	s_clause 0x1
	buffer_load_dword v127, off, s[0:3], 0 offset:40
	buffer_load_dword v128, off, s[0:3], 0 offset:44
	s_waitcnt vmcnt(27)
	v_fma_f64 v[117:118], v[155:156], v[119:120], v[117:118]
	s_waitcnt vmcnt(26) lgkmcnt(0)
	v_fma_f64 v[117:118], v[133:134], v[121:122], v[117:118]
	s_waitcnt vmcnt(21)
	v_fma_f64 v[129:130], v[129:130], v[123:124], v[117:118]
	ds_read_b128 v[117:120], v116 offset:832
	ds_read_b128 v[121:124], v116 offset:848
	s_waitcnt vmcnt(20) lgkmcnt(1)
	v_fma_f64 v[117:118], v[145:146], v[117:118], v[129:130]
	s_waitcnt vmcnt(19)
	v_fma_f64 v[117:118], v[135:136], v[119:120], v[117:118]
	s_waitcnt vmcnt(18) lgkmcnt(0)
	v_fma_f64 v[117:118], v[131:132], v[121:122], v[117:118]
	s_waitcnt vmcnt(13)
	v_fma_f64 v[129:130], v[137:138], v[123:124], v[117:118]
	ds_read_b128 v[117:120], v116 offset:864
	ds_read_b128 v[121:124], v116 offset:880
	s_waitcnt vmcnt(12) lgkmcnt(1)
	v_fma_f64 v[117:118], v[153:154], v[117:118], v[129:130]
	s_waitcnt vmcnt(11)
	v_fma_f64 v[117:118], v[141:142], v[119:120], v[117:118]
	s_waitcnt vmcnt(10) lgkmcnt(0)
	v_fma_f64 v[117:118], v[139:140], v[121:122], v[117:118]
	s_waitcnt vmcnt(5)
	v_fma_f64 v[121:122], v[125:126], v[123:124], v[117:118]
	ds_read_b128 v[117:120], v116 offset:896
	ds_read_b64 v[123:124], v116 offset:912
	s_waitcnt vmcnt(4) lgkmcnt(1)
	v_fma_f64 v[117:118], v[159:160], v[117:118], v[121:122]
	s_waitcnt vmcnt(3)
	v_fma_f64 v[117:118], v[147:148], v[119:120], v[117:118]
	s_waitcnt vmcnt(2) lgkmcnt(0)
	v_fma_f64 v[117:118], v[143:144], v[123:124], v[117:118]
	s_waitcnt vmcnt(0)
	v_add_f64 v[117:118], v[127:128], -v[117:118]
	buffer_store_dword v118, off, s[0:3], 0 offset:44
	buffer_store_dword v117, off, s[0:3], 0 offset:40
	v_cmpx_lt_u32_e32 4, v0
	s_cbranch_execz .LBB120_343
; %bb.342:
	s_clause 0x1
	buffer_load_dword v117, off, s[0:3], 0 offset:32
	buffer_load_dword v118, off, s[0:3], 0 offset:36
	buffer_store_dword v116, off, s[0:3], 0 offset:32
	buffer_store_dword v116, off, s[0:3], 0 offset:36
	s_waitcnt vmcnt(0)
	ds_write_b64 v115, v[117:118]
.LBB120_343:
	s_or_b32 exec_lo, exec_lo, s4
	s_waitcnt lgkmcnt(0)
	s_waitcnt_vscnt null, 0x0
	s_barrier
	buffer_gl0_inv
	s_clause 0x1c
	buffer_load_dword v125, off, s[0:3], 0 offset:40
	buffer_load_dword v126, off, s[0:3], 0 offset:44
	;; [unrolled: 1-line block ×29, first 2 shown]
	ds_read2_b64 v[117:120], v116 offset0:63 offset1:64
	ds_read2_b64 v[121:124], v116 offset0:65 offset1:66
	buffer_load_dword v150, off, s[0:3], 0 offset:156
	s_mov_b32 s4, exec_lo
	s_waitcnt vmcnt(28) lgkmcnt(1)
	v_fma_f64 v[117:118], v[125:126], v[117:118], 0
	s_clause 0x7
	buffer_load_dword v126, off, s[0:3], 0 offset:164
	buffer_load_dword v155, off, s[0:3], 0 offset:184
	buffer_load_dword v157, off, s[0:3], 0 offset:176
	buffer_load_dword v159, off, s[0:3], 0 offset:168
	buffer_load_dword v125, off, s[0:3], 0 offset:160
	buffer_load_dword v160, off, s[0:3], 0 offset:172
	buffer_load_dword v158, off, s[0:3], 0 offset:180
	buffer_load_dword v156, off, s[0:3], 0 offset:188
	s_waitcnt vmcnt(34)
	v_fma_f64 v[117:118], v[127:128], v[119:120], v[117:118]
	s_waitcnt vmcnt(32) lgkmcnt(0)
	v_fma_f64 v[117:118], v[129:130], v[121:122], v[117:118]
	s_waitcnt vmcnt(30)
	v_fma_f64 v[127:128], v[131:132], v[123:124], v[117:118]
	ds_read2_b64 v[117:120], v116 offset0:67 offset1:68
	ds_read2_b64 v[121:124], v116 offset0:69 offset1:70
	s_waitcnt vmcnt(28) lgkmcnt(1)
	v_fma_f64 v[117:118], v[133:134], v[117:118], v[127:128]
	s_clause 0x7
	buffer_load_dword v128, off, s[0:3], 0 offset:196
	buffer_load_dword v129, off, s[0:3], 0 offset:216
	buffer_load_dword v131, off, s[0:3], 0 offset:208
	buffer_load_dword v133, off, s[0:3], 0 offset:200
	buffer_load_dword v127, off, s[0:3], 0 offset:192
	buffer_load_dword v134, off, s[0:3], 0 offset:204
	buffer_load_dword v132, off, s[0:3], 0 offset:212
	buffer_load_dword v130, off, s[0:3], 0 offset:220
	s_waitcnt vmcnt(34)
	v_fma_f64 v[117:118], v[135:136], v[119:120], v[117:118]
	s_waitcnt vmcnt(32) lgkmcnt(0)
	v_fma_f64 v[117:118], v[137:138], v[121:122], v[117:118]
	s_waitcnt vmcnt(27)
	v_fma_f64 v[135:136], v[139:140], v[123:124], v[117:118]
	ds_read2_b64 v[117:120], v116 offset0:71 offset1:72
	ds_read2_b64 v[121:124], v116 offset0:73 offset1:74
	;; [unrolled: 19-line block ×9, first 2 shown]
	s_waitcnt vmcnt(26) lgkmcnt(1)
	v_fma_f64 v[117:118], v[157:158], v[117:118], v[127:128]
	s_clause 0x3
	buffer_load_dword v128, off, s[0:3], 0 offset:452
	buffer_load_dword v127, off, s[0:3], 0 offset:448
	;; [unrolled: 1-line block ×4, first 2 shown]
	s_waitcnt vmcnt(29)
	v_fma_f64 v[117:118], v[155:156], v[119:120], v[117:118]
	s_waitcnt vmcnt(28) lgkmcnt(0)
	v_fma_f64 v[117:118], v[133:134], v[121:122], v[117:118]
	s_waitcnt vmcnt(23)
	v_fma_f64 v[129:130], v[129:130], v[123:124], v[117:118]
	ds_read2_b64 v[117:120], v116 offset0:103 offset1:104
	ds_read2_b64 v[121:124], v116 offset0:105 offset1:106
	s_waitcnt vmcnt(22) lgkmcnt(1)
	v_fma_f64 v[117:118], v[145:146], v[117:118], v[129:130]
	s_waitcnt vmcnt(21)
	v_fma_f64 v[117:118], v[135:136], v[119:120], v[117:118]
	s_waitcnt vmcnt(20) lgkmcnt(0)
	v_fma_f64 v[117:118], v[131:132], v[121:122], v[117:118]
	s_waitcnt vmcnt(15)
	v_fma_f64 v[129:130], v[137:138], v[123:124], v[117:118]
	ds_read2_b64 v[117:120], v116 offset0:107 offset1:108
	ds_read2_b64 v[121:124], v116 offset0:109 offset1:110
	s_waitcnt vmcnt(14) lgkmcnt(1)
	v_fma_f64 v[117:118], v[153:154], v[117:118], v[129:130]
	;; [unrolled: 10-line block ×3, first 2 shown]
	s_waitcnt vmcnt(5)
	v_fma_f64 v[116:117], v[147:148], v[119:120], v[116:117]
	s_waitcnt vmcnt(4) lgkmcnt(0)
	v_fma_f64 v[116:117], v[143:144], v[121:122], v[116:117]
	s_waitcnt vmcnt(2)
	v_fma_f64 v[116:117], v[127:128], v[123:124], v[116:117]
	s_waitcnt vmcnt(0)
	v_add_f64 v[116:117], v[149:150], -v[116:117]
	buffer_store_dword v117, off, s[0:3], 0 offset:36
	buffer_store_dword v116, off, s[0:3], 0 offset:32
	v_cmpx_lt_u32_e32 3, v0
	s_cbranch_execz .LBB120_345
; %bb.344:
	s_clause 0x1
	buffer_load_dword v116, off, s[0:3], 0 offset:24
	buffer_load_dword v117, off, s[0:3], 0 offset:28
	v_mov_b32_e32 v118, 0
	buffer_store_dword v118, off, s[0:3], 0 offset:24
	buffer_store_dword v118, off, s[0:3], 0 offset:28
	s_waitcnt vmcnt(0)
	ds_write_b64 v115, v[116:117]
.LBB120_345:
	s_or_b32 exec_lo, exec_lo, s4
	s_waitcnt lgkmcnt(0)
	s_waitcnt_vscnt null, 0x0
	s_barrier
	buffer_gl0_inv
	s_clause 0x1c
	buffer_load_dword v125, off, s[0:3], 0 offset:32
	buffer_load_dword v126, off, s[0:3], 0 offset:36
	buffer_load_dword v127, off, s[0:3], 0 offset:40
	buffer_load_dword v128, off, s[0:3], 0 offset:44
	buffer_load_dword v129, off, s[0:3], 0 offset:48
	buffer_load_dword v130, off, s[0:3], 0 offset:52
	buffer_load_dword v131, off, s[0:3], 0 offset:56
	buffer_load_dword v132, off, s[0:3], 0 offset:60
	buffer_load_dword v133, off, s[0:3], 0 offset:64
	buffer_load_dword v134, off, s[0:3], 0 offset:68
	buffer_load_dword v135, off, s[0:3], 0 offset:72
	buffer_load_dword v136, off, s[0:3], 0 offset:76
	buffer_load_dword v137, off, s[0:3], 0 offset:80
	buffer_load_dword v138, off, s[0:3], 0 offset:84
	buffer_load_dword v140, off, s[0:3], 0 offset:92
	buffer_load_dword v141, off, s[0:3], 0 offset:112
	buffer_load_dword v143, off, s[0:3], 0 offset:104
	buffer_load_dword v145, off, s[0:3], 0 offset:96
	buffer_load_dword v139, off, s[0:3], 0 offset:88
	buffer_load_dword v146, off, s[0:3], 0 offset:100
	buffer_load_dword v144, off, s[0:3], 0 offset:108
	buffer_load_dword v142, off, s[0:3], 0 offset:116
	buffer_load_dword v148, off, s[0:3], 0 offset:124
	buffer_load_dword v149, off, s[0:3], 0 offset:144
	buffer_load_dword v151, off, s[0:3], 0 offset:136
	buffer_load_dword v153, off, s[0:3], 0 offset:128
	buffer_load_dword v147, off, s[0:3], 0 offset:120
	buffer_load_dword v154, off, s[0:3], 0 offset:132
	buffer_load_dword v152, off, s[0:3], 0 offset:140
	v_mov_b32_e32 v116, 0
	buffer_load_dword v150, off, s[0:3], 0 offset:148
	s_mov_b32 s4, exec_lo
	ds_read_b128 v[117:120], v116 offset:496
	ds_read_b128 v[121:124], v116 offset:512
	s_waitcnt vmcnt(28) lgkmcnt(1)
	v_fma_f64 v[117:118], v[125:126], v[117:118], 0
	s_clause 0x7
	buffer_load_dword v126, off, s[0:3], 0 offset:156
	buffer_load_dword v155, off, s[0:3], 0 offset:176
	buffer_load_dword v157, off, s[0:3], 0 offset:168
	buffer_load_dword v159, off, s[0:3], 0 offset:160
	buffer_load_dword v125, off, s[0:3], 0 offset:152
	buffer_load_dword v160, off, s[0:3], 0 offset:164
	buffer_load_dword v158, off, s[0:3], 0 offset:172
	buffer_load_dword v156, off, s[0:3], 0 offset:180
	s_waitcnt vmcnt(34)
	v_fma_f64 v[117:118], v[127:128], v[119:120], v[117:118]
	s_waitcnt vmcnt(32) lgkmcnt(0)
	v_fma_f64 v[117:118], v[129:130], v[121:122], v[117:118]
	s_waitcnt vmcnt(30)
	v_fma_f64 v[127:128], v[131:132], v[123:124], v[117:118]
	ds_read_b128 v[117:120], v116 offset:528
	ds_read_b128 v[121:124], v116 offset:544
	s_waitcnt vmcnt(28) lgkmcnt(1)
	v_fma_f64 v[117:118], v[133:134], v[117:118], v[127:128]
	s_clause 0x7
	buffer_load_dword v128, off, s[0:3], 0 offset:188
	buffer_load_dword v129, off, s[0:3], 0 offset:208
	buffer_load_dword v131, off, s[0:3], 0 offset:200
	buffer_load_dword v133, off, s[0:3], 0 offset:192
	buffer_load_dword v127, off, s[0:3], 0 offset:184
	buffer_load_dword v134, off, s[0:3], 0 offset:196
	buffer_load_dword v132, off, s[0:3], 0 offset:204
	buffer_load_dword v130, off, s[0:3], 0 offset:212
	s_waitcnt vmcnt(34)
	v_fma_f64 v[117:118], v[135:136], v[119:120], v[117:118]
	s_waitcnt vmcnt(32) lgkmcnt(0)
	v_fma_f64 v[117:118], v[137:138], v[121:122], v[117:118]
	s_waitcnt vmcnt(27)
	v_fma_f64 v[135:136], v[139:140], v[123:124], v[117:118]
	;; [unrolled: 19-line block ×9, first 2 shown]
	ds_read_b128 v[117:120], v116 offset:784
	ds_read_b128 v[121:124], v116 offset:800
	s_waitcnt vmcnt(26) lgkmcnt(1)
	v_fma_f64 v[117:118], v[157:158], v[117:118], v[127:128]
	s_clause 0x3
	buffer_load_dword v128, off, s[0:3], 0 offset:444
	buffer_load_dword v149, off, s[0:3], 0 offset:448
	;; [unrolled: 1-line block ×4, first 2 shown]
	s_waitcnt vmcnt(29)
	v_fma_f64 v[117:118], v[155:156], v[119:120], v[117:118]
	s_waitcnt vmcnt(28) lgkmcnt(0)
	v_fma_f64 v[117:118], v[133:134], v[121:122], v[117:118]
	s_clause 0x1
	buffer_load_dword v133, off, s[0:3], 0 offset:24
	buffer_load_dword v134, off, s[0:3], 0 offset:28
	s_waitcnt vmcnt(25)
	v_fma_f64 v[129:130], v[129:130], v[123:124], v[117:118]
	ds_read_b128 v[117:120], v116 offset:816
	ds_read_b128 v[121:124], v116 offset:832
	s_waitcnt vmcnt(24) lgkmcnt(1)
	v_fma_f64 v[117:118], v[145:146], v[117:118], v[129:130]
	s_waitcnt vmcnt(23)
	v_fma_f64 v[117:118], v[135:136], v[119:120], v[117:118]
	s_waitcnt vmcnt(22) lgkmcnt(0)
	v_fma_f64 v[117:118], v[131:132], v[121:122], v[117:118]
	s_waitcnt vmcnt(17)
	v_fma_f64 v[129:130], v[137:138], v[123:124], v[117:118]
	ds_read_b128 v[117:120], v116 offset:848
	ds_read_b128 v[121:124], v116 offset:864
	s_waitcnt vmcnt(16) lgkmcnt(1)
	v_fma_f64 v[117:118], v[153:154], v[117:118], v[129:130]
	s_waitcnt vmcnt(15)
	v_fma_f64 v[117:118], v[141:142], v[119:120], v[117:118]
	s_waitcnt vmcnt(14) lgkmcnt(0)
	v_fma_f64 v[117:118], v[139:140], v[121:122], v[117:118]
	s_waitcnt vmcnt(9)
	v_fma_f64 v[125:126], v[125:126], v[123:124], v[117:118]
	ds_read_b128 v[117:120], v116 offset:880
	ds_read_b128 v[121:124], v116 offset:896
	s_waitcnt vmcnt(8) lgkmcnt(1)
	v_fma_f64 v[117:118], v[159:160], v[117:118], v[125:126]
	s_waitcnt vmcnt(7)
	v_fma_f64 v[117:118], v[147:148], v[119:120], v[117:118]
	ds_read_b64 v[119:120], v116 offset:912
	s_waitcnt vmcnt(6) lgkmcnt(1)
	v_fma_f64 v[117:118], v[143:144], v[121:122], v[117:118]
	s_waitcnt vmcnt(3)
	v_fma_f64 v[117:118], v[127:128], v[123:124], v[117:118]
	s_waitcnt vmcnt(2) lgkmcnt(0)
	v_fma_f64 v[117:118], v[149:150], v[119:120], v[117:118]
	s_waitcnt vmcnt(0)
	v_add_f64 v[117:118], v[133:134], -v[117:118]
	buffer_store_dword v118, off, s[0:3], 0 offset:28
	buffer_store_dword v117, off, s[0:3], 0 offset:24
	v_cmpx_lt_u32_e32 2, v0
	s_cbranch_execz .LBB120_347
; %bb.346:
	s_clause 0x1
	buffer_load_dword v117, off, s[0:3], 0 offset:16
	buffer_load_dword v118, off, s[0:3], 0 offset:20
	buffer_store_dword v116, off, s[0:3], 0 offset:16
	buffer_store_dword v116, off, s[0:3], 0 offset:20
	s_waitcnt vmcnt(0)
	ds_write_b64 v115, v[117:118]
.LBB120_347:
	s_or_b32 exec_lo, exec_lo, s4
	s_waitcnt lgkmcnt(0)
	s_waitcnt_vscnt null, 0x0
	s_barrier
	buffer_gl0_inv
	s_clause 0x1c
	buffer_load_dword v125, off, s[0:3], 0 offset:24
	buffer_load_dword v126, off, s[0:3], 0 offset:28
	;; [unrolled: 1-line block ×29, first 2 shown]
	ds_read2_b64 v[117:120], v116 offset0:61 offset1:62
	ds_read2_b64 v[121:124], v116 offset0:63 offset1:64
	buffer_load_dword v150, off, s[0:3], 0 offset:140
	s_mov_b32 s4, exec_lo
	s_waitcnt vmcnt(28) lgkmcnt(1)
	v_fma_f64 v[117:118], v[125:126], v[117:118], 0
	s_clause 0x7
	buffer_load_dword v126, off, s[0:3], 0 offset:148
	buffer_load_dword v155, off, s[0:3], 0 offset:168
	buffer_load_dword v157, off, s[0:3], 0 offset:160
	buffer_load_dword v159, off, s[0:3], 0 offset:152
	buffer_load_dword v125, off, s[0:3], 0 offset:144
	buffer_load_dword v160, off, s[0:3], 0 offset:156
	buffer_load_dword v158, off, s[0:3], 0 offset:164
	buffer_load_dword v156, off, s[0:3], 0 offset:172
	s_waitcnt vmcnt(34)
	v_fma_f64 v[117:118], v[127:128], v[119:120], v[117:118]
	s_waitcnt vmcnt(32) lgkmcnt(0)
	v_fma_f64 v[117:118], v[129:130], v[121:122], v[117:118]
	s_waitcnt vmcnt(30)
	v_fma_f64 v[127:128], v[131:132], v[123:124], v[117:118]
	ds_read2_b64 v[117:120], v116 offset0:65 offset1:66
	ds_read2_b64 v[121:124], v116 offset0:67 offset1:68
	s_waitcnt vmcnt(28) lgkmcnt(1)
	v_fma_f64 v[117:118], v[133:134], v[117:118], v[127:128]
	s_clause 0x7
	buffer_load_dword v128, off, s[0:3], 0 offset:180
	buffer_load_dword v129, off, s[0:3], 0 offset:200
	buffer_load_dword v131, off, s[0:3], 0 offset:192
	buffer_load_dword v133, off, s[0:3], 0 offset:184
	buffer_load_dword v127, off, s[0:3], 0 offset:176
	buffer_load_dword v134, off, s[0:3], 0 offset:188
	buffer_load_dword v132, off, s[0:3], 0 offset:196
	buffer_load_dword v130, off, s[0:3], 0 offset:204
	s_waitcnt vmcnt(34)
	v_fma_f64 v[117:118], v[135:136], v[119:120], v[117:118]
	s_waitcnt vmcnt(32) lgkmcnt(0)
	v_fma_f64 v[117:118], v[137:138], v[121:122], v[117:118]
	s_waitcnt vmcnt(27)
	v_fma_f64 v[135:136], v[139:140], v[123:124], v[117:118]
	ds_read2_b64 v[117:120], v116 offset0:69 offset1:70
	ds_read2_b64 v[121:124], v116 offset0:71 offset1:72
	;; [unrolled: 19-line block ×9, first 2 shown]
	s_waitcnt vmcnt(26) lgkmcnt(1)
	v_fma_f64 v[117:118], v[157:158], v[117:118], v[127:128]
	s_clause 0x5
	buffer_load_dword v128, off, s[0:3], 0 offset:436
	buffer_load_dword v149, off, s[0:3], 0 offset:448
	;; [unrolled: 1-line block ×6, first 2 shown]
	s_waitcnt vmcnt(31)
	v_fma_f64 v[117:118], v[155:156], v[119:120], v[117:118]
	s_waitcnt vmcnt(30) lgkmcnt(0)
	v_fma_f64 v[117:118], v[133:134], v[121:122], v[117:118]
	s_waitcnt vmcnt(25)
	v_fma_f64 v[129:130], v[129:130], v[123:124], v[117:118]
	ds_read2_b64 v[117:120], v116 offset0:101 offset1:102
	s_clause 0x1
	buffer_load_dword v133, off, s[0:3], 0 offset:16
	buffer_load_dword v134, off, s[0:3], 0 offset:20
	ds_read2_b64 v[121:124], v116 offset0:103 offset1:104
	s_waitcnt vmcnt(26) lgkmcnt(1)
	v_fma_f64 v[117:118], v[145:146], v[117:118], v[129:130]
	s_waitcnt vmcnt(25)
	v_fma_f64 v[117:118], v[135:136], v[119:120], v[117:118]
	s_waitcnt vmcnt(24) lgkmcnt(0)
	v_fma_f64 v[117:118], v[131:132], v[121:122], v[117:118]
	s_waitcnt vmcnt(19)
	v_fma_f64 v[129:130], v[137:138], v[123:124], v[117:118]
	ds_read2_b64 v[117:120], v116 offset0:105 offset1:106
	ds_read2_b64 v[121:124], v116 offset0:107 offset1:108
	s_waitcnt vmcnt(18) lgkmcnt(1)
	v_fma_f64 v[117:118], v[153:154], v[117:118], v[129:130]
	s_waitcnt vmcnt(17)
	v_fma_f64 v[117:118], v[141:142], v[119:120], v[117:118]
	s_waitcnt vmcnt(16) lgkmcnt(0)
	v_fma_f64 v[117:118], v[139:140], v[121:122], v[117:118]
	s_waitcnt vmcnt(11)
	v_fma_f64 v[125:126], v[125:126], v[123:124], v[117:118]
	ds_read2_b64 v[117:120], v116 offset0:109 offset1:110
	;; [unrolled: 10-line block ×3, first 2 shown]
	s_waitcnt vmcnt(3) lgkmcnt(0)
	v_fma_f64 v[116:117], v[151:152], v[116:117], v[120:121]
	s_waitcnt vmcnt(2)
	v_fma_f64 v[116:117], v[149:150], v[118:119], v[116:117]
	s_waitcnt vmcnt(0)
	v_add_f64 v[116:117], v[133:134], -v[116:117]
	buffer_store_dword v117, off, s[0:3], 0 offset:20
	buffer_store_dword v116, off, s[0:3], 0 offset:16
	v_cmpx_lt_u32_e32 1, v0
	s_cbranch_execz .LBB120_349
; %bb.348:
	s_clause 0x1
	buffer_load_dword v116, off, s[0:3], 0 offset:8
	buffer_load_dword v117, off, s[0:3], 0 offset:12
	v_mov_b32_e32 v118, 0
	buffer_store_dword v118, off, s[0:3], 0 offset:8
	buffer_store_dword v118, off, s[0:3], 0 offset:12
	s_waitcnt vmcnt(0)
	ds_write_b64 v115, v[116:117]
.LBB120_349:
	s_or_b32 exec_lo, exec_lo, s4
	s_waitcnt lgkmcnt(0)
	s_waitcnt_vscnt null, 0x0
	s_barrier
	buffer_gl0_inv
	s_clause 0x1c
	buffer_load_dword v126, off, s[0:3], 0 offset:16
	buffer_load_dword v127, off, s[0:3], 0 offset:20
	;; [unrolled: 1-line block ×29, first 2 shown]
	v_mov_b32_e32 v117, 0
	buffer_load_dword v151, off, s[0:3], 0 offset:132
	s_mov_b32 s4, exec_lo
	ds_read_b128 v[118:121], v117 offset:480
	ds_read_b128 v[122:125], v117 offset:496
	s_waitcnt vmcnt(28) lgkmcnt(1)
	v_fma_f64 v[118:119], v[126:127], v[118:119], 0
	s_clause 0x7
	buffer_load_dword v127, off, s[0:3], 0 offset:140
	buffer_load_dword v156, off, s[0:3], 0 offset:160
	buffer_load_dword v158, off, s[0:3], 0 offset:152
	buffer_load_dword v160, off, s[0:3], 0 offset:144
	buffer_load_dword v126, off, s[0:3], 0 offset:136
	buffer_load_dword v161, off, s[0:3], 0 offset:148
	buffer_load_dword v159, off, s[0:3], 0 offset:156
	buffer_load_dword v157, off, s[0:3], 0 offset:164
	s_waitcnt vmcnt(34)
	v_fma_f64 v[118:119], v[128:129], v[120:121], v[118:119]
	s_waitcnt vmcnt(32) lgkmcnt(0)
	v_fma_f64 v[118:119], v[130:131], v[122:123], v[118:119]
	s_waitcnt vmcnt(30)
	v_fma_f64 v[128:129], v[132:133], v[124:125], v[118:119]
	ds_read_b128 v[118:121], v117 offset:512
	ds_read_b128 v[122:125], v117 offset:528
	s_waitcnt vmcnt(28) lgkmcnt(1)
	v_fma_f64 v[118:119], v[134:135], v[118:119], v[128:129]
	s_clause 0x7
	buffer_load_dword v129, off, s[0:3], 0 offset:172
	buffer_load_dword v130, off, s[0:3], 0 offset:192
	buffer_load_dword v132, off, s[0:3], 0 offset:184
	buffer_load_dword v134, off, s[0:3], 0 offset:176
	buffer_load_dword v128, off, s[0:3], 0 offset:168
	buffer_load_dword v135, off, s[0:3], 0 offset:180
	buffer_load_dword v133, off, s[0:3], 0 offset:188
	buffer_load_dword v131, off, s[0:3], 0 offset:196
	s_waitcnt vmcnt(34)
	v_fma_f64 v[118:119], v[136:137], v[120:121], v[118:119]
	s_waitcnt vmcnt(32) lgkmcnt(0)
	v_fma_f64 v[118:119], v[138:139], v[122:123], v[118:119]
	s_waitcnt vmcnt(27)
	v_fma_f64 v[136:137], v[140:141], v[124:125], v[118:119]
	;; [unrolled: 19-line block ×10, first 2 shown]
	ds_read_b128 v[118:121], v117 offset:800
	ds_read_b128 v[122:125], v117 offset:816
	s_waitcnt vmcnt(26) lgkmcnt(1)
	v_fma_f64 v[118:119], v[146:147], v[118:119], v[130:131]
	s_clause 0x1
	buffer_load_dword v130, off, s[0:3], 0 offset:8
	buffer_load_dword v131, off, s[0:3], 0 offset:12
	s_waitcnt vmcnt(27)
	v_fma_f64 v[118:119], v[136:137], v[120:121], v[118:119]
	s_waitcnt vmcnt(26) lgkmcnt(0)
	v_fma_f64 v[118:119], v[132:133], v[122:123], v[118:119]
	s_waitcnt vmcnt(21)
	v_fma_f64 v[132:133], v[138:139], v[124:125], v[118:119]
	ds_read_b128 v[118:121], v117 offset:832
	ds_read_b128 v[122:125], v117 offset:848
	s_waitcnt vmcnt(20) lgkmcnt(1)
	v_fma_f64 v[118:119], v[154:155], v[118:119], v[132:133]
	s_waitcnt vmcnt(19)
	v_fma_f64 v[118:119], v[142:143], v[120:121], v[118:119]
	s_waitcnt vmcnt(18) lgkmcnt(0)
	v_fma_f64 v[118:119], v[140:141], v[122:123], v[118:119]
	s_waitcnt vmcnt(13)
	v_fma_f64 v[126:127], v[126:127], v[124:125], v[118:119]
	ds_read_b128 v[118:121], v117 offset:864
	ds_read_b128 v[122:125], v117 offset:880
	s_waitcnt vmcnt(12) lgkmcnt(1)
	v_fma_f64 v[118:119], v[160:161], v[118:119], v[126:127]
	s_waitcnt vmcnt(11)
	v_fma_f64 v[118:119], v[148:149], v[120:121], v[118:119]
	s_waitcnt vmcnt(10) lgkmcnt(0)
	v_fma_f64 v[118:119], v[144:145], v[122:123], v[118:119]
	s_waitcnt vmcnt(5)
	v_fma_f64 v[122:123], v[128:129], v[124:125], v[118:119]
	ds_read_b128 v[118:121], v117 offset:896
	ds_read_b64 v[124:125], v117 offset:912
	s_waitcnt vmcnt(4) lgkmcnt(1)
	v_fma_f64 v[118:119], v[158:159], v[118:119], v[122:123]
	s_waitcnt vmcnt(3)
	v_fma_f64 v[118:119], v[152:153], v[120:121], v[118:119]
	s_waitcnt vmcnt(2) lgkmcnt(0)
	v_fma_f64 v[118:119], v[150:151], v[124:125], v[118:119]
	s_waitcnt vmcnt(0)
	v_add_f64 v[118:119], v[130:131], -v[118:119]
	buffer_store_dword v119, off, s[0:3], 0 offset:12
	buffer_store_dword v118, off, s[0:3], 0 offset:8
	v_cmpx_ne_u32_e32 0, v0
	s_cbranch_execz .LBB120_351
; %bb.350:
	s_clause 0x1
	buffer_load_dword v118, off, s[0:3], 0
	buffer_load_dword v119, off, s[0:3], 0 offset:4
	buffer_store_dword v117, off, s[0:3], 0
	buffer_store_dword v117, off, s[0:3], 0 offset:4
	s_waitcnt vmcnt(0)
	ds_write_b64 v115, v[118:119]
.LBB120_351:
	s_or_b32 exec_lo, exec_lo, s4
	s_waitcnt lgkmcnt(0)
	s_waitcnt_vscnt null, 0x0
	s_barrier
	buffer_gl0_inv
	s_clause 0x1c
	buffer_load_dword v115, off, s[0:3], 0 offset:8
	buffer_load_dword v116, off, s[0:3], 0 offset:12
	;; [unrolled: 1-line block ×29, first 2 shown]
	ds_read2_b64 v[118:121], v117 offset0:59 offset1:60
	ds_read2_b64 v[122:125], v117 offset0:61 offset1:62
	s_clause 0x8
	buffer_load_dword v149, off, s[0:3], 0 offset:124
	buffer_load_dword v155, off, s[0:3], 0 offset:132
	;; [unrolled: 1-line block ×9, first 2 shown]
	s_and_b32 vcc_lo, exec_lo, s16
	s_waitcnt vmcnt(36) lgkmcnt(1)
	v_fma_f64 v[115:116], v[115:116], v[118:119], 0
	s_waitcnt vmcnt(34)
	v_fma_f64 v[115:116], v[126:127], v[120:121], v[115:116]
	ds_read2_b64 v[118:121], v117 offset0:63 offset1:64
	s_waitcnt vmcnt(32) lgkmcnt(1)
	v_fma_f64 v[115:116], v[128:129], v[122:123], v[115:116]
	s_waitcnt vmcnt(30)
	v_fma_f64 v[115:116], v[130:131], v[124:125], v[115:116]
	ds_read2_b64 v[122:125], v117 offset0:65 offset1:66
	s_waitcnt vmcnt(28) lgkmcnt(1)
	v_fma_f64 v[115:116], v[132:133], v[118:119], v[115:116]
	s_clause 0x7
	buffer_load_dword v127, off, s[0:3], 0 offset:164
	buffer_load_dword v128, off, s[0:3], 0 offset:184
	buffer_load_dword v130, off, s[0:3], 0 offset:176
	buffer_load_dword v132, off, s[0:3], 0 offset:168
	buffer_load_dword v126, off, s[0:3], 0 offset:160
	buffer_load_dword v133, off, s[0:3], 0 offset:172
	buffer_load_dword v131, off, s[0:3], 0 offset:180
	buffer_load_dword v129, off, s[0:3], 0 offset:188
	s_waitcnt vmcnt(34)
	v_fma_f64 v[115:116], v[134:135], v[120:121], v[115:116]
	ds_read2_b64 v[118:121], v117 offset0:67 offset1:68
	s_waitcnt vmcnt(32) lgkmcnt(1)
	v_fma_f64 v[115:116], v[136:137], v[122:123], v[115:116]
	s_waitcnt vmcnt(27)
	v_fma_f64 v[115:116], v[138:139], v[124:125], v[115:116]
	ds_read2_b64 v[122:125], v117 offset0:69 offset1:70
	s_waitcnt vmcnt(26) lgkmcnt(1)
	v_fma_f64 v[115:116], v[144:145], v[118:119], v[115:116]
	s_clause 0x7
	buffer_load_dword v135, off, s[0:3], 0 offset:196
	buffer_load_dword v136, off, s[0:3], 0 offset:216
	buffer_load_dword v138, off, s[0:3], 0 offset:208
	buffer_load_dword v144, off, s[0:3], 0 offset:200
	buffer_load_dword v134, off, s[0:3], 0 offset:192
	buffer_load_dword v145, off, s[0:3], 0 offset:204
	buffer_load_dword v139, off, s[0:3], 0 offset:212
	buffer_load_dword v137, off, s[0:3], 0 offset:220
	;; [unrolled: 19-line block ×9, first 2 shown]
	s_waitcnt vmcnt(33)
	v_fma_f64 v[118:119], v[156:157], v[120:121], v[118:119]
	s_waitcnt vmcnt(32) lgkmcnt(0)
	v_fma_f64 v[118:119], v[132:133], v[122:123], v[118:119]
	s_waitcnt vmcnt(27)
	v_fma_f64 v[128:129], v[128:129], v[124:125], v[118:119]
	ds_read2_b64 v[118:121], v117 offset0:99 offset1:100
	ds_read2_b64 v[122:125], v117 offset0:101 offset1:102
	s_waitcnt vmcnt(26) lgkmcnt(1)
	v_fma_f64 v[118:119], v[144:145], v[118:119], v[128:129]
	s_clause 0x3
	buffer_load_dword v129, off, s[0:3], 0 offset:452
	buffer_load_dword v128, off, s[0:3], 0 offset:448
	buffer_load_dword v132, off, s[0:3], 0
	buffer_load_dword v133, off, s[0:3], 0 offset:4
	s_waitcnt vmcnt(29)
	v_fma_f64 v[118:119], v[134:135], v[120:121], v[118:119]
	s_waitcnt vmcnt(28) lgkmcnt(0)
	v_fma_f64 v[118:119], v[130:131], v[122:123], v[118:119]
	s_waitcnt vmcnt(23)
	v_fma_f64 v[130:131], v[136:137], v[124:125], v[118:119]
	ds_read2_b64 v[118:121], v117 offset0:103 offset1:104
	ds_read2_b64 v[122:125], v117 offset0:105 offset1:106
	s_waitcnt vmcnt(22) lgkmcnt(1)
	v_fma_f64 v[118:119], v[152:153], v[118:119], v[130:131]
	s_waitcnt vmcnt(21)
	v_fma_f64 v[118:119], v[140:141], v[120:121], v[118:119]
	s_waitcnt vmcnt(20) lgkmcnt(0)
	v_fma_f64 v[118:119], v[138:139], v[122:123], v[118:119]
	s_waitcnt vmcnt(15)
	v_fma_f64 v[130:131], v[142:143], v[124:125], v[118:119]
	ds_read2_b64 v[118:121], v117 offset0:107 offset1:108
	ds_read2_b64 v[122:125], v117 offset0:109 offset1:110
	s_waitcnt vmcnt(14) lgkmcnt(1)
	v_fma_f64 v[118:119], v[160:161], v[118:119], v[130:131]
	;; [unrolled: 10-line block ×3, first 2 shown]
	s_waitcnt vmcnt(5)
	v_fma_f64 v[117:118], v[150:151], v[120:121], v[117:118]
	s_waitcnt vmcnt(4) lgkmcnt(0)
	v_fma_f64 v[117:118], v[115:116], v[122:123], v[117:118]
	s_waitcnt vmcnt(2)
	v_fma_f64 v[117:118], v[128:129], v[124:125], v[117:118]
	s_waitcnt vmcnt(0)
	v_add_f64 v[117:118], v[132:133], -v[117:118]
	buffer_store_dword v118, off, s[0:3], 0 offset:4
	buffer_store_dword v117, off, s[0:3], 0
	s_cbranch_vccz .LBB120_464
; %bb.352:
	v_mov_b32_e32 v0, 0
	global_load_dword v117, v0, s[12:13] offset:220
	s_waitcnt vmcnt(0)
	v_add_nc_u32_e32 v117, -1, v117
	v_cmp_ne_u32_e32 vcc_lo, 55, v117
	s_cbranch_vccz .LBB120_354
; %bb.353:
	v_lshlrev_b32_e32 v117, 3, v117
	s_clause 0x1
	buffer_load_dword v118, v117, s[0:3], 0 offen
	buffer_load_dword v119, v117, s[0:3], 0 offen offset:4
	s_waitcnt vmcnt(1)
	buffer_store_dword v118, off, s[0:3], 0 offset:440
	s_waitcnt vmcnt(0)
	buffer_store_dword v119, off, s[0:3], 0 offset:444
	buffer_store_dword v115, v117, s[0:3], 0 offen
	buffer_store_dword v116, v117, s[0:3], 0 offen offset:4
.LBB120_354:
	global_load_dword v0, v0, s[12:13] offset:216
	s_waitcnt vmcnt(0)
	v_add_nc_u32_e32 v0, -1, v0
	v_cmp_eq_u32_e32 vcc_lo, 54, v0
	s_cbranch_vccnz .LBB120_356
; %bb.355:
	v_lshlrev_b32_e32 v0, 3, v0
	s_clause 0x3
	buffer_load_dword v115, v0, s[0:3], 0 offen
	buffer_load_dword v116, v0, s[0:3], 0 offen offset:4
	buffer_load_dword v117, off, s[0:3], 0 offset:436
	buffer_load_dword v118, off, s[0:3], 0 offset:432
	s_waitcnt vmcnt(3)
	buffer_store_dword v115, off, s[0:3], 0 offset:432
	s_waitcnt vmcnt(2)
	buffer_store_dword v116, off, s[0:3], 0 offset:436
	s_waitcnt vmcnt(1)
	buffer_store_dword v117, v0, s[0:3], 0 offen offset:4
	s_waitcnt vmcnt(0)
	buffer_store_dword v118, v0, s[0:3], 0 offen
.LBB120_356:
	v_mov_b32_e32 v0, 0
	global_load_dword v115, v0, s[12:13] offset:212
	s_waitcnt vmcnt(0)
	v_add_nc_u32_e32 v115, -1, v115
	v_cmp_eq_u32_e32 vcc_lo, 53, v115
	s_cbranch_vccnz .LBB120_358
; %bb.357:
	v_lshlrev_b32_e32 v115, 3, v115
	s_clause 0x3
	buffer_load_dword v116, v115, s[0:3], 0 offen
	buffer_load_dword v117, v115, s[0:3], 0 offen offset:4
	buffer_load_dword v118, off, s[0:3], 0 offset:424
	buffer_load_dword v119, off, s[0:3], 0 offset:428
	s_waitcnt vmcnt(3)
	buffer_store_dword v116, off, s[0:3], 0 offset:424
	s_waitcnt vmcnt(2)
	buffer_store_dword v117, off, s[0:3], 0 offset:428
	s_waitcnt vmcnt(1)
	buffer_store_dword v118, v115, s[0:3], 0 offen
	s_waitcnt vmcnt(0)
	buffer_store_dword v119, v115, s[0:3], 0 offen offset:4
.LBB120_358:
	global_load_dword v0, v0, s[12:13] offset:208
	s_waitcnt vmcnt(0)
	v_add_nc_u32_e32 v0, -1, v0
	v_cmp_eq_u32_e32 vcc_lo, 52, v0
	s_cbranch_vccnz .LBB120_360
; %bb.359:
	v_lshlrev_b32_e32 v0, 3, v0
	s_clause 0x3
	buffer_load_dword v115, v0, s[0:3], 0 offen
	buffer_load_dword v116, v0, s[0:3], 0 offen offset:4
	buffer_load_dword v117, off, s[0:3], 0 offset:420
	buffer_load_dword v118, off, s[0:3], 0 offset:416
	s_waitcnt vmcnt(3)
	buffer_store_dword v115, off, s[0:3], 0 offset:416
	s_waitcnt vmcnt(2)
	buffer_store_dword v116, off, s[0:3], 0 offset:420
	s_waitcnt vmcnt(1)
	buffer_store_dword v117, v0, s[0:3], 0 offen offset:4
	s_waitcnt vmcnt(0)
	buffer_store_dword v118, v0, s[0:3], 0 offen
.LBB120_360:
	v_mov_b32_e32 v0, 0
	global_load_dword v115, v0, s[12:13] offset:204
	s_waitcnt vmcnt(0)
	v_add_nc_u32_e32 v115, -1, v115
	v_cmp_eq_u32_e32 vcc_lo, 51, v115
	s_cbranch_vccnz .LBB120_362
; %bb.361:
	v_lshlrev_b32_e32 v115, 3, v115
	s_clause 0x3
	buffer_load_dword v116, v115, s[0:3], 0 offen
	buffer_load_dword v117, v115, s[0:3], 0 offen offset:4
	buffer_load_dword v118, off, s[0:3], 0 offset:408
	buffer_load_dword v119, off, s[0:3], 0 offset:412
	s_waitcnt vmcnt(3)
	buffer_store_dword v116, off, s[0:3], 0 offset:408
	s_waitcnt vmcnt(2)
	buffer_store_dword v117, off, s[0:3], 0 offset:412
	s_waitcnt vmcnt(1)
	buffer_store_dword v118, v115, s[0:3], 0 offen
	s_waitcnt vmcnt(0)
	buffer_store_dword v119, v115, s[0:3], 0 offen offset:4
.LBB120_362:
	;; [unrolled: 43-line block ×27, first 2 shown]
	global_load_dword v0, v0, s[12:13]
	s_clause 0x1
	buffer_load_dword v117, off, s[0:3], 0
	buffer_load_dword v118, off, s[0:3], 0 offset:4
	s_waitcnt vmcnt(2)
	v_add_nc_u32_e32 v0, -1, v0
	v_cmp_eq_u32_e32 vcc_lo, 0, v0
	s_cbranch_vccnz .LBB120_464
; %bb.463:
	v_lshlrev_b32_e32 v0, 3, v0
	s_clause 0x1
	buffer_load_dword v115, v0, s[0:3], 0 offen offset:4
	buffer_load_dword v116, v0, s[0:3], 0 offen
	s_waitcnt vmcnt(1)
	buffer_store_dword v115, off, s[0:3], 0 offset:4
	s_waitcnt vmcnt(0)
	buffer_store_dword v116, off, s[0:3], 0
	buffer_store_dword v118, v0, s[0:3], 0 offen offset:4
	buffer_store_dword v117, v0, s[0:3], 0 offen
	s_clause 0x1
	buffer_load_dword v117, off, s[0:3], 0
	buffer_load_dword v118, off, s[0:3], 0 offset:4
.LBB120_464:
	s_waitcnt vmcnt(0)
	flat_store_dwordx2 v[1:2], v[117:118]
	s_clause 0x1
	buffer_load_dword v0, off, s[0:3], 0 offset:8
	buffer_load_dword v1, off, s[0:3], 0 offset:12
	s_waitcnt vmcnt(0)
	flat_store_dwordx2 v[3:4], v[0:1]
	s_clause 0x1
	buffer_load_dword v0, off, s[0:3], 0 offset:16
	buffer_load_dword v1, off, s[0:3], 0 offset:20
	;; [unrolled: 5-line block ×56, first 2 shown]
	s_waitcnt vmcnt(0)
	flat_store_dwordx2 v[113:114], v[0:1]
	s_endpgm
	.section	.rodata,"a",@progbits
	.p2align	6, 0x0
	.amdhsa_kernel _ZN9rocsolver6v33100L18getri_kernel_smallILi57EdPKPdEEvT1_iilPiilS6_bb
		.amdhsa_group_segment_fixed_size 920
		.amdhsa_private_segment_fixed_size 464
		.amdhsa_kernarg_size 60
		.amdhsa_user_sgpr_count 6
		.amdhsa_user_sgpr_private_segment_buffer 1
		.amdhsa_user_sgpr_dispatch_ptr 0
		.amdhsa_user_sgpr_queue_ptr 0
		.amdhsa_user_sgpr_kernarg_segment_ptr 1
		.amdhsa_user_sgpr_dispatch_id 0
		.amdhsa_user_sgpr_flat_scratch_init 0
		.amdhsa_user_sgpr_private_segment_size 0
		.amdhsa_wavefront_size32 1
		.amdhsa_uses_dynamic_stack 0
		.amdhsa_system_sgpr_private_segment_wavefront_offset 1
		.amdhsa_system_sgpr_workgroup_id_x 1
		.amdhsa_system_sgpr_workgroup_id_y 0
		.amdhsa_system_sgpr_workgroup_id_z 0
		.amdhsa_system_sgpr_workgroup_info 0
		.amdhsa_system_vgpr_workitem_id 0
		.amdhsa_next_free_vgpr 162
		.amdhsa_next_free_sgpr 20
		.amdhsa_reserve_vcc 1
		.amdhsa_reserve_flat_scratch 0
		.amdhsa_float_round_mode_32 0
		.amdhsa_float_round_mode_16_64 0
		.amdhsa_float_denorm_mode_32 3
		.amdhsa_float_denorm_mode_16_64 3
		.amdhsa_dx10_clamp 1
		.amdhsa_ieee_mode 1
		.amdhsa_fp16_overflow 0
		.amdhsa_workgroup_processor_mode 1
		.amdhsa_memory_ordered 1
		.amdhsa_forward_progress 1
		.amdhsa_shared_vgpr_count 0
		.amdhsa_exception_fp_ieee_invalid_op 0
		.amdhsa_exception_fp_denorm_src 0
		.amdhsa_exception_fp_ieee_div_zero 0
		.amdhsa_exception_fp_ieee_overflow 0
		.amdhsa_exception_fp_ieee_underflow 0
		.amdhsa_exception_fp_ieee_inexact 0
		.amdhsa_exception_int_div_zero 0
	.end_amdhsa_kernel
	.section	.text._ZN9rocsolver6v33100L18getri_kernel_smallILi57EdPKPdEEvT1_iilPiilS6_bb,"axG",@progbits,_ZN9rocsolver6v33100L18getri_kernel_smallILi57EdPKPdEEvT1_iilPiilS6_bb,comdat
.Lfunc_end120:
	.size	_ZN9rocsolver6v33100L18getri_kernel_smallILi57EdPKPdEEvT1_iilPiilS6_bb, .Lfunc_end120-_ZN9rocsolver6v33100L18getri_kernel_smallILi57EdPKPdEEvT1_iilPiilS6_bb
                                        ; -- End function
	.set _ZN9rocsolver6v33100L18getri_kernel_smallILi57EdPKPdEEvT1_iilPiilS6_bb.num_vgpr, 162
	.set _ZN9rocsolver6v33100L18getri_kernel_smallILi57EdPKPdEEvT1_iilPiilS6_bb.num_agpr, 0
	.set _ZN9rocsolver6v33100L18getri_kernel_smallILi57EdPKPdEEvT1_iilPiilS6_bb.numbered_sgpr, 20
	.set _ZN9rocsolver6v33100L18getri_kernel_smallILi57EdPKPdEEvT1_iilPiilS6_bb.num_named_barrier, 0
	.set _ZN9rocsolver6v33100L18getri_kernel_smallILi57EdPKPdEEvT1_iilPiilS6_bb.private_seg_size, 464
	.set _ZN9rocsolver6v33100L18getri_kernel_smallILi57EdPKPdEEvT1_iilPiilS6_bb.uses_vcc, 1
	.set _ZN9rocsolver6v33100L18getri_kernel_smallILi57EdPKPdEEvT1_iilPiilS6_bb.uses_flat_scratch, 0
	.set _ZN9rocsolver6v33100L18getri_kernel_smallILi57EdPKPdEEvT1_iilPiilS6_bb.has_dyn_sized_stack, 0
	.set _ZN9rocsolver6v33100L18getri_kernel_smallILi57EdPKPdEEvT1_iilPiilS6_bb.has_recursion, 0
	.set _ZN9rocsolver6v33100L18getri_kernel_smallILi57EdPKPdEEvT1_iilPiilS6_bb.has_indirect_call, 0
	.section	.AMDGPU.csdata,"",@progbits
; Kernel info:
; codeLenInByte = 84384
; TotalNumSgprs: 22
; NumVgprs: 162
; ScratchSize: 464
; MemoryBound: 1
; FloatMode: 240
; IeeeMode: 1
; LDSByteSize: 920 bytes/workgroup (compile time only)
; SGPRBlocks: 0
; VGPRBlocks: 20
; NumSGPRsForWavesPerEU: 22
; NumVGPRsForWavesPerEU: 162
; Occupancy: 5
; WaveLimiterHint : 1
; COMPUTE_PGM_RSRC2:SCRATCH_EN: 1
; COMPUTE_PGM_RSRC2:USER_SGPR: 6
; COMPUTE_PGM_RSRC2:TRAP_HANDLER: 0
; COMPUTE_PGM_RSRC2:TGID_X_EN: 1
; COMPUTE_PGM_RSRC2:TGID_Y_EN: 0
; COMPUTE_PGM_RSRC2:TGID_Z_EN: 0
; COMPUTE_PGM_RSRC2:TIDIG_COMP_CNT: 0
	.section	.text._ZN9rocsolver6v33100L18getri_kernel_smallILi58EdPKPdEEvT1_iilPiilS6_bb,"axG",@progbits,_ZN9rocsolver6v33100L18getri_kernel_smallILi58EdPKPdEEvT1_iilPiilS6_bb,comdat
	.globl	_ZN9rocsolver6v33100L18getri_kernel_smallILi58EdPKPdEEvT1_iilPiilS6_bb ; -- Begin function _ZN9rocsolver6v33100L18getri_kernel_smallILi58EdPKPdEEvT1_iilPiilS6_bb
	.p2align	8
	.type	_ZN9rocsolver6v33100L18getri_kernel_smallILi58EdPKPdEEvT1_iilPiilS6_bb,@function
_ZN9rocsolver6v33100L18getri_kernel_smallILi58EdPKPdEEvT1_iilPiilS6_bb: ; @_ZN9rocsolver6v33100L18getri_kernel_smallILi58EdPKPdEEvT1_iilPiilS6_bb
; %bb.0:
	s_add_u32 s0, s0, s7
	s_addc_u32 s1, s1, 0
	s_mov_b32 s7, exec_lo
	v_cmpx_gt_u32_e32 58, v0
	s_cbranch_execz .LBB121_242
; %bb.1:
	s_clause 0x2
	s_load_dword s17, s[4:5], 0x38
	s_load_dwordx2 s[12:13], s[4:5], 0x0
	s_load_dwordx4 s[8:11], s[4:5], 0x28
	s_waitcnt lgkmcnt(0)
	s_bitcmp1_b32 s17, 8
	s_cselect_b32 s16, -1, 0
	s_ashr_i32 s7, s6, 31
	s_lshl_b64 s[14:15], s[6:7], 3
	s_add_u32 s12, s12, s14
	s_addc_u32 s13, s13, s15
	s_load_dwordx2 s[14:15], s[12:13], 0x0
	s_bfe_u32 s12, s17, 0x10008
	s_cmp_eq_u32 s12, 0
                                        ; implicit-def: $sgpr12_sgpr13
	s_cbranch_scc1 .LBB121_3
; %bb.2:
	s_clause 0x1
	s_load_dword s12, s[4:5], 0x20
	s_load_dwordx2 s[18:19], s[4:5], 0x18
	s_mul_i32 s13, s8, s7
	s_mul_hi_u32 s17, s8, s6
	s_mul_i32 s9, s9, s6
	s_add_i32 s13, s17, s13
	s_mul_i32 s8, s8, s6
	s_add_i32 s9, s13, s9
	s_lshl_b64 s[8:9], s[8:9], 2
	s_waitcnt lgkmcnt(0)
	s_ashr_i32 s13, s12, 31
	s_add_u32 s17, s18, s8
	s_addc_u32 s18, s19, s9
	s_lshl_b64 s[8:9], s[12:13], 2
	s_add_u32 s12, s17, s8
	s_addc_u32 s13, s18, s9
.LBB121_3:
	s_clause 0x1
	s_load_dwordx2 s[8:9], s[4:5], 0x8
	s_load_dword s17, s[4:5], 0x38
	v_lshlrev_b32_e32 v119, 3, v0
	s_waitcnt lgkmcnt(0)
	s_ashr_i32 s5, s8, 31
	s_mov_b32 s4, s8
	v_add3_u32 v9, s9, s9, v0
	s_lshl_b64 s[4:5], s[4:5], 3
	s_add_u32 s4, s14, s4
	s_addc_u32 s5, s15, s5
	v_add_co_u32 v1, s8, s4, v119
	v_add_co_ci_u32_e64 v2, null, s5, 0, s8
	s_mov_b32 s14, s9
	s_ashr_i32 s15, s9, 31
	v_ashrrev_i32_e32 v10, 31, v9
	flat_load_dwordx2 v[5:6], v[1:2]
	s_lshl_b64 s[14:15], s[14:15], 3
	v_add_nc_u32_e32 v12, s9, v9
	v_add_co_u32 v3, vcc_lo, v1, s14
	v_add_co_ci_u32_e64 v4, null, s15, v2, vcc_lo
	v_ashrrev_i32_e32 v13, 31, v12
	s_bitcmp0_b32 s17, 0
	s_waitcnt vmcnt(0) lgkmcnt(0)
	buffer_store_dword v6, off, s[0:3], 0 offset:4
	buffer_store_dword v5, off, s[0:3], 0
	flat_load_dwordx2 v[7:8], v[3:4]
	v_lshlrev_b64 v[5:6], 3, v[9:10]
	s_waitcnt vmcnt(0) lgkmcnt(0)
	buffer_store_dword v8, off, s[0:3], 0 offset:12
	buffer_store_dword v7, off, s[0:3], 0 offset:8
	v_add_co_u32 v5, vcc_lo, s4, v5
	v_add_co_ci_u32_e64 v6, null, s5, v6, vcc_lo
	v_lshlrev_b64 v[7:8], 3, v[12:13]
	flat_load_dwordx2 v[10:11], v[5:6]
	s_waitcnt vmcnt(0) lgkmcnt(0)
	buffer_store_dword v11, off, s[0:3], 0 offset:20
	buffer_store_dword v10, off, s[0:3], 0 offset:16
	v_add_co_u32 v7, vcc_lo, s4, v7
	v_add_co_ci_u32_e64 v8, null, s5, v8, vcc_lo
	v_add_nc_u32_e32 v11, s9, v12
	flat_load_dwordx2 v[13:14], v[7:8]
	s_waitcnt vmcnt(0) lgkmcnt(0)
	buffer_store_dword v14, off, s[0:3], 0 offset:28
	buffer_store_dword v13, off, s[0:3], 0 offset:24
	v_ashrrev_i32_e32 v12, 31, v11
	v_add_nc_u32_e32 v15, s9, v11
	v_lshlrev_b64 v[9:10], 3, v[11:12]
	v_ashrrev_i32_e32 v16, 31, v15
	v_add_nc_u32_e32 v18, s9, v15
	v_add_co_u32 v9, vcc_lo, s4, v9
	v_add_co_ci_u32_e64 v10, null, s5, v10, vcc_lo
	v_lshlrev_b64 v[11:12], 3, v[15:16]
	v_ashrrev_i32_e32 v19, 31, v18
	flat_load_dwordx2 v[13:14], v[9:10]
	s_waitcnt vmcnt(0) lgkmcnt(0)
	buffer_store_dword v14, off, s[0:3], 0 offset:36
	buffer_store_dword v13, off, s[0:3], 0 offset:32
	v_add_co_u32 v11, vcc_lo, s4, v11
	v_add_co_ci_u32_e64 v12, null, s5, v12, vcc_lo
	v_lshlrev_b64 v[13:14], 3, v[18:19]
	flat_load_dwordx2 v[16:17], v[11:12]
	s_waitcnt vmcnt(0) lgkmcnt(0)
	buffer_store_dword v17, off, s[0:3], 0 offset:44
	buffer_store_dword v16, off, s[0:3], 0 offset:40
	v_add_co_u32 v13, vcc_lo, s4, v13
	v_add_co_ci_u32_e64 v14, null, s5, v14, vcc_lo
	v_add_nc_u32_e32 v17, s9, v18
	flat_load_dwordx2 v[19:20], v[13:14]
	s_waitcnt vmcnt(0) lgkmcnt(0)
	buffer_store_dword v20, off, s[0:3], 0 offset:52
	buffer_store_dword v19, off, s[0:3], 0 offset:48
	v_ashrrev_i32_e32 v18, 31, v17
	v_add_nc_u32_e32 v21, s9, v17
	v_lshlrev_b64 v[15:16], 3, v[17:18]
	v_ashrrev_i32_e32 v22, 31, v21
	v_add_nc_u32_e32 v24, s9, v21
	v_add_co_u32 v15, vcc_lo, s4, v15
	v_add_co_ci_u32_e64 v16, null, s5, v16, vcc_lo
	v_lshlrev_b64 v[17:18], 3, v[21:22]
	v_ashrrev_i32_e32 v25, 31, v24
	flat_load_dwordx2 v[19:20], v[15:16]
	;; [unrolled: 27-line block ×17, first 2 shown]
	s_waitcnt vmcnt(0) lgkmcnt(0)
	buffer_store_dword v110, off, s[0:3], 0 offset:420
	buffer_store_dword v109, off, s[0:3], 0 offset:416
	v_add_co_u32 v107, vcc_lo, s4, v107
	v_add_co_ci_u32_e64 v108, null, s5, v108, vcc_lo
	v_lshlrev_b64 v[109:110], 3, v[114:115]
	flat_load_dwordx2 v[112:113], v[107:108]
	s_waitcnt vmcnt(0) lgkmcnt(0)
	buffer_store_dword v113, off, s[0:3], 0 offset:428
	buffer_store_dword v112, off, s[0:3], 0 offset:424
	v_add_co_u32 v109, vcc_lo, s4, v109
	v_add_co_ci_u32_e64 v110, null, s5, v110, vcc_lo
	v_add_nc_u32_e32 v113, s9, v114
	flat_load_dwordx2 v[115:116], v[109:110]
	s_waitcnt vmcnt(0) lgkmcnt(0)
	buffer_store_dword v116, off, s[0:3], 0 offset:436
	buffer_store_dword v115, off, s[0:3], 0 offset:432
	v_ashrrev_i32_e32 v114, 31, v113
	v_add_nc_u32_e32 v117, s9, v113
	v_lshlrev_b64 v[111:112], 3, v[113:114]
	v_ashrrev_i32_e32 v118, 31, v117
	v_add_co_u32 v111, vcc_lo, s4, v111
	v_add_co_ci_u32_e64 v112, null, s5, v112, vcc_lo
	v_lshlrev_b64 v[113:114], 3, v[117:118]
	flat_load_dwordx2 v[115:116], v[111:112]
	s_waitcnt vmcnt(0) lgkmcnt(0)
	buffer_store_dword v116, off, s[0:3], 0 offset:444
	buffer_store_dword v115, off, s[0:3], 0 offset:440
	v_add_co_u32 v113, vcc_lo, s4, v113
	v_add_co_ci_u32_e64 v114, null, s5, v114, vcc_lo
	v_add_nc_u32_e32 v115, s9, v117
	flat_load_dwordx2 v[120:121], v[113:114]
	s_waitcnt vmcnt(0) lgkmcnt(0)
	buffer_store_dword v121, off, s[0:3], 0 offset:452
	buffer_store_dword v120, off, s[0:3], 0 offset:448
	v_ashrrev_i32_e32 v116, 31, v115
	v_lshlrev_b64 v[115:116], 3, v[115:116]
	v_add_co_u32 v115, vcc_lo, s4, v115
	v_add_co_ci_u32_e64 v116, null, s5, v116, vcc_lo
	s_mov_b32 s5, -1
	flat_load_dwordx2 v[117:118], v[115:116]
	s_waitcnt vmcnt(0) lgkmcnt(0)
	buffer_store_dword v118, off, s[0:3], 0 offset:460
	buffer_store_dword v117, off, s[0:3], 0 offset:456
	s_cbranch_scc1 .LBB121_240
; %bb.4:
	v_cmp_eq_u32_e64 s4, 0, v0
	s_and_saveexec_b32 s5, s4
; %bb.5:
	v_mov_b32_e32 v117, 0
	ds_write_b32 v117, v117 offset:928
; %bb.6:
	s_or_b32 exec_lo, exec_lo, s5
	v_lshl_add_u32 v117, v0, 3, 0
	s_waitcnt lgkmcnt(0)
	s_waitcnt_vscnt null, 0x0
	s_barrier
	buffer_gl0_inv
	s_mov_b32 s8, exec_lo
	s_clause 0x1
	buffer_load_dword v120, v117, s[0:3], 0 offen
	buffer_load_dword v121, v117, s[0:3], 0 offen offset:4
	s_waitcnt vmcnt(0)
	v_cmpx_eq_f64_e32 0, v[120:121]
	s_cbranch_execz .LBB121_10
; %bb.7:
	v_mov_b32_e32 v118, 0
	s_mov_b32 s9, 0
	ds_read_b32 v120, v118 offset:928
	s_waitcnt lgkmcnt(0)
	v_readfirstlane_b32 s5, v120
	v_add_nc_u32_e32 v120, 1, v0
	s_cmp_eq_u32 s5, 0
	v_cmp_gt_i32_e32 vcc_lo, s5, v120
	s_cselect_b32 s14, -1, 0
	s_or_b32 s14, s14, vcc_lo
	s_and_b32 exec_lo, exec_lo, s14
	s_cbranch_execz .LBB121_10
; %bb.8:
	v_mov_b32_e32 v121, s5
.LBB121_9:                              ; =>This Inner Loop Header: Depth=1
	ds_cmpst_rtn_b32 v121, v118, v121, v120 offset:928
	s_waitcnt lgkmcnt(0)
	v_cmp_ne_u32_e32 vcc_lo, 0, v121
	v_cmp_le_i32_e64 s5, v121, v120
	s_and_b32 s5, vcc_lo, s5
	s_and_b32 s5, exec_lo, s5
	s_or_b32 s9, s5, s9
	s_andn2_b32 exec_lo, exec_lo, s9
	s_cbranch_execnz .LBB121_9
.LBB121_10:
	s_or_b32 exec_lo, exec_lo, s8
	v_mov_b32_e32 v118, 0
	s_barrier
	buffer_gl0_inv
	ds_read_b32 v120, v118 offset:928
	s_and_saveexec_b32 s5, s4
	s_cbranch_execz .LBB121_12
; %bb.11:
	s_lshl_b64 s[8:9], s[6:7], 2
	s_add_u32 s8, s10, s8
	s_addc_u32 s9, s11, s9
	s_waitcnt lgkmcnt(0)
	global_store_dword v118, v120, s[8:9]
.LBB121_12:
	s_or_b32 exec_lo, exec_lo, s5
	s_waitcnt lgkmcnt(0)
	v_cmp_ne_u32_e32 vcc_lo, 0, v120
	s_mov_b32 s5, 0
	s_cbranch_vccnz .LBB121_240
; %bb.13:
	s_clause 0x1
	buffer_load_dword v120, v117, s[0:3], 0 offen
	buffer_load_dword v121, v117, s[0:3], 0 offen offset:4
	s_waitcnt vmcnt(0)
	v_div_scale_f64 v[122:123], null, v[120:121], v[120:121], 1.0
	v_div_scale_f64 v[128:129], vcc_lo, 1.0, v[120:121], 1.0
	v_rcp_f64_e32 v[124:125], v[122:123]
	v_fma_f64 v[126:127], -v[122:123], v[124:125], 1.0
	v_fma_f64 v[124:125], v[124:125], v[126:127], v[124:125]
	v_fma_f64 v[126:127], -v[122:123], v[124:125], 1.0
	v_fma_f64 v[124:125], v[124:125], v[126:127], v[124:125]
	v_mul_f64 v[126:127], v[128:129], v[124:125]
	v_fma_f64 v[122:123], -v[122:123], v[126:127], v[128:129]
	v_div_fmas_f64 v[122:123], v[122:123], v[124:125], v[126:127]
	v_div_fixup_f64 v[121:122], v[122:123], v[120:121], 1.0
	v_add_nc_u32_e32 v120, 0x1d0, v119
	buffer_store_dword v122, v117, s[0:3], 0 offen offset:4
	buffer_store_dword v121, v117, s[0:3], 0 offen
	s_clause 0x1
	buffer_load_dword v124, off, s[0:3], 0 offset:12
	buffer_load_dword v123, off, s[0:3], 0 offset:8
	v_xor_b32_e32 v122, 0x80000000, v122
	s_waitcnt vmcnt(0)
	ds_write2_b64 v119, v[121:122], v[123:124] offset1:58
	s_waitcnt lgkmcnt(0)
	s_waitcnt_vscnt null, 0x0
	s_barrier
	buffer_gl0_inv
	s_and_saveexec_b32 s5, s4
	s_cbranch_execz .LBB121_15
; %bb.14:
	s_clause 0x1
	buffer_load_dword v121, v117, s[0:3], 0 offen
	buffer_load_dword v122, v117, s[0:3], 0 offen offset:4
	ds_read_b64 v[123:124], v120
	v_mov_b32_e32 v118, 0
	ds_read_b64 v[125:126], v118 offset:8
	s_waitcnt vmcnt(0) lgkmcnt(1)
	v_fma_f64 v[121:122], v[121:122], v[123:124], 0
	s_waitcnt lgkmcnt(0)
	v_mul_f64 v[121:122], v[121:122], v[125:126]
	buffer_store_dword v121, off, s[0:3], 0 offset:8
	buffer_store_dword v122, off, s[0:3], 0 offset:12
.LBB121_15:
	s_or_b32 exec_lo, exec_lo, s5
	s_waitcnt_vscnt null, 0x0
	s_barrier
	buffer_gl0_inv
	s_clause 0x1
	buffer_load_dword v121, off, s[0:3], 0 offset:16
	buffer_load_dword v122, off, s[0:3], 0 offset:20
	s_mov_b32 s5, exec_lo
	s_waitcnt vmcnt(0)
	ds_write_b64 v120, v[121:122]
	s_waitcnt lgkmcnt(0)
	s_barrier
	buffer_gl0_inv
	v_cmpx_gt_u32_e32 2, v0
	s_cbranch_execz .LBB121_19
; %bb.16:
	s_clause 0x1
	buffer_load_dword v121, v117, s[0:3], 0 offen
	buffer_load_dword v122, v117, s[0:3], 0 offen offset:4
	ds_read_b64 v[117:118], v120
	s_waitcnt vmcnt(0) lgkmcnt(0)
	v_fma_f64 v[117:118], v[121:122], v[117:118], 0
	s_and_saveexec_b32 s8, s4
	s_cbranch_execz .LBB121_18
; %bb.17:
	s_clause 0x1
	buffer_load_dword v121, off, s[0:3], 0 offset:8
	buffer_load_dword v122, off, s[0:3], 0 offset:12
	v_mov_b32_e32 v123, 0
	ds_read_b64 v[123:124], v123 offset:472
	s_waitcnt vmcnt(0) lgkmcnt(0)
	v_fma_f64 v[117:118], v[121:122], v[123:124], v[117:118]
.LBB121_18:
	s_or_b32 exec_lo, exec_lo, s8
	v_mov_b32_e32 v121, 0
	ds_read_b64 v[121:122], v121 offset:16
	s_waitcnt lgkmcnt(0)
	v_mul_f64 v[117:118], v[117:118], v[121:122]
	buffer_store_dword v118, off, s[0:3], 0 offset:20
	buffer_store_dword v117, off, s[0:3], 0 offset:16
.LBB121_19:
	s_or_b32 exec_lo, exec_lo, s5
	s_waitcnt_vscnt null, 0x0
	s_barrier
	buffer_gl0_inv
	s_clause 0x1
	buffer_load_dword v117, off, s[0:3], 0 offset:24
	buffer_load_dword v118, off, s[0:3], 0 offset:28
	v_add_nc_u32_e32 v121, -1, v0
	s_mov_b32 s4, exec_lo
	s_waitcnt vmcnt(0)
	ds_write_b64 v120, v[117:118]
	s_waitcnt lgkmcnt(0)
	s_barrier
	buffer_gl0_inv
	v_cmpx_gt_u32_e32 3, v0
	s_cbranch_execz .LBB121_23
; %bb.20:
	v_mov_b32_e32 v117, 0
	v_add_nc_u32_e32 v122, -1, v0
	v_add_nc_u32_e32 v123, 0x1d0, v119
	v_mov_b32_e32 v118, 0
	v_mov_b32_e32 v124, v119
	s_mov_b32 s5, 0
.LBB121_21:                             ; =>This Inner Loop Header: Depth=1
	s_clause 0x1
	buffer_load_dword v125, v124, s[0:3], 0 offen
	buffer_load_dword v126, v124, s[0:3], 0 offen offset:4
	ds_read_b64 v[127:128], v123
	v_add_nc_u32_e32 v122, 1, v122
	v_add_nc_u32_e32 v123, 8, v123
	v_add_nc_u32_e32 v124, 8, v124
	v_cmp_lt_u32_e32 vcc_lo, 1, v122
	s_or_b32 s5, vcc_lo, s5
	s_waitcnt vmcnt(0) lgkmcnt(0)
	v_fma_f64 v[117:118], v[125:126], v[127:128], v[117:118]
	s_andn2_b32 exec_lo, exec_lo, s5
	s_cbranch_execnz .LBB121_21
; %bb.22:
	s_or_b32 exec_lo, exec_lo, s5
	v_mov_b32_e32 v122, 0
	ds_read_b64 v[122:123], v122 offset:24
	s_waitcnt lgkmcnt(0)
	v_mul_f64 v[117:118], v[117:118], v[122:123]
	buffer_store_dword v118, off, s[0:3], 0 offset:28
	buffer_store_dword v117, off, s[0:3], 0 offset:24
.LBB121_23:
	s_or_b32 exec_lo, exec_lo, s4
	s_waitcnt_vscnt null, 0x0
	s_barrier
	buffer_gl0_inv
	s_clause 0x1
	buffer_load_dword v117, off, s[0:3], 0 offset:32
	buffer_load_dword v118, off, s[0:3], 0 offset:36
	s_mov_b32 s4, exec_lo
	s_waitcnt vmcnt(0)
	ds_write_b64 v120, v[117:118]
	s_waitcnt lgkmcnt(0)
	s_barrier
	buffer_gl0_inv
	v_cmpx_gt_u32_e32 4, v0
	s_cbranch_execz .LBB121_27
; %bb.24:
	v_mov_b32_e32 v117, 0
	v_add_nc_u32_e32 v122, -1, v0
	v_add_nc_u32_e32 v123, 0x1d0, v119
	v_mov_b32_e32 v118, 0
	v_mov_b32_e32 v124, v119
	s_mov_b32 s5, 0
.LBB121_25:                             ; =>This Inner Loop Header: Depth=1
	s_clause 0x1
	buffer_load_dword v125, v124, s[0:3], 0 offen
	buffer_load_dword v126, v124, s[0:3], 0 offen offset:4
	ds_read_b64 v[127:128], v123
	v_add_nc_u32_e32 v122, 1, v122
	v_add_nc_u32_e32 v123, 8, v123
	v_add_nc_u32_e32 v124, 8, v124
	v_cmp_lt_u32_e32 vcc_lo, 2, v122
	s_or_b32 s5, vcc_lo, s5
	s_waitcnt vmcnt(0) lgkmcnt(0)
	v_fma_f64 v[117:118], v[125:126], v[127:128], v[117:118]
	s_andn2_b32 exec_lo, exec_lo, s5
	s_cbranch_execnz .LBB121_25
; %bb.26:
	s_or_b32 exec_lo, exec_lo, s5
	v_mov_b32_e32 v122, 0
	ds_read_b64 v[122:123], v122 offset:32
	s_waitcnt lgkmcnt(0)
	v_mul_f64 v[117:118], v[117:118], v[122:123]
	buffer_store_dword v118, off, s[0:3], 0 offset:36
	buffer_store_dword v117, off, s[0:3], 0 offset:32
.LBB121_27:
	s_or_b32 exec_lo, exec_lo, s4
	s_waitcnt_vscnt null, 0x0
	s_barrier
	buffer_gl0_inv
	s_clause 0x1
	buffer_load_dword v117, off, s[0:3], 0 offset:40
	buffer_load_dword v118, off, s[0:3], 0 offset:44
	;; [unrolled: 45-line block ×20, first 2 shown]
	s_mov_b32 s4, exec_lo
	s_waitcnt vmcnt(0)
	ds_write_b64 v120, v[117:118]
	s_waitcnt lgkmcnt(0)
	s_barrier
	buffer_gl0_inv
	v_cmpx_gt_u32_e32 23, v0
	s_cbranch_execz .LBB121_103
; %bb.100:
	v_mov_b32_e32 v117, 0
	v_add_nc_u32_e32 v122, -1, v0
	v_add_nc_u32_e32 v123, 0x1d0, v119
	v_mov_b32_e32 v118, 0
	v_mov_b32_e32 v124, v119
	s_mov_b32 s5, 0
.LBB121_101:                            ; =>This Inner Loop Header: Depth=1
	s_clause 0x1
	buffer_load_dword v125, v124, s[0:3], 0 offen
	buffer_load_dword v126, v124, s[0:3], 0 offen offset:4
	ds_read_b64 v[127:128], v123
	v_add_nc_u32_e32 v122, 1, v122
	v_add_nc_u32_e32 v123, 8, v123
	v_add_nc_u32_e32 v124, 8, v124
	v_cmp_lt_u32_e32 vcc_lo, 21, v122
	s_or_b32 s5, vcc_lo, s5
	s_waitcnt vmcnt(0) lgkmcnt(0)
	v_fma_f64 v[117:118], v[125:126], v[127:128], v[117:118]
	s_andn2_b32 exec_lo, exec_lo, s5
	s_cbranch_execnz .LBB121_101
; %bb.102:
	s_or_b32 exec_lo, exec_lo, s5
	v_mov_b32_e32 v122, 0
	ds_read_b64 v[122:123], v122 offset:184
	s_waitcnt lgkmcnt(0)
	v_mul_f64 v[117:118], v[117:118], v[122:123]
	buffer_store_dword v118, off, s[0:3], 0 offset:188
	buffer_store_dword v117, off, s[0:3], 0 offset:184
.LBB121_103:
	s_or_b32 exec_lo, exec_lo, s4
	s_waitcnt_vscnt null, 0x0
	s_barrier
	buffer_gl0_inv
	s_clause 0x1
	buffer_load_dword v117, off, s[0:3], 0 offset:192
	buffer_load_dword v118, off, s[0:3], 0 offset:196
	s_mov_b32 s4, exec_lo
	s_waitcnt vmcnt(0)
	ds_write_b64 v120, v[117:118]
	s_waitcnt lgkmcnt(0)
	s_barrier
	buffer_gl0_inv
	v_cmpx_gt_u32_e32 24, v0
	s_cbranch_execz .LBB121_107
; %bb.104:
	v_mov_b32_e32 v117, 0
	v_add_nc_u32_e32 v122, -1, v0
	v_add_nc_u32_e32 v123, 0x1d0, v119
	v_mov_b32_e32 v118, 0
	v_mov_b32_e32 v124, v119
	s_mov_b32 s5, 0
.LBB121_105:                            ; =>This Inner Loop Header: Depth=1
	s_clause 0x1
	buffer_load_dword v125, v124, s[0:3], 0 offen
	buffer_load_dword v126, v124, s[0:3], 0 offen offset:4
	ds_read_b64 v[127:128], v123
	v_add_nc_u32_e32 v122, 1, v122
	v_add_nc_u32_e32 v123, 8, v123
	v_add_nc_u32_e32 v124, 8, v124
	v_cmp_lt_u32_e32 vcc_lo, 22, v122
	s_or_b32 s5, vcc_lo, s5
	s_waitcnt vmcnt(0) lgkmcnt(0)
	v_fma_f64 v[117:118], v[125:126], v[127:128], v[117:118]
	s_andn2_b32 exec_lo, exec_lo, s5
	s_cbranch_execnz .LBB121_105
; %bb.106:
	s_or_b32 exec_lo, exec_lo, s5
	v_mov_b32_e32 v122, 0
	ds_read_b64 v[122:123], v122 offset:192
	s_waitcnt lgkmcnt(0)
	v_mul_f64 v[117:118], v[117:118], v[122:123]
	buffer_store_dword v118, off, s[0:3], 0 offset:196
	buffer_store_dword v117, off, s[0:3], 0 offset:192
.LBB121_107:
	s_or_b32 exec_lo, exec_lo, s4
	s_waitcnt_vscnt null, 0x0
	s_barrier
	buffer_gl0_inv
	s_clause 0x1
	buffer_load_dword v117, off, s[0:3], 0 offset:200
	buffer_load_dword v118, off, s[0:3], 0 offset:204
	;; [unrolled: 45-line block ×34, first 2 shown]
	s_mov_b32 s4, exec_lo
	s_waitcnt vmcnt(0)
	ds_write_b64 v120, v[117:118]
	s_waitcnt lgkmcnt(0)
	s_barrier
	buffer_gl0_inv
	v_cmpx_ne_u32_e32 57, v0
	s_cbranch_execz .LBB121_239
; %bb.236:
	v_mov_b32_e32 v117, 0
	v_mov_b32_e32 v118, 0
	s_mov_b32 s5, 0
.LBB121_237:                            ; =>This Inner Loop Header: Depth=1
	s_clause 0x1
	buffer_load_dword v122, v119, s[0:3], 0 offen
	buffer_load_dword v123, v119, s[0:3], 0 offen offset:4
	ds_read_b64 v[124:125], v120
	v_add_nc_u32_e32 v121, 1, v121
	v_add_nc_u32_e32 v120, 8, v120
	;; [unrolled: 1-line block ×3, first 2 shown]
	v_cmp_lt_u32_e32 vcc_lo, 55, v121
	s_or_b32 s5, vcc_lo, s5
	s_waitcnt vmcnt(0) lgkmcnt(0)
	v_fma_f64 v[117:118], v[122:123], v[124:125], v[117:118]
	s_andn2_b32 exec_lo, exec_lo, s5
	s_cbranch_execnz .LBB121_237
; %bb.238:
	s_or_b32 exec_lo, exec_lo, s5
	v_mov_b32_e32 v119, 0
	ds_read_b64 v[119:120], v119 offset:456
	s_waitcnt lgkmcnt(0)
	v_mul_f64 v[117:118], v[117:118], v[119:120]
	buffer_store_dword v118, off, s[0:3], 0 offset:460
	buffer_store_dword v117, off, s[0:3], 0 offset:456
.LBB121_239:
	s_or_b32 exec_lo, exec_lo, s4
	s_mov_b32 s5, -1
	s_waitcnt_vscnt null, 0x0
	s_barrier
	buffer_gl0_inv
.LBB121_240:
	s_and_b32 vcc_lo, exec_lo, s5
	s_cbranch_vccz .LBB121_242
; %bb.241:
	s_lshl_b64 s[4:5], s[6:7], 2
	v_mov_b32_e32 v117, 0
	s_add_u32 s4, s10, s4
	s_addc_u32 s5, s11, s5
	global_load_dword v117, v117, s[4:5]
	s_waitcnt vmcnt(0)
	v_cmp_ne_u32_e32 vcc_lo, 0, v117
	s_cbranch_vccz .LBB121_243
.LBB121_242:
	s_endpgm
.LBB121_243:
	v_lshl_add_u32 v117, v0, 3, 0x1d0
	s_mov_b32 s4, exec_lo
	v_cmpx_eq_u32_e32 57, v0
	s_cbranch_execz .LBB121_245
; %bb.244:
	s_clause 0x1
	buffer_load_dword v118, off, s[0:3], 0 offset:448
	buffer_load_dword v119, off, s[0:3], 0 offset:452
	v_mov_b32_e32 v120, 0
	buffer_store_dword v120, off, s[0:3], 0 offset:448
	buffer_store_dword v120, off, s[0:3], 0 offset:452
	s_waitcnt vmcnt(0)
	ds_write_b64 v117, v[118:119]
.LBB121_245:
	s_or_b32 exec_lo, exec_lo, s4
	s_waitcnt lgkmcnt(0)
	s_waitcnt_vscnt null, 0x0
	s_barrier
	buffer_gl0_inv
	s_clause 0x3
	buffer_load_dword v119, off, s[0:3], 0 offset:456
	buffer_load_dword v120, off, s[0:3], 0 offset:460
	;; [unrolled: 1-line block ×4, first 2 shown]
	v_mov_b32_e32 v118, 0
	s_mov_b32 s4, exec_lo
	ds_read_b64 v[123:124], v118 offset:920
	s_waitcnt vmcnt(2) lgkmcnt(0)
	v_fma_f64 v[119:120], v[119:120], v[123:124], 0
	s_waitcnt vmcnt(0)
	v_add_f64 v[119:120], v[121:122], -v[119:120]
	buffer_store_dword v119, off, s[0:3], 0 offset:448
	buffer_store_dword v120, off, s[0:3], 0 offset:452
	v_cmpx_lt_u32_e32 55, v0
	s_cbranch_execz .LBB121_247
; %bb.246:
	s_clause 0x1
	buffer_load_dword v119, off, s[0:3], 0 offset:440
	buffer_load_dword v120, off, s[0:3], 0 offset:444
	buffer_store_dword v118, off, s[0:3], 0 offset:440
	buffer_store_dword v118, off, s[0:3], 0 offset:444
	s_waitcnt vmcnt(0)
	ds_write_b64 v117, v[119:120]
.LBB121_247:
	s_or_b32 exec_lo, exec_lo, s4
	s_waitcnt lgkmcnt(0)
	s_waitcnt_vscnt null, 0x0
	s_barrier
	buffer_gl0_inv
	s_clause 0x5
	buffer_load_dword v122, off, s[0:3], 0 offset:448
	buffer_load_dword v123, off, s[0:3], 0 offset:452
	;; [unrolled: 1-line block ×6, first 2 shown]
	ds_read_b128 v[118:121], v118 offset:912
	s_mov_b32 s4, exec_lo
	s_waitcnt vmcnt(4) lgkmcnt(0)
	v_fma_f64 v[118:119], v[122:123], v[118:119], 0
	s_waitcnt vmcnt(2)
	v_fma_f64 v[118:119], v[124:125], v[120:121], v[118:119]
	s_waitcnt vmcnt(0)
	v_add_f64 v[118:119], v[126:127], -v[118:119]
	buffer_store_dword v118, off, s[0:3], 0 offset:440
	buffer_store_dword v119, off, s[0:3], 0 offset:444
	v_cmpx_lt_u32_e32 54, v0
	s_cbranch_execz .LBB121_249
; %bb.248:
	s_clause 0x1
	buffer_load_dword v118, off, s[0:3], 0 offset:432
	buffer_load_dword v119, off, s[0:3], 0 offset:436
	v_mov_b32_e32 v120, 0
	buffer_store_dword v120, off, s[0:3], 0 offset:432
	buffer_store_dword v120, off, s[0:3], 0 offset:436
	s_waitcnt vmcnt(0)
	ds_write_b64 v117, v[118:119]
.LBB121_249:
	s_or_b32 exec_lo, exec_lo, s4
	s_waitcnt lgkmcnt(0)
	s_waitcnt_vscnt null, 0x0
	s_barrier
	buffer_gl0_inv
	s_clause 0x7
	buffer_load_dword v123, off, s[0:3], 0 offset:440
	buffer_load_dword v124, off, s[0:3], 0 offset:444
	;; [unrolled: 1-line block ×8, first 2 shown]
	v_mov_b32_e32 v118, 0
	ds_read2_b64 v[119:122], v118 offset0:113 offset1:114
	ds_read_b64 v[131:132], v118 offset:920
	s_mov_b32 s4, exec_lo
	s_waitcnt vmcnt(6) lgkmcnt(1)
	v_fma_f64 v[119:120], v[123:124], v[119:120], 0
	s_waitcnt vmcnt(4)
	v_fma_f64 v[119:120], v[125:126], v[121:122], v[119:120]
	s_waitcnt vmcnt(2) lgkmcnt(0)
	v_fma_f64 v[119:120], v[127:128], v[131:132], v[119:120]
	s_waitcnt vmcnt(0)
	v_add_f64 v[119:120], v[129:130], -v[119:120]
	buffer_store_dword v119, off, s[0:3], 0 offset:432
	buffer_store_dword v120, off, s[0:3], 0 offset:436
	v_cmpx_lt_u32_e32 53, v0
	s_cbranch_execz .LBB121_251
; %bb.250:
	s_clause 0x1
	buffer_load_dword v119, off, s[0:3], 0 offset:424
	buffer_load_dword v120, off, s[0:3], 0 offset:428
	buffer_store_dword v118, off, s[0:3], 0 offset:424
	buffer_store_dword v118, off, s[0:3], 0 offset:428
	s_waitcnt vmcnt(0)
	ds_write_b64 v117, v[119:120]
.LBB121_251:
	s_or_b32 exec_lo, exec_lo, s4
	s_waitcnt lgkmcnt(0)
	s_waitcnt_vscnt null, 0x0
	s_barrier
	buffer_gl0_inv
	s_clause 0x9
	buffer_load_dword v127, off, s[0:3], 0 offset:432
	buffer_load_dword v128, off, s[0:3], 0 offset:436
	;; [unrolled: 1-line block ×10, first 2 shown]
	ds_read_b128 v[119:122], v118 offset:896
	ds_read_b128 v[123:126], v118 offset:912
	s_mov_b32 s4, exec_lo
	s_waitcnt vmcnt(8) lgkmcnt(1)
	v_fma_f64 v[118:119], v[127:128], v[119:120], 0
	s_waitcnt vmcnt(6)
	v_fma_f64 v[118:119], v[129:130], v[121:122], v[118:119]
	s_waitcnt vmcnt(4) lgkmcnt(0)
	v_fma_f64 v[118:119], v[131:132], v[123:124], v[118:119]
	s_waitcnt vmcnt(2)
	v_fma_f64 v[118:119], v[133:134], v[125:126], v[118:119]
	s_waitcnt vmcnt(0)
	v_add_f64 v[118:119], v[135:136], -v[118:119]
	buffer_store_dword v118, off, s[0:3], 0 offset:424
	buffer_store_dword v119, off, s[0:3], 0 offset:428
	v_cmpx_lt_u32_e32 52, v0
	s_cbranch_execz .LBB121_253
; %bb.252:
	s_clause 0x1
	buffer_load_dword v118, off, s[0:3], 0 offset:416
	buffer_load_dword v119, off, s[0:3], 0 offset:420
	v_mov_b32_e32 v120, 0
	buffer_store_dword v120, off, s[0:3], 0 offset:416
	buffer_store_dword v120, off, s[0:3], 0 offset:420
	s_waitcnt vmcnt(0)
	ds_write_b64 v117, v[118:119]
.LBB121_253:
	s_or_b32 exec_lo, exec_lo, s4
	s_waitcnt lgkmcnt(0)
	s_waitcnt_vscnt null, 0x0
	s_barrier
	buffer_gl0_inv
	s_clause 0xb
	buffer_load_dword v127, off, s[0:3], 0 offset:424
	buffer_load_dword v128, off, s[0:3], 0 offset:428
	;; [unrolled: 1-line block ×12, first 2 shown]
	v_mov_b32_e32 v118, 0
	ds_read2_b64 v[119:122], v118 offset0:111 offset1:112
	ds_read2_b64 v[123:126], v118 offset0:113 offset1:114
	s_mov_b32 s4, exec_lo
	s_waitcnt vmcnt(10) lgkmcnt(1)
	v_fma_f64 v[119:120], v[127:128], v[119:120], 0
	s_waitcnt vmcnt(8)
	v_fma_f64 v[119:120], v[129:130], v[121:122], v[119:120]
	ds_read_b64 v[121:122], v118 offset:920
	s_waitcnt vmcnt(6) lgkmcnt(1)
	v_fma_f64 v[119:120], v[131:132], v[123:124], v[119:120]
	s_waitcnt vmcnt(4)
	v_fma_f64 v[119:120], v[133:134], v[125:126], v[119:120]
	s_waitcnt vmcnt(2) lgkmcnt(0)
	v_fma_f64 v[119:120], v[135:136], v[121:122], v[119:120]
	s_waitcnt vmcnt(0)
	v_add_f64 v[119:120], v[137:138], -v[119:120]
	buffer_store_dword v119, off, s[0:3], 0 offset:416
	buffer_store_dword v120, off, s[0:3], 0 offset:420
	v_cmpx_lt_u32_e32 51, v0
	s_cbranch_execz .LBB121_255
; %bb.254:
	s_clause 0x1
	buffer_load_dword v119, off, s[0:3], 0 offset:408
	buffer_load_dword v120, off, s[0:3], 0 offset:412
	buffer_store_dword v118, off, s[0:3], 0 offset:408
	buffer_store_dword v118, off, s[0:3], 0 offset:412
	s_waitcnt vmcnt(0)
	ds_write_b64 v117, v[119:120]
.LBB121_255:
	s_or_b32 exec_lo, exec_lo, s4
	s_waitcnt lgkmcnt(0)
	s_waitcnt_vscnt null, 0x0
	s_barrier
	buffer_gl0_inv
	s_clause 0xd
	buffer_load_dword v127, off, s[0:3], 0 offset:416
	buffer_load_dword v128, off, s[0:3], 0 offset:420
	;; [unrolled: 1-line block ×14, first 2 shown]
	ds_read_b128 v[119:122], v118 offset:880
	ds_read_b128 v[123:126], v118 offset:896
	s_mov_b32 s4, exec_lo
	s_waitcnt vmcnt(12) lgkmcnt(1)
	v_fma_f64 v[119:120], v[127:128], v[119:120], 0
	s_waitcnt vmcnt(10)
	v_fma_f64 v[119:120], v[129:130], v[121:122], v[119:120]
	s_waitcnt vmcnt(8) lgkmcnt(0)
	v_fma_f64 v[119:120], v[131:132], v[123:124], v[119:120]
	s_waitcnt vmcnt(6)
	v_fma_f64 v[122:123], v[133:134], v[125:126], v[119:120]
	ds_read_b128 v[118:121], v118 offset:912
	s_waitcnt vmcnt(4) lgkmcnt(0)
	v_fma_f64 v[118:119], v[135:136], v[118:119], v[122:123]
	s_waitcnt vmcnt(2)
	v_fma_f64 v[118:119], v[137:138], v[120:121], v[118:119]
	s_waitcnt vmcnt(0)
	v_add_f64 v[118:119], v[139:140], -v[118:119]
	buffer_store_dword v118, off, s[0:3], 0 offset:408
	buffer_store_dword v119, off, s[0:3], 0 offset:412
	v_cmpx_lt_u32_e32 50, v0
	s_cbranch_execz .LBB121_257
; %bb.256:
	s_clause 0x1
	buffer_load_dword v118, off, s[0:3], 0 offset:400
	buffer_load_dword v119, off, s[0:3], 0 offset:404
	v_mov_b32_e32 v120, 0
	buffer_store_dword v120, off, s[0:3], 0 offset:400
	buffer_store_dword v120, off, s[0:3], 0 offset:404
	s_waitcnt vmcnt(0)
	ds_write_b64 v117, v[118:119]
.LBB121_257:
	s_or_b32 exec_lo, exec_lo, s4
	s_waitcnt lgkmcnt(0)
	s_waitcnt_vscnt null, 0x0
	s_barrier
	buffer_gl0_inv
	s_clause 0xf
	buffer_load_dword v127, off, s[0:3], 0 offset:408
	buffer_load_dword v128, off, s[0:3], 0 offset:412
	;; [unrolled: 1-line block ×16, first 2 shown]
	v_mov_b32_e32 v118, 0
	ds_read2_b64 v[119:122], v118 offset0:109 offset1:110
	ds_read2_b64 v[123:126], v118 offset0:111 offset1:112
	s_mov_b32 s4, exec_lo
	s_waitcnt vmcnt(14) lgkmcnt(1)
	v_fma_f64 v[119:120], v[127:128], v[119:120], 0
	s_waitcnt vmcnt(12)
	v_fma_f64 v[119:120], v[129:130], v[121:122], v[119:120]
	s_waitcnt vmcnt(10) lgkmcnt(0)
	v_fma_f64 v[119:120], v[131:132], v[123:124], v[119:120]
	s_waitcnt vmcnt(8)
	v_fma_f64 v[123:124], v[133:134], v[125:126], v[119:120]
	ds_read2_b64 v[119:122], v118 offset0:113 offset1:114
	ds_read_b64 v[125:126], v118 offset:920
	s_waitcnt vmcnt(6) lgkmcnt(1)
	v_fma_f64 v[119:120], v[135:136], v[119:120], v[123:124]
	s_waitcnt vmcnt(4)
	v_fma_f64 v[119:120], v[137:138], v[121:122], v[119:120]
	s_waitcnt vmcnt(2) lgkmcnt(0)
	v_fma_f64 v[119:120], v[139:140], v[125:126], v[119:120]
	s_waitcnt vmcnt(0)
	v_add_f64 v[119:120], v[141:142], -v[119:120]
	buffer_store_dword v119, off, s[0:3], 0 offset:400
	buffer_store_dword v120, off, s[0:3], 0 offset:404
	v_cmpx_lt_u32_e32 49, v0
	s_cbranch_execz .LBB121_259
; %bb.258:
	s_clause 0x1
	buffer_load_dword v119, off, s[0:3], 0 offset:392
	buffer_load_dword v120, off, s[0:3], 0 offset:396
	buffer_store_dword v118, off, s[0:3], 0 offset:392
	buffer_store_dword v118, off, s[0:3], 0 offset:396
	s_waitcnt vmcnt(0)
	ds_write_b64 v117, v[119:120]
.LBB121_259:
	s_or_b32 exec_lo, exec_lo, s4
	s_waitcnt lgkmcnt(0)
	s_waitcnt_vscnt null, 0x0
	s_barrier
	buffer_gl0_inv
	s_clause 0x11
	buffer_load_dword v127, off, s[0:3], 0 offset:400
	buffer_load_dword v128, off, s[0:3], 0 offset:404
	;; [unrolled: 1-line block ×18, first 2 shown]
	ds_read_b128 v[119:122], v118 offset:864
	ds_read_b128 v[123:126], v118 offset:880
	s_mov_b32 s4, exec_lo
	s_waitcnt vmcnt(16) lgkmcnt(1)
	v_fma_f64 v[119:120], v[127:128], v[119:120], 0
	s_waitcnt vmcnt(14)
	v_fma_f64 v[119:120], v[129:130], v[121:122], v[119:120]
	s_waitcnt vmcnt(12) lgkmcnt(0)
	v_fma_f64 v[119:120], v[131:132], v[123:124], v[119:120]
	s_waitcnt vmcnt(10)
	v_fma_f64 v[127:128], v[133:134], v[125:126], v[119:120]
	ds_read_b128 v[119:122], v118 offset:896
	ds_read_b128 v[123:126], v118 offset:912
	s_waitcnt vmcnt(8) lgkmcnt(1)
	v_fma_f64 v[118:119], v[135:136], v[119:120], v[127:128]
	s_waitcnt vmcnt(6)
	v_fma_f64 v[118:119], v[137:138], v[121:122], v[118:119]
	s_waitcnt vmcnt(4) lgkmcnt(0)
	v_fma_f64 v[118:119], v[139:140], v[123:124], v[118:119]
	s_waitcnt vmcnt(2)
	v_fma_f64 v[118:119], v[141:142], v[125:126], v[118:119]
	s_waitcnt vmcnt(0)
	v_add_f64 v[118:119], v[143:144], -v[118:119]
	buffer_store_dword v118, off, s[0:3], 0 offset:392
	buffer_store_dword v119, off, s[0:3], 0 offset:396
	v_cmpx_lt_u32_e32 48, v0
	s_cbranch_execz .LBB121_261
; %bb.260:
	s_clause 0x1
	buffer_load_dword v118, off, s[0:3], 0 offset:384
	buffer_load_dword v119, off, s[0:3], 0 offset:388
	v_mov_b32_e32 v120, 0
	buffer_store_dword v120, off, s[0:3], 0 offset:384
	buffer_store_dword v120, off, s[0:3], 0 offset:388
	s_waitcnt vmcnt(0)
	ds_write_b64 v117, v[118:119]
.LBB121_261:
	s_or_b32 exec_lo, exec_lo, s4
	s_waitcnt lgkmcnt(0)
	s_waitcnt_vscnt null, 0x0
	s_barrier
	buffer_gl0_inv
	s_clause 0x13
	buffer_load_dword v127, off, s[0:3], 0 offset:392
	buffer_load_dword v128, off, s[0:3], 0 offset:396
	;; [unrolled: 1-line block ×20, first 2 shown]
	v_mov_b32_e32 v118, 0
	ds_read2_b64 v[119:122], v118 offset0:107 offset1:108
	ds_read2_b64 v[123:126], v118 offset0:109 offset1:110
	s_mov_b32 s4, exec_lo
	s_waitcnt vmcnt(18) lgkmcnt(1)
	v_fma_f64 v[119:120], v[127:128], v[119:120], 0
	s_waitcnt vmcnt(16)
	v_fma_f64 v[119:120], v[129:130], v[121:122], v[119:120]
	s_waitcnt vmcnt(14) lgkmcnt(0)
	v_fma_f64 v[119:120], v[131:132], v[123:124], v[119:120]
	s_waitcnt vmcnt(12)
	v_fma_f64 v[127:128], v[133:134], v[125:126], v[119:120]
	ds_read2_b64 v[119:122], v118 offset0:111 offset1:112
	ds_read2_b64 v[123:126], v118 offset0:113 offset1:114
	s_waitcnt vmcnt(10) lgkmcnt(1)
	v_fma_f64 v[119:120], v[135:136], v[119:120], v[127:128]
	s_waitcnt vmcnt(8)
	v_fma_f64 v[119:120], v[137:138], v[121:122], v[119:120]
	ds_read_b64 v[121:122], v118 offset:920
	s_waitcnt vmcnt(6) lgkmcnt(1)
	v_fma_f64 v[119:120], v[139:140], v[123:124], v[119:120]
	s_waitcnt vmcnt(3)
	v_fma_f64 v[119:120], v[141:142], v[125:126], v[119:120]
	s_waitcnt vmcnt(2) lgkmcnt(0)
	v_fma_f64 v[119:120], v[143:144], v[121:122], v[119:120]
	s_waitcnt vmcnt(0)
	v_add_f64 v[119:120], v[145:146], -v[119:120]
	buffer_store_dword v119, off, s[0:3], 0 offset:384
	buffer_store_dword v120, off, s[0:3], 0 offset:388
	v_cmpx_lt_u32_e32 47, v0
	s_cbranch_execz .LBB121_263
; %bb.262:
	s_clause 0x1
	buffer_load_dword v119, off, s[0:3], 0 offset:376
	buffer_load_dword v120, off, s[0:3], 0 offset:380
	buffer_store_dword v118, off, s[0:3], 0 offset:376
	buffer_store_dword v118, off, s[0:3], 0 offset:380
	s_waitcnt vmcnt(0)
	ds_write_b64 v117, v[119:120]
.LBB121_263:
	s_or_b32 exec_lo, exec_lo, s4
	s_waitcnt lgkmcnt(0)
	s_waitcnt_vscnt null, 0x0
	s_barrier
	buffer_gl0_inv
	s_clause 0x15
	buffer_load_dword v127, off, s[0:3], 0 offset:384
	buffer_load_dword v128, off, s[0:3], 0 offset:388
	;; [unrolled: 1-line block ×22, first 2 shown]
	ds_read_b128 v[119:122], v118 offset:848
	ds_read_b128 v[123:126], v118 offset:864
	s_mov_b32 s4, exec_lo
	s_waitcnt vmcnt(20) lgkmcnt(1)
	v_fma_f64 v[119:120], v[127:128], v[119:120], 0
	s_waitcnt vmcnt(18)
	v_fma_f64 v[119:120], v[129:130], v[121:122], v[119:120]
	s_waitcnt vmcnt(16) lgkmcnt(0)
	v_fma_f64 v[119:120], v[131:132], v[123:124], v[119:120]
	s_waitcnt vmcnt(14)
	v_fma_f64 v[127:128], v[133:134], v[125:126], v[119:120]
	ds_read_b128 v[119:122], v118 offset:880
	ds_read_b128 v[123:126], v118 offset:896
	s_waitcnt vmcnt(12) lgkmcnt(1)
	v_fma_f64 v[119:120], v[135:136], v[119:120], v[127:128]
	s_waitcnt vmcnt(10)
	v_fma_f64 v[119:120], v[137:138], v[121:122], v[119:120]
	s_waitcnt vmcnt(8) lgkmcnt(0)
	v_fma_f64 v[119:120], v[139:140], v[123:124], v[119:120]
	s_waitcnt vmcnt(4)
	v_fma_f64 v[122:123], v[141:142], v[125:126], v[119:120]
	ds_read_b128 v[118:121], v118 offset:912
	s_waitcnt vmcnt(3) lgkmcnt(0)
	v_fma_f64 v[118:119], v[145:146], v[118:119], v[122:123]
	s_waitcnt vmcnt(2)
	v_fma_f64 v[118:119], v[143:144], v[120:121], v[118:119]
	s_waitcnt vmcnt(0)
	v_add_f64 v[118:119], v[147:148], -v[118:119]
	buffer_store_dword v118, off, s[0:3], 0 offset:376
	buffer_store_dword v119, off, s[0:3], 0 offset:380
	v_cmpx_lt_u32_e32 46, v0
	s_cbranch_execz .LBB121_265
; %bb.264:
	s_clause 0x1
	buffer_load_dword v118, off, s[0:3], 0 offset:368
	buffer_load_dword v119, off, s[0:3], 0 offset:372
	v_mov_b32_e32 v120, 0
	buffer_store_dword v120, off, s[0:3], 0 offset:368
	buffer_store_dword v120, off, s[0:3], 0 offset:372
	s_waitcnt vmcnt(0)
	ds_write_b64 v117, v[118:119]
.LBB121_265:
	s_or_b32 exec_lo, exec_lo, s4
	s_waitcnt lgkmcnt(0)
	s_waitcnt_vscnt null, 0x0
	s_barrier
	buffer_gl0_inv
	s_clause 0x17
	buffer_load_dword v127, off, s[0:3], 0 offset:376
	buffer_load_dword v128, off, s[0:3], 0 offset:380
	buffer_load_dword v129, off, s[0:3], 0 offset:384
	buffer_load_dword v130, off, s[0:3], 0 offset:388
	buffer_load_dword v131, off, s[0:3], 0 offset:392
	buffer_load_dword v132, off, s[0:3], 0 offset:396
	buffer_load_dword v133, off, s[0:3], 0 offset:400
	buffer_load_dword v134, off, s[0:3], 0 offset:404
	buffer_load_dword v135, off, s[0:3], 0 offset:408
	buffer_load_dword v136, off, s[0:3], 0 offset:412
	buffer_load_dword v137, off, s[0:3], 0 offset:416
	buffer_load_dword v138, off, s[0:3], 0 offset:420
	buffer_load_dword v139, off, s[0:3], 0 offset:424
	buffer_load_dword v140, off, s[0:3], 0 offset:428
	buffer_load_dword v142, off, s[0:3], 0 offset:436
	buffer_load_dword v143, off, s[0:3], 0 offset:456
	buffer_load_dword v145, off, s[0:3], 0 offset:448
	buffer_load_dword v147, off, s[0:3], 0 offset:440
	buffer_load_dword v141, off, s[0:3], 0 offset:432
	buffer_load_dword v148, off, s[0:3], 0 offset:444
	buffer_load_dword v146, off, s[0:3], 0 offset:452
	buffer_load_dword v144, off, s[0:3], 0 offset:460
	buffer_load_dword v149, off, s[0:3], 0 offset:368
	buffer_load_dword v150, off, s[0:3], 0 offset:372
	v_mov_b32_e32 v118, 0
	ds_read2_b64 v[119:122], v118 offset0:105 offset1:106
	ds_read2_b64 v[123:126], v118 offset0:107 offset1:108
	s_mov_b32 s4, exec_lo
	s_waitcnt vmcnt(22) lgkmcnt(1)
	v_fma_f64 v[119:120], v[127:128], v[119:120], 0
	s_waitcnt vmcnt(20)
	v_fma_f64 v[119:120], v[129:130], v[121:122], v[119:120]
	s_waitcnt vmcnt(18) lgkmcnt(0)
	v_fma_f64 v[119:120], v[131:132], v[123:124], v[119:120]
	s_waitcnt vmcnt(16)
	v_fma_f64 v[127:128], v[133:134], v[125:126], v[119:120]
	ds_read2_b64 v[119:122], v118 offset0:109 offset1:110
	ds_read2_b64 v[123:126], v118 offset0:111 offset1:112
	s_waitcnt vmcnt(14) lgkmcnt(1)
	v_fma_f64 v[119:120], v[135:136], v[119:120], v[127:128]
	s_waitcnt vmcnt(12)
	v_fma_f64 v[119:120], v[137:138], v[121:122], v[119:120]
	s_waitcnt vmcnt(10) lgkmcnt(0)
	v_fma_f64 v[119:120], v[139:140], v[123:124], v[119:120]
	s_waitcnt vmcnt(5)
	v_fma_f64 v[123:124], v[141:142], v[125:126], v[119:120]
	ds_read2_b64 v[119:122], v118 offset0:113 offset1:114
	ds_read_b64 v[125:126], v118 offset:920
	s_waitcnt vmcnt(4) lgkmcnt(1)
	v_fma_f64 v[119:120], v[147:148], v[119:120], v[123:124]
	s_waitcnt vmcnt(3)
	v_fma_f64 v[119:120], v[145:146], v[121:122], v[119:120]
	s_waitcnt vmcnt(2) lgkmcnt(0)
	v_fma_f64 v[119:120], v[143:144], v[125:126], v[119:120]
	s_waitcnt vmcnt(0)
	v_add_f64 v[119:120], v[149:150], -v[119:120]
	buffer_store_dword v120, off, s[0:3], 0 offset:372
	buffer_store_dword v119, off, s[0:3], 0 offset:368
	v_cmpx_lt_u32_e32 45, v0
	s_cbranch_execz .LBB121_267
; %bb.266:
	s_clause 0x1
	buffer_load_dword v119, off, s[0:3], 0 offset:360
	buffer_load_dword v120, off, s[0:3], 0 offset:364
	buffer_store_dword v118, off, s[0:3], 0 offset:360
	buffer_store_dword v118, off, s[0:3], 0 offset:364
	s_waitcnt vmcnt(0)
	ds_write_b64 v117, v[119:120]
.LBB121_267:
	s_or_b32 exec_lo, exec_lo, s4
	s_waitcnt lgkmcnt(0)
	s_waitcnt_vscnt null, 0x0
	s_barrier
	buffer_gl0_inv
	s_clause 0x19
	buffer_load_dword v127, off, s[0:3], 0 offset:368
	buffer_load_dword v128, off, s[0:3], 0 offset:372
	;; [unrolled: 1-line block ×26, first 2 shown]
	ds_read_b128 v[119:122], v118 offset:832
	ds_read_b128 v[123:126], v118 offset:848
	s_mov_b32 s4, exec_lo
	s_waitcnt vmcnt(24) lgkmcnt(1)
	v_fma_f64 v[119:120], v[127:128], v[119:120], 0
	s_waitcnt vmcnt(22)
	v_fma_f64 v[119:120], v[129:130], v[121:122], v[119:120]
	s_waitcnt vmcnt(20) lgkmcnt(0)
	v_fma_f64 v[119:120], v[131:132], v[123:124], v[119:120]
	s_waitcnt vmcnt(18)
	v_fma_f64 v[127:128], v[133:134], v[125:126], v[119:120]
	ds_read_b128 v[119:122], v118 offset:864
	ds_read_b128 v[123:126], v118 offset:880
	s_waitcnt vmcnt(16) lgkmcnt(1)
	v_fma_f64 v[119:120], v[135:136], v[119:120], v[127:128]
	s_waitcnt vmcnt(14)
	v_fma_f64 v[119:120], v[137:138], v[121:122], v[119:120]
	s_waitcnt vmcnt(12) lgkmcnt(0)
	v_fma_f64 v[119:120], v[139:140], v[123:124], v[119:120]
	s_waitcnt vmcnt(7)
	v_fma_f64 v[127:128], v[141:142], v[125:126], v[119:120]
	ds_read_b128 v[119:122], v118 offset:896
	ds_read_b128 v[123:126], v118 offset:912
	s_waitcnt vmcnt(6) lgkmcnt(1)
	v_fma_f64 v[118:119], v[147:148], v[119:120], v[127:128]
	s_waitcnt vmcnt(5)
	v_fma_f64 v[118:119], v[145:146], v[121:122], v[118:119]
	s_waitcnt vmcnt(4) lgkmcnt(0)
	v_fma_f64 v[118:119], v[143:144], v[123:124], v[118:119]
	s_waitcnt vmcnt(2)
	v_fma_f64 v[118:119], v[149:150], v[125:126], v[118:119]
	s_waitcnt vmcnt(0)
	v_add_f64 v[118:119], v[151:152], -v[118:119]
	buffer_store_dword v119, off, s[0:3], 0 offset:364
	buffer_store_dword v118, off, s[0:3], 0 offset:360
	v_cmpx_lt_u32_e32 44, v0
	s_cbranch_execz .LBB121_269
; %bb.268:
	s_clause 0x1
	buffer_load_dword v118, off, s[0:3], 0 offset:352
	buffer_load_dword v119, off, s[0:3], 0 offset:356
	v_mov_b32_e32 v120, 0
	buffer_store_dword v120, off, s[0:3], 0 offset:352
	buffer_store_dword v120, off, s[0:3], 0 offset:356
	s_waitcnt vmcnt(0)
	ds_write_b64 v117, v[118:119]
.LBB121_269:
	s_or_b32 exec_lo, exec_lo, s4
	s_waitcnt lgkmcnt(0)
	s_waitcnt_vscnt null, 0x0
	s_barrier
	buffer_gl0_inv
	s_clause 0x1b
	buffer_load_dword v127, off, s[0:3], 0 offset:360
	buffer_load_dword v128, off, s[0:3], 0 offset:364
	;; [unrolled: 1-line block ×28, first 2 shown]
	v_mov_b32_e32 v118, 0
	ds_read2_b64 v[119:122], v118 offset0:103 offset1:104
	ds_read2_b64 v[123:126], v118 offset0:105 offset1:106
	s_mov_b32 s4, exec_lo
	s_waitcnt vmcnt(26) lgkmcnt(1)
	v_fma_f64 v[119:120], v[127:128], v[119:120], 0
	s_waitcnt vmcnt(24)
	v_fma_f64 v[119:120], v[129:130], v[121:122], v[119:120]
	s_waitcnt vmcnt(22) lgkmcnt(0)
	v_fma_f64 v[119:120], v[131:132], v[123:124], v[119:120]
	s_waitcnt vmcnt(20)
	v_fma_f64 v[127:128], v[133:134], v[125:126], v[119:120]
	ds_read2_b64 v[119:122], v118 offset0:107 offset1:108
	ds_read2_b64 v[123:126], v118 offset0:109 offset1:110
	s_waitcnt vmcnt(18) lgkmcnt(1)
	v_fma_f64 v[119:120], v[135:136], v[119:120], v[127:128]
	s_waitcnt vmcnt(16)
	v_fma_f64 v[119:120], v[137:138], v[121:122], v[119:120]
	s_waitcnt vmcnt(14) lgkmcnt(0)
	v_fma_f64 v[119:120], v[139:140], v[123:124], v[119:120]
	s_waitcnt vmcnt(9)
	v_fma_f64 v[127:128], v[141:142], v[125:126], v[119:120]
	ds_read2_b64 v[119:122], v118 offset0:111 offset1:112
	ds_read2_b64 v[123:126], v118 offset0:113 offset1:114
	s_waitcnt vmcnt(8) lgkmcnt(1)
	v_fma_f64 v[119:120], v[147:148], v[119:120], v[127:128]
	s_waitcnt vmcnt(7)
	v_fma_f64 v[119:120], v[145:146], v[121:122], v[119:120]
	ds_read_b64 v[121:122], v118 offset:920
	s_waitcnt vmcnt(6) lgkmcnt(1)
	v_fma_f64 v[119:120], v[143:144], v[123:124], v[119:120]
	s_waitcnt vmcnt(3)
	v_fma_f64 v[119:120], v[149:150], v[125:126], v[119:120]
	s_waitcnt vmcnt(2) lgkmcnt(0)
	v_fma_f64 v[119:120], v[151:152], v[121:122], v[119:120]
	s_waitcnt vmcnt(0)
	v_add_f64 v[119:120], v[153:154], -v[119:120]
	buffer_store_dword v120, off, s[0:3], 0 offset:356
	buffer_store_dword v119, off, s[0:3], 0 offset:352
	v_cmpx_lt_u32_e32 43, v0
	s_cbranch_execz .LBB121_271
; %bb.270:
	s_clause 0x1
	buffer_load_dword v119, off, s[0:3], 0 offset:344
	buffer_load_dword v120, off, s[0:3], 0 offset:348
	buffer_store_dword v118, off, s[0:3], 0 offset:344
	buffer_store_dword v118, off, s[0:3], 0 offset:348
	s_waitcnt vmcnt(0)
	ds_write_b64 v117, v[119:120]
.LBB121_271:
	s_or_b32 exec_lo, exec_lo, s4
	s_waitcnt lgkmcnt(0)
	s_waitcnt_vscnt null, 0x0
	s_barrier
	buffer_gl0_inv
	s_clause 0x1b
	buffer_load_dword v127, off, s[0:3], 0 offset:352
	buffer_load_dword v128, off, s[0:3], 0 offset:356
	;; [unrolled: 1-line block ×28, first 2 shown]
	ds_read_b128 v[119:122], v118 offset:816
	s_clause 0x1
	buffer_load_dword v155, off, s[0:3], 0 offset:344
	buffer_load_dword v156, off, s[0:3], 0 offset:348
	ds_read_b128 v[123:126], v118 offset:832
	s_mov_b32 s4, exec_lo
	s_waitcnt vmcnt(28) lgkmcnt(1)
	v_fma_f64 v[119:120], v[127:128], v[119:120], 0
	s_waitcnt vmcnt(26)
	v_fma_f64 v[119:120], v[129:130], v[121:122], v[119:120]
	s_waitcnt vmcnt(24) lgkmcnt(0)
	v_fma_f64 v[119:120], v[131:132], v[123:124], v[119:120]
	s_waitcnt vmcnt(22)
	v_fma_f64 v[127:128], v[133:134], v[125:126], v[119:120]
	ds_read_b128 v[119:122], v118 offset:848
	ds_read_b128 v[123:126], v118 offset:864
	s_waitcnt vmcnt(20) lgkmcnt(1)
	v_fma_f64 v[119:120], v[135:136], v[119:120], v[127:128]
	s_waitcnt vmcnt(18)
	v_fma_f64 v[119:120], v[137:138], v[121:122], v[119:120]
	s_waitcnt vmcnt(16) lgkmcnt(0)
	v_fma_f64 v[119:120], v[139:140], v[123:124], v[119:120]
	s_waitcnt vmcnt(11)
	v_fma_f64 v[127:128], v[141:142], v[125:126], v[119:120]
	ds_read_b128 v[119:122], v118 offset:880
	ds_read_b128 v[123:126], v118 offset:896
	s_waitcnt vmcnt(10) lgkmcnt(1)
	v_fma_f64 v[119:120], v[147:148], v[119:120], v[127:128]
	s_waitcnt vmcnt(9)
	v_fma_f64 v[119:120], v[145:146], v[121:122], v[119:120]
	s_waitcnt vmcnt(8) lgkmcnt(0)
	v_fma_f64 v[119:120], v[143:144], v[123:124], v[119:120]
	s_waitcnt vmcnt(4)
	v_fma_f64 v[122:123], v[149:150], v[125:126], v[119:120]
	ds_read_b128 v[118:121], v118 offset:912
	s_waitcnt vmcnt(3) lgkmcnt(0)
	v_fma_f64 v[118:119], v[153:154], v[118:119], v[122:123]
	s_waitcnt vmcnt(2)
	v_fma_f64 v[118:119], v[151:152], v[120:121], v[118:119]
	s_waitcnt vmcnt(0)
	v_add_f64 v[118:119], v[155:156], -v[118:119]
	buffer_store_dword v119, off, s[0:3], 0 offset:348
	buffer_store_dword v118, off, s[0:3], 0 offset:344
	v_cmpx_lt_u32_e32 42, v0
	s_cbranch_execz .LBB121_273
; %bb.272:
	s_clause 0x1
	buffer_load_dword v118, off, s[0:3], 0 offset:336
	buffer_load_dword v119, off, s[0:3], 0 offset:340
	v_mov_b32_e32 v120, 0
	buffer_store_dword v120, off, s[0:3], 0 offset:336
	buffer_store_dword v120, off, s[0:3], 0 offset:340
	s_waitcnt vmcnt(0)
	ds_write_b64 v117, v[118:119]
.LBB121_273:
	s_or_b32 exec_lo, exec_lo, s4
	s_waitcnt lgkmcnt(0)
	s_waitcnt_vscnt null, 0x0
	s_barrier
	buffer_gl0_inv
	s_clause 0x1c
	buffer_load_dword v127, off, s[0:3], 0 offset:344
	buffer_load_dword v128, off, s[0:3], 0 offset:348
	buffer_load_dword v129, off, s[0:3], 0 offset:352
	buffer_load_dword v130, off, s[0:3], 0 offset:356
	buffer_load_dword v131, off, s[0:3], 0 offset:360
	buffer_load_dword v132, off, s[0:3], 0 offset:364
	buffer_load_dword v133, off, s[0:3], 0 offset:368
	buffer_load_dword v134, off, s[0:3], 0 offset:372
	buffer_load_dword v135, off, s[0:3], 0 offset:376
	buffer_load_dword v136, off, s[0:3], 0 offset:380
	buffer_load_dword v137, off, s[0:3], 0 offset:384
	buffer_load_dword v138, off, s[0:3], 0 offset:388
	buffer_load_dword v139, off, s[0:3], 0 offset:392
	buffer_load_dword v140, off, s[0:3], 0 offset:396
	buffer_load_dword v142, off, s[0:3], 0 offset:404
	buffer_load_dword v143, off, s[0:3], 0 offset:424
	buffer_load_dword v145, off, s[0:3], 0 offset:416
	buffer_load_dword v147, off, s[0:3], 0 offset:408
	buffer_load_dword v141, off, s[0:3], 0 offset:400
	buffer_load_dword v148, off, s[0:3], 0 offset:412
	buffer_load_dword v146, off, s[0:3], 0 offset:420
	buffer_load_dword v144, off, s[0:3], 0 offset:428
	buffer_load_dword v150, off, s[0:3], 0 offset:436
	buffer_load_dword v151, off, s[0:3], 0 offset:456
	buffer_load_dword v153, off, s[0:3], 0 offset:448
	buffer_load_dword v155, off, s[0:3], 0 offset:440
	buffer_load_dword v149, off, s[0:3], 0 offset:432
	buffer_load_dword v156, off, s[0:3], 0 offset:444
	buffer_load_dword v154, off, s[0:3], 0 offset:452
	v_mov_b32_e32 v118, 0
	buffer_load_dword v152, off, s[0:3], 0 offset:460
	s_mov_b32 s4, exec_lo
	ds_read2_b64 v[119:122], v118 offset0:101 offset1:102
	ds_read2_b64 v[123:126], v118 offset0:103 offset1:104
	s_waitcnt vmcnt(28) lgkmcnt(1)
	v_fma_f64 v[119:120], v[127:128], v[119:120], 0
	s_clause 0x1
	buffer_load_dword v127, off, s[0:3], 0 offset:336
	buffer_load_dword v128, off, s[0:3], 0 offset:340
	s_waitcnt vmcnt(28)
	v_fma_f64 v[119:120], v[129:130], v[121:122], v[119:120]
	s_waitcnt vmcnt(26) lgkmcnt(0)
	v_fma_f64 v[119:120], v[131:132], v[123:124], v[119:120]
	s_waitcnt vmcnt(24)
	v_fma_f64 v[129:130], v[133:134], v[125:126], v[119:120]
	ds_read2_b64 v[119:122], v118 offset0:105 offset1:106
	ds_read2_b64 v[123:126], v118 offset0:107 offset1:108
	s_waitcnt vmcnt(22) lgkmcnt(1)
	v_fma_f64 v[119:120], v[135:136], v[119:120], v[129:130]
	s_waitcnt vmcnt(20)
	v_fma_f64 v[119:120], v[137:138], v[121:122], v[119:120]
	s_waitcnt vmcnt(18) lgkmcnt(0)
	v_fma_f64 v[119:120], v[139:140], v[123:124], v[119:120]
	s_waitcnt vmcnt(13)
	v_fma_f64 v[129:130], v[141:142], v[125:126], v[119:120]
	ds_read2_b64 v[119:122], v118 offset0:109 offset1:110
	ds_read2_b64 v[123:126], v118 offset0:111 offset1:112
	s_waitcnt vmcnt(12) lgkmcnt(1)
	v_fma_f64 v[119:120], v[147:148], v[119:120], v[129:130]
	s_waitcnt vmcnt(11)
	v_fma_f64 v[119:120], v[145:146], v[121:122], v[119:120]
	s_waitcnt vmcnt(10) lgkmcnt(0)
	v_fma_f64 v[119:120], v[143:144], v[123:124], v[119:120]
	s_waitcnt vmcnt(5)
	v_fma_f64 v[123:124], v[149:150], v[125:126], v[119:120]
	ds_read2_b64 v[119:122], v118 offset0:113 offset1:114
	ds_read_b64 v[125:126], v118 offset:920
	s_waitcnt vmcnt(4) lgkmcnt(1)
	v_fma_f64 v[119:120], v[155:156], v[119:120], v[123:124]
	s_waitcnt vmcnt(3)
	v_fma_f64 v[119:120], v[153:154], v[121:122], v[119:120]
	s_waitcnt vmcnt(2) lgkmcnt(0)
	v_fma_f64 v[119:120], v[151:152], v[125:126], v[119:120]
	s_waitcnt vmcnt(0)
	v_add_f64 v[119:120], v[127:128], -v[119:120]
	buffer_store_dword v120, off, s[0:3], 0 offset:340
	buffer_store_dword v119, off, s[0:3], 0 offset:336
	v_cmpx_lt_u32_e32 41, v0
	s_cbranch_execz .LBB121_275
; %bb.274:
	s_clause 0x1
	buffer_load_dword v119, off, s[0:3], 0 offset:328
	buffer_load_dword v120, off, s[0:3], 0 offset:332
	buffer_store_dword v118, off, s[0:3], 0 offset:328
	buffer_store_dword v118, off, s[0:3], 0 offset:332
	s_waitcnt vmcnt(0)
	ds_write_b64 v117, v[119:120]
.LBB121_275:
	s_or_b32 exec_lo, exec_lo, s4
	s_waitcnt lgkmcnt(0)
	s_waitcnt_vscnt null, 0x0
	s_barrier
	buffer_gl0_inv
	s_clause 0x1c
	buffer_load_dword v127, off, s[0:3], 0 offset:336
	buffer_load_dword v128, off, s[0:3], 0 offset:340
	buffer_load_dword v129, off, s[0:3], 0 offset:344
	buffer_load_dword v130, off, s[0:3], 0 offset:348
	buffer_load_dword v131, off, s[0:3], 0 offset:352
	buffer_load_dword v132, off, s[0:3], 0 offset:356
	buffer_load_dword v133, off, s[0:3], 0 offset:360
	buffer_load_dword v134, off, s[0:3], 0 offset:364
	buffer_load_dword v135, off, s[0:3], 0 offset:368
	buffer_load_dword v136, off, s[0:3], 0 offset:372
	buffer_load_dword v137, off, s[0:3], 0 offset:376
	buffer_load_dword v138, off, s[0:3], 0 offset:380
	buffer_load_dword v139, off, s[0:3], 0 offset:384
	buffer_load_dword v140, off, s[0:3], 0 offset:388
	buffer_load_dword v142, off, s[0:3], 0 offset:396
	buffer_load_dword v143, off, s[0:3], 0 offset:416
	buffer_load_dword v145, off, s[0:3], 0 offset:408
	buffer_load_dword v147, off, s[0:3], 0 offset:400
	buffer_load_dword v141, off, s[0:3], 0 offset:392
	buffer_load_dword v148, off, s[0:3], 0 offset:404
	buffer_load_dword v146, off, s[0:3], 0 offset:412
	buffer_load_dword v144, off, s[0:3], 0 offset:420
	buffer_load_dword v150, off, s[0:3], 0 offset:428
	buffer_load_dword v151, off, s[0:3], 0 offset:448
	buffer_load_dword v153, off, s[0:3], 0 offset:440
	buffer_load_dword v155, off, s[0:3], 0 offset:432
	buffer_load_dword v149, off, s[0:3], 0 offset:424
	buffer_load_dword v156, off, s[0:3], 0 offset:436
	buffer_load_dword v154, off, s[0:3], 0 offset:444
	ds_read_b128 v[119:122], v118 offset:800
	ds_read_b128 v[123:126], v118 offset:816
	buffer_load_dword v152, off, s[0:3], 0 offset:452
	s_mov_b32 s4, exec_lo
	s_waitcnt vmcnt(28) lgkmcnt(1)
	v_fma_f64 v[119:120], v[127:128], v[119:120], 0
	s_clause 0x1
	buffer_load_dword v128, off, s[0:3], 0 offset:460
	buffer_load_dword v127, off, s[0:3], 0 offset:456
	s_waitcnt vmcnt(28)
	v_fma_f64 v[119:120], v[129:130], v[121:122], v[119:120]
	s_clause 0x1
	buffer_load_dword v129, off, s[0:3], 0 offset:328
	buffer_load_dword v130, off, s[0:3], 0 offset:332
	s_waitcnt vmcnt(28) lgkmcnt(0)
	v_fma_f64 v[119:120], v[131:132], v[123:124], v[119:120]
	s_waitcnt vmcnt(26)
	v_fma_f64 v[131:132], v[133:134], v[125:126], v[119:120]
	ds_read_b128 v[119:122], v118 offset:832
	ds_read_b128 v[123:126], v118 offset:848
	s_waitcnt vmcnt(24) lgkmcnt(1)
	v_fma_f64 v[119:120], v[135:136], v[119:120], v[131:132]
	s_waitcnt vmcnt(22)
	v_fma_f64 v[119:120], v[137:138], v[121:122], v[119:120]
	s_waitcnt vmcnt(20) lgkmcnt(0)
	v_fma_f64 v[119:120], v[139:140], v[123:124], v[119:120]
	s_waitcnt vmcnt(15)
	v_fma_f64 v[131:132], v[141:142], v[125:126], v[119:120]
	ds_read_b128 v[119:122], v118 offset:864
	ds_read_b128 v[123:126], v118 offset:880
	s_waitcnt vmcnt(14) lgkmcnt(1)
	v_fma_f64 v[119:120], v[147:148], v[119:120], v[131:132]
	s_waitcnt vmcnt(13)
	v_fma_f64 v[119:120], v[145:146], v[121:122], v[119:120]
	;; [unrolled: 10-line block ×3, first 2 shown]
	s_waitcnt vmcnt(4) lgkmcnt(0)
	v_fma_f64 v[118:119], v[151:152], v[123:124], v[118:119]
	s_waitcnt vmcnt(2)
	v_fma_f64 v[118:119], v[127:128], v[125:126], v[118:119]
	s_waitcnt vmcnt(0)
	v_add_f64 v[118:119], v[129:130], -v[118:119]
	buffer_store_dword v119, off, s[0:3], 0 offset:332
	buffer_store_dword v118, off, s[0:3], 0 offset:328
	v_cmpx_lt_u32_e32 40, v0
	s_cbranch_execz .LBB121_277
; %bb.276:
	s_clause 0x1
	buffer_load_dword v118, off, s[0:3], 0 offset:320
	buffer_load_dword v119, off, s[0:3], 0 offset:324
	v_mov_b32_e32 v120, 0
	buffer_store_dword v120, off, s[0:3], 0 offset:320
	buffer_store_dword v120, off, s[0:3], 0 offset:324
	s_waitcnt vmcnt(0)
	ds_write_b64 v117, v[118:119]
.LBB121_277:
	s_or_b32 exec_lo, exec_lo, s4
	s_waitcnt lgkmcnt(0)
	s_waitcnt_vscnt null, 0x0
	s_barrier
	buffer_gl0_inv
	s_clause 0x1c
	buffer_load_dword v127, off, s[0:3], 0 offset:328
	buffer_load_dword v128, off, s[0:3], 0 offset:332
	;; [unrolled: 1-line block ×29, first 2 shown]
	v_mov_b32_e32 v118, 0
	buffer_load_dword v152, off, s[0:3], 0 offset:444
	s_mov_b32 s4, exec_lo
	ds_read2_b64 v[119:122], v118 offset0:99 offset1:100
	ds_read2_b64 v[123:126], v118 offset0:101 offset1:102
	s_waitcnt vmcnt(28) lgkmcnt(1)
	v_fma_f64 v[119:120], v[127:128], v[119:120], 0
	s_clause 0x3
	buffer_load_dword v128, off, s[0:3], 0 offset:452
	buffer_load_dword v157, off, s[0:3], 0 offset:456
	;; [unrolled: 1-line block ×4, first 2 shown]
	s_waitcnt vmcnt(30)
	v_fma_f64 v[119:120], v[129:130], v[121:122], v[119:120]
	s_clause 0x1
	buffer_load_dword v129, off, s[0:3], 0 offset:320
	buffer_load_dword v130, off, s[0:3], 0 offset:324
	s_waitcnt vmcnt(30) lgkmcnt(0)
	v_fma_f64 v[119:120], v[131:132], v[123:124], v[119:120]
	s_waitcnt vmcnt(28)
	v_fma_f64 v[131:132], v[133:134], v[125:126], v[119:120]
	ds_read2_b64 v[119:122], v118 offset0:103 offset1:104
	ds_read2_b64 v[123:126], v118 offset0:105 offset1:106
	s_waitcnt vmcnt(26) lgkmcnt(1)
	v_fma_f64 v[119:120], v[135:136], v[119:120], v[131:132]
	s_waitcnt vmcnt(24)
	v_fma_f64 v[119:120], v[137:138], v[121:122], v[119:120]
	s_waitcnt vmcnt(22) lgkmcnt(0)
	v_fma_f64 v[119:120], v[139:140], v[123:124], v[119:120]
	s_waitcnt vmcnt(17)
	v_fma_f64 v[131:132], v[141:142], v[125:126], v[119:120]
	ds_read2_b64 v[119:122], v118 offset0:107 offset1:108
	ds_read2_b64 v[123:126], v118 offset0:109 offset1:110
	s_waitcnt vmcnt(16) lgkmcnt(1)
	v_fma_f64 v[119:120], v[147:148], v[119:120], v[131:132]
	s_waitcnt vmcnt(15)
	v_fma_f64 v[119:120], v[145:146], v[121:122], v[119:120]
	;; [unrolled: 10-line block ×3, first 2 shown]
	ds_read_b64 v[121:122], v118 offset:920
	s_waitcnt vmcnt(6) lgkmcnt(1)
	v_fma_f64 v[119:120], v[151:152], v[123:124], v[119:120]
	s_waitcnt vmcnt(3)
	v_fma_f64 v[119:120], v[127:128], v[125:126], v[119:120]
	s_waitcnt vmcnt(2) lgkmcnt(0)
	v_fma_f64 v[119:120], v[157:158], v[121:122], v[119:120]
	s_waitcnt vmcnt(0)
	v_add_f64 v[119:120], v[129:130], -v[119:120]
	buffer_store_dword v120, off, s[0:3], 0 offset:324
	buffer_store_dword v119, off, s[0:3], 0 offset:320
	v_cmpx_lt_u32_e32 39, v0
	s_cbranch_execz .LBB121_279
; %bb.278:
	s_clause 0x1
	buffer_load_dword v119, off, s[0:3], 0 offset:312
	buffer_load_dword v120, off, s[0:3], 0 offset:316
	buffer_store_dword v118, off, s[0:3], 0 offset:312
	buffer_store_dword v118, off, s[0:3], 0 offset:316
	s_waitcnt vmcnt(0)
	ds_write_b64 v117, v[119:120]
.LBB121_279:
	s_or_b32 exec_lo, exec_lo, s4
	s_waitcnt lgkmcnt(0)
	s_waitcnt_vscnt null, 0x0
	s_barrier
	buffer_gl0_inv
	s_clause 0x1b
	buffer_load_dword v123, off, s[0:3], 0 offset:320
	buffer_load_dword v124, off, s[0:3], 0 offset:324
	;; [unrolled: 1-line block ×28, first 2 shown]
	ds_read_b128 v[119:122], v118 offset:784
	s_clause 0x1
	buffer_load_dword v151, off, s[0:3], 0 offset:432
	buffer_load_dword v152, off, s[0:3], 0 offset:436
	s_mov_b32 s4, exec_lo
	s_waitcnt vmcnt(28) lgkmcnt(0)
	v_fma_f64 v[119:120], v[123:124], v[119:120], 0
	s_clause 0x1
	buffer_load_dword v124, off, s[0:3], 0 offset:444
	buffer_load_dword v123, off, s[0:3], 0 offset:440
	s_waitcnt vmcnt(28)
	v_fma_f64 v[125:126], v[125:126], v[121:122], v[119:120]
	ds_read_b128 v[119:122], v118 offset:800
	s_clause 0x1
	buffer_load_dword v153, off, s[0:3], 0 offset:448
	buffer_load_dword v154, off, s[0:3], 0 offset:452
	s_waitcnt vmcnt(28) lgkmcnt(0)
	v_fma_f64 v[119:120], v[127:128], v[119:120], v[125:126]
	s_clause 0x1
	buffer_load_dword v125, off, s[0:3], 0 offset:456
	buffer_load_dword v126, off, s[0:3], 0 offset:460
	s_waitcnt vmcnt(28)
	v_fma_f64 v[127:128], v[129:130], v[121:122], v[119:120]
	ds_read_b128 v[119:122], v118 offset:816
	s_clause 0x1
	buffer_load_dword v129, off, s[0:3], 0 offset:312
	buffer_load_dword v130, off, s[0:3], 0 offset:316
	s_waitcnt vmcnt(28) lgkmcnt(0)
	v_fma_f64 v[119:120], v[131:132], v[119:120], v[127:128]
	s_waitcnt vmcnt(26)
	v_fma_f64 v[127:128], v[133:134], v[121:122], v[119:120]
	ds_read_b128 v[119:122], v118 offset:832
	s_waitcnt vmcnt(24) lgkmcnt(0)
	v_fma_f64 v[119:120], v[135:136], v[119:120], v[127:128]
	s_waitcnt vmcnt(22)
	v_fma_f64 v[127:128], v[137:138], v[121:122], v[119:120]
	ds_read_b128 v[119:122], v118 offset:848
	;; [unrolled: 5-line block ×6, first 2 shown]
	s_waitcnt vmcnt(4) lgkmcnt(0)
	v_fma_f64 v[118:119], v[153:154], v[118:119], v[122:123]
	s_waitcnt vmcnt(2)
	v_fma_f64 v[118:119], v[125:126], v[120:121], v[118:119]
	s_waitcnt vmcnt(0)
	v_add_f64 v[118:119], v[129:130], -v[118:119]
	buffer_store_dword v119, off, s[0:3], 0 offset:316
	buffer_store_dword v118, off, s[0:3], 0 offset:312
	v_cmpx_lt_u32_e32 38, v0
	s_cbranch_execz .LBB121_281
; %bb.280:
	s_clause 0x1
	buffer_load_dword v118, off, s[0:3], 0 offset:304
	buffer_load_dword v119, off, s[0:3], 0 offset:308
	v_mov_b32_e32 v120, 0
	buffer_store_dword v120, off, s[0:3], 0 offset:304
	buffer_store_dword v120, off, s[0:3], 0 offset:308
	s_waitcnt vmcnt(0)
	ds_write_b64 v117, v[118:119]
.LBB121_281:
	s_or_b32 exec_lo, exec_lo, s4
	s_waitcnt lgkmcnt(0)
	s_waitcnt_vscnt null, 0x0
	s_barrier
	buffer_gl0_inv
	s_clause 0x1b
	buffer_load_dword v123, off, s[0:3], 0 offset:312
	buffer_load_dword v124, off, s[0:3], 0 offset:316
	buffer_load_dword v125, off, s[0:3], 0 offset:320
	buffer_load_dword v126, off, s[0:3], 0 offset:324
	buffer_load_dword v127, off, s[0:3], 0 offset:328
	buffer_load_dword v128, off, s[0:3], 0 offset:332
	buffer_load_dword v129, off, s[0:3], 0 offset:336
	buffer_load_dword v130, off, s[0:3], 0 offset:340
	buffer_load_dword v131, off, s[0:3], 0 offset:344
	buffer_load_dword v132, off, s[0:3], 0 offset:348
	buffer_load_dword v133, off, s[0:3], 0 offset:352
	buffer_load_dword v134, off, s[0:3], 0 offset:356
	buffer_load_dword v135, off, s[0:3], 0 offset:360
	buffer_load_dword v136, off, s[0:3], 0 offset:364
	buffer_load_dword v138, off, s[0:3], 0 offset:372
	buffer_load_dword v137, off, s[0:3], 0 offset:368
	buffer_load_dword v139, off, s[0:3], 0 offset:376
	buffer_load_dword v140, off, s[0:3], 0 offset:380
	buffer_load_dword v141, off, s[0:3], 0 offset:384
	buffer_load_dword v142, off, s[0:3], 0 offset:388
	buffer_load_dword v143, off, s[0:3], 0 offset:392
	buffer_load_dword v144, off, s[0:3], 0 offset:396
	buffer_load_dword v146, off, s[0:3], 0 offset:404
	buffer_load_dword v145, off, s[0:3], 0 offset:400
	buffer_load_dword v147, off, s[0:3], 0 offset:408
	buffer_load_dword v148, off, s[0:3], 0 offset:412
	buffer_load_dword v149, off, s[0:3], 0 offset:416
	buffer_load_dword v150, off, s[0:3], 0 offset:420
	v_mov_b32_e32 v118, 0
	s_mov_b32 s4, exec_lo
	ds_read2_b64 v[119:122], v118 offset0:97 offset1:98
	s_clause 0x1
	buffer_load_dword v151, off, s[0:3], 0 offset:424
	buffer_load_dword v152, off, s[0:3], 0 offset:428
	s_waitcnt vmcnt(28) lgkmcnt(0)
	v_fma_f64 v[119:120], v[123:124], v[119:120], 0
	s_clause 0x1
	buffer_load_dword v124, off, s[0:3], 0 offset:436
	buffer_load_dword v123, off, s[0:3], 0 offset:432
	s_waitcnt vmcnt(28)
	v_fma_f64 v[125:126], v[125:126], v[121:122], v[119:120]
	ds_read2_b64 v[119:122], v118 offset0:99 offset1:100
	s_clause 0x1
	buffer_load_dword v153, off, s[0:3], 0 offset:440
	buffer_load_dword v154, off, s[0:3], 0 offset:444
	s_waitcnt vmcnt(28) lgkmcnt(0)
	v_fma_f64 v[119:120], v[127:128], v[119:120], v[125:126]
	s_clause 0x1
	buffer_load_dword v125, off, s[0:3], 0 offset:448
	buffer_load_dword v126, off, s[0:3], 0 offset:452
	s_waitcnt vmcnt(28)
	v_fma_f64 v[127:128], v[129:130], v[121:122], v[119:120]
	;; [unrolled: 11-line block ×3, first 2 shown]
	ds_read2_b64 v[119:122], v118 offset0:103 offset1:104
	s_waitcnt vmcnt(26) lgkmcnt(0)
	v_fma_f64 v[119:120], v[135:136], v[119:120], v[131:132]
	s_waitcnt vmcnt(24)
	v_fma_f64 v[131:132], v[137:138], v[121:122], v[119:120]
	ds_read2_b64 v[119:122], v118 offset0:105 offset1:106
	s_waitcnt vmcnt(22) lgkmcnt(0)
	v_fma_f64 v[119:120], v[139:140], v[119:120], v[131:132]
	s_waitcnt vmcnt(20)
	v_fma_f64 v[131:132], v[141:142], v[121:122], v[119:120]
	;; [unrolled: 5-line block ×6, first 2 shown]
	ds_read_b64 v[121:122], v118 offset:920
	s_waitcnt vmcnt(2) lgkmcnt(0)
	v_fma_f64 v[119:120], v[129:130], v[121:122], v[119:120]
	s_waitcnt vmcnt(0)
	v_add_f64 v[119:120], v[127:128], -v[119:120]
	buffer_store_dword v120, off, s[0:3], 0 offset:308
	buffer_store_dword v119, off, s[0:3], 0 offset:304
	v_cmpx_lt_u32_e32 37, v0
	s_cbranch_execz .LBB121_283
; %bb.282:
	s_clause 0x1
	buffer_load_dword v119, off, s[0:3], 0 offset:296
	buffer_load_dword v120, off, s[0:3], 0 offset:300
	buffer_store_dword v118, off, s[0:3], 0 offset:296
	buffer_store_dword v118, off, s[0:3], 0 offset:300
	s_waitcnt vmcnt(0)
	ds_write_b64 v117, v[119:120]
.LBB121_283:
	s_or_b32 exec_lo, exec_lo, s4
	s_waitcnt lgkmcnt(0)
	s_waitcnt_vscnt null, 0x0
	s_barrier
	buffer_gl0_inv
	s_clause 0x1b
	buffer_load_dword v123, off, s[0:3], 0 offset:304
	buffer_load_dword v124, off, s[0:3], 0 offset:308
	;; [unrolled: 1-line block ×28, first 2 shown]
	ds_read_b128 v[119:122], v118 offset:768
	s_clause 0x1
	buffer_load_dword v151, off, s[0:3], 0 offset:416
	buffer_load_dword v152, off, s[0:3], 0 offset:420
	s_mov_b32 s4, exec_lo
	s_waitcnt vmcnt(28) lgkmcnt(0)
	v_fma_f64 v[119:120], v[123:124], v[119:120], 0
	s_clause 0x1
	buffer_load_dword v124, off, s[0:3], 0 offset:428
	buffer_load_dword v123, off, s[0:3], 0 offset:424
	s_waitcnt vmcnt(28)
	v_fma_f64 v[125:126], v[125:126], v[121:122], v[119:120]
	ds_read_b128 v[119:122], v118 offset:784
	s_clause 0x1
	buffer_load_dword v153, off, s[0:3], 0 offset:432
	buffer_load_dword v154, off, s[0:3], 0 offset:436
	s_waitcnt vmcnt(28) lgkmcnt(0)
	v_fma_f64 v[119:120], v[127:128], v[119:120], v[125:126]
	s_clause 0x1
	buffer_load_dword v125, off, s[0:3], 0 offset:440
	buffer_load_dword v126, off, s[0:3], 0 offset:444
	s_waitcnt vmcnt(28)
	v_fma_f64 v[127:128], v[129:130], v[121:122], v[119:120]
	ds_read_b128 v[119:122], v118 offset:800
	s_clause 0x1
	buffer_load_dword v129, off, s[0:3], 0 offset:448
	buffer_load_dword v130, off, s[0:3], 0 offset:452
	;; [unrolled: 11-line block ×3, first 2 shown]
	s_waitcnt vmcnt(28) lgkmcnt(0)
	v_fma_f64 v[119:120], v[135:136], v[119:120], v[131:132]
	s_waitcnt vmcnt(26)
	v_fma_f64 v[131:132], v[137:138], v[121:122], v[119:120]
	ds_read_b128 v[119:122], v118 offset:832
	s_waitcnt vmcnt(24) lgkmcnt(0)
	v_fma_f64 v[119:120], v[139:140], v[119:120], v[131:132]
	s_waitcnt vmcnt(22)
	v_fma_f64 v[131:132], v[141:142], v[121:122], v[119:120]
	ds_read_b128 v[119:122], v118 offset:848
	;; [unrolled: 5-line block ×6, first 2 shown]
	s_waitcnt vmcnt(4) lgkmcnt(0)
	v_fma_f64 v[118:119], v[129:130], v[118:119], v[122:123]
	s_waitcnt vmcnt(2)
	v_fma_f64 v[118:119], v[127:128], v[120:121], v[118:119]
	s_waitcnt vmcnt(0)
	v_add_f64 v[118:119], v[133:134], -v[118:119]
	buffer_store_dword v119, off, s[0:3], 0 offset:300
	buffer_store_dword v118, off, s[0:3], 0 offset:296
	v_cmpx_lt_u32_e32 36, v0
	s_cbranch_execz .LBB121_285
; %bb.284:
	s_clause 0x1
	buffer_load_dword v118, off, s[0:3], 0 offset:288
	buffer_load_dword v119, off, s[0:3], 0 offset:292
	v_mov_b32_e32 v120, 0
	buffer_store_dword v120, off, s[0:3], 0 offset:288
	buffer_store_dword v120, off, s[0:3], 0 offset:292
	s_waitcnt vmcnt(0)
	ds_write_b64 v117, v[118:119]
.LBB121_285:
	s_or_b32 exec_lo, exec_lo, s4
	s_waitcnt lgkmcnt(0)
	s_waitcnt_vscnt null, 0x0
	s_barrier
	buffer_gl0_inv
	s_clause 0x1b
	buffer_load_dword v123, off, s[0:3], 0 offset:296
	buffer_load_dword v124, off, s[0:3], 0 offset:300
	;; [unrolled: 1-line block ×28, first 2 shown]
	v_mov_b32_e32 v118, 0
	s_mov_b32 s4, exec_lo
	ds_read2_b64 v[119:122], v118 offset0:95 offset1:96
	s_clause 0x1
	buffer_load_dword v151, off, s[0:3], 0 offset:408
	buffer_load_dword v152, off, s[0:3], 0 offset:412
	s_waitcnt vmcnt(28) lgkmcnt(0)
	v_fma_f64 v[119:120], v[123:124], v[119:120], 0
	s_clause 0x1
	buffer_load_dword v124, off, s[0:3], 0 offset:420
	buffer_load_dword v123, off, s[0:3], 0 offset:416
	s_waitcnt vmcnt(28)
	v_fma_f64 v[125:126], v[125:126], v[121:122], v[119:120]
	ds_read2_b64 v[119:122], v118 offset0:97 offset1:98
	s_clause 0x1
	buffer_load_dword v153, off, s[0:3], 0 offset:424
	buffer_load_dword v154, off, s[0:3], 0 offset:428
	s_waitcnt vmcnt(28) lgkmcnt(0)
	v_fma_f64 v[119:120], v[127:128], v[119:120], v[125:126]
	s_clause 0x1
	buffer_load_dword v125, off, s[0:3], 0 offset:432
	buffer_load_dword v126, off, s[0:3], 0 offset:436
	s_waitcnt vmcnt(28)
	v_fma_f64 v[127:128], v[129:130], v[121:122], v[119:120]
	;; [unrolled: 11-line block ×4, first 2 shown]
	ds_read2_b64 v[119:122], v118 offset0:103 offset1:104
	s_waitcnt vmcnt(26) lgkmcnt(0)
	v_fma_f64 v[119:120], v[139:140], v[119:120], v[135:136]
	s_waitcnt vmcnt(24)
	v_fma_f64 v[135:136], v[141:142], v[121:122], v[119:120]
	ds_read2_b64 v[119:122], v118 offset0:105 offset1:106
	s_waitcnt vmcnt(22) lgkmcnt(0)
	v_fma_f64 v[119:120], v[143:144], v[119:120], v[135:136]
	s_waitcnt vmcnt(20)
	v_fma_f64 v[135:136], v[145:146], v[121:122], v[119:120]
	;; [unrolled: 5-line block ×6, first 2 shown]
	ds_read_b64 v[121:122], v118 offset:920
	s_waitcnt vmcnt(2) lgkmcnt(0)
	v_fma_f64 v[119:120], v[133:134], v[121:122], v[119:120]
	s_waitcnt vmcnt(0)
	v_add_f64 v[119:120], v[131:132], -v[119:120]
	buffer_store_dword v120, off, s[0:3], 0 offset:292
	buffer_store_dword v119, off, s[0:3], 0 offset:288
	v_cmpx_lt_u32_e32 35, v0
	s_cbranch_execz .LBB121_287
; %bb.286:
	s_clause 0x1
	buffer_load_dword v119, off, s[0:3], 0 offset:280
	buffer_load_dword v120, off, s[0:3], 0 offset:284
	buffer_store_dword v118, off, s[0:3], 0 offset:280
	buffer_store_dword v118, off, s[0:3], 0 offset:284
	s_waitcnt vmcnt(0)
	ds_write_b64 v117, v[119:120]
.LBB121_287:
	s_or_b32 exec_lo, exec_lo, s4
	s_waitcnt lgkmcnt(0)
	s_waitcnt_vscnt null, 0x0
	s_barrier
	buffer_gl0_inv
	s_clause 0x1b
	buffer_load_dword v123, off, s[0:3], 0 offset:288
	buffer_load_dword v124, off, s[0:3], 0 offset:292
	;; [unrolled: 1-line block ×28, first 2 shown]
	ds_read_b128 v[119:122], v118 offset:752
	s_clause 0x1
	buffer_load_dword v151, off, s[0:3], 0 offset:400
	buffer_load_dword v152, off, s[0:3], 0 offset:404
	s_mov_b32 s4, exec_lo
	s_waitcnt vmcnt(28) lgkmcnt(0)
	v_fma_f64 v[119:120], v[123:124], v[119:120], 0
	s_clause 0x1
	buffer_load_dword v124, off, s[0:3], 0 offset:412
	buffer_load_dword v123, off, s[0:3], 0 offset:408
	s_waitcnt vmcnt(28)
	v_fma_f64 v[125:126], v[125:126], v[121:122], v[119:120]
	ds_read_b128 v[119:122], v118 offset:768
	s_clause 0x1
	buffer_load_dword v153, off, s[0:3], 0 offset:416
	buffer_load_dword v154, off, s[0:3], 0 offset:420
	s_waitcnt vmcnt(28) lgkmcnt(0)
	v_fma_f64 v[119:120], v[127:128], v[119:120], v[125:126]
	s_clause 0x1
	buffer_load_dword v125, off, s[0:3], 0 offset:424
	buffer_load_dword v126, off, s[0:3], 0 offset:428
	s_waitcnt vmcnt(28)
	v_fma_f64 v[127:128], v[129:130], v[121:122], v[119:120]
	ds_read_b128 v[119:122], v118 offset:784
	s_clause 0x1
	buffer_load_dword v129, off, s[0:3], 0 offset:432
	buffer_load_dword v130, off, s[0:3], 0 offset:436
	;; [unrolled: 11-line block ×4, first 2 shown]
	s_waitcnt vmcnt(28) lgkmcnt(0)
	v_fma_f64 v[119:120], v[139:140], v[119:120], v[135:136]
	s_waitcnt vmcnt(26)
	v_fma_f64 v[135:136], v[141:142], v[121:122], v[119:120]
	ds_read_b128 v[119:122], v118 offset:832
	s_waitcnt vmcnt(24) lgkmcnt(0)
	v_fma_f64 v[119:120], v[143:144], v[119:120], v[135:136]
	s_waitcnt vmcnt(22)
	v_fma_f64 v[135:136], v[145:146], v[121:122], v[119:120]
	ds_read_b128 v[119:122], v118 offset:848
	;; [unrolled: 5-line block ×6, first 2 shown]
	s_waitcnt vmcnt(4) lgkmcnt(0)
	v_fma_f64 v[118:119], v[133:134], v[118:119], v[122:123]
	s_waitcnt vmcnt(2)
	v_fma_f64 v[118:119], v[131:132], v[120:121], v[118:119]
	s_waitcnt vmcnt(0)
	v_add_f64 v[118:119], v[137:138], -v[118:119]
	buffer_store_dword v119, off, s[0:3], 0 offset:284
	buffer_store_dword v118, off, s[0:3], 0 offset:280
	v_cmpx_lt_u32_e32 34, v0
	s_cbranch_execz .LBB121_289
; %bb.288:
	s_clause 0x1
	buffer_load_dword v118, off, s[0:3], 0 offset:272
	buffer_load_dword v119, off, s[0:3], 0 offset:276
	v_mov_b32_e32 v120, 0
	buffer_store_dword v120, off, s[0:3], 0 offset:272
	buffer_store_dword v120, off, s[0:3], 0 offset:276
	s_waitcnt vmcnt(0)
	ds_write_b64 v117, v[118:119]
.LBB121_289:
	s_or_b32 exec_lo, exec_lo, s4
	s_waitcnt lgkmcnt(0)
	s_waitcnt_vscnt null, 0x0
	s_barrier
	buffer_gl0_inv
	s_clause 0x1b
	buffer_load_dword v123, off, s[0:3], 0 offset:280
	buffer_load_dword v124, off, s[0:3], 0 offset:284
	buffer_load_dword v125, off, s[0:3], 0 offset:288
	buffer_load_dword v126, off, s[0:3], 0 offset:292
	buffer_load_dword v127, off, s[0:3], 0 offset:296
	buffer_load_dword v128, off, s[0:3], 0 offset:300
	buffer_load_dword v129, off, s[0:3], 0 offset:304
	buffer_load_dword v130, off, s[0:3], 0 offset:308
	buffer_load_dword v131, off, s[0:3], 0 offset:312
	buffer_load_dword v132, off, s[0:3], 0 offset:316
	buffer_load_dword v133, off, s[0:3], 0 offset:320
	buffer_load_dword v134, off, s[0:3], 0 offset:324
	buffer_load_dword v135, off, s[0:3], 0 offset:328
	buffer_load_dword v136, off, s[0:3], 0 offset:332
	buffer_load_dword v138, off, s[0:3], 0 offset:340
	buffer_load_dword v137, off, s[0:3], 0 offset:336
	buffer_load_dword v139, off, s[0:3], 0 offset:344
	buffer_load_dword v140, off, s[0:3], 0 offset:348
	buffer_load_dword v141, off, s[0:3], 0 offset:352
	buffer_load_dword v142, off, s[0:3], 0 offset:356
	buffer_load_dword v143, off, s[0:3], 0 offset:360
	buffer_load_dword v144, off, s[0:3], 0 offset:364
	buffer_load_dword v146, off, s[0:3], 0 offset:372
	buffer_load_dword v145, off, s[0:3], 0 offset:368
	buffer_load_dword v147, off, s[0:3], 0 offset:376
	buffer_load_dword v148, off, s[0:3], 0 offset:380
	buffer_load_dword v149, off, s[0:3], 0 offset:384
	buffer_load_dword v150, off, s[0:3], 0 offset:388
	v_mov_b32_e32 v118, 0
	s_mov_b32 s4, exec_lo
	ds_read2_b64 v[119:122], v118 offset0:93 offset1:94
	s_clause 0x1
	buffer_load_dword v151, off, s[0:3], 0 offset:392
	buffer_load_dword v152, off, s[0:3], 0 offset:396
	s_waitcnt vmcnt(28) lgkmcnt(0)
	v_fma_f64 v[119:120], v[123:124], v[119:120], 0
	s_clause 0x1
	buffer_load_dword v124, off, s[0:3], 0 offset:404
	buffer_load_dword v123, off, s[0:3], 0 offset:400
	s_waitcnt vmcnt(28)
	v_fma_f64 v[125:126], v[125:126], v[121:122], v[119:120]
	ds_read2_b64 v[119:122], v118 offset0:95 offset1:96
	s_clause 0x1
	buffer_load_dword v153, off, s[0:3], 0 offset:408
	buffer_load_dword v154, off, s[0:3], 0 offset:412
	s_waitcnt vmcnt(28) lgkmcnt(0)
	v_fma_f64 v[119:120], v[127:128], v[119:120], v[125:126]
	s_clause 0x1
	buffer_load_dword v125, off, s[0:3], 0 offset:416
	buffer_load_dword v126, off, s[0:3], 0 offset:420
	s_waitcnt vmcnt(28)
	v_fma_f64 v[127:128], v[129:130], v[121:122], v[119:120]
	;; [unrolled: 11-line block ×5, first 2 shown]
	ds_read2_b64 v[119:122], v118 offset0:103 offset1:104
	s_waitcnt vmcnt(26) lgkmcnt(0)
	v_fma_f64 v[119:120], v[143:144], v[119:120], v[139:140]
	s_waitcnt vmcnt(24)
	v_fma_f64 v[139:140], v[145:146], v[121:122], v[119:120]
	ds_read2_b64 v[119:122], v118 offset0:105 offset1:106
	s_waitcnt vmcnt(22) lgkmcnt(0)
	v_fma_f64 v[119:120], v[147:148], v[119:120], v[139:140]
	s_waitcnt vmcnt(20)
	v_fma_f64 v[139:140], v[149:150], v[121:122], v[119:120]
	;; [unrolled: 5-line block ×6, first 2 shown]
	ds_read_b64 v[121:122], v118 offset:920
	s_waitcnt vmcnt(2) lgkmcnt(0)
	v_fma_f64 v[119:120], v[137:138], v[121:122], v[119:120]
	s_waitcnt vmcnt(0)
	v_add_f64 v[119:120], v[135:136], -v[119:120]
	buffer_store_dword v120, off, s[0:3], 0 offset:276
	buffer_store_dword v119, off, s[0:3], 0 offset:272
	v_cmpx_lt_u32_e32 33, v0
	s_cbranch_execz .LBB121_291
; %bb.290:
	s_clause 0x1
	buffer_load_dword v119, off, s[0:3], 0 offset:264
	buffer_load_dword v120, off, s[0:3], 0 offset:268
	buffer_store_dword v118, off, s[0:3], 0 offset:264
	buffer_store_dword v118, off, s[0:3], 0 offset:268
	s_waitcnt vmcnt(0)
	ds_write_b64 v117, v[119:120]
.LBB121_291:
	s_or_b32 exec_lo, exec_lo, s4
	s_waitcnt lgkmcnt(0)
	s_waitcnt_vscnt null, 0x0
	s_barrier
	buffer_gl0_inv
	s_clause 0x1b
	buffer_load_dword v123, off, s[0:3], 0 offset:272
	buffer_load_dword v124, off, s[0:3], 0 offset:276
	buffer_load_dword v125, off, s[0:3], 0 offset:280
	buffer_load_dword v126, off, s[0:3], 0 offset:284
	buffer_load_dword v127, off, s[0:3], 0 offset:288
	buffer_load_dword v128, off, s[0:3], 0 offset:292
	buffer_load_dword v129, off, s[0:3], 0 offset:296
	buffer_load_dword v130, off, s[0:3], 0 offset:300
	buffer_load_dword v131, off, s[0:3], 0 offset:304
	buffer_load_dword v132, off, s[0:3], 0 offset:308
	buffer_load_dword v133, off, s[0:3], 0 offset:312
	buffer_load_dword v134, off, s[0:3], 0 offset:316
	buffer_load_dword v135, off, s[0:3], 0 offset:320
	buffer_load_dword v136, off, s[0:3], 0 offset:324
	buffer_load_dword v138, off, s[0:3], 0 offset:332
	buffer_load_dword v137, off, s[0:3], 0 offset:328
	buffer_load_dword v139, off, s[0:3], 0 offset:336
	buffer_load_dword v140, off, s[0:3], 0 offset:340
	buffer_load_dword v141, off, s[0:3], 0 offset:344
	buffer_load_dword v142, off, s[0:3], 0 offset:348
	buffer_load_dword v143, off, s[0:3], 0 offset:352
	buffer_load_dword v144, off, s[0:3], 0 offset:356
	buffer_load_dword v146, off, s[0:3], 0 offset:364
	buffer_load_dword v145, off, s[0:3], 0 offset:360
	buffer_load_dword v147, off, s[0:3], 0 offset:368
	buffer_load_dword v148, off, s[0:3], 0 offset:372
	buffer_load_dword v149, off, s[0:3], 0 offset:376
	buffer_load_dword v150, off, s[0:3], 0 offset:380
	ds_read_b128 v[119:122], v118 offset:736
	s_clause 0x1
	buffer_load_dword v151, off, s[0:3], 0 offset:384
	buffer_load_dword v152, off, s[0:3], 0 offset:388
	s_mov_b32 s4, exec_lo
	s_waitcnt vmcnt(28) lgkmcnt(0)
	v_fma_f64 v[119:120], v[123:124], v[119:120], 0
	s_clause 0x1
	buffer_load_dword v124, off, s[0:3], 0 offset:396
	buffer_load_dword v123, off, s[0:3], 0 offset:392
	s_waitcnt vmcnt(28)
	v_fma_f64 v[125:126], v[125:126], v[121:122], v[119:120]
	ds_read_b128 v[119:122], v118 offset:752
	s_clause 0x1
	buffer_load_dword v153, off, s[0:3], 0 offset:400
	buffer_load_dword v154, off, s[0:3], 0 offset:404
	s_waitcnt vmcnt(28) lgkmcnt(0)
	v_fma_f64 v[119:120], v[127:128], v[119:120], v[125:126]
	s_clause 0x1
	buffer_load_dword v125, off, s[0:3], 0 offset:408
	buffer_load_dword v126, off, s[0:3], 0 offset:412
	s_waitcnt vmcnt(28)
	v_fma_f64 v[127:128], v[129:130], v[121:122], v[119:120]
	ds_read_b128 v[119:122], v118 offset:768
	s_clause 0x1
	buffer_load_dword v129, off, s[0:3], 0 offset:416
	buffer_load_dword v130, off, s[0:3], 0 offset:420
	;; [unrolled: 11-line block ×5, first 2 shown]
	s_waitcnt vmcnt(28) lgkmcnt(0)
	v_fma_f64 v[119:120], v[143:144], v[119:120], v[139:140]
	s_waitcnt vmcnt(26)
	v_fma_f64 v[139:140], v[145:146], v[121:122], v[119:120]
	ds_read_b128 v[119:122], v118 offset:832
	s_waitcnt vmcnt(24) lgkmcnt(0)
	v_fma_f64 v[119:120], v[147:148], v[119:120], v[139:140]
	s_waitcnt vmcnt(22)
	v_fma_f64 v[139:140], v[149:150], v[121:122], v[119:120]
	ds_read_b128 v[119:122], v118 offset:848
	;; [unrolled: 5-line block ×6, first 2 shown]
	s_waitcnt vmcnt(4) lgkmcnt(0)
	v_fma_f64 v[118:119], v[137:138], v[118:119], v[122:123]
	s_waitcnt vmcnt(2)
	v_fma_f64 v[118:119], v[135:136], v[120:121], v[118:119]
	s_waitcnt vmcnt(0)
	v_add_f64 v[118:119], v[141:142], -v[118:119]
	buffer_store_dword v119, off, s[0:3], 0 offset:268
	buffer_store_dword v118, off, s[0:3], 0 offset:264
	v_cmpx_lt_u32_e32 32, v0
	s_cbranch_execz .LBB121_293
; %bb.292:
	s_clause 0x1
	buffer_load_dword v118, off, s[0:3], 0 offset:256
	buffer_load_dword v119, off, s[0:3], 0 offset:260
	v_mov_b32_e32 v120, 0
	buffer_store_dword v120, off, s[0:3], 0 offset:256
	buffer_store_dword v120, off, s[0:3], 0 offset:260
	s_waitcnt vmcnt(0)
	ds_write_b64 v117, v[118:119]
.LBB121_293:
	s_or_b32 exec_lo, exec_lo, s4
	s_waitcnt lgkmcnt(0)
	s_waitcnt_vscnt null, 0x0
	s_barrier
	buffer_gl0_inv
	s_clause 0x1b
	buffer_load_dword v123, off, s[0:3], 0 offset:264
	buffer_load_dword v124, off, s[0:3], 0 offset:268
	;; [unrolled: 1-line block ×28, first 2 shown]
	v_mov_b32_e32 v118, 0
	s_mov_b32 s4, exec_lo
	ds_read2_b64 v[119:122], v118 offset0:91 offset1:92
	s_clause 0x1
	buffer_load_dword v151, off, s[0:3], 0 offset:376
	buffer_load_dword v152, off, s[0:3], 0 offset:380
	s_waitcnt vmcnt(28) lgkmcnt(0)
	v_fma_f64 v[119:120], v[123:124], v[119:120], 0
	s_clause 0x1
	buffer_load_dword v124, off, s[0:3], 0 offset:388
	buffer_load_dword v123, off, s[0:3], 0 offset:384
	s_waitcnt vmcnt(28)
	v_fma_f64 v[125:126], v[125:126], v[121:122], v[119:120]
	ds_read2_b64 v[119:122], v118 offset0:93 offset1:94
	s_clause 0x1
	buffer_load_dword v153, off, s[0:3], 0 offset:392
	buffer_load_dword v154, off, s[0:3], 0 offset:396
	s_waitcnt vmcnt(28) lgkmcnt(0)
	v_fma_f64 v[119:120], v[127:128], v[119:120], v[125:126]
	s_clause 0x1
	buffer_load_dword v125, off, s[0:3], 0 offset:400
	buffer_load_dword v126, off, s[0:3], 0 offset:404
	s_waitcnt vmcnt(28)
	v_fma_f64 v[127:128], v[129:130], v[121:122], v[119:120]
	;; [unrolled: 11-line block ×6, first 2 shown]
	ds_read2_b64 v[119:122], v118 offset0:103 offset1:104
	s_waitcnt vmcnt(26) lgkmcnt(0)
	v_fma_f64 v[119:120], v[147:148], v[119:120], v[143:144]
	s_waitcnt vmcnt(24)
	v_fma_f64 v[143:144], v[149:150], v[121:122], v[119:120]
	ds_read2_b64 v[119:122], v118 offset0:105 offset1:106
	s_waitcnt vmcnt(22) lgkmcnt(0)
	v_fma_f64 v[119:120], v[151:152], v[119:120], v[143:144]
	s_waitcnt vmcnt(20)
	v_fma_f64 v[123:124], v[123:124], v[121:122], v[119:120]
	;; [unrolled: 5-line block ×6, first 2 shown]
	ds_read_b64 v[121:122], v118 offset:920
	s_waitcnt vmcnt(2) lgkmcnt(0)
	v_fma_f64 v[119:120], v[141:142], v[121:122], v[119:120]
	s_waitcnt vmcnt(0)
	v_add_f64 v[119:120], v[139:140], -v[119:120]
	buffer_store_dword v120, off, s[0:3], 0 offset:260
	buffer_store_dword v119, off, s[0:3], 0 offset:256
	v_cmpx_lt_u32_e32 31, v0
	s_cbranch_execz .LBB121_295
; %bb.294:
	s_clause 0x1
	buffer_load_dword v119, off, s[0:3], 0 offset:248
	buffer_load_dword v120, off, s[0:3], 0 offset:252
	buffer_store_dword v118, off, s[0:3], 0 offset:248
	buffer_store_dword v118, off, s[0:3], 0 offset:252
	s_waitcnt vmcnt(0)
	ds_write_b64 v117, v[119:120]
.LBB121_295:
	s_or_b32 exec_lo, exec_lo, s4
	s_waitcnt lgkmcnt(0)
	s_waitcnt_vscnt null, 0x0
	s_barrier
	buffer_gl0_inv
	s_clause 0x1b
	buffer_load_dword v123, off, s[0:3], 0 offset:256
	buffer_load_dword v124, off, s[0:3], 0 offset:260
	;; [unrolled: 1-line block ×28, first 2 shown]
	ds_read_b128 v[119:122], v118 offset:720
	s_clause 0x1
	buffer_load_dword v151, off, s[0:3], 0 offset:368
	buffer_load_dword v152, off, s[0:3], 0 offset:372
	s_mov_b32 s4, exec_lo
	s_waitcnt vmcnt(28) lgkmcnt(0)
	v_fma_f64 v[119:120], v[123:124], v[119:120], 0
	s_clause 0x1
	buffer_load_dword v124, off, s[0:3], 0 offset:380
	buffer_load_dword v123, off, s[0:3], 0 offset:376
	s_waitcnt vmcnt(28)
	v_fma_f64 v[125:126], v[125:126], v[121:122], v[119:120]
	ds_read_b128 v[119:122], v118 offset:736
	s_clause 0x1
	buffer_load_dword v153, off, s[0:3], 0 offset:384
	buffer_load_dword v154, off, s[0:3], 0 offset:388
	s_waitcnt vmcnt(28) lgkmcnt(0)
	v_fma_f64 v[119:120], v[127:128], v[119:120], v[125:126]
	s_clause 0x1
	buffer_load_dword v125, off, s[0:3], 0 offset:392
	buffer_load_dword v126, off, s[0:3], 0 offset:396
	s_waitcnt vmcnt(28)
	v_fma_f64 v[127:128], v[129:130], v[121:122], v[119:120]
	ds_read_b128 v[119:122], v118 offset:752
	s_clause 0x1
	buffer_load_dword v129, off, s[0:3], 0 offset:400
	buffer_load_dword v130, off, s[0:3], 0 offset:404
	;; [unrolled: 11-line block ×6, first 2 shown]
	s_waitcnt vmcnt(28) lgkmcnt(0)
	v_fma_f64 v[119:120], v[147:148], v[119:120], v[143:144]
	s_waitcnt vmcnt(26)
	v_fma_f64 v[143:144], v[149:150], v[121:122], v[119:120]
	ds_read_b128 v[119:122], v118 offset:832
	s_waitcnt vmcnt(24) lgkmcnt(0)
	v_fma_f64 v[119:120], v[151:152], v[119:120], v[143:144]
	s_waitcnt vmcnt(22)
	v_fma_f64 v[123:124], v[123:124], v[121:122], v[119:120]
	ds_read_b128 v[119:122], v118 offset:848
	;; [unrolled: 5-line block ×6, first 2 shown]
	s_waitcnt vmcnt(4) lgkmcnt(0)
	v_fma_f64 v[118:119], v[141:142], v[118:119], v[122:123]
	s_waitcnt vmcnt(2)
	v_fma_f64 v[118:119], v[139:140], v[120:121], v[118:119]
	s_waitcnt vmcnt(0)
	v_add_f64 v[118:119], v[145:146], -v[118:119]
	buffer_store_dword v119, off, s[0:3], 0 offset:252
	buffer_store_dword v118, off, s[0:3], 0 offset:248
	v_cmpx_lt_u32_e32 30, v0
	s_cbranch_execz .LBB121_297
; %bb.296:
	s_clause 0x1
	buffer_load_dword v118, off, s[0:3], 0 offset:240
	buffer_load_dword v119, off, s[0:3], 0 offset:244
	v_mov_b32_e32 v120, 0
	buffer_store_dword v120, off, s[0:3], 0 offset:240
	buffer_store_dword v120, off, s[0:3], 0 offset:244
	s_waitcnt vmcnt(0)
	ds_write_b64 v117, v[118:119]
.LBB121_297:
	s_or_b32 exec_lo, exec_lo, s4
	s_waitcnt lgkmcnt(0)
	s_waitcnt_vscnt null, 0x0
	s_barrier
	buffer_gl0_inv
	s_clause 0x1b
	buffer_load_dword v123, off, s[0:3], 0 offset:248
	buffer_load_dword v124, off, s[0:3], 0 offset:252
	;; [unrolled: 1-line block ×28, first 2 shown]
	v_mov_b32_e32 v118, 0
	s_mov_b32 s4, exec_lo
	ds_read2_b64 v[119:122], v118 offset0:89 offset1:90
	s_clause 0x1
	buffer_load_dword v151, off, s[0:3], 0 offset:360
	buffer_load_dword v152, off, s[0:3], 0 offset:364
	s_waitcnt vmcnt(28) lgkmcnt(0)
	v_fma_f64 v[119:120], v[123:124], v[119:120], 0
	s_clause 0x1
	buffer_load_dword v124, off, s[0:3], 0 offset:372
	buffer_load_dword v123, off, s[0:3], 0 offset:368
	s_waitcnt vmcnt(28)
	v_fma_f64 v[125:126], v[125:126], v[121:122], v[119:120]
	ds_read2_b64 v[119:122], v118 offset0:91 offset1:92
	s_clause 0x1
	buffer_load_dword v153, off, s[0:3], 0 offset:376
	buffer_load_dword v154, off, s[0:3], 0 offset:380
	s_waitcnt vmcnt(28) lgkmcnt(0)
	v_fma_f64 v[119:120], v[127:128], v[119:120], v[125:126]
	s_clause 0x1
	buffer_load_dword v125, off, s[0:3], 0 offset:384
	buffer_load_dword v126, off, s[0:3], 0 offset:388
	s_waitcnt vmcnt(28)
	v_fma_f64 v[127:128], v[129:130], v[121:122], v[119:120]
	;; [unrolled: 11-line block ×7, first 2 shown]
	ds_read2_b64 v[119:122], v118 offset0:103 offset1:104
	s_waitcnt vmcnt(26) lgkmcnt(0)
	v_fma_f64 v[119:120], v[151:152], v[119:120], v[147:148]
	s_waitcnt vmcnt(24)
	v_fma_f64 v[123:124], v[123:124], v[121:122], v[119:120]
	ds_read2_b64 v[119:122], v118 offset0:105 offset1:106
	s_waitcnt vmcnt(22) lgkmcnt(0)
	v_fma_f64 v[119:120], v[153:154], v[119:120], v[123:124]
	s_waitcnt vmcnt(20)
	v_fma_f64 v[123:124], v[125:126], v[121:122], v[119:120]
	;; [unrolled: 5-line block ×6, first 2 shown]
	ds_read_b64 v[121:122], v118 offset:920
	s_waitcnt vmcnt(2) lgkmcnt(0)
	v_fma_f64 v[119:120], v[145:146], v[121:122], v[119:120]
	s_waitcnt vmcnt(0)
	v_add_f64 v[119:120], v[143:144], -v[119:120]
	buffer_store_dword v120, off, s[0:3], 0 offset:244
	buffer_store_dword v119, off, s[0:3], 0 offset:240
	v_cmpx_lt_u32_e32 29, v0
	s_cbranch_execz .LBB121_299
; %bb.298:
	s_clause 0x1
	buffer_load_dword v119, off, s[0:3], 0 offset:232
	buffer_load_dword v120, off, s[0:3], 0 offset:236
	buffer_store_dword v118, off, s[0:3], 0 offset:232
	buffer_store_dword v118, off, s[0:3], 0 offset:236
	s_waitcnt vmcnt(0)
	ds_write_b64 v117, v[119:120]
.LBB121_299:
	s_or_b32 exec_lo, exec_lo, s4
	s_waitcnt lgkmcnt(0)
	s_waitcnt_vscnt null, 0x0
	s_barrier
	buffer_gl0_inv
	s_clause 0x1b
	buffer_load_dword v123, off, s[0:3], 0 offset:240
	buffer_load_dword v124, off, s[0:3], 0 offset:244
	;; [unrolled: 1-line block ×28, first 2 shown]
	ds_read_b128 v[119:122], v118 offset:704
	s_clause 0x1
	buffer_load_dword v151, off, s[0:3], 0 offset:352
	buffer_load_dword v152, off, s[0:3], 0 offset:356
	s_mov_b32 s4, exec_lo
	s_waitcnt vmcnt(28) lgkmcnt(0)
	v_fma_f64 v[119:120], v[123:124], v[119:120], 0
	s_clause 0x1
	buffer_load_dword v124, off, s[0:3], 0 offset:364
	buffer_load_dword v123, off, s[0:3], 0 offset:360
	s_waitcnt vmcnt(28)
	v_fma_f64 v[125:126], v[125:126], v[121:122], v[119:120]
	ds_read_b128 v[119:122], v118 offset:720
	s_clause 0x1
	buffer_load_dword v153, off, s[0:3], 0 offset:368
	buffer_load_dword v154, off, s[0:3], 0 offset:372
	s_waitcnt vmcnt(28) lgkmcnt(0)
	v_fma_f64 v[119:120], v[127:128], v[119:120], v[125:126]
	s_clause 0x1
	buffer_load_dword v125, off, s[0:3], 0 offset:376
	buffer_load_dword v126, off, s[0:3], 0 offset:380
	s_waitcnt vmcnt(28)
	v_fma_f64 v[127:128], v[129:130], v[121:122], v[119:120]
	ds_read_b128 v[119:122], v118 offset:736
	s_clause 0x1
	buffer_load_dword v129, off, s[0:3], 0 offset:384
	buffer_load_dword v130, off, s[0:3], 0 offset:388
	;; [unrolled: 11-line block ×7, first 2 shown]
	s_waitcnt vmcnt(28) lgkmcnt(0)
	v_fma_f64 v[119:120], v[151:152], v[119:120], v[147:148]
	s_waitcnt vmcnt(26)
	v_fma_f64 v[123:124], v[123:124], v[121:122], v[119:120]
	ds_read_b128 v[119:122], v118 offset:832
	s_waitcnt vmcnt(24) lgkmcnt(0)
	v_fma_f64 v[119:120], v[153:154], v[119:120], v[123:124]
	s_waitcnt vmcnt(22)
	v_fma_f64 v[123:124], v[125:126], v[121:122], v[119:120]
	ds_read_b128 v[119:122], v118 offset:848
	;; [unrolled: 5-line block ×6, first 2 shown]
	s_waitcnt vmcnt(4) lgkmcnt(0)
	v_fma_f64 v[118:119], v[145:146], v[118:119], v[122:123]
	s_waitcnt vmcnt(2)
	v_fma_f64 v[118:119], v[143:144], v[120:121], v[118:119]
	s_waitcnt vmcnt(0)
	v_add_f64 v[118:119], v[149:150], -v[118:119]
	buffer_store_dword v119, off, s[0:3], 0 offset:236
	buffer_store_dword v118, off, s[0:3], 0 offset:232
	v_cmpx_lt_u32_e32 28, v0
	s_cbranch_execz .LBB121_301
; %bb.300:
	s_clause 0x1
	buffer_load_dword v118, off, s[0:3], 0 offset:224
	buffer_load_dword v119, off, s[0:3], 0 offset:228
	v_mov_b32_e32 v120, 0
	buffer_store_dword v120, off, s[0:3], 0 offset:224
	buffer_store_dword v120, off, s[0:3], 0 offset:228
	s_waitcnt vmcnt(0)
	ds_write_b64 v117, v[118:119]
.LBB121_301:
	s_or_b32 exec_lo, exec_lo, s4
	s_waitcnt lgkmcnt(0)
	s_waitcnt_vscnt null, 0x0
	s_barrier
	buffer_gl0_inv
	s_clause 0x1b
	buffer_load_dword v123, off, s[0:3], 0 offset:232
	buffer_load_dword v124, off, s[0:3], 0 offset:236
	;; [unrolled: 1-line block ×28, first 2 shown]
	v_mov_b32_e32 v118, 0
	s_mov_b32 s4, exec_lo
	ds_read2_b64 v[119:122], v118 offset0:87 offset1:88
	s_clause 0x1
	buffer_load_dword v151, off, s[0:3], 0 offset:344
	buffer_load_dword v152, off, s[0:3], 0 offset:348
	s_waitcnt vmcnt(28) lgkmcnt(0)
	v_fma_f64 v[119:120], v[123:124], v[119:120], 0
	s_clause 0x1
	buffer_load_dword v124, off, s[0:3], 0 offset:356
	buffer_load_dword v123, off, s[0:3], 0 offset:352
	s_waitcnt vmcnt(28)
	v_fma_f64 v[125:126], v[125:126], v[121:122], v[119:120]
	ds_read2_b64 v[119:122], v118 offset0:89 offset1:90
	s_clause 0x1
	buffer_load_dword v153, off, s[0:3], 0 offset:360
	buffer_load_dword v154, off, s[0:3], 0 offset:364
	s_waitcnt vmcnt(28) lgkmcnt(0)
	v_fma_f64 v[119:120], v[127:128], v[119:120], v[125:126]
	s_clause 0x1
	buffer_load_dword v125, off, s[0:3], 0 offset:368
	buffer_load_dword v126, off, s[0:3], 0 offset:372
	s_waitcnt vmcnt(28)
	v_fma_f64 v[127:128], v[129:130], v[121:122], v[119:120]
	;; [unrolled: 11-line block ×8, first 2 shown]
	ds_read2_b64 v[119:122], v118 offset0:103 offset1:104
	s_waitcnt vmcnt(26) lgkmcnt(0)
	v_fma_f64 v[119:120], v[153:154], v[119:120], v[123:124]
	s_waitcnt vmcnt(24)
	v_fma_f64 v[123:124], v[125:126], v[121:122], v[119:120]
	ds_read2_b64 v[119:122], v118 offset0:105 offset1:106
	s_waitcnt vmcnt(22) lgkmcnt(0)
	v_fma_f64 v[119:120], v[129:130], v[119:120], v[123:124]
	s_waitcnt vmcnt(20)
	v_fma_f64 v[123:124], v[127:128], v[121:122], v[119:120]
	ds_read2_b64 v[119:122], v118 offset0:107 offset1:108
	s_waitcnt vmcnt(18) lgkmcnt(0)
	v_fma_f64 v[119:120], v[133:134], v[119:120], v[123:124]
	s_waitcnt vmcnt(16)
	v_fma_f64 v[123:124], v[131:132], v[121:122], v[119:120]
	ds_read2_b64 v[119:122], v118 offset0:109 offset1:110
	s_waitcnt vmcnt(14) lgkmcnt(0)
	v_fma_f64 v[119:120], v[137:138], v[119:120], v[123:124]
	s_waitcnt vmcnt(12)
	v_fma_f64 v[123:124], v[135:136], v[121:122], v[119:120]
	ds_read2_b64 v[119:122], v118 offset0:111 offset1:112
	s_waitcnt vmcnt(10) lgkmcnt(0)
	v_fma_f64 v[119:120], v[141:142], v[119:120], v[123:124]
	s_waitcnt vmcnt(8)
	v_fma_f64 v[123:124], v[139:140], v[121:122], v[119:120]
	ds_read2_b64 v[119:122], v118 offset0:113 offset1:114
	s_waitcnt vmcnt(6) lgkmcnt(0)
	v_fma_f64 v[119:120], v[145:146], v[119:120], v[123:124]
	s_waitcnt vmcnt(4)
	v_fma_f64 v[119:120], v[143:144], v[121:122], v[119:120]
	ds_read_b64 v[121:122], v118 offset:920
	s_waitcnt vmcnt(2) lgkmcnt(0)
	v_fma_f64 v[119:120], v[149:150], v[121:122], v[119:120]
	s_waitcnt vmcnt(0)
	v_add_f64 v[119:120], v[147:148], -v[119:120]
	buffer_store_dword v120, off, s[0:3], 0 offset:228
	buffer_store_dword v119, off, s[0:3], 0 offset:224
	v_cmpx_lt_u32_e32 27, v0
	s_cbranch_execz .LBB121_303
; %bb.302:
	s_clause 0x1
	buffer_load_dword v119, off, s[0:3], 0 offset:216
	buffer_load_dword v120, off, s[0:3], 0 offset:220
	buffer_store_dword v118, off, s[0:3], 0 offset:216
	buffer_store_dword v118, off, s[0:3], 0 offset:220
	s_waitcnt vmcnt(0)
	ds_write_b64 v117, v[119:120]
.LBB121_303:
	s_or_b32 exec_lo, exec_lo, s4
	s_waitcnt lgkmcnt(0)
	s_waitcnt_vscnt null, 0x0
	s_barrier
	buffer_gl0_inv
	s_clause 0x1b
	buffer_load_dword v123, off, s[0:3], 0 offset:224
	buffer_load_dword v124, off, s[0:3], 0 offset:228
	;; [unrolled: 1-line block ×28, first 2 shown]
	ds_read_b128 v[119:122], v118 offset:688
	s_clause 0x1
	buffer_load_dword v151, off, s[0:3], 0 offset:336
	buffer_load_dword v152, off, s[0:3], 0 offset:340
	s_mov_b32 s4, exec_lo
	s_waitcnt vmcnt(28) lgkmcnt(0)
	v_fma_f64 v[119:120], v[123:124], v[119:120], 0
	s_clause 0x1
	buffer_load_dword v124, off, s[0:3], 0 offset:348
	buffer_load_dword v123, off, s[0:3], 0 offset:344
	s_waitcnt vmcnt(28)
	v_fma_f64 v[125:126], v[125:126], v[121:122], v[119:120]
	ds_read_b128 v[119:122], v118 offset:704
	s_clause 0x1
	buffer_load_dword v153, off, s[0:3], 0 offset:352
	buffer_load_dword v154, off, s[0:3], 0 offset:356
	s_waitcnt vmcnt(28) lgkmcnt(0)
	v_fma_f64 v[119:120], v[127:128], v[119:120], v[125:126]
	s_clause 0x1
	buffer_load_dword v125, off, s[0:3], 0 offset:360
	buffer_load_dword v126, off, s[0:3], 0 offset:364
	s_waitcnt vmcnt(28)
	v_fma_f64 v[127:128], v[129:130], v[121:122], v[119:120]
	ds_read_b128 v[119:122], v118 offset:720
	s_clause 0x1
	buffer_load_dword v129, off, s[0:3], 0 offset:368
	buffer_load_dword v130, off, s[0:3], 0 offset:372
	;; [unrolled: 11-line block ×8, first 2 shown]
	s_waitcnt vmcnt(28) lgkmcnt(0)
	v_fma_f64 v[119:120], v[153:154], v[119:120], v[123:124]
	s_waitcnt vmcnt(26)
	v_fma_f64 v[123:124], v[125:126], v[121:122], v[119:120]
	ds_read_b128 v[119:122], v118 offset:832
	s_waitcnt vmcnt(24) lgkmcnt(0)
	v_fma_f64 v[119:120], v[129:130], v[119:120], v[123:124]
	s_waitcnt vmcnt(22)
	v_fma_f64 v[123:124], v[127:128], v[121:122], v[119:120]
	ds_read_b128 v[119:122], v118 offset:848
	;; [unrolled: 5-line block ×6, first 2 shown]
	s_waitcnt vmcnt(4) lgkmcnt(0)
	v_fma_f64 v[118:119], v[149:150], v[118:119], v[122:123]
	s_waitcnt vmcnt(2)
	v_fma_f64 v[118:119], v[147:148], v[120:121], v[118:119]
	s_waitcnt vmcnt(0)
	v_add_f64 v[118:119], v[151:152], -v[118:119]
	buffer_store_dword v119, off, s[0:3], 0 offset:220
	buffer_store_dword v118, off, s[0:3], 0 offset:216
	v_cmpx_lt_u32_e32 26, v0
	s_cbranch_execz .LBB121_305
; %bb.304:
	s_clause 0x1
	buffer_load_dword v118, off, s[0:3], 0 offset:208
	buffer_load_dword v119, off, s[0:3], 0 offset:212
	v_mov_b32_e32 v120, 0
	buffer_store_dword v120, off, s[0:3], 0 offset:208
	buffer_store_dword v120, off, s[0:3], 0 offset:212
	s_waitcnt vmcnt(0)
	ds_write_b64 v117, v[118:119]
.LBB121_305:
	s_or_b32 exec_lo, exec_lo, s4
	s_waitcnt lgkmcnt(0)
	s_waitcnt_vscnt null, 0x0
	s_barrier
	buffer_gl0_inv
	s_clause 0x1b
	buffer_load_dword v123, off, s[0:3], 0 offset:216
	buffer_load_dword v124, off, s[0:3], 0 offset:220
	;; [unrolled: 1-line block ×28, first 2 shown]
	v_mov_b32_e32 v118, 0
	s_mov_b32 s4, exec_lo
	ds_read2_b64 v[119:122], v118 offset0:85 offset1:86
	s_clause 0x1
	buffer_load_dword v151, off, s[0:3], 0 offset:328
	buffer_load_dword v152, off, s[0:3], 0 offset:332
	s_waitcnt vmcnt(28) lgkmcnt(0)
	v_fma_f64 v[119:120], v[123:124], v[119:120], 0
	s_clause 0x1
	buffer_load_dword v124, off, s[0:3], 0 offset:340
	buffer_load_dword v123, off, s[0:3], 0 offset:336
	s_waitcnt vmcnt(28)
	v_fma_f64 v[125:126], v[125:126], v[121:122], v[119:120]
	ds_read2_b64 v[119:122], v118 offset0:87 offset1:88
	s_clause 0x1
	buffer_load_dword v153, off, s[0:3], 0 offset:344
	buffer_load_dword v154, off, s[0:3], 0 offset:348
	s_waitcnt vmcnt(28) lgkmcnt(0)
	v_fma_f64 v[119:120], v[127:128], v[119:120], v[125:126]
	s_clause 0x1
	buffer_load_dword v125, off, s[0:3], 0 offset:352
	buffer_load_dword v126, off, s[0:3], 0 offset:356
	s_waitcnt vmcnt(28)
	v_fma_f64 v[127:128], v[129:130], v[121:122], v[119:120]
	;; [unrolled: 11-line block ×9, first 2 shown]
	ds_read2_b64 v[119:122], v118 offset0:103 offset1:104
	s_waitcnt vmcnt(26) lgkmcnt(0)
	v_fma_f64 v[119:120], v[129:130], v[119:120], v[125:126]
	s_waitcnt vmcnt(24)
	v_fma_f64 v[125:126], v[127:128], v[121:122], v[119:120]
	ds_read2_b64 v[119:122], v118 offset0:105 offset1:106
	s_waitcnt vmcnt(22) lgkmcnt(0)
	v_fma_f64 v[119:120], v[133:134], v[119:120], v[125:126]
	s_waitcnt vmcnt(20)
	v_fma_f64 v[125:126], v[131:132], v[121:122], v[119:120]
	;; [unrolled: 5-line block ×6, first 2 shown]
	ds_read_b64 v[121:122], v118 offset:920
	s_waitcnt vmcnt(2) lgkmcnt(0)
	v_fma_f64 v[119:120], v[151:152], v[121:122], v[119:120]
	s_waitcnt vmcnt(0)
	v_add_f64 v[119:120], v[123:124], -v[119:120]
	buffer_store_dword v120, off, s[0:3], 0 offset:212
	buffer_store_dword v119, off, s[0:3], 0 offset:208
	v_cmpx_lt_u32_e32 25, v0
	s_cbranch_execz .LBB121_307
; %bb.306:
	s_clause 0x1
	buffer_load_dword v119, off, s[0:3], 0 offset:200
	buffer_load_dword v120, off, s[0:3], 0 offset:204
	buffer_store_dword v118, off, s[0:3], 0 offset:200
	buffer_store_dword v118, off, s[0:3], 0 offset:204
	s_waitcnt vmcnt(0)
	ds_write_b64 v117, v[119:120]
.LBB121_307:
	s_or_b32 exec_lo, exec_lo, s4
	s_waitcnt lgkmcnt(0)
	s_waitcnt_vscnt null, 0x0
	s_barrier
	buffer_gl0_inv
	s_clause 0x1b
	buffer_load_dword v123, off, s[0:3], 0 offset:208
	buffer_load_dword v124, off, s[0:3], 0 offset:212
	;; [unrolled: 1-line block ×28, first 2 shown]
	ds_read_b128 v[119:122], v118 offset:672
	s_clause 0x1
	buffer_load_dword v151, off, s[0:3], 0 offset:320
	buffer_load_dword v152, off, s[0:3], 0 offset:324
	s_mov_b32 s4, exec_lo
	s_waitcnt vmcnt(28) lgkmcnt(0)
	v_fma_f64 v[119:120], v[123:124], v[119:120], 0
	s_clause 0x1
	buffer_load_dword v124, off, s[0:3], 0 offset:332
	buffer_load_dword v123, off, s[0:3], 0 offset:328
	s_waitcnt vmcnt(28)
	v_fma_f64 v[125:126], v[125:126], v[121:122], v[119:120]
	ds_read_b128 v[119:122], v118 offset:688
	s_clause 0x1
	buffer_load_dword v153, off, s[0:3], 0 offset:336
	buffer_load_dword v154, off, s[0:3], 0 offset:340
	s_waitcnt vmcnt(28) lgkmcnt(0)
	v_fma_f64 v[119:120], v[127:128], v[119:120], v[125:126]
	s_clause 0x1
	buffer_load_dword v125, off, s[0:3], 0 offset:344
	buffer_load_dword v126, off, s[0:3], 0 offset:348
	s_waitcnt vmcnt(28)
	v_fma_f64 v[127:128], v[129:130], v[121:122], v[119:120]
	ds_read_b128 v[119:122], v118 offset:704
	s_clause 0x1
	buffer_load_dword v129, off, s[0:3], 0 offset:352
	buffer_load_dword v130, off, s[0:3], 0 offset:356
	;; [unrolled: 11-line block ×9, first 2 shown]
	s_waitcnt vmcnt(28) lgkmcnt(0)
	v_fma_f64 v[119:120], v[129:130], v[119:120], v[125:126]
	s_waitcnt vmcnt(26)
	v_fma_f64 v[125:126], v[127:128], v[121:122], v[119:120]
	ds_read_b128 v[119:122], v118 offset:832
	s_waitcnt vmcnt(24) lgkmcnt(0)
	v_fma_f64 v[119:120], v[133:134], v[119:120], v[125:126]
	s_waitcnt vmcnt(22)
	v_fma_f64 v[125:126], v[131:132], v[121:122], v[119:120]
	ds_read_b128 v[119:122], v118 offset:848
	s_waitcnt vmcnt(20) lgkmcnt(0)
	v_fma_f64 v[119:120], v[137:138], v[119:120], v[125:126]
	s_waitcnt vmcnt(18)
	v_fma_f64 v[125:126], v[135:136], v[121:122], v[119:120]
	ds_read_b128 v[119:122], v118 offset:864
	s_waitcnt vmcnt(16) lgkmcnt(0)
	v_fma_f64 v[119:120], v[141:142], v[119:120], v[125:126]
	s_waitcnt vmcnt(14)
	v_fma_f64 v[125:126], v[139:140], v[121:122], v[119:120]
	ds_read_b128 v[119:122], v118 offset:880
	s_waitcnt vmcnt(12) lgkmcnt(0)
	v_fma_f64 v[119:120], v[145:146], v[119:120], v[125:126]
	s_waitcnt vmcnt(10)
	v_fma_f64 v[125:126], v[143:144], v[121:122], v[119:120]
	ds_read_b128 v[119:122], v118 offset:896
	s_waitcnt vmcnt(8) lgkmcnt(0)
	v_fma_f64 v[119:120], v[149:150], v[119:120], v[125:126]
	s_waitcnt vmcnt(6)
	v_fma_f64 v[125:126], v[147:148], v[121:122], v[119:120]
	ds_read_b128 v[118:121], v118 offset:912
	s_waitcnt vmcnt(4) lgkmcnt(0)
	v_fma_f64 v[118:119], v[151:152], v[118:119], v[125:126]
	s_waitcnt vmcnt(2)
	v_fma_f64 v[118:119], v[123:124], v[120:121], v[118:119]
	s_waitcnt vmcnt(0)
	v_add_f64 v[118:119], v[153:154], -v[118:119]
	buffer_store_dword v119, off, s[0:3], 0 offset:204
	buffer_store_dword v118, off, s[0:3], 0 offset:200
	v_cmpx_lt_u32_e32 24, v0
	s_cbranch_execz .LBB121_309
; %bb.308:
	s_clause 0x1
	buffer_load_dword v118, off, s[0:3], 0 offset:192
	buffer_load_dword v119, off, s[0:3], 0 offset:196
	v_mov_b32_e32 v120, 0
	buffer_store_dword v120, off, s[0:3], 0 offset:192
	buffer_store_dword v120, off, s[0:3], 0 offset:196
	s_waitcnt vmcnt(0)
	ds_write_b64 v117, v[118:119]
.LBB121_309:
	s_or_b32 exec_lo, exec_lo, s4
	s_waitcnt lgkmcnt(0)
	s_waitcnt_vscnt null, 0x0
	s_barrier
	buffer_gl0_inv
	s_clause 0x1b
	buffer_load_dword v123, off, s[0:3], 0 offset:200
	buffer_load_dword v124, off, s[0:3], 0 offset:204
	;; [unrolled: 1-line block ×28, first 2 shown]
	v_mov_b32_e32 v118, 0
	s_mov_b32 s4, exec_lo
	ds_read2_b64 v[119:122], v118 offset0:83 offset1:84
	s_clause 0x1
	buffer_load_dword v151, off, s[0:3], 0 offset:312
	buffer_load_dword v152, off, s[0:3], 0 offset:316
	s_waitcnt vmcnt(28) lgkmcnt(0)
	v_fma_f64 v[119:120], v[123:124], v[119:120], 0
	s_clause 0x1
	buffer_load_dword v124, off, s[0:3], 0 offset:324
	buffer_load_dword v123, off, s[0:3], 0 offset:320
	s_waitcnt vmcnt(28)
	v_fma_f64 v[125:126], v[125:126], v[121:122], v[119:120]
	ds_read2_b64 v[119:122], v118 offset0:85 offset1:86
	s_clause 0x1
	buffer_load_dword v153, off, s[0:3], 0 offset:328
	buffer_load_dword v154, off, s[0:3], 0 offset:332
	s_waitcnt vmcnt(28) lgkmcnt(0)
	v_fma_f64 v[119:120], v[127:128], v[119:120], v[125:126]
	s_clause 0x1
	buffer_load_dword v125, off, s[0:3], 0 offset:336
	buffer_load_dword v126, off, s[0:3], 0 offset:340
	s_waitcnt vmcnt(28)
	v_fma_f64 v[127:128], v[129:130], v[121:122], v[119:120]
	ds_read2_b64 v[119:122], v118 offset0:87 offset1:88
	s_clause 0x1
	buffer_load_dword v129, off, s[0:3], 0 offset:344
	buffer_load_dword v130, off, s[0:3], 0 offset:348
	s_waitcnt vmcnt(28) lgkmcnt(0)
	v_fma_f64 v[119:120], v[131:132], v[119:120], v[127:128]
	s_clause 0x1
	buffer_load_dword v128, off, s[0:3], 0 offset:356
	buffer_load_dword v127, off, s[0:3], 0 offset:352
	s_waitcnt vmcnt(28)
	v_fma_f64 v[131:132], v[133:134], v[121:122], v[119:120]
	ds_read2_b64 v[119:122], v118 offset0:89 offset1:90
	s_clause 0x1
	buffer_load_dword v133, off, s[0:3], 0 offset:360
	buffer_load_dword v134, off, s[0:3], 0 offset:364
	s_waitcnt vmcnt(28) lgkmcnt(0)
	v_fma_f64 v[119:120], v[135:136], v[119:120], v[131:132]
	s_clause 0x1
	buffer_load_dword v131, off, s[0:3], 0 offset:368
	buffer_load_dword v132, off, s[0:3], 0 offset:372
	s_waitcnt vmcnt(28)
	v_fma_f64 v[135:136], v[137:138], v[121:122], v[119:120]
	ds_read2_b64 v[119:122], v118 offset0:91 offset1:92
	s_clause 0x1
	buffer_load_dword v137, off, s[0:3], 0 offset:376
	buffer_load_dword v138, off, s[0:3], 0 offset:380
	s_waitcnt vmcnt(28) lgkmcnt(0)
	v_fma_f64 v[119:120], v[139:140], v[119:120], v[135:136]
	s_clause 0x1
	buffer_load_dword v136, off, s[0:3], 0 offset:388
	buffer_load_dword v135, off, s[0:3], 0 offset:384
	s_waitcnt vmcnt(28)
	v_fma_f64 v[139:140], v[141:142], v[121:122], v[119:120]
	ds_read2_b64 v[119:122], v118 offset0:93 offset1:94
	s_clause 0x1
	buffer_load_dword v141, off, s[0:3], 0 offset:392
	buffer_load_dword v142, off, s[0:3], 0 offset:396
	s_waitcnt vmcnt(28) lgkmcnt(0)
	v_fma_f64 v[119:120], v[143:144], v[119:120], v[139:140]
	s_clause 0x1
	buffer_load_dword v139, off, s[0:3], 0 offset:400
	buffer_load_dword v140, off, s[0:3], 0 offset:404
	s_waitcnt vmcnt(28)
	v_fma_f64 v[143:144], v[145:146], v[121:122], v[119:120]
	ds_read2_b64 v[119:122], v118 offset0:95 offset1:96
	s_clause 0x1
	buffer_load_dword v145, off, s[0:3], 0 offset:408
	buffer_load_dword v146, off, s[0:3], 0 offset:412
	s_waitcnt vmcnt(28) lgkmcnt(0)
	v_fma_f64 v[119:120], v[147:148], v[119:120], v[143:144]
	s_clause 0x1
	buffer_load_dword v144, off, s[0:3], 0 offset:420
	buffer_load_dword v143, off, s[0:3], 0 offset:416
	s_waitcnt vmcnt(28)
	v_fma_f64 v[147:148], v[149:150], v[121:122], v[119:120]
	ds_read2_b64 v[119:122], v118 offset0:97 offset1:98
	s_clause 0x1
	buffer_load_dword v149, off, s[0:3], 0 offset:424
	buffer_load_dword v150, off, s[0:3], 0 offset:428
	s_waitcnt vmcnt(28) lgkmcnt(0)
	v_fma_f64 v[119:120], v[151:152], v[119:120], v[147:148]
	s_clause 0x1
	buffer_load_dword v147, off, s[0:3], 0 offset:432
	buffer_load_dword v148, off, s[0:3], 0 offset:436
	s_waitcnt vmcnt(28)
	v_fma_f64 v[123:124], v[123:124], v[121:122], v[119:120]
	ds_read2_b64 v[119:122], v118 offset0:99 offset1:100
	s_clause 0x1
	buffer_load_dword v151, off, s[0:3], 0 offset:440
	buffer_load_dword v152, off, s[0:3], 0 offset:444
	s_waitcnt vmcnt(28) lgkmcnt(0)
	v_fma_f64 v[119:120], v[153:154], v[119:120], v[123:124]
	s_clause 0x1
	buffer_load_dword v124, off, s[0:3], 0 offset:452
	buffer_load_dword v123, off, s[0:3], 0 offset:448
	s_waitcnt vmcnt(28)
	v_fma_f64 v[125:126], v[125:126], v[121:122], v[119:120]
	ds_read2_b64 v[119:122], v118 offset0:101 offset1:102
	s_clause 0x1
	buffer_load_dword v153, off, s[0:3], 0 offset:456
	buffer_load_dword v154, off, s[0:3], 0 offset:460
	s_waitcnt vmcnt(28) lgkmcnt(0)
	v_fma_f64 v[119:120], v[129:130], v[119:120], v[125:126]
	s_clause 0x1
	buffer_load_dword v125, off, s[0:3], 0 offset:192
	buffer_load_dword v126, off, s[0:3], 0 offset:196
	s_waitcnt vmcnt(28)
	v_fma_f64 v[127:128], v[127:128], v[121:122], v[119:120]
	ds_read2_b64 v[119:122], v118 offset0:103 offset1:104
	s_waitcnt vmcnt(26) lgkmcnt(0)
	v_fma_f64 v[119:120], v[133:134], v[119:120], v[127:128]
	s_waitcnt vmcnt(24)
	v_fma_f64 v[127:128], v[131:132], v[121:122], v[119:120]
	ds_read2_b64 v[119:122], v118 offset0:105 offset1:106
	s_waitcnt vmcnt(22) lgkmcnt(0)
	v_fma_f64 v[119:120], v[137:138], v[119:120], v[127:128]
	s_waitcnt vmcnt(20)
	v_fma_f64 v[127:128], v[135:136], v[121:122], v[119:120]
	;; [unrolled: 5-line block ×6, first 2 shown]
	ds_read_b64 v[121:122], v118 offset:920
	s_waitcnt vmcnt(2) lgkmcnt(0)
	v_fma_f64 v[119:120], v[153:154], v[121:122], v[119:120]
	s_waitcnt vmcnt(0)
	v_add_f64 v[119:120], v[125:126], -v[119:120]
	buffer_store_dword v120, off, s[0:3], 0 offset:196
	buffer_store_dword v119, off, s[0:3], 0 offset:192
	v_cmpx_lt_u32_e32 23, v0
	s_cbranch_execz .LBB121_311
; %bb.310:
	s_clause 0x1
	buffer_load_dword v119, off, s[0:3], 0 offset:184
	buffer_load_dword v120, off, s[0:3], 0 offset:188
	buffer_store_dword v118, off, s[0:3], 0 offset:184
	buffer_store_dword v118, off, s[0:3], 0 offset:188
	s_waitcnt vmcnt(0)
	ds_write_b64 v117, v[119:120]
.LBB121_311:
	s_or_b32 exec_lo, exec_lo, s4
	s_waitcnt lgkmcnt(0)
	s_waitcnt_vscnt null, 0x0
	s_barrier
	buffer_gl0_inv
	s_clause 0x1b
	buffer_load_dword v123, off, s[0:3], 0 offset:192
	buffer_load_dword v124, off, s[0:3], 0 offset:196
	;; [unrolled: 1-line block ×28, first 2 shown]
	ds_read_b128 v[119:122], v118 offset:656
	s_clause 0x1
	buffer_load_dword v151, off, s[0:3], 0 offset:304
	buffer_load_dword v152, off, s[0:3], 0 offset:308
	s_mov_b32 s4, exec_lo
	s_waitcnt vmcnt(28) lgkmcnt(0)
	v_fma_f64 v[119:120], v[123:124], v[119:120], 0
	s_clause 0x1
	buffer_load_dword v124, off, s[0:3], 0 offset:316
	buffer_load_dword v123, off, s[0:3], 0 offset:312
	s_waitcnt vmcnt(28)
	v_fma_f64 v[125:126], v[125:126], v[121:122], v[119:120]
	ds_read_b128 v[119:122], v118 offset:672
	s_clause 0x1
	buffer_load_dword v153, off, s[0:3], 0 offset:320
	buffer_load_dword v154, off, s[0:3], 0 offset:324
	s_waitcnt vmcnt(28) lgkmcnt(0)
	v_fma_f64 v[119:120], v[127:128], v[119:120], v[125:126]
	s_clause 0x1
	buffer_load_dword v125, off, s[0:3], 0 offset:328
	buffer_load_dword v126, off, s[0:3], 0 offset:332
	s_waitcnt vmcnt(28)
	v_fma_f64 v[127:128], v[129:130], v[121:122], v[119:120]
	ds_read_b128 v[119:122], v118 offset:688
	s_clause 0x1
	buffer_load_dword v129, off, s[0:3], 0 offset:336
	buffer_load_dword v130, off, s[0:3], 0 offset:340
	;; [unrolled: 11-line block ×10, first 2 shown]
	s_waitcnt vmcnt(28) lgkmcnt(0)
	v_fma_f64 v[119:120], v[133:134], v[119:120], v[127:128]
	s_waitcnt vmcnt(26)
	v_fma_f64 v[127:128], v[131:132], v[121:122], v[119:120]
	ds_read_b128 v[119:122], v118 offset:832
	s_waitcnt vmcnt(24) lgkmcnt(0)
	v_fma_f64 v[119:120], v[137:138], v[119:120], v[127:128]
	s_waitcnt vmcnt(22)
	v_fma_f64 v[127:128], v[135:136], v[121:122], v[119:120]
	ds_read_b128 v[119:122], v118 offset:848
	;; [unrolled: 5-line block ×6, first 2 shown]
	s_waitcnt vmcnt(4) lgkmcnt(0)
	v_fma_f64 v[118:119], v[153:154], v[118:119], v[122:123]
	s_waitcnt vmcnt(2)
	v_fma_f64 v[118:119], v[125:126], v[120:121], v[118:119]
	s_waitcnt vmcnt(0)
	v_add_f64 v[118:119], v[129:130], -v[118:119]
	buffer_store_dword v119, off, s[0:3], 0 offset:188
	buffer_store_dword v118, off, s[0:3], 0 offset:184
	v_cmpx_lt_u32_e32 22, v0
	s_cbranch_execz .LBB121_313
; %bb.312:
	s_clause 0x1
	buffer_load_dword v118, off, s[0:3], 0 offset:176
	buffer_load_dword v119, off, s[0:3], 0 offset:180
	v_mov_b32_e32 v120, 0
	buffer_store_dword v120, off, s[0:3], 0 offset:176
	buffer_store_dword v120, off, s[0:3], 0 offset:180
	s_waitcnt vmcnt(0)
	ds_write_b64 v117, v[118:119]
.LBB121_313:
	s_or_b32 exec_lo, exec_lo, s4
	s_waitcnt lgkmcnt(0)
	s_waitcnt_vscnt null, 0x0
	s_barrier
	buffer_gl0_inv
	s_clause 0x1b
	buffer_load_dword v123, off, s[0:3], 0 offset:184
	buffer_load_dword v124, off, s[0:3], 0 offset:188
	;; [unrolled: 1-line block ×28, first 2 shown]
	v_mov_b32_e32 v118, 0
	s_mov_b32 s4, exec_lo
	ds_read2_b64 v[119:122], v118 offset0:81 offset1:82
	s_clause 0x1
	buffer_load_dword v151, off, s[0:3], 0 offset:296
	buffer_load_dword v152, off, s[0:3], 0 offset:300
	s_waitcnt vmcnt(28) lgkmcnt(0)
	v_fma_f64 v[119:120], v[123:124], v[119:120], 0
	s_clause 0x1
	buffer_load_dword v124, off, s[0:3], 0 offset:308
	buffer_load_dword v123, off, s[0:3], 0 offset:304
	s_waitcnt vmcnt(28)
	v_fma_f64 v[125:126], v[125:126], v[121:122], v[119:120]
	ds_read2_b64 v[119:122], v118 offset0:83 offset1:84
	s_clause 0x1
	buffer_load_dword v153, off, s[0:3], 0 offset:312
	buffer_load_dword v154, off, s[0:3], 0 offset:316
	s_waitcnt vmcnt(28) lgkmcnt(0)
	v_fma_f64 v[119:120], v[127:128], v[119:120], v[125:126]
	s_clause 0x1
	buffer_load_dword v125, off, s[0:3], 0 offset:320
	buffer_load_dword v126, off, s[0:3], 0 offset:324
	s_waitcnt vmcnt(28)
	v_fma_f64 v[127:128], v[129:130], v[121:122], v[119:120]
	;; [unrolled: 11-line block ×11, first 2 shown]
	ds_read2_b64 v[119:122], v118 offset0:103 offset1:104
	s_waitcnt vmcnt(26) lgkmcnt(0)
	v_fma_f64 v[119:120], v[137:138], v[119:120], v[131:132]
	s_waitcnt vmcnt(24)
	v_fma_f64 v[131:132], v[135:136], v[121:122], v[119:120]
	ds_read2_b64 v[119:122], v118 offset0:105 offset1:106
	s_waitcnt vmcnt(22) lgkmcnt(0)
	v_fma_f64 v[119:120], v[141:142], v[119:120], v[131:132]
	s_waitcnt vmcnt(20)
	v_fma_f64 v[131:132], v[139:140], v[121:122], v[119:120]
	;; [unrolled: 5-line block ×6, first 2 shown]
	ds_read_b64 v[121:122], v118 offset:920
	s_waitcnt vmcnt(2) lgkmcnt(0)
	v_fma_f64 v[119:120], v[129:130], v[121:122], v[119:120]
	s_waitcnt vmcnt(0)
	v_add_f64 v[119:120], v[127:128], -v[119:120]
	buffer_store_dword v120, off, s[0:3], 0 offset:180
	buffer_store_dword v119, off, s[0:3], 0 offset:176
	v_cmpx_lt_u32_e32 21, v0
	s_cbranch_execz .LBB121_315
; %bb.314:
	s_clause 0x1
	buffer_load_dword v119, off, s[0:3], 0 offset:168
	buffer_load_dword v120, off, s[0:3], 0 offset:172
	buffer_store_dword v118, off, s[0:3], 0 offset:168
	buffer_store_dword v118, off, s[0:3], 0 offset:172
	s_waitcnt vmcnt(0)
	ds_write_b64 v117, v[119:120]
.LBB121_315:
	s_or_b32 exec_lo, exec_lo, s4
	s_waitcnt lgkmcnt(0)
	s_waitcnt_vscnt null, 0x0
	s_barrier
	buffer_gl0_inv
	s_clause 0x1b
	buffer_load_dword v123, off, s[0:3], 0 offset:176
	buffer_load_dword v124, off, s[0:3], 0 offset:180
	;; [unrolled: 1-line block ×28, first 2 shown]
	ds_read_b128 v[119:122], v118 offset:640
	s_clause 0x1
	buffer_load_dword v151, off, s[0:3], 0 offset:288
	buffer_load_dword v152, off, s[0:3], 0 offset:292
	s_mov_b32 s4, exec_lo
	s_waitcnt vmcnt(28) lgkmcnt(0)
	v_fma_f64 v[119:120], v[123:124], v[119:120], 0
	s_clause 0x1
	buffer_load_dword v124, off, s[0:3], 0 offset:300
	buffer_load_dword v123, off, s[0:3], 0 offset:296
	s_waitcnt vmcnt(28)
	v_fma_f64 v[125:126], v[125:126], v[121:122], v[119:120]
	ds_read_b128 v[119:122], v118 offset:656
	s_clause 0x1
	buffer_load_dword v153, off, s[0:3], 0 offset:304
	buffer_load_dword v154, off, s[0:3], 0 offset:308
	s_waitcnt vmcnt(28) lgkmcnt(0)
	v_fma_f64 v[119:120], v[127:128], v[119:120], v[125:126]
	s_clause 0x1
	buffer_load_dword v125, off, s[0:3], 0 offset:312
	buffer_load_dword v126, off, s[0:3], 0 offset:316
	s_waitcnt vmcnt(28)
	v_fma_f64 v[127:128], v[129:130], v[121:122], v[119:120]
	ds_read_b128 v[119:122], v118 offset:672
	s_clause 0x1
	buffer_load_dword v129, off, s[0:3], 0 offset:320
	buffer_load_dword v130, off, s[0:3], 0 offset:324
	s_waitcnt vmcnt(28) lgkmcnt(0)
	v_fma_f64 v[119:120], v[131:132], v[119:120], v[127:128]
	s_clause 0x1
	buffer_load_dword v128, off, s[0:3], 0 offset:332
	buffer_load_dword v127, off, s[0:3], 0 offset:328
	s_waitcnt vmcnt(28)
	v_fma_f64 v[131:132], v[133:134], v[121:122], v[119:120]
	ds_read_b128 v[119:122], v118 offset:688
	s_clause 0x1
	buffer_load_dword v133, off, s[0:3], 0 offset:336
	buffer_load_dword v134, off, s[0:3], 0 offset:340
	s_waitcnt vmcnt(28) lgkmcnt(0)
	v_fma_f64 v[119:120], v[135:136], v[119:120], v[131:132]
	s_clause 0x1
	buffer_load_dword v131, off, s[0:3], 0 offset:344
	buffer_load_dword v132, off, s[0:3], 0 offset:348
	s_waitcnt vmcnt(28)
	v_fma_f64 v[135:136], v[137:138], v[121:122], v[119:120]
	ds_read_b128 v[119:122], v118 offset:704
	s_clause 0x1
	buffer_load_dword v137, off, s[0:3], 0 offset:352
	buffer_load_dword v138, off, s[0:3], 0 offset:356
	s_waitcnt vmcnt(28) lgkmcnt(0)
	v_fma_f64 v[119:120], v[139:140], v[119:120], v[135:136]
	s_clause 0x1
	buffer_load_dword v136, off, s[0:3], 0 offset:364
	buffer_load_dword v135, off, s[0:3], 0 offset:360
	s_waitcnt vmcnt(28)
	v_fma_f64 v[139:140], v[141:142], v[121:122], v[119:120]
	ds_read_b128 v[119:122], v118 offset:720
	s_clause 0x1
	buffer_load_dword v141, off, s[0:3], 0 offset:368
	buffer_load_dword v142, off, s[0:3], 0 offset:372
	s_waitcnt vmcnt(28) lgkmcnt(0)
	v_fma_f64 v[119:120], v[143:144], v[119:120], v[139:140]
	s_clause 0x1
	buffer_load_dword v139, off, s[0:3], 0 offset:376
	buffer_load_dword v140, off, s[0:3], 0 offset:380
	s_waitcnt vmcnt(28)
	v_fma_f64 v[143:144], v[145:146], v[121:122], v[119:120]
	ds_read_b128 v[119:122], v118 offset:736
	s_clause 0x1
	buffer_load_dword v145, off, s[0:3], 0 offset:384
	buffer_load_dword v146, off, s[0:3], 0 offset:388
	s_waitcnt vmcnt(28) lgkmcnt(0)
	v_fma_f64 v[119:120], v[147:148], v[119:120], v[143:144]
	s_clause 0x1
	buffer_load_dword v144, off, s[0:3], 0 offset:396
	buffer_load_dword v143, off, s[0:3], 0 offset:392
	s_waitcnt vmcnt(28)
	v_fma_f64 v[147:148], v[149:150], v[121:122], v[119:120]
	ds_read_b128 v[119:122], v118 offset:752
	s_clause 0x1
	buffer_load_dword v149, off, s[0:3], 0 offset:400
	buffer_load_dword v150, off, s[0:3], 0 offset:404
	s_waitcnt vmcnt(28) lgkmcnt(0)
	v_fma_f64 v[119:120], v[151:152], v[119:120], v[147:148]
	s_clause 0x1
	buffer_load_dword v147, off, s[0:3], 0 offset:408
	buffer_load_dword v148, off, s[0:3], 0 offset:412
	s_waitcnt vmcnt(28)
	v_fma_f64 v[123:124], v[123:124], v[121:122], v[119:120]
	ds_read_b128 v[119:122], v118 offset:768
	s_clause 0x1
	buffer_load_dword v151, off, s[0:3], 0 offset:416
	buffer_load_dword v152, off, s[0:3], 0 offset:420
	s_waitcnt vmcnt(28) lgkmcnt(0)
	v_fma_f64 v[119:120], v[153:154], v[119:120], v[123:124]
	s_clause 0x1
	buffer_load_dword v124, off, s[0:3], 0 offset:428
	buffer_load_dword v123, off, s[0:3], 0 offset:424
	s_waitcnt vmcnt(28)
	v_fma_f64 v[125:126], v[125:126], v[121:122], v[119:120]
	ds_read_b128 v[119:122], v118 offset:784
	s_clause 0x1
	buffer_load_dword v153, off, s[0:3], 0 offset:432
	buffer_load_dword v154, off, s[0:3], 0 offset:436
	s_waitcnt vmcnt(28) lgkmcnt(0)
	v_fma_f64 v[119:120], v[129:130], v[119:120], v[125:126]
	s_clause 0x1
	buffer_load_dword v125, off, s[0:3], 0 offset:440
	buffer_load_dword v126, off, s[0:3], 0 offset:444
	s_waitcnt vmcnt(28)
	v_fma_f64 v[127:128], v[127:128], v[121:122], v[119:120]
	ds_read_b128 v[119:122], v118 offset:800
	s_clause 0x1
	buffer_load_dword v129, off, s[0:3], 0 offset:448
	buffer_load_dword v130, off, s[0:3], 0 offset:452
	s_waitcnt vmcnt(28) lgkmcnt(0)
	v_fma_f64 v[119:120], v[133:134], v[119:120], v[127:128]
	s_clause 0x1
	buffer_load_dword v128, off, s[0:3], 0 offset:460
	buffer_load_dword v127, off, s[0:3], 0 offset:456
	s_waitcnt vmcnt(28)
	v_fma_f64 v[131:132], v[131:132], v[121:122], v[119:120]
	ds_read_b128 v[119:122], v118 offset:816
	s_clause 0x1
	buffer_load_dword v133, off, s[0:3], 0 offset:168
	buffer_load_dword v134, off, s[0:3], 0 offset:172
	s_waitcnt vmcnt(28) lgkmcnt(0)
	v_fma_f64 v[119:120], v[137:138], v[119:120], v[131:132]
	s_waitcnt vmcnt(26)
	v_fma_f64 v[131:132], v[135:136], v[121:122], v[119:120]
	ds_read_b128 v[119:122], v118 offset:832
	s_waitcnt vmcnt(24) lgkmcnt(0)
	v_fma_f64 v[119:120], v[141:142], v[119:120], v[131:132]
	s_waitcnt vmcnt(22)
	v_fma_f64 v[131:132], v[139:140], v[121:122], v[119:120]
	ds_read_b128 v[119:122], v118 offset:848
	;; [unrolled: 5-line block ×6, first 2 shown]
	s_waitcnt vmcnt(4) lgkmcnt(0)
	v_fma_f64 v[118:119], v[129:130], v[118:119], v[122:123]
	s_waitcnt vmcnt(2)
	v_fma_f64 v[118:119], v[127:128], v[120:121], v[118:119]
	s_waitcnt vmcnt(0)
	v_add_f64 v[118:119], v[133:134], -v[118:119]
	buffer_store_dword v119, off, s[0:3], 0 offset:172
	buffer_store_dword v118, off, s[0:3], 0 offset:168
	v_cmpx_lt_u32_e32 20, v0
	s_cbranch_execz .LBB121_317
; %bb.316:
	s_clause 0x1
	buffer_load_dword v118, off, s[0:3], 0 offset:160
	buffer_load_dword v119, off, s[0:3], 0 offset:164
	v_mov_b32_e32 v120, 0
	buffer_store_dword v120, off, s[0:3], 0 offset:160
	buffer_store_dword v120, off, s[0:3], 0 offset:164
	s_waitcnt vmcnt(0)
	ds_write_b64 v117, v[118:119]
.LBB121_317:
	s_or_b32 exec_lo, exec_lo, s4
	s_waitcnt lgkmcnt(0)
	s_waitcnt_vscnt null, 0x0
	s_barrier
	buffer_gl0_inv
	s_clause 0x1b
	buffer_load_dword v123, off, s[0:3], 0 offset:168
	buffer_load_dword v124, off, s[0:3], 0 offset:172
	;; [unrolled: 1-line block ×28, first 2 shown]
	v_mov_b32_e32 v118, 0
	s_mov_b32 s4, exec_lo
	ds_read2_b64 v[119:122], v118 offset0:79 offset1:80
	s_clause 0x1
	buffer_load_dword v151, off, s[0:3], 0 offset:280
	buffer_load_dword v152, off, s[0:3], 0 offset:284
	s_waitcnt vmcnt(28) lgkmcnt(0)
	v_fma_f64 v[119:120], v[123:124], v[119:120], 0
	s_clause 0x1
	buffer_load_dword v124, off, s[0:3], 0 offset:292
	buffer_load_dword v123, off, s[0:3], 0 offset:288
	s_waitcnt vmcnt(28)
	v_fma_f64 v[125:126], v[125:126], v[121:122], v[119:120]
	ds_read2_b64 v[119:122], v118 offset0:81 offset1:82
	s_clause 0x1
	buffer_load_dword v153, off, s[0:3], 0 offset:296
	buffer_load_dword v154, off, s[0:3], 0 offset:300
	s_waitcnt vmcnt(28) lgkmcnt(0)
	v_fma_f64 v[119:120], v[127:128], v[119:120], v[125:126]
	s_clause 0x1
	buffer_load_dword v125, off, s[0:3], 0 offset:304
	buffer_load_dword v126, off, s[0:3], 0 offset:308
	s_waitcnt vmcnt(28)
	v_fma_f64 v[127:128], v[129:130], v[121:122], v[119:120]
	;; [unrolled: 11-line block ×12, first 2 shown]
	ds_read2_b64 v[119:122], v118 offset0:103 offset1:104
	s_waitcnt vmcnt(26) lgkmcnt(0)
	v_fma_f64 v[119:120], v[141:142], v[119:120], v[135:136]
	s_waitcnt vmcnt(24)
	v_fma_f64 v[135:136], v[139:140], v[121:122], v[119:120]
	ds_read2_b64 v[119:122], v118 offset0:105 offset1:106
	s_waitcnt vmcnt(22) lgkmcnt(0)
	v_fma_f64 v[119:120], v[145:146], v[119:120], v[135:136]
	s_waitcnt vmcnt(20)
	v_fma_f64 v[135:136], v[143:144], v[121:122], v[119:120]
	;; [unrolled: 5-line block ×6, first 2 shown]
	ds_read_b64 v[121:122], v118 offset:920
	s_waitcnt vmcnt(2) lgkmcnt(0)
	v_fma_f64 v[119:120], v[133:134], v[121:122], v[119:120]
	s_waitcnt vmcnt(0)
	v_add_f64 v[119:120], v[131:132], -v[119:120]
	buffer_store_dword v120, off, s[0:3], 0 offset:164
	buffer_store_dword v119, off, s[0:3], 0 offset:160
	v_cmpx_lt_u32_e32 19, v0
	s_cbranch_execz .LBB121_319
; %bb.318:
	s_clause 0x1
	buffer_load_dword v119, off, s[0:3], 0 offset:152
	buffer_load_dword v120, off, s[0:3], 0 offset:156
	buffer_store_dword v118, off, s[0:3], 0 offset:152
	buffer_store_dword v118, off, s[0:3], 0 offset:156
	s_waitcnt vmcnt(0)
	ds_write_b64 v117, v[119:120]
.LBB121_319:
	s_or_b32 exec_lo, exec_lo, s4
	s_waitcnt lgkmcnt(0)
	s_waitcnt_vscnt null, 0x0
	s_barrier
	buffer_gl0_inv
	s_clause 0x1b
	buffer_load_dword v123, off, s[0:3], 0 offset:160
	buffer_load_dword v124, off, s[0:3], 0 offset:164
	;; [unrolled: 1-line block ×28, first 2 shown]
	ds_read_b128 v[119:122], v118 offset:624
	s_clause 0x1
	buffer_load_dword v151, off, s[0:3], 0 offset:272
	buffer_load_dword v152, off, s[0:3], 0 offset:276
	s_mov_b32 s4, exec_lo
	s_waitcnt vmcnt(28) lgkmcnt(0)
	v_fma_f64 v[119:120], v[123:124], v[119:120], 0
	s_clause 0x1
	buffer_load_dword v124, off, s[0:3], 0 offset:284
	buffer_load_dword v123, off, s[0:3], 0 offset:280
	s_waitcnt vmcnt(28)
	v_fma_f64 v[125:126], v[125:126], v[121:122], v[119:120]
	ds_read_b128 v[119:122], v118 offset:640
	s_clause 0x1
	buffer_load_dword v153, off, s[0:3], 0 offset:288
	buffer_load_dword v154, off, s[0:3], 0 offset:292
	s_waitcnt vmcnt(28) lgkmcnt(0)
	v_fma_f64 v[119:120], v[127:128], v[119:120], v[125:126]
	s_clause 0x1
	buffer_load_dword v125, off, s[0:3], 0 offset:296
	buffer_load_dword v126, off, s[0:3], 0 offset:300
	s_waitcnt vmcnt(28)
	v_fma_f64 v[127:128], v[129:130], v[121:122], v[119:120]
	ds_read_b128 v[119:122], v118 offset:656
	s_clause 0x1
	buffer_load_dword v129, off, s[0:3], 0 offset:304
	buffer_load_dword v130, off, s[0:3], 0 offset:308
	;; [unrolled: 11-line block ×12, first 2 shown]
	s_waitcnt vmcnt(28) lgkmcnt(0)
	v_fma_f64 v[119:120], v[141:142], v[119:120], v[135:136]
	s_waitcnt vmcnt(26)
	v_fma_f64 v[135:136], v[139:140], v[121:122], v[119:120]
	ds_read_b128 v[119:122], v118 offset:832
	s_waitcnt vmcnt(24) lgkmcnt(0)
	v_fma_f64 v[119:120], v[145:146], v[119:120], v[135:136]
	s_waitcnt vmcnt(22)
	v_fma_f64 v[135:136], v[143:144], v[121:122], v[119:120]
	ds_read_b128 v[119:122], v118 offset:848
	;; [unrolled: 5-line block ×6, first 2 shown]
	s_waitcnt vmcnt(4) lgkmcnt(0)
	v_fma_f64 v[118:119], v[133:134], v[118:119], v[122:123]
	s_waitcnt vmcnt(2)
	v_fma_f64 v[118:119], v[131:132], v[120:121], v[118:119]
	s_waitcnt vmcnt(0)
	v_add_f64 v[118:119], v[137:138], -v[118:119]
	buffer_store_dword v119, off, s[0:3], 0 offset:156
	buffer_store_dword v118, off, s[0:3], 0 offset:152
	v_cmpx_lt_u32_e32 18, v0
	s_cbranch_execz .LBB121_321
; %bb.320:
	s_clause 0x1
	buffer_load_dword v118, off, s[0:3], 0 offset:144
	buffer_load_dword v119, off, s[0:3], 0 offset:148
	v_mov_b32_e32 v120, 0
	buffer_store_dword v120, off, s[0:3], 0 offset:144
	buffer_store_dword v120, off, s[0:3], 0 offset:148
	s_waitcnt vmcnt(0)
	ds_write_b64 v117, v[118:119]
.LBB121_321:
	s_or_b32 exec_lo, exec_lo, s4
	s_waitcnt lgkmcnt(0)
	s_waitcnt_vscnt null, 0x0
	s_barrier
	buffer_gl0_inv
	s_clause 0x1b
	buffer_load_dword v123, off, s[0:3], 0 offset:152
	buffer_load_dword v124, off, s[0:3], 0 offset:156
	;; [unrolled: 1-line block ×28, first 2 shown]
	v_mov_b32_e32 v118, 0
	s_mov_b32 s4, exec_lo
	ds_read2_b64 v[119:122], v118 offset0:77 offset1:78
	s_clause 0x1
	buffer_load_dword v151, off, s[0:3], 0 offset:264
	buffer_load_dword v152, off, s[0:3], 0 offset:268
	s_waitcnt vmcnt(28) lgkmcnt(0)
	v_fma_f64 v[119:120], v[123:124], v[119:120], 0
	s_clause 0x1
	buffer_load_dword v124, off, s[0:3], 0 offset:276
	buffer_load_dword v123, off, s[0:3], 0 offset:272
	s_waitcnt vmcnt(28)
	v_fma_f64 v[125:126], v[125:126], v[121:122], v[119:120]
	ds_read2_b64 v[119:122], v118 offset0:79 offset1:80
	s_clause 0x1
	buffer_load_dword v153, off, s[0:3], 0 offset:280
	buffer_load_dword v154, off, s[0:3], 0 offset:284
	s_waitcnt vmcnt(28) lgkmcnt(0)
	v_fma_f64 v[119:120], v[127:128], v[119:120], v[125:126]
	s_clause 0x1
	buffer_load_dword v125, off, s[0:3], 0 offset:288
	buffer_load_dword v126, off, s[0:3], 0 offset:292
	s_waitcnt vmcnt(28)
	v_fma_f64 v[127:128], v[129:130], v[121:122], v[119:120]
	;; [unrolled: 11-line block ×13, first 2 shown]
	ds_read2_b64 v[119:122], v118 offset0:103 offset1:104
	s_waitcnt vmcnt(26) lgkmcnt(0)
	v_fma_f64 v[119:120], v[145:146], v[119:120], v[139:140]
	s_waitcnt vmcnt(24)
	v_fma_f64 v[139:140], v[143:144], v[121:122], v[119:120]
	ds_read2_b64 v[119:122], v118 offset0:105 offset1:106
	s_waitcnt vmcnt(22) lgkmcnt(0)
	v_fma_f64 v[119:120], v[149:150], v[119:120], v[139:140]
	s_waitcnt vmcnt(20)
	v_fma_f64 v[139:140], v[147:148], v[121:122], v[119:120]
	ds_read2_b64 v[119:122], v118 offset0:107 offset1:108
	s_waitcnt vmcnt(18) lgkmcnt(0)
	v_fma_f64 v[119:120], v[151:152], v[119:120], v[139:140]
	s_waitcnt vmcnt(16)
	v_fma_f64 v[123:124], v[123:124], v[121:122], v[119:120]
	ds_read2_b64 v[119:122], v118 offset0:109 offset1:110
	s_waitcnt vmcnt(14) lgkmcnt(0)
	v_fma_f64 v[119:120], v[153:154], v[119:120], v[123:124]
	s_waitcnt vmcnt(12)
	v_fma_f64 v[123:124], v[125:126], v[121:122], v[119:120]
	ds_read2_b64 v[119:122], v118 offset0:111 offset1:112
	s_waitcnt vmcnt(10) lgkmcnt(0)
	v_fma_f64 v[119:120], v[129:130], v[119:120], v[123:124]
	s_waitcnt vmcnt(8)
	v_fma_f64 v[123:124], v[127:128], v[121:122], v[119:120]
	ds_read2_b64 v[119:122], v118 offset0:113 offset1:114
	s_waitcnt vmcnt(6) lgkmcnt(0)
	v_fma_f64 v[119:120], v[133:134], v[119:120], v[123:124]
	s_waitcnt vmcnt(4)
	v_fma_f64 v[119:120], v[131:132], v[121:122], v[119:120]
	ds_read_b64 v[121:122], v118 offset:920
	s_waitcnt vmcnt(2) lgkmcnt(0)
	v_fma_f64 v[119:120], v[137:138], v[121:122], v[119:120]
	s_waitcnt vmcnt(0)
	v_add_f64 v[119:120], v[135:136], -v[119:120]
	buffer_store_dword v120, off, s[0:3], 0 offset:148
	buffer_store_dword v119, off, s[0:3], 0 offset:144
	v_cmpx_lt_u32_e32 17, v0
	s_cbranch_execz .LBB121_323
; %bb.322:
	s_clause 0x1
	buffer_load_dword v119, off, s[0:3], 0 offset:136
	buffer_load_dword v120, off, s[0:3], 0 offset:140
	buffer_store_dword v118, off, s[0:3], 0 offset:136
	buffer_store_dword v118, off, s[0:3], 0 offset:140
	s_waitcnt vmcnt(0)
	ds_write_b64 v117, v[119:120]
.LBB121_323:
	s_or_b32 exec_lo, exec_lo, s4
	s_waitcnt lgkmcnt(0)
	s_waitcnt_vscnt null, 0x0
	s_barrier
	buffer_gl0_inv
	s_clause 0x1b
	buffer_load_dword v123, off, s[0:3], 0 offset:144
	buffer_load_dword v124, off, s[0:3], 0 offset:148
	;; [unrolled: 1-line block ×28, first 2 shown]
	ds_read_b128 v[119:122], v118 offset:608
	s_clause 0x1
	buffer_load_dword v151, off, s[0:3], 0 offset:256
	buffer_load_dword v152, off, s[0:3], 0 offset:260
	s_mov_b32 s4, exec_lo
	s_waitcnt vmcnt(28) lgkmcnt(0)
	v_fma_f64 v[119:120], v[123:124], v[119:120], 0
	s_clause 0x1
	buffer_load_dword v124, off, s[0:3], 0 offset:268
	buffer_load_dword v123, off, s[0:3], 0 offset:264
	s_waitcnt vmcnt(28)
	v_fma_f64 v[125:126], v[125:126], v[121:122], v[119:120]
	ds_read_b128 v[119:122], v118 offset:624
	s_clause 0x1
	buffer_load_dword v153, off, s[0:3], 0 offset:272
	buffer_load_dword v154, off, s[0:3], 0 offset:276
	s_waitcnt vmcnt(28) lgkmcnt(0)
	v_fma_f64 v[119:120], v[127:128], v[119:120], v[125:126]
	s_clause 0x1
	buffer_load_dword v125, off, s[0:3], 0 offset:280
	buffer_load_dword v126, off, s[0:3], 0 offset:284
	s_waitcnt vmcnt(28)
	v_fma_f64 v[127:128], v[129:130], v[121:122], v[119:120]
	ds_read_b128 v[119:122], v118 offset:640
	s_clause 0x1
	buffer_load_dword v129, off, s[0:3], 0 offset:288
	buffer_load_dword v130, off, s[0:3], 0 offset:292
	s_waitcnt vmcnt(28) lgkmcnt(0)
	v_fma_f64 v[119:120], v[131:132], v[119:120], v[127:128]
	s_clause 0x1
	buffer_load_dword v128, off, s[0:3], 0 offset:300
	buffer_load_dword v127, off, s[0:3], 0 offset:296
	s_waitcnt vmcnt(28)
	v_fma_f64 v[131:132], v[133:134], v[121:122], v[119:120]
	ds_read_b128 v[119:122], v118 offset:656
	s_clause 0x1
	buffer_load_dword v133, off, s[0:3], 0 offset:304
	buffer_load_dword v134, off, s[0:3], 0 offset:308
	s_waitcnt vmcnt(28) lgkmcnt(0)
	v_fma_f64 v[119:120], v[135:136], v[119:120], v[131:132]
	s_clause 0x1
	buffer_load_dword v131, off, s[0:3], 0 offset:312
	buffer_load_dword v132, off, s[0:3], 0 offset:316
	s_waitcnt vmcnt(28)
	v_fma_f64 v[135:136], v[137:138], v[121:122], v[119:120]
	ds_read_b128 v[119:122], v118 offset:672
	s_clause 0x1
	buffer_load_dword v137, off, s[0:3], 0 offset:320
	buffer_load_dword v138, off, s[0:3], 0 offset:324
	s_waitcnt vmcnt(28) lgkmcnt(0)
	v_fma_f64 v[119:120], v[139:140], v[119:120], v[135:136]
	s_clause 0x1
	buffer_load_dword v136, off, s[0:3], 0 offset:332
	buffer_load_dword v135, off, s[0:3], 0 offset:328
	s_waitcnt vmcnt(28)
	v_fma_f64 v[139:140], v[141:142], v[121:122], v[119:120]
	ds_read_b128 v[119:122], v118 offset:688
	s_clause 0x1
	buffer_load_dword v141, off, s[0:3], 0 offset:336
	buffer_load_dword v142, off, s[0:3], 0 offset:340
	s_waitcnt vmcnt(28) lgkmcnt(0)
	v_fma_f64 v[119:120], v[143:144], v[119:120], v[139:140]
	s_clause 0x1
	buffer_load_dword v139, off, s[0:3], 0 offset:344
	buffer_load_dword v140, off, s[0:3], 0 offset:348
	s_waitcnt vmcnt(28)
	v_fma_f64 v[143:144], v[145:146], v[121:122], v[119:120]
	ds_read_b128 v[119:122], v118 offset:704
	s_clause 0x1
	buffer_load_dword v145, off, s[0:3], 0 offset:352
	buffer_load_dword v146, off, s[0:3], 0 offset:356
	s_waitcnt vmcnt(28) lgkmcnt(0)
	v_fma_f64 v[119:120], v[147:148], v[119:120], v[143:144]
	s_clause 0x1
	buffer_load_dword v144, off, s[0:3], 0 offset:364
	buffer_load_dword v143, off, s[0:3], 0 offset:360
	s_waitcnt vmcnt(28)
	v_fma_f64 v[147:148], v[149:150], v[121:122], v[119:120]
	ds_read_b128 v[119:122], v118 offset:720
	s_clause 0x1
	buffer_load_dword v149, off, s[0:3], 0 offset:368
	buffer_load_dword v150, off, s[0:3], 0 offset:372
	s_waitcnt vmcnt(28) lgkmcnt(0)
	v_fma_f64 v[119:120], v[151:152], v[119:120], v[147:148]
	s_clause 0x1
	buffer_load_dword v147, off, s[0:3], 0 offset:376
	buffer_load_dword v148, off, s[0:3], 0 offset:380
	s_waitcnt vmcnt(28)
	v_fma_f64 v[123:124], v[123:124], v[121:122], v[119:120]
	ds_read_b128 v[119:122], v118 offset:736
	s_clause 0x1
	buffer_load_dword v151, off, s[0:3], 0 offset:384
	buffer_load_dword v152, off, s[0:3], 0 offset:388
	s_waitcnt vmcnt(28) lgkmcnt(0)
	v_fma_f64 v[119:120], v[153:154], v[119:120], v[123:124]
	s_clause 0x1
	buffer_load_dword v124, off, s[0:3], 0 offset:396
	buffer_load_dword v123, off, s[0:3], 0 offset:392
	s_waitcnt vmcnt(28)
	v_fma_f64 v[125:126], v[125:126], v[121:122], v[119:120]
	ds_read_b128 v[119:122], v118 offset:752
	s_clause 0x1
	buffer_load_dword v153, off, s[0:3], 0 offset:400
	buffer_load_dword v154, off, s[0:3], 0 offset:404
	s_waitcnt vmcnt(28) lgkmcnt(0)
	v_fma_f64 v[119:120], v[129:130], v[119:120], v[125:126]
	s_clause 0x1
	buffer_load_dword v125, off, s[0:3], 0 offset:408
	buffer_load_dword v126, off, s[0:3], 0 offset:412
	s_waitcnt vmcnt(28)
	v_fma_f64 v[127:128], v[127:128], v[121:122], v[119:120]
	ds_read_b128 v[119:122], v118 offset:768
	s_clause 0x1
	buffer_load_dword v129, off, s[0:3], 0 offset:416
	buffer_load_dword v130, off, s[0:3], 0 offset:420
	s_waitcnt vmcnt(28) lgkmcnt(0)
	v_fma_f64 v[119:120], v[133:134], v[119:120], v[127:128]
	s_clause 0x1
	buffer_load_dword v128, off, s[0:3], 0 offset:428
	buffer_load_dword v127, off, s[0:3], 0 offset:424
	s_waitcnt vmcnt(28)
	v_fma_f64 v[131:132], v[131:132], v[121:122], v[119:120]
	ds_read_b128 v[119:122], v118 offset:784
	s_clause 0x1
	buffer_load_dword v133, off, s[0:3], 0 offset:432
	buffer_load_dword v134, off, s[0:3], 0 offset:436
	s_waitcnt vmcnt(28) lgkmcnt(0)
	v_fma_f64 v[119:120], v[137:138], v[119:120], v[131:132]
	s_clause 0x1
	buffer_load_dword v131, off, s[0:3], 0 offset:440
	buffer_load_dword v132, off, s[0:3], 0 offset:444
	s_waitcnt vmcnt(28)
	v_fma_f64 v[135:136], v[135:136], v[121:122], v[119:120]
	ds_read_b128 v[119:122], v118 offset:800
	s_clause 0x1
	buffer_load_dword v137, off, s[0:3], 0 offset:448
	buffer_load_dword v138, off, s[0:3], 0 offset:452
	s_waitcnt vmcnt(28) lgkmcnt(0)
	v_fma_f64 v[119:120], v[141:142], v[119:120], v[135:136]
	s_clause 0x1
	buffer_load_dword v136, off, s[0:3], 0 offset:460
	buffer_load_dword v135, off, s[0:3], 0 offset:456
	s_waitcnt vmcnt(28)
	v_fma_f64 v[139:140], v[139:140], v[121:122], v[119:120]
	ds_read_b128 v[119:122], v118 offset:816
	s_clause 0x1
	buffer_load_dword v141, off, s[0:3], 0 offset:136
	buffer_load_dword v142, off, s[0:3], 0 offset:140
	s_waitcnt vmcnt(28) lgkmcnt(0)
	v_fma_f64 v[119:120], v[145:146], v[119:120], v[139:140]
	s_waitcnt vmcnt(26)
	v_fma_f64 v[139:140], v[143:144], v[121:122], v[119:120]
	ds_read_b128 v[119:122], v118 offset:832
	s_waitcnt vmcnt(24) lgkmcnt(0)
	v_fma_f64 v[119:120], v[149:150], v[119:120], v[139:140]
	s_waitcnt vmcnt(22)
	v_fma_f64 v[139:140], v[147:148], v[121:122], v[119:120]
	ds_read_b128 v[119:122], v118 offset:848
	;; [unrolled: 5-line block ×6, first 2 shown]
	s_waitcnt vmcnt(4) lgkmcnt(0)
	v_fma_f64 v[118:119], v[137:138], v[118:119], v[122:123]
	s_waitcnt vmcnt(2)
	v_fma_f64 v[118:119], v[135:136], v[120:121], v[118:119]
	s_waitcnt vmcnt(0)
	v_add_f64 v[118:119], v[141:142], -v[118:119]
	buffer_store_dword v119, off, s[0:3], 0 offset:140
	buffer_store_dword v118, off, s[0:3], 0 offset:136
	v_cmpx_lt_u32_e32 16, v0
	s_cbranch_execz .LBB121_325
; %bb.324:
	s_clause 0x1
	buffer_load_dword v118, off, s[0:3], 0 offset:128
	buffer_load_dword v119, off, s[0:3], 0 offset:132
	v_mov_b32_e32 v120, 0
	buffer_store_dword v120, off, s[0:3], 0 offset:128
	buffer_store_dword v120, off, s[0:3], 0 offset:132
	s_waitcnt vmcnt(0)
	ds_write_b64 v117, v[118:119]
.LBB121_325:
	s_or_b32 exec_lo, exec_lo, s4
	s_waitcnt lgkmcnt(0)
	s_waitcnt_vscnt null, 0x0
	s_barrier
	buffer_gl0_inv
	s_clause 0x1b
	buffer_load_dword v123, off, s[0:3], 0 offset:136
	buffer_load_dword v124, off, s[0:3], 0 offset:140
	;; [unrolled: 1-line block ×28, first 2 shown]
	v_mov_b32_e32 v118, 0
	s_mov_b32 s4, exec_lo
	ds_read2_b64 v[119:122], v118 offset0:75 offset1:76
	s_clause 0x1
	buffer_load_dword v151, off, s[0:3], 0 offset:248
	buffer_load_dword v152, off, s[0:3], 0 offset:252
	s_waitcnt vmcnt(28) lgkmcnt(0)
	v_fma_f64 v[119:120], v[123:124], v[119:120], 0
	s_clause 0x1
	buffer_load_dword v124, off, s[0:3], 0 offset:260
	buffer_load_dword v123, off, s[0:3], 0 offset:256
	s_waitcnt vmcnt(28)
	v_fma_f64 v[125:126], v[125:126], v[121:122], v[119:120]
	ds_read2_b64 v[119:122], v118 offset0:77 offset1:78
	s_clause 0x1
	buffer_load_dword v153, off, s[0:3], 0 offset:264
	buffer_load_dword v154, off, s[0:3], 0 offset:268
	s_waitcnt vmcnt(28) lgkmcnt(0)
	v_fma_f64 v[119:120], v[127:128], v[119:120], v[125:126]
	s_clause 0x1
	buffer_load_dword v125, off, s[0:3], 0 offset:272
	buffer_load_dword v126, off, s[0:3], 0 offset:276
	s_waitcnt vmcnt(28)
	v_fma_f64 v[127:128], v[129:130], v[121:122], v[119:120]
	ds_read2_b64 v[119:122], v118 offset0:79 offset1:80
	s_clause 0x1
	buffer_load_dword v129, off, s[0:3], 0 offset:280
	buffer_load_dword v130, off, s[0:3], 0 offset:284
	s_waitcnt vmcnt(28) lgkmcnt(0)
	v_fma_f64 v[119:120], v[131:132], v[119:120], v[127:128]
	s_clause 0x1
	buffer_load_dword v128, off, s[0:3], 0 offset:292
	buffer_load_dword v127, off, s[0:3], 0 offset:288
	s_waitcnt vmcnt(28)
	v_fma_f64 v[131:132], v[133:134], v[121:122], v[119:120]
	ds_read2_b64 v[119:122], v118 offset0:81 offset1:82
	s_clause 0x1
	buffer_load_dword v133, off, s[0:3], 0 offset:296
	buffer_load_dword v134, off, s[0:3], 0 offset:300
	s_waitcnt vmcnt(28) lgkmcnt(0)
	v_fma_f64 v[119:120], v[135:136], v[119:120], v[131:132]
	s_clause 0x1
	buffer_load_dword v131, off, s[0:3], 0 offset:304
	buffer_load_dword v132, off, s[0:3], 0 offset:308
	s_waitcnt vmcnt(28)
	v_fma_f64 v[135:136], v[137:138], v[121:122], v[119:120]
	ds_read2_b64 v[119:122], v118 offset0:83 offset1:84
	s_clause 0x1
	buffer_load_dword v137, off, s[0:3], 0 offset:312
	buffer_load_dword v138, off, s[0:3], 0 offset:316
	s_waitcnt vmcnt(28) lgkmcnt(0)
	v_fma_f64 v[119:120], v[139:140], v[119:120], v[135:136]
	s_clause 0x1
	buffer_load_dword v136, off, s[0:3], 0 offset:324
	buffer_load_dword v135, off, s[0:3], 0 offset:320
	s_waitcnt vmcnt(28)
	v_fma_f64 v[139:140], v[141:142], v[121:122], v[119:120]
	ds_read2_b64 v[119:122], v118 offset0:85 offset1:86
	s_clause 0x1
	buffer_load_dword v141, off, s[0:3], 0 offset:328
	buffer_load_dword v142, off, s[0:3], 0 offset:332
	s_waitcnt vmcnt(28) lgkmcnt(0)
	v_fma_f64 v[119:120], v[143:144], v[119:120], v[139:140]
	s_clause 0x1
	buffer_load_dword v139, off, s[0:3], 0 offset:336
	buffer_load_dword v140, off, s[0:3], 0 offset:340
	s_waitcnt vmcnt(28)
	v_fma_f64 v[143:144], v[145:146], v[121:122], v[119:120]
	ds_read2_b64 v[119:122], v118 offset0:87 offset1:88
	s_clause 0x1
	buffer_load_dword v145, off, s[0:3], 0 offset:344
	buffer_load_dword v146, off, s[0:3], 0 offset:348
	s_waitcnt vmcnt(28) lgkmcnt(0)
	v_fma_f64 v[119:120], v[147:148], v[119:120], v[143:144]
	s_clause 0x1
	buffer_load_dword v144, off, s[0:3], 0 offset:356
	buffer_load_dword v143, off, s[0:3], 0 offset:352
	s_waitcnt vmcnt(28)
	v_fma_f64 v[147:148], v[149:150], v[121:122], v[119:120]
	ds_read2_b64 v[119:122], v118 offset0:89 offset1:90
	s_clause 0x1
	buffer_load_dword v149, off, s[0:3], 0 offset:360
	buffer_load_dword v150, off, s[0:3], 0 offset:364
	s_waitcnt vmcnt(28) lgkmcnt(0)
	v_fma_f64 v[119:120], v[151:152], v[119:120], v[147:148]
	s_clause 0x1
	buffer_load_dword v147, off, s[0:3], 0 offset:368
	buffer_load_dword v148, off, s[0:3], 0 offset:372
	s_waitcnt vmcnt(28)
	v_fma_f64 v[123:124], v[123:124], v[121:122], v[119:120]
	ds_read2_b64 v[119:122], v118 offset0:91 offset1:92
	s_clause 0x1
	buffer_load_dword v151, off, s[0:3], 0 offset:376
	buffer_load_dword v152, off, s[0:3], 0 offset:380
	s_waitcnt vmcnt(28) lgkmcnt(0)
	v_fma_f64 v[119:120], v[153:154], v[119:120], v[123:124]
	s_clause 0x1
	buffer_load_dword v124, off, s[0:3], 0 offset:388
	buffer_load_dword v123, off, s[0:3], 0 offset:384
	s_waitcnt vmcnt(28)
	v_fma_f64 v[125:126], v[125:126], v[121:122], v[119:120]
	ds_read2_b64 v[119:122], v118 offset0:93 offset1:94
	s_clause 0x1
	buffer_load_dword v153, off, s[0:3], 0 offset:392
	buffer_load_dword v154, off, s[0:3], 0 offset:396
	s_waitcnt vmcnt(28) lgkmcnt(0)
	v_fma_f64 v[119:120], v[129:130], v[119:120], v[125:126]
	s_clause 0x1
	buffer_load_dword v125, off, s[0:3], 0 offset:400
	buffer_load_dword v126, off, s[0:3], 0 offset:404
	s_waitcnt vmcnt(28)
	v_fma_f64 v[127:128], v[127:128], v[121:122], v[119:120]
	ds_read2_b64 v[119:122], v118 offset0:95 offset1:96
	s_clause 0x1
	buffer_load_dword v129, off, s[0:3], 0 offset:408
	buffer_load_dword v130, off, s[0:3], 0 offset:412
	s_waitcnt vmcnt(28) lgkmcnt(0)
	v_fma_f64 v[119:120], v[133:134], v[119:120], v[127:128]
	s_clause 0x1
	buffer_load_dword v128, off, s[0:3], 0 offset:420
	buffer_load_dword v127, off, s[0:3], 0 offset:416
	s_waitcnt vmcnt(28)
	v_fma_f64 v[131:132], v[131:132], v[121:122], v[119:120]
	ds_read2_b64 v[119:122], v118 offset0:97 offset1:98
	s_clause 0x1
	buffer_load_dword v133, off, s[0:3], 0 offset:424
	buffer_load_dword v134, off, s[0:3], 0 offset:428
	s_waitcnt vmcnt(28) lgkmcnt(0)
	v_fma_f64 v[119:120], v[137:138], v[119:120], v[131:132]
	s_clause 0x1
	buffer_load_dword v131, off, s[0:3], 0 offset:432
	buffer_load_dword v132, off, s[0:3], 0 offset:436
	s_waitcnt vmcnt(28)
	v_fma_f64 v[135:136], v[135:136], v[121:122], v[119:120]
	ds_read2_b64 v[119:122], v118 offset0:99 offset1:100
	s_clause 0x1
	buffer_load_dword v137, off, s[0:3], 0 offset:440
	buffer_load_dword v138, off, s[0:3], 0 offset:444
	s_waitcnt vmcnt(28) lgkmcnt(0)
	v_fma_f64 v[119:120], v[141:142], v[119:120], v[135:136]
	s_clause 0x1
	buffer_load_dword v136, off, s[0:3], 0 offset:452
	buffer_load_dword v135, off, s[0:3], 0 offset:448
	s_waitcnt vmcnt(28)
	v_fma_f64 v[139:140], v[139:140], v[121:122], v[119:120]
	ds_read2_b64 v[119:122], v118 offset0:101 offset1:102
	s_clause 0x1
	buffer_load_dword v141, off, s[0:3], 0 offset:456
	buffer_load_dword v142, off, s[0:3], 0 offset:460
	s_waitcnt vmcnt(28) lgkmcnt(0)
	v_fma_f64 v[119:120], v[145:146], v[119:120], v[139:140]
	s_clause 0x1
	buffer_load_dword v139, off, s[0:3], 0 offset:128
	buffer_load_dword v140, off, s[0:3], 0 offset:132
	s_waitcnt vmcnt(28)
	v_fma_f64 v[143:144], v[143:144], v[121:122], v[119:120]
	ds_read2_b64 v[119:122], v118 offset0:103 offset1:104
	s_waitcnt vmcnt(26) lgkmcnt(0)
	v_fma_f64 v[119:120], v[149:150], v[119:120], v[143:144]
	s_waitcnt vmcnt(24)
	v_fma_f64 v[143:144], v[147:148], v[121:122], v[119:120]
	ds_read2_b64 v[119:122], v118 offset0:105 offset1:106
	s_waitcnt vmcnt(22) lgkmcnt(0)
	v_fma_f64 v[119:120], v[151:152], v[119:120], v[143:144]
	s_waitcnt vmcnt(20)
	v_fma_f64 v[123:124], v[123:124], v[121:122], v[119:120]
	;; [unrolled: 5-line block ×6, first 2 shown]
	ds_read_b64 v[121:122], v118 offset:920
	s_waitcnt vmcnt(2) lgkmcnt(0)
	v_fma_f64 v[119:120], v[141:142], v[121:122], v[119:120]
	s_waitcnt vmcnt(0)
	v_add_f64 v[119:120], v[139:140], -v[119:120]
	buffer_store_dword v120, off, s[0:3], 0 offset:132
	buffer_store_dword v119, off, s[0:3], 0 offset:128
	v_cmpx_lt_u32_e32 15, v0
	s_cbranch_execz .LBB121_327
; %bb.326:
	s_clause 0x1
	buffer_load_dword v119, off, s[0:3], 0 offset:120
	buffer_load_dword v120, off, s[0:3], 0 offset:124
	buffer_store_dword v118, off, s[0:3], 0 offset:120
	buffer_store_dword v118, off, s[0:3], 0 offset:124
	s_waitcnt vmcnt(0)
	ds_write_b64 v117, v[119:120]
.LBB121_327:
	s_or_b32 exec_lo, exec_lo, s4
	s_waitcnt lgkmcnt(0)
	s_waitcnt_vscnt null, 0x0
	s_barrier
	buffer_gl0_inv
	s_clause 0x1b
	buffer_load_dword v123, off, s[0:3], 0 offset:128
	buffer_load_dword v124, off, s[0:3], 0 offset:132
	;; [unrolled: 1-line block ×28, first 2 shown]
	ds_read_b128 v[119:122], v118 offset:592
	s_clause 0x1
	buffer_load_dword v151, off, s[0:3], 0 offset:240
	buffer_load_dword v152, off, s[0:3], 0 offset:244
	s_mov_b32 s4, exec_lo
	s_waitcnt vmcnt(28) lgkmcnt(0)
	v_fma_f64 v[119:120], v[123:124], v[119:120], 0
	s_clause 0x1
	buffer_load_dword v124, off, s[0:3], 0 offset:252
	buffer_load_dword v123, off, s[0:3], 0 offset:248
	s_waitcnt vmcnt(28)
	v_fma_f64 v[125:126], v[125:126], v[121:122], v[119:120]
	ds_read_b128 v[119:122], v118 offset:608
	s_clause 0x1
	buffer_load_dword v153, off, s[0:3], 0 offset:256
	buffer_load_dword v154, off, s[0:3], 0 offset:260
	s_waitcnt vmcnt(28) lgkmcnt(0)
	v_fma_f64 v[119:120], v[127:128], v[119:120], v[125:126]
	s_clause 0x1
	buffer_load_dword v125, off, s[0:3], 0 offset:264
	buffer_load_dword v126, off, s[0:3], 0 offset:268
	s_waitcnt vmcnt(28)
	v_fma_f64 v[127:128], v[129:130], v[121:122], v[119:120]
	ds_read_b128 v[119:122], v118 offset:624
	s_clause 0x1
	buffer_load_dword v129, off, s[0:3], 0 offset:272
	buffer_load_dword v130, off, s[0:3], 0 offset:276
	;; [unrolled: 11-line block ×14, first 2 shown]
	s_waitcnt vmcnt(28) lgkmcnt(0)
	v_fma_f64 v[119:120], v[149:150], v[119:120], v[143:144]
	s_waitcnt vmcnt(26)
	v_fma_f64 v[143:144], v[147:148], v[121:122], v[119:120]
	ds_read_b128 v[119:122], v118 offset:832
	s_waitcnt vmcnt(24) lgkmcnt(0)
	v_fma_f64 v[119:120], v[151:152], v[119:120], v[143:144]
	s_waitcnt vmcnt(22)
	v_fma_f64 v[123:124], v[123:124], v[121:122], v[119:120]
	ds_read_b128 v[119:122], v118 offset:848
	s_waitcnt vmcnt(20) lgkmcnt(0)
	v_fma_f64 v[119:120], v[153:154], v[119:120], v[123:124]
	s_waitcnt vmcnt(18)
	v_fma_f64 v[123:124], v[125:126], v[121:122], v[119:120]
	ds_read_b128 v[119:122], v118 offset:864
	s_waitcnt vmcnt(16) lgkmcnt(0)
	v_fma_f64 v[119:120], v[129:130], v[119:120], v[123:124]
	s_waitcnt vmcnt(14)
	v_fma_f64 v[123:124], v[127:128], v[121:122], v[119:120]
	ds_read_b128 v[119:122], v118 offset:880
	s_waitcnt vmcnt(12) lgkmcnt(0)
	v_fma_f64 v[119:120], v[133:134], v[119:120], v[123:124]
	s_waitcnt vmcnt(10)
	v_fma_f64 v[123:124], v[131:132], v[121:122], v[119:120]
	ds_read_b128 v[119:122], v118 offset:896
	s_waitcnt vmcnt(8) lgkmcnt(0)
	v_fma_f64 v[119:120], v[137:138], v[119:120], v[123:124]
	s_waitcnt vmcnt(6)
	v_fma_f64 v[122:123], v[135:136], v[121:122], v[119:120]
	ds_read_b128 v[118:121], v118 offset:912
	s_waitcnt vmcnt(4) lgkmcnt(0)
	v_fma_f64 v[118:119], v[141:142], v[118:119], v[122:123]
	s_waitcnt vmcnt(2)
	v_fma_f64 v[118:119], v[139:140], v[120:121], v[118:119]
	s_waitcnt vmcnt(0)
	v_add_f64 v[118:119], v[145:146], -v[118:119]
	buffer_store_dword v119, off, s[0:3], 0 offset:124
	buffer_store_dword v118, off, s[0:3], 0 offset:120
	v_cmpx_lt_u32_e32 14, v0
	s_cbranch_execz .LBB121_329
; %bb.328:
	s_clause 0x1
	buffer_load_dword v118, off, s[0:3], 0 offset:112
	buffer_load_dword v119, off, s[0:3], 0 offset:116
	v_mov_b32_e32 v120, 0
	buffer_store_dword v120, off, s[0:3], 0 offset:112
	buffer_store_dword v120, off, s[0:3], 0 offset:116
	s_waitcnt vmcnt(0)
	ds_write_b64 v117, v[118:119]
.LBB121_329:
	s_or_b32 exec_lo, exec_lo, s4
	s_waitcnt lgkmcnt(0)
	s_waitcnt_vscnt null, 0x0
	s_barrier
	buffer_gl0_inv
	s_clause 0x1b
	buffer_load_dword v123, off, s[0:3], 0 offset:120
	buffer_load_dword v124, off, s[0:3], 0 offset:124
	buffer_load_dword v125, off, s[0:3], 0 offset:128
	buffer_load_dword v126, off, s[0:3], 0 offset:132
	buffer_load_dword v127, off, s[0:3], 0 offset:136
	buffer_load_dword v128, off, s[0:3], 0 offset:140
	buffer_load_dword v129, off, s[0:3], 0 offset:144
	buffer_load_dword v130, off, s[0:3], 0 offset:148
	buffer_load_dword v131, off, s[0:3], 0 offset:152
	buffer_load_dword v132, off, s[0:3], 0 offset:156
	buffer_load_dword v133, off, s[0:3], 0 offset:160
	buffer_load_dword v134, off, s[0:3], 0 offset:164
	buffer_load_dword v135, off, s[0:3], 0 offset:168
	buffer_load_dword v136, off, s[0:3], 0 offset:172
	buffer_load_dword v138, off, s[0:3], 0 offset:180
	buffer_load_dword v137, off, s[0:3], 0 offset:176
	buffer_load_dword v139, off, s[0:3], 0 offset:184
	buffer_load_dword v140, off, s[0:3], 0 offset:188
	buffer_load_dword v141, off, s[0:3], 0 offset:192
	buffer_load_dword v142, off, s[0:3], 0 offset:196
	buffer_load_dword v143, off, s[0:3], 0 offset:200
	buffer_load_dword v144, off, s[0:3], 0 offset:204
	buffer_load_dword v146, off, s[0:3], 0 offset:212
	buffer_load_dword v145, off, s[0:3], 0 offset:208
	buffer_load_dword v147, off, s[0:3], 0 offset:216
	buffer_load_dword v148, off, s[0:3], 0 offset:220
	buffer_load_dword v149, off, s[0:3], 0 offset:224
	buffer_load_dword v150, off, s[0:3], 0 offset:228
	v_mov_b32_e32 v118, 0
	s_mov_b32 s4, exec_lo
	ds_read2_b64 v[119:122], v118 offset0:73 offset1:74
	s_clause 0x1
	buffer_load_dword v151, off, s[0:3], 0 offset:232
	buffer_load_dword v152, off, s[0:3], 0 offset:236
	s_waitcnt vmcnt(28) lgkmcnt(0)
	v_fma_f64 v[119:120], v[123:124], v[119:120], 0
	s_clause 0x1
	buffer_load_dword v124, off, s[0:3], 0 offset:244
	buffer_load_dword v123, off, s[0:3], 0 offset:240
	s_waitcnt vmcnt(28)
	v_fma_f64 v[125:126], v[125:126], v[121:122], v[119:120]
	ds_read2_b64 v[119:122], v118 offset0:75 offset1:76
	s_clause 0x1
	buffer_load_dword v153, off, s[0:3], 0 offset:248
	buffer_load_dword v154, off, s[0:3], 0 offset:252
	s_waitcnt vmcnt(28) lgkmcnt(0)
	v_fma_f64 v[119:120], v[127:128], v[119:120], v[125:126]
	s_clause 0x1
	buffer_load_dword v125, off, s[0:3], 0 offset:256
	buffer_load_dword v126, off, s[0:3], 0 offset:260
	s_waitcnt vmcnt(28)
	v_fma_f64 v[127:128], v[129:130], v[121:122], v[119:120]
	;; [unrolled: 11-line block ×15, first 2 shown]
	ds_read2_b64 v[119:122], v118 offset0:103 offset1:104
	s_waitcnt vmcnt(26) lgkmcnt(0)
	v_fma_f64 v[119:120], v[151:152], v[119:120], v[147:148]
	s_waitcnt vmcnt(24)
	v_fma_f64 v[123:124], v[123:124], v[121:122], v[119:120]
	ds_read2_b64 v[119:122], v118 offset0:105 offset1:106
	s_waitcnt vmcnt(22) lgkmcnt(0)
	v_fma_f64 v[119:120], v[153:154], v[119:120], v[123:124]
	s_waitcnt vmcnt(20)
	v_fma_f64 v[123:124], v[125:126], v[121:122], v[119:120]
	;; [unrolled: 5-line block ×6, first 2 shown]
	ds_read_b64 v[121:122], v118 offset:920
	s_waitcnt vmcnt(2) lgkmcnt(0)
	v_fma_f64 v[119:120], v[145:146], v[121:122], v[119:120]
	s_waitcnt vmcnt(0)
	v_add_f64 v[119:120], v[143:144], -v[119:120]
	buffer_store_dword v120, off, s[0:3], 0 offset:116
	buffer_store_dword v119, off, s[0:3], 0 offset:112
	v_cmpx_lt_u32_e32 13, v0
	s_cbranch_execz .LBB121_331
; %bb.330:
	s_clause 0x1
	buffer_load_dword v119, off, s[0:3], 0 offset:104
	buffer_load_dword v120, off, s[0:3], 0 offset:108
	buffer_store_dword v118, off, s[0:3], 0 offset:104
	buffer_store_dword v118, off, s[0:3], 0 offset:108
	s_waitcnt vmcnt(0)
	ds_write_b64 v117, v[119:120]
.LBB121_331:
	s_or_b32 exec_lo, exec_lo, s4
	s_waitcnt lgkmcnt(0)
	s_waitcnt_vscnt null, 0x0
	s_barrier
	buffer_gl0_inv
	s_clause 0x1b
	buffer_load_dword v123, off, s[0:3], 0 offset:112
	buffer_load_dword v124, off, s[0:3], 0 offset:116
	;; [unrolled: 1-line block ×28, first 2 shown]
	ds_read_b128 v[119:122], v118 offset:576
	s_clause 0x1
	buffer_load_dword v151, off, s[0:3], 0 offset:224
	buffer_load_dword v152, off, s[0:3], 0 offset:228
	s_mov_b32 s4, exec_lo
	s_waitcnt vmcnt(28) lgkmcnt(0)
	v_fma_f64 v[119:120], v[123:124], v[119:120], 0
	s_clause 0x1
	buffer_load_dword v124, off, s[0:3], 0 offset:236
	buffer_load_dword v123, off, s[0:3], 0 offset:232
	s_waitcnt vmcnt(28)
	v_fma_f64 v[125:126], v[125:126], v[121:122], v[119:120]
	ds_read_b128 v[119:122], v118 offset:592
	s_clause 0x1
	buffer_load_dword v153, off, s[0:3], 0 offset:240
	buffer_load_dword v154, off, s[0:3], 0 offset:244
	s_waitcnt vmcnt(28) lgkmcnt(0)
	v_fma_f64 v[119:120], v[127:128], v[119:120], v[125:126]
	s_clause 0x1
	buffer_load_dword v125, off, s[0:3], 0 offset:248
	buffer_load_dword v126, off, s[0:3], 0 offset:252
	s_waitcnt vmcnt(28)
	v_fma_f64 v[127:128], v[129:130], v[121:122], v[119:120]
	ds_read_b128 v[119:122], v118 offset:608
	s_clause 0x1
	buffer_load_dword v129, off, s[0:3], 0 offset:256
	buffer_load_dword v130, off, s[0:3], 0 offset:260
	;; [unrolled: 11-line block ×15, first 2 shown]
	s_waitcnt vmcnt(28) lgkmcnt(0)
	v_fma_f64 v[119:120], v[151:152], v[119:120], v[147:148]
	s_waitcnt vmcnt(26)
	v_fma_f64 v[123:124], v[123:124], v[121:122], v[119:120]
	ds_read_b128 v[119:122], v118 offset:832
	s_waitcnt vmcnt(24) lgkmcnt(0)
	v_fma_f64 v[119:120], v[153:154], v[119:120], v[123:124]
	s_waitcnt vmcnt(22)
	v_fma_f64 v[123:124], v[125:126], v[121:122], v[119:120]
	ds_read_b128 v[119:122], v118 offset:848
	;; [unrolled: 5-line block ×6, first 2 shown]
	s_waitcnt vmcnt(4) lgkmcnt(0)
	v_fma_f64 v[118:119], v[145:146], v[118:119], v[122:123]
	s_waitcnt vmcnt(2)
	v_fma_f64 v[118:119], v[143:144], v[120:121], v[118:119]
	s_waitcnt vmcnt(0)
	v_add_f64 v[118:119], v[149:150], -v[118:119]
	buffer_store_dword v119, off, s[0:3], 0 offset:108
	buffer_store_dword v118, off, s[0:3], 0 offset:104
	v_cmpx_lt_u32_e32 12, v0
	s_cbranch_execz .LBB121_333
; %bb.332:
	s_clause 0x1
	buffer_load_dword v118, off, s[0:3], 0 offset:96
	buffer_load_dword v119, off, s[0:3], 0 offset:100
	v_mov_b32_e32 v120, 0
	buffer_store_dword v120, off, s[0:3], 0 offset:96
	buffer_store_dword v120, off, s[0:3], 0 offset:100
	s_waitcnt vmcnt(0)
	ds_write_b64 v117, v[118:119]
.LBB121_333:
	s_or_b32 exec_lo, exec_lo, s4
	s_waitcnt lgkmcnt(0)
	s_waitcnt_vscnt null, 0x0
	s_barrier
	buffer_gl0_inv
	s_clause 0x1b
	buffer_load_dword v123, off, s[0:3], 0 offset:104
	buffer_load_dword v124, off, s[0:3], 0 offset:108
	buffer_load_dword v125, off, s[0:3], 0 offset:112
	buffer_load_dword v126, off, s[0:3], 0 offset:116
	buffer_load_dword v127, off, s[0:3], 0 offset:120
	buffer_load_dword v128, off, s[0:3], 0 offset:124
	buffer_load_dword v129, off, s[0:3], 0 offset:128
	buffer_load_dword v130, off, s[0:3], 0 offset:132
	buffer_load_dword v131, off, s[0:3], 0 offset:136
	buffer_load_dword v132, off, s[0:3], 0 offset:140
	buffer_load_dword v133, off, s[0:3], 0 offset:144
	buffer_load_dword v134, off, s[0:3], 0 offset:148
	buffer_load_dword v135, off, s[0:3], 0 offset:152
	buffer_load_dword v136, off, s[0:3], 0 offset:156
	buffer_load_dword v138, off, s[0:3], 0 offset:164
	buffer_load_dword v137, off, s[0:3], 0 offset:160
	buffer_load_dword v139, off, s[0:3], 0 offset:168
	buffer_load_dword v140, off, s[0:3], 0 offset:172
	buffer_load_dword v141, off, s[0:3], 0 offset:176
	buffer_load_dword v142, off, s[0:3], 0 offset:180
	buffer_load_dword v143, off, s[0:3], 0 offset:184
	buffer_load_dword v144, off, s[0:3], 0 offset:188
	buffer_load_dword v146, off, s[0:3], 0 offset:196
	buffer_load_dword v145, off, s[0:3], 0 offset:192
	buffer_load_dword v147, off, s[0:3], 0 offset:200
	buffer_load_dword v148, off, s[0:3], 0 offset:204
	buffer_load_dword v149, off, s[0:3], 0 offset:208
	buffer_load_dword v150, off, s[0:3], 0 offset:212
	v_mov_b32_e32 v118, 0
	s_mov_b32 s4, exec_lo
	ds_read2_b64 v[119:122], v118 offset0:71 offset1:72
	s_clause 0x1
	buffer_load_dword v151, off, s[0:3], 0 offset:216
	buffer_load_dword v152, off, s[0:3], 0 offset:220
	s_waitcnt vmcnt(28) lgkmcnt(0)
	v_fma_f64 v[119:120], v[123:124], v[119:120], 0
	s_clause 0x1
	buffer_load_dword v124, off, s[0:3], 0 offset:228
	buffer_load_dword v123, off, s[0:3], 0 offset:224
	s_waitcnt vmcnt(28)
	v_fma_f64 v[125:126], v[125:126], v[121:122], v[119:120]
	ds_read2_b64 v[119:122], v118 offset0:73 offset1:74
	s_clause 0x1
	buffer_load_dword v153, off, s[0:3], 0 offset:232
	buffer_load_dword v154, off, s[0:3], 0 offset:236
	s_waitcnt vmcnt(28) lgkmcnt(0)
	v_fma_f64 v[119:120], v[127:128], v[119:120], v[125:126]
	s_clause 0x1
	buffer_load_dword v125, off, s[0:3], 0 offset:240
	buffer_load_dword v126, off, s[0:3], 0 offset:244
	s_waitcnt vmcnt(28)
	v_fma_f64 v[127:128], v[129:130], v[121:122], v[119:120]
	;; [unrolled: 11-line block ×16, first 2 shown]
	ds_read2_b64 v[119:122], v118 offset0:103 offset1:104
	s_waitcnt vmcnt(26) lgkmcnt(0)
	v_fma_f64 v[119:120], v[153:154], v[119:120], v[123:124]
	s_waitcnt vmcnt(24)
	v_fma_f64 v[123:124], v[125:126], v[121:122], v[119:120]
	ds_read2_b64 v[119:122], v118 offset0:105 offset1:106
	s_waitcnt vmcnt(22) lgkmcnt(0)
	v_fma_f64 v[119:120], v[129:130], v[119:120], v[123:124]
	s_waitcnt vmcnt(20)
	v_fma_f64 v[123:124], v[127:128], v[121:122], v[119:120]
	;; [unrolled: 5-line block ×6, first 2 shown]
	ds_read_b64 v[121:122], v118 offset:920
	s_waitcnt vmcnt(2) lgkmcnt(0)
	v_fma_f64 v[119:120], v[149:150], v[121:122], v[119:120]
	s_waitcnt vmcnt(0)
	v_add_f64 v[119:120], v[147:148], -v[119:120]
	buffer_store_dword v120, off, s[0:3], 0 offset:100
	buffer_store_dword v119, off, s[0:3], 0 offset:96
	v_cmpx_lt_u32_e32 11, v0
	s_cbranch_execz .LBB121_335
; %bb.334:
	s_clause 0x1
	buffer_load_dword v119, off, s[0:3], 0 offset:88
	buffer_load_dword v120, off, s[0:3], 0 offset:92
	buffer_store_dword v118, off, s[0:3], 0 offset:88
	buffer_store_dword v118, off, s[0:3], 0 offset:92
	s_waitcnt vmcnt(0)
	ds_write_b64 v117, v[119:120]
.LBB121_335:
	s_or_b32 exec_lo, exec_lo, s4
	s_waitcnt lgkmcnt(0)
	s_waitcnt_vscnt null, 0x0
	s_barrier
	buffer_gl0_inv
	s_clause 0x1b
	buffer_load_dword v123, off, s[0:3], 0 offset:96
	buffer_load_dword v124, off, s[0:3], 0 offset:100
	;; [unrolled: 1-line block ×28, first 2 shown]
	ds_read_b128 v[119:122], v118 offset:560
	s_clause 0x1
	buffer_load_dword v151, off, s[0:3], 0 offset:208
	buffer_load_dword v152, off, s[0:3], 0 offset:212
	s_mov_b32 s4, exec_lo
	s_waitcnt vmcnt(28) lgkmcnt(0)
	v_fma_f64 v[119:120], v[123:124], v[119:120], 0
	s_clause 0x1
	buffer_load_dword v124, off, s[0:3], 0 offset:220
	buffer_load_dword v123, off, s[0:3], 0 offset:216
	s_waitcnt vmcnt(28)
	v_fma_f64 v[125:126], v[125:126], v[121:122], v[119:120]
	ds_read_b128 v[119:122], v118 offset:576
	s_clause 0x1
	buffer_load_dword v153, off, s[0:3], 0 offset:224
	buffer_load_dword v154, off, s[0:3], 0 offset:228
	s_waitcnt vmcnt(28) lgkmcnt(0)
	v_fma_f64 v[119:120], v[127:128], v[119:120], v[125:126]
	s_clause 0x1
	buffer_load_dword v125, off, s[0:3], 0 offset:232
	buffer_load_dword v126, off, s[0:3], 0 offset:236
	s_waitcnt vmcnt(28)
	v_fma_f64 v[127:128], v[129:130], v[121:122], v[119:120]
	ds_read_b128 v[119:122], v118 offset:592
	s_clause 0x1
	buffer_load_dword v129, off, s[0:3], 0 offset:240
	buffer_load_dword v130, off, s[0:3], 0 offset:244
	;; [unrolled: 11-line block ×16, first 2 shown]
	s_waitcnt vmcnt(28) lgkmcnt(0)
	v_fma_f64 v[119:120], v[153:154], v[119:120], v[123:124]
	s_waitcnt vmcnt(26)
	v_fma_f64 v[123:124], v[125:126], v[121:122], v[119:120]
	ds_read_b128 v[119:122], v118 offset:832
	s_waitcnt vmcnt(24) lgkmcnt(0)
	v_fma_f64 v[119:120], v[129:130], v[119:120], v[123:124]
	s_waitcnt vmcnt(22)
	v_fma_f64 v[123:124], v[127:128], v[121:122], v[119:120]
	ds_read_b128 v[119:122], v118 offset:848
	;; [unrolled: 5-line block ×6, first 2 shown]
	s_waitcnt vmcnt(4) lgkmcnt(0)
	v_fma_f64 v[118:119], v[149:150], v[118:119], v[122:123]
	s_waitcnt vmcnt(2)
	v_fma_f64 v[118:119], v[147:148], v[120:121], v[118:119]
	s_waitcnt vmcnt(0)
	v_add_f64 v[118:119], v[151:152], -v[118:119]
	buffer_store_dword v119, off, s[0:3], 0 offset:92
	buffer_store_dword v118, off, s[0:3], 0 offset:88
	v_cmpx_lt_u32_e32 10, v0
	s_cbranch_execz .LBB121_337
; %bb.336:
	s_clause 0x1
	buffer_load_dword v118, off, s[0:3], 0 offset:80
	buffer_load_dword v119, off, s[0:3], 0 offset:84
	v_mov_b32_e32 v120, 0
	buffer_store_dword v120, off, s[0:3], 0 offset:80
	buffer_store_dword v120, off, s[0:3], 0 offset:84
	s_waitcnt vmcnt(0)
	ds_write_b64 v117, v[118:119]
.LBB121_337:
	s_or_b32 exec_lo, exec_lo, s4
	s_waitcnt lgkmcnt(0)
	s_waitcnt_vscnt null, 0x0
	s_barrier
	buffer_gl0_inv
	s_clause 0x1b
	buffer_load_dword v123, off, s[0:3], 0 offset:88
	buffer_load_dword v124, off, s[0:3], 0 offset:92
	;; [unrolled: 1-line block ×28, first 2 shown]
	v_mov_b32_e32 v118, 0
	s_mov_b32 s4, exec_lo
	ds_read2_b64 v[119:122], v118 offset0:69 offset1:70
	s_clause 0x1
	buffer_load_dword v151, off, s[0:3], 0 offset:200
	buffer_load_dword v152, off, s[0:3], 0 offset:204
	s_waitcnt vmcnt(28) lgkmcnt(0)
	v_fma_f64 v[119:120], v[123:124], v[119:120], 0
	s_clause 0x1
	buffer_load_dword v124, off, s[0:3], 0 offset:212
	buffer_load_dword v123, off, s[0:3], 0 offset:208
	s_waitcnt vmcnt(28)
	v_fma_f64 v[125:126], v[125:126], v[121:122], v[119:120]
	ds_read2_b64 v[119:122], v118 offset0:71 offset1:72
	s_clause 0x1
	buffer_load_dword v153, off, s[0:3], 0 offset:216
	buffer_load_dword v154, off, s[0:3], 0 offset:220
	s_waitcnt vmcnt(28) lgkmcnt(0)
	v_fma_f64 v[119:120], v[127:128], v[119:120], v[125:126]
	s_clause 0x1
	buffer_load_dword v125, off, s[0:3], 0 offset:224
	buffer_load_dword v126, off, s[0:3], 0 offset:228
	s_waitcnt vmcnt(28)
	v_fma_f64 v[127:128], v[129:130], v[121:122], v[119:120]
	;; [unrolled: 11-line block ×17, first 2 shown]
	ds_read2_b64 v[119:122], v118 offset0:103 offset1:104
	s_waitcnt vmcnt(26) lgkmcnt(0)
	v_fma_f64 v[119:120], v[129:130], v[119:120], v[125:126]
	s_waitcnt vmcnt(24)
	v_fma_f64 v[125:126], v[127:128], v[121:122], v[119:120]
	ds_read2_b64 v[119:122], v118 offset0:105 offset1:106
	s_waitcnt vmcnt(22) lgkmcnt(0)
	v_fma_f64 v[119:120], v[133:134], v[119:120], v[125:126]
	s_waitcnt vmcnt(20)
	v_fma_f64 v[125:126], v[131:132], v[121:122], v[119:120]
	;; [unrolled: 5-line block ×6, first 2 shown]
	ds_read_b64 v[121:122], v118 offset:920
	s_waitcnt vmcnt(2) lgkmcnt(0)
	v_fma_f64 v[119:120], v[151:152], v[121:122], v[119:120]
	s_waitcnt vmcnt(0)
	v_add_f64 v[119:120], v[123:124], -v[119:120]
	buffer_store_dword v120, off, s[0:3], 0 offset:84
	buffer_store_dword v119, off, s[0:3], 0 offset:80
	v_cmpx_lt_u32_e32 9, v0
	s_cbranch_execz .LBB121_339
; %bb.338:
	s_clause 0x1
	buffer_load_dword v119, off, s[0:3], 0 offset:72
	buffer_load_dword v120, off, s[0:3], 0 offset:76
	buffer_store_dword v118, off, s[0:3], 0 offset:72
	buffer_store_dword v118, off, s[0:3], 0 offset:76
	s_waitcnt vmcnt(0)
	ds_write_b64 v117, v[119:120]
.LBB121_339:
	s_or_b32 exec_lo, exec_lo, s4
	s_waitcnt lgkmcnt(0)
	s_waitcnt_vscnt null, 0x0
	s_barrier
	buffer_gl0_inv
	s_clause 0x1b
	buffer_load_dword v123, off, s[0:3], 0 offset:80
	buffer_load_dword v124, off, s[0:3], 0 offset:84
	;; [unrolled: 1-line block ×28, first 2 shown]
	ds_read_b128 v[119:122], v118 offset:544
	s_clause 0x1
	buffer_load_dword v151, off, s[0:3], 0 offset:192
	buffer_load_dword v152, off, s[0:3], 0 offset:196
	s_mov_b32 s4, exec_lo
	s_waitcnt vmcnt(28) lgkmcnt(0)
	v_fma_f64 v[119:120], v[123:124], v[119:120], 0
	s_clause 0x1
	buffer_load_dword v124, off, s[0:3], 0 offset:204
	buffer_load_dword v123, off, s[0:3], 0 offset:200
	s_waitcnt vmcnt(28)
	v_fma_f64 v[125:126], v[125:126], v[121:122], v[119:120]
	ds_read_b128 v[119:122], v118 offset:560
	s_clause 0x1
	buffer_load_dword v153, off, s[0:3], 0 offset:208
	buffer_load_dword v154, off, s[0:3], 0 offset:212
	s_waitcnt vmcnt(28) lgkmcnt(0)
	v_fma_f64 v[119:120], v[127:128], v[119:120], v[125:126]
	s_clause 0x1
	buffer_load_dword v125, off, s[0:3], 0 offset:216
	buffer_load_dword v126, off, s[0:3], 0 offset:220
	s_waitcnt vmcnt(28)
	v_fma_f64 v[127:128], v[129:130], v[121:122], v[119:120]
	ds_read_b128 v[119:122], v118 offset:576
	s_clause 0x1
	buffer_load_dword v129, off, s[0:3], 0 offset:224
	buffer_load_dword v130, off, s[0:3], 0 offset:228
	;; [unrolled: 11-line block ×17, first 2 shown]
	s_waitcnt vmcnt(28) lgkmcnt(0)
	v_fma_f64 v[119:120], v[129:130], v[119:120], v[125:126]
	s_waitcnt vmcnt(26)
	v_fma_f64 v[125:126], v[127:128], v[121:122], v[119:120]
	ds_read_b128 v[119:122], v118 offset:832
	s_waitcnt vmcnt(24) lgkmcnt(0)
	v_fma_f64 v[119:120], v[133:134], v[119:120], v[125:126]
	s_waitcnt vmcnt(22)
	v_fma_f64 v[125:126], v[131:132], v[121:122], v[119:120]
	ds_read_b128 v[119:122], v118 offset:848
	;; [unrolled: 5-line block ×6, first 2 shown]
	s_waitcnt vmcnt(4) lgkmcnt(0)
	v_fma_f64 v[118:119], v[151:152], v[118:119], v[125:126]
	s_waitcnt vmcnt(2)
	v_fma_f64 v[118:119], v[123:124], v[120:121], v[118:119]
	s_waitcnt vmcnt(0)
	v_add_f64 v[118:119], v[153:154], -v[118:119]
	buffer_store_dword v119, off, s[0:3], 0 offset:76
	buffer_store_dword v118, off, s[0:3], 0 offset:72
	v_cmpx_lt_u32_e32 8, v0
	s_cbranch_execz .LBB121_341
; %bb.340:
	s_clause 0x1
	buffer_load_dword v118, off, s[0:3], 0 offset:64
	buffer_load_dword v119, off, s[0:3], 0 offset:68
	v_mov_b32_e32 v120, 0
	buffer_store_dword v120, off, s[0:3], 0 offset:64
	buffer_store_dword v120, off, s[0:3], 0 offset:68
	s_waitcnt vmcnt(0)
	ds_write_b64 v117, v[118:119]
.LBB121_341:
	s_or_b32 exec_lo, exec_lo, s4
	s_waitcnt lgkmcnt(0)
	s_waitcnt_vscnt null, 0x0
	s_barrier
	buffer_gl0_inv
	s_clause 0x1b
	buffer_load_dword v123, off, s[0:3], 0 offset:72
	buffer_load_dword v124, off, s[0:3], 0 offset:76
	;; [unrolled: 1-line block ×28, first 2 shown]
	v_mov_b32_e32 v118, 0
	s_mov_b32 s4, exec_lo
	ds_read2_b64 v[119:122], v118 offset0:67 offset1:68
	s_clause 0x1
	buffer_load_dword v151, off, s[0:3], 0 offset:184
	buffer_load_dword v152, off, s[0:3], 0 offset:188
	s_waitcnt vmcnt(28) lgkmcnt(0)
	v_fma_f64 v[119:120], v[123:124], v[119:120], 0
	s_clause 0x1
	buffer_load_dword v124, off, s[0:3], 0 offset:196
	buffer_load_dword v123, off, s[0:3], 0 offset:192
	s_waitcnt vmcnt(28)
	v_fma_f64 v[125:126], v[125:126], v[121:122], v[119:120]
	ds_read2_b64 v[119:122], v118 offset0:69 offset1:70
	s_clause 0x1
	buffer_load_dword v153, off, s[0:3], 0 offset:200
	buffer_load_dword v154, off, s[0:3], 0 offset:204
	s_waitcnt vmcnt(28) lgkmcnt(0)
	v_fma_f64 v[119:120], v[127:128], v[119:120], v[125:126]
	s_clause 0x1
	buffer_load_dword v125, off, s[0:3], 0 offset:208
	buffer_load_dword v126, off, s[0:3], 0 offset:212
	s_waitcnt vmcnt(28)
	v_fma_f64 v[127:128], v[129:130], v[121:122], v[119:120]
	;; [unrolled: 11-line block ×18, first 2 shown]
	ds_read2_b64 v[119:122], v118 offset0:103 offset1:104
	s_waitcnt vmcnt(26) lgkmcnt(0)
	v_fma_f64 v[119:120], v[133:134], v[119:120], v[127:128]
	s_waitcnt vmcnt(24)
	v_fma_f64 v[127:128], v[131:132], v[121:122], v[119:120]
	ds_read2_b64 v[119:122], v118 offset0:105 offset1:106
	s_waitcnt vmcnt(22) lgkmcnt(0)
	v_fma_f64 v[119:120], v[137:138], v[119:120], v[127:128]
	s_waitcnt vmcnt(20)
	v_fma_f64 v[127:128], v[135:136], v[121:122], v[119:120]
	;; [unrolled: 5-line block ×6, first 2 shown]
	ds_read_b64 v[121:122], v118 offset:920
	s_waitcnt vmcnt(2) lgkmcnt(0)
	v_fma_f64 v[119:120], v[153:154], v[121:122], v[119:120]
	s_waitcnt vmcnt(0)
	v_add_f64 v[119:120], v[125:126], -v[119:120]
	buffer_store_dword v120, off, s[0:3], 0 offset:68
	buffer_store_dword v119, off, s[0:3], 0 offset:64
	v_cmpx_lt_u32_e32 7, v0
	s_cbranch_execz .LBB121_343
; %bb.342:
	s_clause 0x1
	buffer_load_dword v119, off, s[0:3], 0 offset:56
	buffer_load_dword v120, off, s[0:3], 0 offset:60
	buffer_store_dword v118, off, s[0:3], 0 offset:56
	buffer_store_dword v118, off, s[0:3], 0 offset:60
	s_waitcnt vmcnt(0)
	ds_write_b64 v117, v[119:120]
.LBB121_343:
	s_or_b32 exec_lo, exec_lo, s4
	s_waitcnt lgkmcnt(0)
	s_waitcnt_vscnt null, 0x0
	s_barrier
	buffer_gl0_inv
	s_clause 0x1b
	buffer_load_dword v123, off, s[0:3], 0 offset:64
	buffer_load_dword v124, off, s[0:3], 0 offset:68
	;; [unrolled: 1-line block ×28, first 2 shown]
	ds_read_b128 v[119:122], v118 offset:528
	s_clause 0x1
	buffer_load_dword v151, off, s[0:3], 0 offset:176
	buffer_load_dword v152, off, s[0:3], 0 offset:180
	s_mov_b32 s4, exec_lo
	s_waitcnt vmcnt(28) lgkmcnt(0)
	v_fma_f64 v[119:120], v[123:124], v[119:120], 0
	s_clause 0x1
	buffer_load_dword v124, off, s[0:3], 0 offset:188
	buffer_load_dword v123, off, s[0:3], 0 offset:184
	s_waitcnt vmcnt(28)
	v_fma_f64 v[125:126], v[125:126], v[121:122], v[119:120]
	ds_read_b128 v[119:122], v118 offset:544
	s_clause 0x1
	buffer_load_dword v153, off, s[0:3], 0 offset:192
	buffer_load_dword v154, off, s[0:3], 0 offset:196
	s_waitcnt vmcnt(28) lgkmcnt(0)
	v_fma_f64 v[119:120], v[127:128], v[119:120], v[125:126]
	s_clause 0x1
	buffer_load_dword v125, off, s[0:3], 0 offset:200
	buffer_load_dword v126, off, s[0:3], 0 offset:204
	s_waitcnt vmcnt(28)
	v_fma_f64 v[127:128], v[129:130], v[121:122], v[119:120]
	ds_read_b128 v[119:122], v118 offset:560
	s_clause 0x1
	buffer_load_dword v129, off, s[0:3], 0 offset:208
	buffer_load_dword v130, off, s[0:3], 0 offset:212
	;; [unrolled: 11-line block ×18, first 2 shown]
	s_waitcnt vmcnt(28) lgkmcnt(0)
	v_fma_f64 v[119:120], v[133:134], v[119:120], v[127:128]
	s_waitcnt vmcnt(26)
	v_fma_f64 v[127:128], v[131:132], v[121:122], v[119:120]
	ds_read_b128 v[119:122], v118 offset:832
	s_waitcnt vmcnt(24) lgkmcnt(0)
	v_fma_f64 v[119:120], v[137:138], v[119:120], v[127:128]
	s_waitcnt vmcnt(22)
	v_fma_f64 v[127:128], v[135:136], v[121:122], v[119:120]
	ds_read_b128 v[119:122], v118 offset:848
	;; [unrolled: 5-line block ×6, first 2 shown]
	s_waitcnt vmcnt(4) lgkmcnt(0)
	v_fma_f64 v[118:119], v[153:154], v[118:119], v[122:123]
	s_waitcnt vmcnt(2)
	v_fma_f64 v[118:119], v[125:126], v[120:121], v[118:119]
	s_waitcnt vmcnt(0)
	v_add_f64 v[118:119], v[129:130], -v[118:119]
	buffer_store_dword v119, off, s[0:3], 0 offset:60
	buffer_store_dword v118, off, s[0:3], 0 offset:56
	v_cmpx_lt_u32_e32 6, v0
	s_cbranch_execz .LBB121_345
; %bb.344:
	s_clause 0x1
	buffer_load_dword v118, off, s[0:3], 0 offset:48
	buffer_load_dword v119, off, s[0:3], 0 offset:52
	v_mov_b32_e32 v120, 0
	buffer_store_dword v120, off, s[0:3], 0 offset:48
	buffer_store_dword v120, off, s[0:3], 0 offset:52
	s_waitcnt vmcnt(0)
	ds_write_b64 v117, v[118:119]
.LBB121_345:
	s_or_b32 exec_lo, exec_lo, s4
	s_waitcnt lgkmcnt(0)
	s_waitcnt_vscnt null, 0x0
	s_barrier
	buffer_gl0_inv
	s_clause 0x1b
	buffer_load_dword v123, off, s[0:3], 0 offset:56
	buffer_load_dword v124, off, s[0:3], 0 offset:60
	;; [unrolled: 1-line block ×28, first 2 shown]
	v_mov_b32_e32 v118, 0
	s_mov_b32 s4, exec_lo
	ds_read2_b64 v[119:122], v118 offset0:65 offset1:66
	s_clause 0x1
	buffer_load_dword v151, off, s[0:3], 0 offset:168
	buffer_load_dword v152, off, s[0:3], 0 offset:172
	s_waitcnt vmcnt(28) lgkmcnt(0)
	v_fma_f64 v[119:120], v[123:124], v[119:120], 0
	s_clause 0x1
	buffer_load_dword v124, off, s[0:3], 0 offset:180
	buffer_load_dword v123, off, s[0:3], 0 offset:176
	s_waitcnt vmcnt(28)
	v_fma_f64 v[125:126], v[125:126], v[121:122], v[119:120]
	ds_read2_b64 v[119:122], v118 offset0:67 offset1:68
	s_clause 0x1
	buffer_load_dword v153, off, s[0:3], 0 offset:184
	buffer_load_dword v154, off, s[0:3], 0 offset:188
	s_waitcnt vmcnt(28) lgkmcnt(0)
	v_fma_f64 v[119:120], v[127:128], v[119:120], v[125:126]
	s_clause 0x1
	buffer_load_dword v125, off, s[0:3], 0 offset:192
	buffer_load_dword v126, off, s[0:3], 0 offset:196
	s_waitcnt vmcnt(28)
	v_fma_f64 v[127:128], v[129:130], v[121:122], v[119:120]
	;; [unrolled: 11-line block ×19, first 2 shown]
	ds_read2_b64 v[119:122], v118 offset0:103 offset1:104
	s_waitcnt vmcnt(26) lgkmcnt(0)
	v_fma_f64 v[119:120], v[137:138], v[119:120], v[131:132]
	s_waitcnt vmcnt(24)
	v_fma_f64 v[131:132], v[135:136], v[121:122], v[119:120]
	ds_read2_b64 v[119:122], v118 offset0:105 offset1:106
	s_waitcnt vmcnt(22) lgkmcnt(0)
	v_fma_f64 v[119:120], v[141:142], v[119:120], v[131:132]
	s_waitcnt vmcnt(20)
	v_fma_f64 v[131:132], v[139:140], v[121:122], v[119:120]
	;; [unrolled: 5-line block ×6, first 2 shown]
	ds_read_b64 v[121:122], v118 offset:920
	s_waitcnt vmcnt(2) lgkmcnt(0)
	v_fma_f64 v[119:120], v[129:130], v[121:122], v[119:120]
	s_waitcnt vmcnt(0)
	v_add_f64 v[119:120], v[127:128], -v[119:120]
	buffer_store_dword v120, off, s[0:3], 0 offset:52
	buffer_store_dword v119, off, s[0:3], 0 offset:48
	v_cmpx_lt_u32_e32 5, v0
	s_cbranch_execz .LBB121_347
; %bb.346:
	s_clause 0x1
	buffer_load_dword v119, off, s[0:3], 0 offset:40
	buffer_load_dword v120, off, s[0:3], 0 offset:44
	buffer_store_dword v118, off, s[0:3], 0 offset:40
	buffer_store_dword v118, off, s[0:3], 0 offset:44
	s_waitcnt vmcnt(0)
	ds_write_b64 v117, v[119:120]
.LBB121_347:
	s_or_b32 exec_lo, exec_lo, s4
	s_waitcnt lgkmcnt(0)
	s_waitcnt_vscnt null, 0x0
	s_barrier
	buffer_gl0_inv
	s_clause 0x1b
	buffer_load_dword v123, off, s[0:3], 0 offset:48
	buffer_load_dword v124, off, s[0:3], 0 offset:52
	;; [unrolled: 1-line block ×28, first 2 shown]
	ds_read_b128 v[119:122], v118 offset:512
	s_clause 0x1
	buffer_load_dword v151, off, s[0:3], 0 offset:160
	buffer_load_dword v152, off, s[0:3], 0 offset:164
	s_mov_b32 s4, exec_lo
	s_waitcnt vmcnt(28) lgkmcnt(0)
	v_fma_f64 v[119:120], v[123:124], v[119:120], 0
	s_clause 0x1
	buffer_load_dword v124, off, s[0:3], 0 offset:172
	buffer_load_dword v123, off, s[0:3], 0 offset:168
	s_waitcnt vmcnt(28)
	v_fma_f64 v[125:126], v[125:126], v[121:122], v[119:120]
	ds_read_b128 v[119:122], v118 offset:528
	s_clause 0x1
	buffer_load_dword v153, off, s[0:3], 0 offset:176
	buffer_load_dword v154, off, s[0:3], 0 offset:180
	s_waitcnt vmcnt(28) lgkmcnt(0)
	v_fma_f64 v[119:120], v[127:128], v[119:120], v[125:126]
	s_clause 0x1
	buffer_load_dword v125, off, s[0:3], 0 offset:184
	buffer_load_dword v126, off, s[0:3], 0 offset:188
	s_waitcnt vmcnt(28)
	v_fma_f64 v[127:128], v[129:130], v[121:122], v[119:120]
	ds_read_b128 v[119:122], v118 offset:544
	s_clause 0x1
	buffer_load_dword v129, off, s[0:3], 0 offset:192
	buffer_load_dword v130, off, s[0:3], 0 offset:196
	;; [unrolled: 11-line block ×19, first 2 shown]
	s_waitcnt vmcnt(28) lgkmcnt(0)
	v_fma_f64 v[119:120], v[137:138], v[119:120], v[131:132]
	s_waitcnt vmcnt(26)
	v_fma_f64 v[131:132], v[135:136], v[121:122], v[119:120]
	ds_read_b128 v[119:122], v118 offset:832
	s_waitcnt vmcnt(24) lgkmcnt(0)
	v_fma_f64 v[119:120], v[141:142], v[119:120], v[131:132]
	s_waitcnt vmcnt(22)
	v_fma_f64 v[131:132], v[139:140], v[121:122], v[119:120]
	ds_read_b128 v[119:122], v118 offset:848
	;; [unrolled: 5-line block ×6, first 2 shown]
	s_waitcnt vmcnt(4) lgkmcnt(0)
	v_fma_f64 v[118:119], v[129:130], v[118:119], v[122:123]
	s_waitcnt vmcnt(2)
	v_fma_f64 v[118:119], v[127:128], v[120:121], v[118:119]
	s_waitcnt vmcnt(0)
	v_add_f64 v[118:119], v[133:134], -v[118:119]
	buffer_store_dword v119, off, s[0:3], 0 offset:44
	buffer_store_dword v118, off, s[0:3], 0 offset:40
	v_cmpx_lt_u32_e32 4, v0
	s_cbranch_execz .LBB121_349
; %bb.348:
	s_clause 0x1
	buffer_load_dword v118, off, s[0:3], 0 offset:32
	buffer_load_dword v119, off, s[0:3], 0 offset:36
	v_mov_b32_e32 v120, 0
	buffer_store_dword v120, off, s[0:3], 0 offset:32
	buffer_store_dword v120, off, s[0:3], 0 offset:36
	s_waitcnt vmcnt(0)
	ds_write_b64 v117, v[118:119]
.LBB121_349:
	s_or_b32 exec_lo, exec_lo, s4
	s_waitcnt lgkmcnt(0)
	s_waitcnt_vscnt null, 0x0
	s_barrier
	buffer_gl0_inv
	s_clause 0x1b
	buffer_load_dword v123, off, s[0:3], 0 offset:40
	buffer_load_dword v124, off, s[0:3], 0 offset:44
	;; [unrolled: 1-line block ×28, first 2 shown]
	v_mov_b32_e32 v118, 0
	s_mov_b32 s4, exec_lo
	ds_read2_b64 v[119:122], v118 offset0:63 offset1:64
	s_clause 0x1
	buffer_load_dword v151, off, s[0:3], 0 offset:152
	buffer_load_dword v152, off, s[0:3], 0 offset:156
	s_waitcnt vmcnt(28) lgkmcnt(0)
	v_fma_f64 v[119:120], v[123:124], v[119:120], 0
	s_clause 0x1
	buffer_load_dword v124, off, s[0:3], 0 offset:164
	buffer_load_dword v123, off, s[0:3], 0 offset:160
	s_waitcnt vmcnt(28)
	v_fma_f64 v[125:126], v[125:126], v[121:122], v[119:120]
	ds_read2_b64 v[119:122], v118 offset0:65 offset1:66
	s_clause 0x1
	buffer_load_dword v153, off, s[0:3], 0 offset:168
	buffer_load_dword v154, off, s[0:3], 0 offset:172
	s_waitcnt vmcnt(28) lgkmcnt(0)
	v_fma_f64 v[119:120], v[127:128], v[119:120], v[125:126]
	s_clause 0x1
	buffer_load_dword v125, off, s[0:3], 0 offset:176
	buffer_load_dword v126, off, s[0:3], 0 offset:180
	s_waitcnt vmcnt(28)
	v_fma_f64 v[127:128], v[129:130], v[121:122], v[119:120]
	ds_read2_b64 v[119:122], v118 offset0:67 offset1:68
	s_clause 0x1
	buffer_load_dword v129, off, s[0:3], 0 offset:184
	buffer_load_dword v130, off, s[0:3], 0 offset:188
	s_waitcnt vmcnt(28) lgkmcnt(0)
	v_fma_f64 v[119:120], v[131:132], v[119:120], v[127:128]
	s_clause 0x1
	buffer_load_dword v128, off, s[0:3], 0 offset:196
	buffer_load_dword v127, off, s[0:3], 0 offset:192
	s_waitcnt vmcnt(28)
	v_fma_f64 v[131:132], v[133:134], v[121:122], v[119:120]
	ds_read2_b64 v[119:122], v118 offset0:69 offset1:70
	s_clause 0x1
	buffer_load_dword v133, off, s[0:3], 0 offset:200
	buffer_load_dword v134, off, s[0:3], 0 offset:204
	s_waitcnt vmcnt(28) lgkmcnt(0)
	v_fma_f64 v[119:120], v[135:136], v[119:120], v[131:132]
	s_clause 0x1
	buffer_load_dword v131, off, s[0:3], 0 offset:208
	buffer_load_dword v132, off, s[0:3], 0 offset:212
	s_waitcnt vmcnt(28)
	v_fma_f64 v[135:136], v[137:138], v[121:122], v[119:120]
	ds_read2_b64 v[119:122], v118 offset0:71 offset1:72
	s_clause 0x1
	buffer_load_dword v137, off, s[0:3], 0 offset:216
	buffer_load_dword v138, off, s[0:3], 0 offset:220
	s_waitcnt vmcnt(28) lgkmcnt(0)
	v_fma_f64 v[119:120], v[139:140], v[119:120], v[135:136]
	s_clause 0x1
	buffer_load_dword v136, off, s[0:3], 0 offset:228
	buffer_load_dword v135, off, s[0:3], 0 offset:224
	s_waitcnt vmcnt(28)
	v_fma_f64 v[139:140], v[141:142], v[121:122], v[119:120]
	ds_read2_b64 v[119:122], v118 offset0:73 offset1:74
	s_clause 0x1
	buffer_load_dword v141, off, s[0:3], 0 offset:232
	buffer_load_dword v142, off, s[0:3], 0 offset:236
	s_waitcnt vmcnt(28) lgkmcnt(0)
	v_fma_f64 v[119:120], v[143:144], v[119:120], v[139:140]
	s_clause 0x1
	buffer_load_dword v139, off, s[0:3], 0 offset:240
	buffer_load_dword v140, off, s[0:3], 0 offset:244
	s_waitcnt vmcnt(28)
	v_fma_f64 v[143:144], v[145:146], v[121:122], v[119:120]
	ds_read2_b64 v[119:122], v118 offset0:75 offset1:76
	s_clause 0x1
	buffer_load_dword v145, off, s[0:3], 0 offset:248
	buffer_load_dword v146, off, s[0:3], 0 offset:252
	s_waitcnt vmcnt(28) lgkmcnt(0)
	v_fma_f64 v[119:120], v[147:148], v[119:120], v[143:144]
	s_clause 0x1
	buffer_load_dword v144, off, s[0:3], 0 offset:260
	buffer_load_dword v143, off, s[0:3], 0 offset:256
	s_waitcnt vmcnt(28)
	v_fma_f64 v[147:148], v[149:150], v[121:122], v[119:120]
	ds_read2_b64 v[119:122], v118 offset0:77 offset1:78
	s_clause 0x1
	buffer_load_dword v149, off, s[0:3], 0 offset:264
	buffer_load_dword v150, off, s[0:3], 0 offset:268
	s_waitcnt vmcnt(28) lgkmcnt(0)
	v_fma_f64 v[119:120], v[151:152], v[119:120], v[147:148]
	s_clause 0x1
	buffer_load_dword v147, off, s[0:3], 0 offset:272
	buffer_load_dword v148, off, s[0:3], 0 offset:276
	s_waitcnt vmcnt(28)
	v_fma_f64 v[123:124], v[123:124], v[121:122], v[119:120]
	ds_read2_b64 v[119:122], v118 offset0:79 offset1:80
	s_clause 0x1
	buffer_load_dword v151, off, s[0:3], 0 offset:280
	buffer_load_dword v152, off, s[0:3], 0 offset:284
	s_waitcnt vmcnt(28) lgkmcnt(0)
	v_fma_f64 v[119:120], v[153:154], v[119:120], v[123:124]
	s_clause 0x1
	buffer_load_dword v124, off, s[0:3], 0 offset:292
	buffer_load_dword v123, off, s[0:3], 0 offset:288
	s_waitcnt vmcnt(28)
	v_fma_f64 v[125:126], v[125:126], v[121:122], v[119:120]
	ds_read2_b64 v[119:122], v118 offset0:81 offset1:82
	s_clause 0x1
	buffer_load_dword v153, off, s[0:3], 0 offset:296
	buffer_load_dword v154, off, s[0:3], 0 offset:300
	s_waitcnt vmcnt(28) lgkmcnt(0)
	v_fma_f64 v[119:120], v[129:130], v[119:120], v[125:126]
	s_clause 0x1
	buffer_load_dword v125, off, s[0:3], 0 offset:304
	buffer_load_dword v126, off, s[0:3], 0 offset:308
	s_waitcnt vmcnt(28)
	v_fma_f64 v[127:128], v[127:128], v[121:122], v[119:120]
	ds_read2_b64 v[119:122], v118 offset0:83 offset1:84
	s_clause 0x1
	buffer_load_dword v129, off, s[0:3], 0 offset:312
	buffer_load_dword v130, off, s[0:3], 0 offset:316
	s_waitcnt vmcnt(28) lgkmcnt(0)
	v_fma_f64 v[119:120], v[133:134], v[119:120], v[127:128]
	s_clause 0x1
	buffer_load_dword v128, off, s[0:3], 0 offset:324
	buffer_load_dword v127, off, s[0:3], 0 offset:320
	s_waitcnt vmcnt(28)
	v_fma_f64 v[131:132], v[131:132], v[121:122], v[119:120]
	ds_read2_b64 v[119:122], v118 offset0:85 offset1:86
	s_clause 0x1
	buffer_load_dword v133, off, s[0:3], 0 offset:328
	buffer_load_dword v134, off, s[0:3], 0 offset:332
	s_waitcnt vmcnt(28) lgkmcnt(0)
	v_fma_f64 v[119:120], v[137:138], v[119:120], v[131:132]
	s_clause 0x1
	buffer_load_dword v131, off, s[0:3], 0 offset:336
	buffer_load_dword v132, off, s[0:3], 0 offset:340
	s_waitcnt vmcnt(28)
	v_fma_f64 v[135:136], v[135:136], v[121:122], v[119:120]
	ds_read2_b64 v[119:122], v118 offset0:87 offset1:88
	s_clause 0x1
	buffer_load_dword v137, off, s[0:3], 0 offset:344
	buffer_load_dword v138, off, s[0:3], 0 offset:348
	s_waitcnt vmcnt(28) lgkmcnt(0)
	v_fma_f64 v[119:120], v[141:142], v[119:120], v[135:136]
	s_clause 0x1
	buffer_load_dword v136, off, s[0:3], 0 offset:356
	buffer_load_dword v135, off, s[0:3], 0 offset:352
	s_waitcnt vmcnt(28)
	v_fma_f64 v[139:140], v[139:140], v[121:122], v[119:120]
	ds_read2_b64 v[119:122], v118 offset0:89 offset1:90
	s_clause 0x1
	buffer_load_dword v141, off, s[0:3], 0 offset:360
	buffer_load_dword v142, off, s[0:3], 0 offset:364
	s_waitcnt vmcnt(28) lgkmcnt(0)
	v_fma_f64 v[119:120], v[145:146], v[119:120], v[139:140]
	s_clause 0x1
	buffer_load_dword v139, off, s[0:3], 0 offset:368
	buffer_load_dword v140, off, s[0:3], 0 offset:372
	s_waitcnt vmcnt(28)
	v_fma_f64 v[143:144], v[143:144], v[121:122], v[119:120]
	ds_read2_b64 v[119:122], v118 offset0:91 offset1:92
	s_clause 0x1
	buffer_load_dword v145, off, s[0:3], 0 offset:376
	buffer_load_dword v146, off, s[0:3], 0 offset:380
	s_waitcnt vmcnt(28) lgkmcnt(0)
	v_fma_f64 v[119:120], v[149:150], v[119:120], v[143:144]
	s_clause 0x1
	buffer_load_dword v144, off, s[0:3], 0 offset:388
	buffer_load_dword v143, off, s[0:3], 0 offset:384
	s_waitcnt vmcnt(28)
	v_fma_f64 v[147:148], v[147:148], v[121:122], v[119:120]
	ds_read2_b64 v[119:122], v118 offset0:93 offset1:94
	s_clause 0x1
	buffer_load_dword v149, off, s[0:3], 0 offset:392
	buffer_load_dword v150, off, s[0:3], 0 offset:396
	s_waitcnt vmcnt(28) lgkmcnt(0)
	v_fma_f64 v[119:120], v[151:152], v[119:120], v[147:148]
	s_clause 0x1
	buffer_load_dword v147, off, s[0:3], 0 offset:400
	buffer_load_dword v148, off, s[0:3], 0 offset:404
	s_waitcnt vmcnt(28)
	v_fma_f64 v[123:124], v[123:124], v[121:122], v[119:120]
	ds_read2_b64 v[119:122], v118 offset0:95 offset1:96
	s_clause 0x1
	buffer_load_dword v151, off, s[0:3], 0 offset:408
	buffer_load_dword v152, off, s[0:3], 0 offset:412
	s_waitcnt vmcnt(28) lgkmcnt(0)
	v_fma_f64 v[119:120], v[153:154], v[119:120], v[123:124]
	s_clause 0x1
	buffer_load_dword v124, off, s[0:3], 0 offset:420
	buffer_load_dword v123, off, s[0:3], 0 offset:416
	s_waitcnt vmcnt(28)
	v_fma_f64 v[125:126], v[125:126], v[121:122], v[119:120]
	ds_read2_b64 v[119:122], v118 offset0:97 offset1:98
	s_clause 0x1
	buffer_load_dword v153, off, s[0:3], 0 offset:424
	buffer_load_dword v154, off, s[0:3], 0 offset:428
	s_waitcnt vmcnt(28) lgkmcnt(0)
	v_fma_f64 v[119:120], v[129:130], v[119:120], v[125:126]
	s_clause 0x1
	buffer_load_dword v125, off, s[0:3], 0 offset:432
	buffer_load_dword v126, off, s[0:3], 0 offset:436
	s_waitcnt vmcnt(28)
	v_fma_f64 v[127:128], v[127:128], v[121:122], v[119:120]
	ds_read2_b64 v[119:122], v118 offset0:99 offset1:100
	s_clause 0x1
	buffer_load_dword v129, off, s[0:3], 0 offset:440
	buffer_load_dword v130, off, s[0:3], 0 offset:444
	s_waitcnt vmcnt(28) lgkmcnt(0)
	v_fma_f64 v[119:120], v[133:134], v[119:120], v[127:128]
	s_clause 0x1
	buffer_load_dword v128, off, s[0:3], 0 offset:452
	buffer_load_dword v127, off, s[0:3], 0 offset:448
	s_waitcnt vmcnt(28)
	v_fma_f64 v[131:132], v[131:132], v[121:122], v[119:120]
	ds_read2_b64 v[119:122], v118 offset0:101 offset1:102
	s_clause 0x1
	buffer_load_dword v133, off, s[0:3], 0 offset:456
	buffer_load_dword v134, off, s[0:3], 0 offset:460
	s_waitcnt vmcnt(28) lgkmcnt(0)
	v_fma_f64 v[119:120], v[137:138], v[119:120], v[131:132]
	s_clause 0x1
	buffer_load_dword v131, off, s[0:3], 0 offset:32
	buffer_load_dword v132, off, s[0:3], 0 offset:36
	s_waitcnt vmcnt(28)
	v_fma_f64 v[135:136], v[135:136], v[121:122], v[119:120]
	ds_read2_b64 v[119:122], v118 offset0:103 offset1:104
	s_waitcnt vmcnt(26) lgkmcnt(0)
	v_fma_f64 v[119:120], v[141:142], v[119:120], v[135:136]
	s_waitcnt vmcnt(24)
	v_fma_f64 v[135:136], v[139:140], v[121:122], v[119:120]
	ds_read2_b64 v[119:122], v118 offset0:105 offset1:106
	s_waitcnt vmcnt(22) lgkmcnt(0)
	v_fma_f64 v[119:120], v[145:146], v[119:120], v[135:136]
	s_waitcnt vmcnt(20)
	v_fma_f64 v[135:136], v[143:144], v[121:122], v[119:120]
	;; [unrolled: 5-line block ×6, first 2 shown]
	ds_read_b64 v[121:122], v118 offset:920
	s_waitcnt vmcnt(2) lgkmcnt(0)
	v_fma_f64 v[119:120], v[133:134], v[121:122], v[119:120]
	s_waitcnt vmcnt(0)
	v_add_f64 v[119:120], v[131:132], -v[119:120]
	buffer_store_dword v120, off, s[0:3], 0 offset:36
	buffer_store_dword v119, off, s[0:3], 0 offset:32
	v_cmpx_lt_u32_e32 3, v0
	s_cbranch_execz .LBB121_351
; %bb.350:
	s_clause 0x1
	buffer_load_dword v119, off, s[0:3], 0 offset:24
	buffer_load_dword v120, off, s[0:3], 0 offset:28
	buffer_store_dword v118, off, s[0:3], 0 offset:24
	buffer_store_dword v118, off, s[0:3], 0 offset:28
	s_waitcnt vmcnt(0)
	ds_write_b64 v117, v[119:120]
.LBB121_351:
	s_or_b32 exec_lo, exec_lo, s4
	s_waitcnt lgkmcnt(0)
	s_waitcnt_vscnt null, 0x0
	s_barrier
	buffer_gl0_inv
	s_clause 0x1b
	buffer_load_dword v123, off, s[0:3], 0 offset:32
	buffer_load_dword v124, off, s[0:3], 0 offset:36
	;; [unrolled: 1-line block ×28, first 2 shown]
	ds_read_b128 v[119:122], v118 offset:496
	s_clause 0x1
	buffer_load_dword v151, off, s[0:3], 0 offset:144
	buffer_load_dword v152, off, s[0:3], 0 offset:148
	s_mov_b32 s4, exec_lo
	s_waitcnt vmcnt(28) lgkmcnt(0)
	v_fma_f64 v[119:120], v[123:124], v[119:120], 0
	s_clause 0x1
	buffer_load_dword v124, off, s[0:3], 0 offset:156
	buffer_load_dword v123, off, s[0:3], 0 offset:152
	s_waitcnt vmcnt(28)
	v_fma_f64 v[125:126], v[125:126], v[121:122], v[119:120]
	ds_read_b128 v[119:122], v118 offset:512
	s_clause 0x1
	buffer_load_dword v153, off, s[0:3], 0 offset:160
	buffer_load_dword v154, off, s[0:3], 0 offset:164
	s_waitcnt vmcnt(28) lgkmcnt(0)
	v_fma_f64 v[119:120], v[127:128], v[119:120], v[125:126]
	s_clause 0x1
	buffer_load_dword v125, off, s[0:3], 0 offset:168
	buffer_load_dword v126, off, s[0:3], 0 offset:172
	s_waitcnt vmcnt(28)
	v_fma_f64 v[127:128], v[129:130], v[121:122], v[119:120]
	ds_read_b128 v[119:122], v118 offset:528
	s_clause 0x1
	buffer_load_dword v129, off, s[0:3], 0 offset:176
	buffer_load_dword v130, off, s[0:3], 0 offset:180
	;; [unrolled: 11-line block ×20, first 2 shown]
	s_waitcnt vmcnt(28) lgkmcnt(0)
	v_fma_f64 v[119:120], v[141:142], v[119:120], v[135:136]
	s_waitcnt vmcnt(26)
	v_fma_f64 v[135:136], v[139:140], v[121:122], v[119:120]
	ds_read_b128 v[119:122], v118 offset:832
	s_waitcnt vmcnt(24) lgkmcnt(0)
	v_fma_f64 v[119:120], v[145:146], v[119:120], v[135:136]
	s_waitcnt vmcnt(22)
	v_fma_f64 v[135:136], v[143:144], v[121:122], v[119:120]
	ds_read_b128 v[119:122], v118 offset:848
	;; [unrolled: 5-line block ×6, first 2 shown]
	s_waitcnt vmcnt(4) lgkmcnt(0)
	v_fma_f64 v[118:119], v[133:134], v[118:119], v[122:123]
	s_waitcnt vmcnt(2)
	v_fma_f64 v[118:119], v[131:132], v[120:121], v[118:119]
	s_waitcnt vmcnt(0)
	v_add_f64 v[118:119], v[137:138], -v[118:119]
	buffer_store_dword v119, off, s[0:3], 0 offset:28
	buffer_store_dword v118, off, s[0:3], 0 offset:24
	v_cmpx_lt_u32_e32 2, v0
	s_cbranch_execz .LBB121_353
; %bb.352:
	s_clause 0x1
	buffer_load_dword v118, off, s[0:3], 0 offset:16
	buffer_load_dword v119, off, s[0:3], 0 offset:20
	v_mov_b32_e32 v120, 0
	buffer_store_dword v120, off, s[0:3], 0 offset:16
	buffer_store_dword v120, off, s[0:3], 0 offset:20
	s_waitcnt vmcnt(0)
	ds_write_b64 v117, v[118:119]
.LBB121_353:
	s_or_b32 exec_lo, exec_lo, s4
	s_waitcnt lgkmcnt(0)
	s_waitcnt_vscnt null, 0x0
	s_barrier
	buffer_gl0_inv
	s_clause 0x1b
	buffer_load_dword v123, off, s[0:3], 0 offset:24
	buffer_load_dword v124, off, s[0:3], 0 offset:28
	;; [unrolled: 1-line block ×28, first 2 shown]
	v_mov_b32_e32 v118, 0
	s_mov_b32 s4, exec_lo
	ds_read2_b64 v[119:122], v118 offset0:61 offset1:62
	s_clause 0x1
	buffer_load_dword v151, off, s[0:3], 0 offset:136
	buffer_load_dword v152, off, s[0:3], 0 offset:140
	s_waitcnt vmcnt(28) lgkmcnt(0)
	v_fma_f64 v[119:120], v[123:124], v[119:120], 0
	s_clause 0x1
	buffer_load_dword v124, off, s[0:3], 0 offset:148
	buffer_load_dword v123, off, s[0:3], 0 offset:144
	s_waitcnt vmcnt(28)
	v_fma_f64 v[125:126], v[125:126], v[121:122], v[119:120]
	ds_read2_b64 v[119:122], v118 offset0:63 offset1:64
	s_clause 0x1
	buffer_load_dword v153, off, s[0:3], 0 offset:152
	buffer_load_dword v154, off, s[0:3], 0 offset:156
	s_waitcnt vmcnt(28) lgkmcnt(0)
	v_fma_f64 v[119:120], v[127:128], v[119:120], v[125:126]
	s_clause 0x1
	buffer_load_dword v125, off, s[0:3], 0 offset:160
	buffer_load_dword v126, off, s[0:3], 0 offset:164
	s_waitcnt vmcnt(28)
	v_fma_f64 v[127:128], v[129:130], v[121:122], v[119:120]
	;; [unrolled: 11-line block ×21, first 2 shown]
	ds_read2_b64 v[119:122], v118 offset0:103 offset1:104
	s_waitcnt vmcnt(26) lgkmcnt(0)
	v_fma_f64 v[119:120], v[145:146], v[119:120], v[139:140]
	s_waitcnt vmcnt(24)
	v_fma_f64 v[139:140], v[143:144], v[121:122], v[119:120]
	ds_read2_b64 v[119:122], v118 offset0:105 offset1:106
	s_waitcnt vmcnt(22) lgkmcnt(0)
	v_fma_f64 v[119:120], v[149:150], v[119:120], v[139:140]
	s_waitcnt vmcnt(20)
	v_fma_f64 v[139:140], v[147:148], v[121:122], v[119:120]
	;; [unrolled: 5-line block ×6, first 2 shown]
	ds_read_b64 v[121:122], v118 offset:920
	s_waitcnt vmcnt(2) lgkmcnt(0)
	v_fma_f64 v[119:120], v[137:138], v[121:122], v[119:120]
	s_waitcnt vmcnt(0)
	v_add_f64 v[119:120], v[135:136], -v[119:120]
	buffer_store_dword v120, off, s[0:3], 0 offset:20
	buffer_store_dword v119, off, s[0:3], 0 offset:16
	v_cmpx_lt_u32_e32 1, v0
	s_cbranch_execz .LBB121_355
; %bb.354:
	s_clause 0x1
	buffer_load_dword v119, off, s[0:3], 0 offset:8
	buffer_load_dword v120, off, s[0:3], 0 offset:12
	buffer_store_dword v118, off, s[0:3], 0 offset:8
	buffer_store_dword v118, off, s[0:3], 0 offset:12
	s_waitcnt vmcnt(0)
	ds_write_b64 v117, v[119:120]
.LBB121_355:
	s_or_b32 exec_lo, exec_lo, s4
	s_waitcnt lgkmcnt(0)
	s_waitcnt_vscnt null, 0x0
	s_barrier
	buffer_gl0_inv
	s_clause 0x1b
	buffer_load_dword v123, off, s[0:3], 0 offset:16
	buffer_load_dword v124, off, s[0:3], 0 offset:20
	;; [unrolled: 1-line block ×28, first 2 shown]
	ds_read_b128 v[119:122], v118 offset:480
	s_clause 0x1
	buffer_load_dword v151, off, s[0:3], 0 offset:128
	buffer_load_dword v152, off, s[0:3], 0 offset:132
	s_mov_b32 s4, exec_lo
	s_waitcnt vmcnt(28) lgkmcnt(0)
	v_fma_f64 v[119:120], v[123:124], v[119:120], 0
	s_clause 0x1
	buffer_load_dword v124, off, s[0:3], 0 offset:140
	buffer_load_dword v123, off, s[0:3], 0 offset:136
	s_waitcnt vmcnt(28)
	v_fma_f64 v[125:126], v[125:126], v[121:122], v[119:120]
	ds_read_b128 v[119:122], v118 offset:496
	s_clause 0x1
	buffer_load_dword v153, off, s[0:3], 0 offset:144
	buffer_load_dword v154, off, s[0:3], 0 offset:148
	s_waitcnt vmcnt(28) lgkmcnt(0)
	v_fma_f64 v[119:120], v[127:128], v[119:120], v[125:126]
	s_clause 0x1
	buffer_load_dword v125, off, s[0:3], 0 offset:152
	buffer_load_dword v126, off, s[0:3], 0 offset:156
	s_waitcnt vmcnt(28)
	v_fma_f64 v[127:128], v[129:130], v[121:122], v[119:120]
	ds_read_b128 v[119:122], v118 offset:512
	s_clause 0x1
	buffer_load_dword v129, off, s[0:3], 0 offset:160
	buffer_load_dword v130, off, s[0:3], 0 offset:164
	;; [unrolled: 11-line block ×21, first 2 shown]
	s_waitcnt vmcnt(28) lgkmcnt(0)
	v_fma_f64 v[119:120], v[145:146], v[119:120], v[139:140]
	s_waitcnt vmcnt(26)
	v_fma_f64 v[139:140], v[143:144], v[121:122], v[119:120]
	ds_read_b128 v[119:122], v118 offset:832
	s_waitcnt vmcnt(24) lgkmcnt(0)
	v_fma_f64 v[119:120], v[149:150], v[119:120], v[139:140]
	s_waitcnt vmcnt(22)
	v_fma_f64 v[139:140], v[147:148], v[121:122], v[119:120]
	ds_read_b128 v[119:122], v118 offset:848
	s_waitcnt vmcnt(20) lgkmcnt(0)
	v_fma_f64 v[119:120], v[151:152], v[119:120], v[139:140]
	s_waitcnt vmcnt(18)
	v_fma_f64 v[123:124], v[123:124], v[121:122], v[119:120]
	ds_read_b128 v[119:122], v118 offset:864
	s_waitcnt vmcnt(16) lgkmcnt(0)
	v_fma_f64 v[119:120], v[153:154], v[119:120], v[123:124]
	s_waitcnt vmcnt(14)
	v_fma_f64 v[123:124], v[125:126], v[121:122], v[119:120]
	ds_read_b128 v[119:122], v118 offset:880
	s_waitcnt vmcnt(12) lgkmcnt(0)
	v_fma_f64 v[119:120], v[129:130], v[119:120], v[123:124]
	s_waitcnt vmcnt(10)
	v_fma_f64 v[123:124], v[127:128], v[121:122], v[119:120]
	ds_read_b128 v[119:122], v118 offset:896
	s_waitcnt vmcnt(8) lgkmcnt(0)
	v_fma_f64 v[119:120], v[133:134], v[119:120], v[123:124]
	s_waitcnt vmcnt(6)
	v_fma_f64 v[122:123], v[131:132], v[121:122], v[119:120]
	ds_read_b128 v[118:121], v118 offset:912
	s_waitcnt vmcnt(4) lgkmcnt(0)
	v_fma_f64 v[118:119], v[137:138], v[118:119], v[122:123]
	s_waitcnt vmcnt(2)
	v_fma_f64 v[118:119], v[135:136], v[120:121], v[118:119]
	s_waitcnt vmcnt(0)
	v_add_f64 v[118:119], v[141:142], -v[118:119]
	buffer_store_dword v119, off, s[0:3], 0 offset:12
	buffer_store_dword v118, off, s[0:3], 0 offset:8
	v_cmpx_ne_u32_e32 0, v0
	s_cbranch_execz .LBB121_357
; %bb.356:
	s_clause 0x1
	buffer_load_dword v118, off, s[0:3], 0
	buffer_load_dword v119, off, s[0:3], 0 offset:4
	v_mov_b32_e32 v0, 0
	buffer_store_dword v0, off, s[0:3], 0
	buffer_store_dword v0, off, s[0:3], 0 offset:4
	s_waitcnt vmcnt(0)
	ds_write_b64 v117, v[118:119]
.LBB121_357:
	s_or_b32 exec_lo, exec_lo, s4
	s_waitcnt lgkmcnt(0)
	s_waitcnt_vscnt null, 0x0
	s_barrier
	buffer_gl0_inv
	s_clause 0x1c
	buffer_load_dword v125, off, s[0:3], 0 offset:8
	buffer_load_dword v126, off, s[0:3], 0 offset:12
	;; [unrolled: 1-line block ×29, first 2 shown]
	v_mov_b32_e32 v0, 0
	buffer_load_dword v150, off, s[0:3], 0 offset:124
	s_and_b32 vcc_lo, exec_lo, s16
	ds_read2_b64 v[117:120], v0 offset0:59 offset1:60
	ds_read2_b64 v[121:124], v0 offset0:61 offset1:62
	s_waitcnt vmcnt(28) lgkmcnt(1)
	v_fma_f64 v[117:118], v[125:126], v[117:118], 0
	s_clause 0x7
	buffer_load_dword v126, off, s[0:3], 0 offset:132
	buffer_load_dword v155, off, s[0:3], 0 offset:152
	buffer_load_dword v157, off, s[0:3], 0 offset:144
	buffer_load_dword v159, off, s[0:3], 0 offset:136
	buffer_load_dword v125, off, s[0:3], 0 offset:128
	buffer_load_dword v160, off, s[0:3], 0 offset:140
	buffer_load_dword v158, off, s[0:3], 0 offset:148
	buffer_load_dword v156, off, s[0:3], 0 offset:156
	s_waitcnt vmcnt(34)
	v_fma_f64 v[117:118], v[127:128], v[119:120], v[117:118]
	s_waitcnt vmcnt(32) lgkmcnt(0)
	v_fma_f64 v[117:118], v[129:130], v[121:122], v[117:118]
	s_waitcnt vmcnt(30)
	v_fma_f64 v[127:128], v[131:132], v[123:124], v[117:118]
	ds_read2_b64 v[117:120], v0 offset0:63 offset1:64
	ds_read2_b64 v[121:124], v0 offset0:65 offset1:66
	s_waitcnt vmcnt(28) lgkmcnt(1)
	v_fma_f64 v[117:118], v[133:134], v[117:118], v[127:128]
	s_clause 0x7
	buffer_load_dword v128, off, s[0:3], 0 offset:164
	buffer_load_dword v129, off, s[0:3], 0 offset:184
	buffer_load_dword v131, off, s[0:3], 0 offset:176
	buffer_load_dword v133, off, s[0:3], 0 offset:168
	buffer_load_dword v127, off, s[0:3], 0 offset:160
	buffer_load_dword v134, off, s[0:3], 0 offset:172
	buffer_load_dword v132, off, s[0:3], 0 offset:180
	buffer_load_dword v130, off, s[0:3], 0 offset:188
	s_waitcnt vmcnt(34)
	v_fma_f64 v[117:118], v[135:136], v[119:120], v[117:118]
	s_waitcnt vmcnt(32) lgkmcnt(0)
	v_fma_f64 v[117:118], v[137:138], v[121:122], v[117:118]
	s_waitcnt vmcnt(27)
	v_fma_f64 v[135:136], v[139:140], v[123:124], v[117:118]
	;; [unrolled: 19-line block ×10, first 2 shown]
	ds_read2_b64 v[117:120], v0 offset0:99 offset1:100
	ds_read2_b64 v[121:124], v0 offset0:101 offset1:102
	s_waitcnt vmcnt(26) lgkmcnt(1)
	v_fma_f64 v[125:126], v[145:146], v[117:118], v[125:126]
	s_clause 0x3
	buffer_load_dword v118, off, s[0:3], 0 offset:452
	buffer_load_dword v129, off, s[0:3], 0 offset:456
	;; [unrolled: 1-line block ×4, first 2 shown]
	s_waitcnt vmcnt(29)
	v_fma_f64 v[119:120], v[135:136], v[119:120], v[125:126]
	s_waitcnt vmcnt(28) lgkmcnt(0)
	v_fma_f64 v[119:120], v[131:132], v[121:122], v[119:120]
	s_clause 0x1
	buffer_load_dword v131, off, s[0:3], 0
	buffer_load_dword v132, off, s[0:3], 0 offset:4
	s_waitcnt vmcnt(25)
	v_fma_f64 v[133:134], v[137:138], v[123:124], v[119:120]
	ds_read2_b64 v[119:122], v0 offset0:103 offset1:104
	ds_read2_b64 v[123:126], v0 offset0:105 offset1:106
	s_waitcnt vmcnt(24) lgkmcnt(1)
	v_fma_f64 v[119:120], v[153:154], v[119:120], v[133:134]
	s_waitcnt vmcnt(23)
	v_fma_f64 v[119:120], v[141:142], v[121:122], v[119:120]
	s_waitcnt vmcnt(22) lgkmcnt(0)
	v_fma_f64 v[119:120], v[139:140], v[123:124], v[119:120]
	s_waitcnt vmcnt(17)
	v_fma_f64 v[133:134], v[143:144], v[125:126], v[119:120]
	ds_read2_b64 v[119:122], v0 offset0:107 offset1:108
	ds_read2_b64 v[123:126], v0 offset0:109 offset1:110
	s_waitcnt vmcnt(16) lgkmcnt(1)
	v_fma_f64 v[119:120], v[161:162], v[119:120], v[133:134]
	s_waitcnt vmcnt(15)
	v_fma_f64 v[119:120], v[159:160], v[121:122], v[119:120]
	s_waitcnt vmcnt(14) lgkmcnt(0)
	v_fma_f64 v[119:120], v[147:148], v[123:124], v[119:120]
	s_waitcnt vmcnt(9)
	v_fma_f64 v[127:128], v[127:128], v[125:126], v[119:120]
	ds_read2_b64 v[119:122], v0 offset0:111 offset1:112
	ds_read2_b64 v[123:126], v0 offset0:113 offset1:114
	s_waitcnt vmcnt(8) lgkmcnt(1)
	v_fma_f64 v[119:120], v[157:158], v[119:120], v[127:128]
	s_waitcnt vmcnt(7)
	v_fma_f64 v[119:120], v[151:152], v[121:122], v[119:120]
	ds_read_b64 v[121:122], v0 offset:920
	s_waitcnt vmcnt(6) lgkmcnt(1)
	v_fma_f64 v[119:120], v[149:150], v[123:124], v[119:120]
	s_waitcnt vmcnt(3)
	v_fma_f64 v[119:120], v[117:118], v[125:126], v[119:120]
	s_waitcnt vmcnt(2) lgkmcnt(0)
	v_fma_f64 v[119:120], v[129:130], v[121:122], v[119:120]
	s_waitcnt vmcnt(0)
	v_add_f64 v[119:120], v[131:132], -v[119:120]
	buffer_store_dword v120, off, s[0:3], 0 offset:4
	buffer_store_dword v119, off, s[0:3], 0
	s_cbranch_vccz .LBB121_472
; %bb.358:
	global_load_dword v0, v0, s[12:13] offset:224
	s_waitcnt vmcnt(0)
	v_add_nc_u32_e32 v0, -1, v0
	v_cmp_ne_u32_e32 vcc_lo, 56, v0
	s_cbranch_vccz .LBB121_360
; %bb.359:
	v_lshlrev_b32_e32 v0, 3, v0
	s_clause 0x1
	buffer_load_dword v119, v0, s[0:3], 0 offen offset:4
	buffer_load_dword v120, v0, s[0:3], 0 offen
	s_waitcnt vmcnt(1)
	buffer_store_dword v119, off, s[0:3], 0 offset:452
	s_waitcnt vmcnt(0)
	buffer_store_dword v120, off, s[0:3], 0 offset:448
	buffer_store_dword v118, v0, s[0:3], 0 offen offset:4
	buffer_store_dword v117, v0, s[0:3], 0 offen
.LBB121_360:
	v_mov_b32_e32 v0, 0
	global_load_dword v117, v0, s[12:13] offset:220
	s_waitcnt vmcnt(0)
	v_add_nc_u32_e32 v117, -1, v117
	v_cmp_eq_u32_e32 vcc_lo, 55, v117
	s_cbranch_vccnz .LBB121_362
; %bb.361:
	v_lshlrev_b32_e32 v117, 3, v117
	s_clause 0x3
	buffer_load_dword v118, v117, s[0:3], 0 offen
	buffer_load_dword v119, v117, s[0:3], 0 offen offset:4
	buffer_load_dword v120, off, s[0:3], 0 offset:440
	buffer_load_dword v121, off, s[0:3], 0 offset:444
	s_waitcnt vmcnt(3)
	buffer_store_dword v118, off, s[0:3], 0 offset:440
	s_waitcnt vmcnt(2)
	buffer_store_dword v119, off, s[0:3], 0 offset:444
	s_waitcnt vmcnt(1)
	buffer_store_dword v120, v117, s[0:3], 0 offen
	s_waitcnt vmcnt(0)
	buffer_store_dword v121, v117, s[0:3], 0 offen offset:4
.LBB121_362:
	global_load_dword v0, v0, s[12:13] offset:216
	s_waitcnt vmcnt(0)
	v_add_nc_u32_e32 v0, -1, v0
	v_cmp_eq_u32_e32 vcc_lo, 54, v0
	s_cbranch_vccnz .LBB121_364
; %bb.363:
	v_lshlrev_b32_e32 v0, 3, v0
	s_clause 0x3
	buffer_load_dword v117, v0, s[0:3], 0 offen
	buffer_load_dword v118, v0, s[0:3], 0 offen offset:4
	buffer_load_dword v119, off, s[0:3], 0 offset:436
	buffer_load_dword v120, off, s[0:3], 0 offset:432
	s_waitcnt vmcnt(3)
	buffer_store_dword v117, off, s[0:3], 0 offset:432
	s_waitcnt vmcnt(2)
	buffer_store_dword v118, off, s[0:3], 0 offset:436
	s_waitcnt vmcnt(1)
	buffer_store_dword v119, v0, s[0:3], 0 offen offset:4
	s_waitcnt vmcnt(0)
	buffer_store_dword v120, v0, s[0:3], 0 offen
.LBB121_364:
	v_mov_b32_e32 v0, 0
	global_load_dword v117, v0, s[12:13] offset:212
	s_waitcnt vmcnt(0)
	v_add_nc_u32_e32 v117, -1, v117
	v_cmp_eq_u32_e32 vcc_lo, 53, v117
	s_cbranch_vccnz .LBB121_366
; %bb.365:
	v_lshlrev_b32_e32 v117, 3, v117
	s_clause 0x3
	buffer_load_dword v118, v117, s[0:3], 0 offen
	buffer_load_dword v119, v117, s[0:3], 0 offen offset:4
	buffer_load_dword v120, off, s[0:3], 0 offset:424
	buffer_load_dword v121, off, s[0:3], 0 offset:428
	s_waitcnt vmcnt(3)
	buffer_store_dword v118, off, s[0:3], 0 offset:424
	s_waitcnt vmcnt(2)
	buffer_store_dword v119, off, s[0:3], 0 offset:428
	s_waitcnt vmcnt(1)
	buffer_store_dword v120, v117, s[0:3], 0 offen
	s_waitcnt vmcnt(0)
	buffer_store_dword v121, v117, s[0:3], 0 offen offset:4
.LBB121_366:
	global_load_dword v0, v0, s[12:13] offset:208
	s_waitcnt vmcnt(0)
	v_add_nc_u32_e32 v0, -1, v0
	v_cmp_eq_u32_e32 vcc_lo, 52, v0
	s_cbranch_vccnz .LBB121_368
; %bb.367:
	v_lshlrev_b32_e32 v0, 3, v0
	s_clause 0x3
	buffer_load_dword v117, v0, s[0:3], 0 offen
	buffer_load_dword v118, v0, s[0:3], 0 offen offset:4
	buffer_load_dword v119, off, s[0:3], 0 offset:420
	buffer_load_dword v120, off, s[0:3], 0 offset:416
	s_waitcnt vmcnt(3)
	buffer_store_dword v117, off, s[0:3], 0 offset:416
	s_waitcnt vmcnt(2)
	buffer_store_dword v118, off, s[0:3], 0 offset:420
	s_waitcnt vmcnt(1)
	buffer_store_dword v119, v0, s[0:3], 0 offen offset:4
	s_waitcnt vmcnt(0)
	buffer_store_dword v120, v0, s[0:3], 0 offen
.LBB121_368:
	;; [unrolled: 43-line block ×27, first 2 shown]
	v_mov_b32_e32 v0, 0
	global_load_dword v117, v0, s[12:13] offset:4
	s_waitcnt vmcnt(0)
	v_add_nc_u32_e32 v117, -1, v117
	v_cmp_eq_u32_e32 vcc_lo, 1, v117
	s_cbranch_vccnz .LBB121_470
; %bb.469:
	v_lshlrev_b32_e32 v117, 3, v117
	s_clause 0x3
	buffer_load_dword v118, v117, s[0:3], 0 offen
	buffer_load_dword v119, v117, s[0:3], 0 offen offset:4
	buffer_load_dword v120, off, s[0:3], 0 offset:8
	buffer_load_dword v121, off, s[0:3], 0 offset:12
	s_waitcnt vmcnt(3)
	buffer_store_dword v118, off, s[0:3], 0 offset:8
	s_waitcnt vmcnt(2)
	buffer_store_dword v119, off, s[0:3], 0 offset:12
	s_waitcnt vmcnt(1)
	buffer_store_dword v120, v117, s[0:3], 0 offen
	s_waitcnt vmcnt(0)
	buffer_store_dword v121, v117, s[0:3], 0 offen offset:4
.LBB121_470:
	global_load_dword v0, v0, s[12:13]
	s_clause 0x1
	buffer_load_dword v119, off, s[0:3], 0
	buffer_load_dword v120, off, s[0:3], 0 offset:4
	s_waitcnt vmcnt(2)
	v_add_nc_u32_e32 v0, -1, v0
	v_cmp_eq_u32_e32 vcc_lo, 0, v0
	s_cbranch_vccnz .LBB121_472
; %bb.471:
	v_lshlrev_b32_e32 v0, 3, v0
	s_clause 0x1
	buffer_load_dword v117, v0, s[0:3], 0 offen offset:4
	buffer_load_dword v118, v0, s[0:3], 0 offen
	s_waitcnt vmcnt(1)
	buffer_store_dword v117, off, s[0:3], 0 offset:4
	s_waitcnt vmcnt(0)
	buffer_store_dword v118, off, s[0:3], 0
	buffer_store_dword v120, v0, s[0:3], 0 offen offset:4
	buffer_store_dword v119, v0, s[0:3], 0 offen
	s_clause 0x1
	buffer_load_dword v119, off, s[0:3], 0
	buffer_load_dword v120, off, s[0:3], 0 offset:4
.LBB121_472:
	s_waitcnt vmcnt(0)
	flat_store_dwordx2 v[1:2], v[119:120]
	s_clause 0x1
	buffer_load_dword v0, off, s[0:3], 0 offset:8
	buffer_load_dword v1, off, s[0:3], 0 offset:12
	s_waitcnt vmcnt(0)
	flat_store_dwordx2 v[3:4], v[0:1]
	s_clause 0x1
	buffer_load_dword v0, off, s[0:3], 0 offset:16
	buffer_load_dword v1, off, s[0:3], 0 offset:20
	;; [unrolled: 5-line block ×57, first 2 shown]
	s_waitcnt vmcnt(0)
	flat_store_dwordx2 v[115:116], v[0:1]
	s_endpgm
	.section	.rodata,"a",@progbits
	.p2align	6, 0x0
	.amdhsa_kernel _ZN9rocsolver6v33100L18getri_kernel_smallILi58EdPKPdEEvT1_iilPiilS6_bb
		.amdhsa_group_segment_fixed_size 936
		.amdhsa_private_segment_fixed_size 480
		.amdhsa_kernarg_size 60
		.amdhsa_user_sgpr_count 6
		.amdhsa_user_sgpr_private_segment_buffer 1
		.amdhsa_user_sgpr_dispatch_ptr 0
		.amdhsa_user_sgpr_queue_ptr 0
		.amdhsa_user_sgpr_kernarg_segment_ptr 1
		.amdhsa_user_sgpr_dispatch_id 0
		.amdhsa_user_sgpr_flat_scratch_init 0
		.amdhsa_user_sgpr_private_segment_size 0
		.amdhsa_wavefront_size32 1
		.amdhsa_uses_dynamic_stack 0
		.amdhsa_system_sgpr_private_segment_wavefront_offset 1
		.amdhsa_system_sgpr_workgroup_id_x 1
		.amdhsa_system_sgpr_workgroup_id_y 0
		.amdhsa_system_sgpr_workgroup_id_z 0
		.amdhsa_system_sgpr_workgroup_info 0
		.amdhsa_system_vgpr_workitem_id 0
		.amdhsa_next_free_vgpr 163
		.amdhsa_next_free_sgpr 20
		.amdhsa_reserve_vcc 1
		.amdhsa_reserve_flat_scratch 0
		.amdhsa_float_round_mode_32 0
		.amdhsa_float_round_mode_16_64 0
		.amdhsa_float_denorm_mode_32 3
		.amdhsa_float_denorm_mode_16_64 3
		.amdhsa_dx10_clamp 1
		.amdhsa_ieee_mode 1
		.amdhsa_fp16_overflow 0
		.amdhsa_workgroup_processor_mode 1
		.amdhsa_memory_ordered 1
		.amdhsa_forward_progress 1
		.amdhsa_shared_vgpr_count 0
		.amdhsa_exception_fp_ieee_invalid_op 0
		.amdhsa_exception_fp_denorm_src 0
		.amdhsa_exception_fp_ieee_div_zero 0
		.amdhsa_exception_fp_ieee_overflow 0
		.amdhsa_exception_fp_ieee_underflow 0
		.amdhsa_exception_fp_ieee_inexact 0
		.amdhsa_exception_int_div_zero 0
	.end_amdhsa_kernel
	.section	.text._ZN9rocsolver6v33100L18getri_kernel_smallILi58EdPKPdEEvT1_iilPiilS6_bb,"axG",@progbits,_ZN9rocsolver6v33100L18getri_kernel_smallILi58EdPKPdEEvT1_iilPiilS6_bb,comdat
.Lfunc_end121:
	.size	_ZN9rocsolver6v33100L18getri_kernel_smallILi58EdPKPdEEvT1_iilPiilS6_bb, .Lfunc_end121-_ZN9rocsolver6v33100L18getri_kernel_smallILi58EdPKPdEEvT1_iilPiilS6_bb
                                        ; -- End function
	.set _ZN9rocsolver6v33100L18getri_kernel_smallILi58EdPKPdEEvT1_iilPiilS6_bb.num_vgpr, 163
	.set _ZN9rocsolver6v33100L18getri_kernel_smallILi58EdPKPdEEvT1_iilPiilS6_bb.num_agpr, 0
	.set _ZN9rocsolver6v33100L18getri_kernel_smallILi58EdPKPdEEvT1_iilPiilS6_bb.numbered_sgpr, 20
	.set _ZN9rocsolver6v33100L18getri_kernel_smallILi58EdPKPdEEvT1_iilPiilS6_bb.num_named_barrier, 0
	.set _ZN9rocsolver6v33100L18getri_kernel_smallILi58EdPKPdEEvT1_iilPiilS6_bb.private_seg_size, 480
	.set _ZN9rocsolver6v33100L18getri_kernel_smallILi58EdPKPdEEvT1_iilPiilS6_bb.uses_vcc, 1
	.set _ZN9rocsolver6v33100L18getri_kernel_smallILi58EdPKPdEEvT1_iilPiilS6_bb.uses_flat_scratch, 0
	.set _ZN9rocsolver6v33100L18getri_kernel_smallILi58EdPKPdEEvT1_iilPiilS6_bb.has_dyn_sized_stack, 0
	.set _ZN9rocsolver6v33100L18getri_kernel_smallILi58EdPKPdEEvT1_iilPiilS6_bb.has_recursion, 0
	.set _ZN9rocsolver6v33100L18getri_kernel_smallILi58EdPKPdEEvT1_iilPiilS6_bb.has_indirect_call, 0
	.section	.AMDGPU.csdata,"",@progbits
; Kernel info:
; codeLenInByte = 89560
; TotalNumSgprs: 22
; NumVgprs: 163
; ScratchSize: 480
; MemoryBound: 1
; FloatMode: 240
; IeeeMode: 1
; LDSByteSize: 936 bytes/workgroup (compile time only)
; SGPRBlocks: 0
; VGPRBlocks: 20
; NumSGPRsForWavesPerEU: 22
; NumVGPRsForWavesPerEU: 163
; Occupancy: 5
; WaveLimiterHint : 1
; COMPUTE_PGM_RSRC2:SCRATCH_EN: 1
; COMPUTE_PGM_RSRC2:USER_SGPR: 6
; COMPUTE_PGM_RSRC2:TRAP_HANDLER: 0
; COMPUTE_PGM_RSRC2:TGID_X_EN: 1
; COMPUTE_PGM_RSRC2:TGID_Y_EN: 0
; COMPUTE_PGM_RSRC2:TGID_Z_EN: 0
; COMPUTE_PGM_RSRC2:TIDIG_COMP_CNT: 0
	.section	.text._ZN9rocsolver6v33100L18getri_kernel_smallILi59EdPKPdEEvT1_iilPiilS6_bb,"axG",@progbits,_ZN9rocsolver6v33100L18getri_kernel_smallILi59EdPKPdEEvT1_iilPiilS6_bb,comdat
	.globl	_ZN9rocsolver6v33100L18getri_kernel_smallILi59EdPKPdEEvT1_iilPiilS6_bb ; -- Begin function _ZN9rocsolver6v33100L18getri_kernel_smallILi59EdPKPdEEvT1_iilPiilS6_bb
	.p2align	8
	.type	_ZN9rocsolver6v33100L18getri_kernel_smallILi59EdPKPdEEvT1_iilPiilS6_bb,@function
_ZN9rocsolver6v33100L18getri_kernel_smallILi59EdPKPdEEvT1_iilPiilS6_bb: ; @_ZN9rocsolver6v33100L18getri_kernel_smallILi59EdPKPdEEvT1_iilPiilS6_bb
; %bb.0:
	s_add_u32 s0, s0, s7
	s_addc_u32 s1, s1, 0
	s_mov_b32 s7, exec_lo
	v_cmpx_gt_u32_e32 59, v0
	s_cbranch_execz .LBB122_246
; %bb.1:
	s_clause 0x2
	s_load_dword s17, s[4:5], 0x38
	s_load_dwordx2 s[12:13], s[4:5], 0x0
	s_load_dwordx4 s[8:11], s[4:5], 0x28
	s_waitcnt lgkmcnt(0)
	s_bitcmp1_b32 s17, 8
	s_cselect_b32 s16, -1, 0
	s_ashr_i32 s7, s6, 31
	s_lshl_b64 s[14:15], s[6:7], 3
	s_add_u32 s12, s12, s14
	s_addc_u32 s13, s13, s15
	s_load_dwordx2 s[14:15], s[12:13], 0x0
	s_bfe_u32 s12, s17, 0x10008
	s_cmp_eq_u32 s12, 0
                                        ; implicit-def: $sgpr12_sgpr13
	s_cbranch_scc1 .LBB122_3
; %bb.2:
	s_clause 0x1
	s_load_dword s12, s[4:5], 0x20
	s_load_dwordx2 s[18:19], s[4:5], 0x18
	s_mul_i32 s13, s8, s7
	s_mul_hi_u32 s17, s8, s6
	s_mul_i32 s9, s9, s6
	s_add_i32 s13, s17, s13
	s_mul_i32 s8, s8, s6
	s_add_i32 s9, s13, s9
	s_lshl_b64 s[8:9], s[8:9], 2
	s_waitcnt lgkmcnt(0)
	s_ashr_i32 s13, s12, 31
	s_add_u32 s17, s18, s8
	s_addc_u32 s18, s19, s9
	s_lshl_b64 s[8:9], s[12:13], 2
	s_add_u32 s12, s17, s8
	s_addc_u32 s13, s18, s9
.LBB122_3:
	s_clause 0x1
	s_load_dwordx2 s[8:9], s[4:5], 0x8
	s_load_dword s17, s[4:5], 0x38
	v_lshlrev_b32_e32 v121, 3, v0
	s_waitcnt lgkmcnt(0)
	s_ashr_i32 s5, s8, 31
	s_mov_b32 s4, s8
	v_add3_u32 v9, s9, s9, v0
	s_lshl_b64 s[4:5], s[4:5], 3
	s_add_u32 s4, s14, s4
	s_addc_u32 s5, s15, s5
	v_add_co_u32 v1, s8, s4, v121
	v_add_co_ci_u32_e64 v2, null, s5, 0, s8
	s_mov_b32 s14, s9
	s_ashr_i32 s15, s9, 31
	v_ashrrev_i32_e32 v10, 31, v9
	flat_load_dwordx2 v[5:6], v[1:2]
	s_lshl_b64 s[14:15], s[14:15], 3
	v_add_nc_u32_e32 v12, s9, v9
	v_add_co_u32 v3, vcc_lo, v1, s14
	v_add_co_ci_u32_e64 v4, null, s15, v2, vcc_lo
	v_ashrrev_i32_e32 v13, 31, v12
	s_bitcmp0_b32 s17, 0
	s_waitcnt vmcnt(0) lgkmcnt(0)
	buffer_store_dword v6, off, s[0:3], 0 offset:4
	buffer_store_dword v5, off, s[0:3], 0
	flat_load_dwordx2 v[7:8], v[3:4]
	v_lshlrev_b64 v[5:6], 3, v[9:10]
	s_waitcnt vmcnt(0) lgkmcnt(0)
	buffer_store_dword v8, off, s[0:3], 0 offset:12
	buffer_store_dword v7, off, s[0:3], 0 offset:8
	v_add_co_u32 v5, vcc_lo, s4, v5
	v_add_co_ci_u32_e64 v6, null, s5, v6, vcc_lo
	v_lshlrev_b64 v[7:8], 3, v[12:13]
	flat_load_dwordx2 v[10:11], v[5:6]
	s_waitcnt vmcnt(0) lgkmcnt(0)
	buffer_store_dword v11, off, s[0:3], 0 offset:20
	buffer_store_dword v10, off, s[0:3], 0 offset:16
	v_add_co_u32 v7, vcc_lo, s4, v7
	v_add_co_ci_u32_e64 v8, null, s5, v8, vcc_lo
	v_add_nc_u32_e32 v11, s9, v12
	flat_load_dwordx2 v[13:14], v[7:8]
	s_waitcnt vmcnt(0) lgkmcnt(0)
	buffer_store_dword v14, off, s[0:3], 0 offset:28
	buffer_store_dword v13, off, s[0:3], 0 offset:24
	v_ashrrev_i32_e32 v12, 31, v11
	v_add_nc_u32_e32 v15, s9, v11
	v_lshlrev_b64 v[9:10], 3, v[11:12]
	v_ashrrev_i32_e32 v16, 31, v15
	v_add_nc_u32_e32 v18, s9, v15
	v_add_co_u32 v9, vcc_lo, s4, v9
	v_add_co_ci_u32_e64 v10, null, s5, v10, vcc_lo
	v_lshlrev_b64 v[11:12], 3, v[15:16]
	v_ashrrev_i32_e32 v19, 31, v18
	flat_load_dwordx2 v[13:14], v[9:10]
	s_waitcnt vmcnt(0) lgkmcnt(0)
	buffer_store_dword v14, off, s[0:3], 0 offset:36
	buffer_store_dword v13, off, s[0:3], 0 offset:32
	v_add_co_u32 v11, vcc_lo, s4, v11
	v_add_co_ci_u32_e64 v12, null, s5, v12, vcc_lo
	v_lshlrev_b64 v[13:14], 3, v[18:19]
	flat_load_dwordx2 v[16:17], v[11:12]
	s_waitcnt vmcnt(0) lgkmcnt(0)
	buffer_store_dword v17, off, s[0:3], 0 offset:44
	buffer_store_dword v16, off, s[0:3], 0 offset:40
	v_add_co_u32 v13, vcc_lo, s4, v13
	v_add_co_ci_u32_e64 v14, null, s5, v14, vcc_lo
	v_add_nc_u32_e32 v17, s9, v18
	flat_load_dwordx2 v[19:20], v[13:14]
	s_waitcnt vmcnt(0) lgkmcnt(0)
	buffer_store_dword v20, off, s[0:3], 0 offset:52
	buffer_store_dword v19, off, s[0:3], 0 offset:48
	v_ashrrev_i32_e32 v18, 31, v17
	v_add_nc_u32_e32 v21, s9, v17
	v_lshlrev_b64 v[15:16], 3, v[17:18]
	v_ashrrev_i32_e32 v22, 31, v21
	v_add_nc_u32_e32 v24, s9, v21
	v_add_co_u32 v15, vcc_lo, s4, v15
	v_add_co_ci_u32_e64 v16, null, s5, v16, vcc_lo
	v_lshlrev_b64 v[17:18], 3, v[21:22]
	v_ashrrev_i32_e32 v25, 31, v24
	flat_load_dwordx2 v[19:20], v[15:16]
	;; [unrolled: 27-line block ×17, first 2 shown]
	s_waitcnt vmcnt(0) lgkmcnt(0)
	buffer_store_dword v110, off, s[0:3], 0 offset:420
	buffer_store_dword v109, off, s[0:3], 0 offset:416
	v_add_co_u32 v107, vcc_lo, s4, v107
	v_add_co_ci_u32_e64 v108, null, s5, v108, vcc_lo
	v_lshlrev_b64 v[109:110], 3, v[114:115]
	flat_load_dwordx2 v[112:113], v[107:108]
	s_waitcnt vmcnt(0) lgkmcnt(0)
	buffer_store_dword v113, off, s[0:3], 0 offset:428
	buffer_store_dword v112, off, s[0:3], 0 offset:424
	v_add_co_u32 v109, vcc_lo, s4, v109
	v_add_co_ci_u32_e64 v110, null, s5, v110, vcc_lo
	v_add_nc_u32_e32 v113, s9, v114
	flat_load_dwordx2 v[115:116], v[109:110]
	s_waitcnt vmcnt(0) lgkmcnt(0)
	buffer_store_dword v116, off, s[0:3], 0 offset:436
	buffer_store_dword v115, off, s[0:3], 0 offset:432
	v_ashrrev_i32_e32 v114, 31, v113
	v_add_nc_u32_e32 v117, s9, v113
	v_lshlrev_b64 v[111:112], 3, v[113:114]
	v_ashrrev_i32_e32 v118, 31, v117
	v_add_nc_u32_e32 v122, s9, v117
	v_add_co_u32 v111, vcc_lo, s4, v111
	v_add_co_ci_u32_e64 v112, null, s5, v112, vcc_lo
	v_lshlrev_b64 v[113:114], 3, v[117:118]
	v_ashrrev_i32_e32 v123, 31, v122
	v_add_nc_u32_e32 v117, s9, v122
	flat_load_dwordx2 v[115:116], v[111:112]
	s_waitcnt vmcnt(0) lgkmcnt(0)
	buffer_store_dword v116, off, s[0:3], 0 offset:444
	buffer_store_dword v115, off, s[0:3], 0 offset:440
	v_add_co_u32 v113, vcc_lo, s4, v113
	v_add_co_ci_u32_e64 v114, null, s5, v114, vcc_lo
	v_lshlrev_b64 v[115:116], 3, v[122:123]
	flat_load_dwordx2 v[118:119], v[113:114]
	s_waitcnt vmcnt(0) lgkmcnt(0)
	buffer_store_dword v119, off, s[0:3], 0 offset:452
	buffer_store_dword v118, off, s[0:3], 0 offset:448
	v_add_co_u32 v115, vcc_lo, s4, v115
	v_add_co_ci_u32_e64 v116, null, s5, v116, vcc_lo
	v_ashrrev_i32_e32 v118, 31, v117
	flat_load_dwordx2 v[119:120], v[115:116]
	s_waitcnt vmcnt(0) lgkmcnt(0)
	buffer_store_dword v120, off, s[0:3], 0 offset:460
	buffer_store_dword v119, off, s[0:3], 0 offset:456
	v_lshlrev_b64 v[117:118], 3, v[117:118]
	v_add_co_u32 v117, vcc_lo, s4, v117
	v_add_co_ci_u32_e64 v118, null, s5, v118, vcc_lo
	s_mov_b32 s5, -1
	flat_load_dwordx2 v[119:120], v[117:118]
	s_waitcnt vmcnt(0) lgkmcnt(0)
	buffer_store_dword v120, off, s[0:3], 0 offset:468
	buffer_store_dword v119, off, s[0:3], 0 offset:464
	s_cbranch_scc1 .LBB122_244
; %bb.4:
	v_cmp_eq_u32_e64 s4, 0, v0
	s_and_saveexec_b32 s5, s4
; %bb.5:
	v_mov_b32_e32 v119, 0
	ds_write_b32 v119, v119 offset:472
; %bb.6:
	s_or_b32 exec_lo, exec_lo, s5
	v_lshl_add_u32 v119, v0, 3, 0
	s_waitcnt lgkmcnt(0)
	s_waitcnt_vscnt null, 0x0
	s_barrier
	buffer_gl0_inv
	s_mov_b32 s8, exec_lo
	s_clause 0x1
	buffer_load_dword v122, v119, s[0:3], 0 offen
	buffer_load_dword v123, v119, s[0:3], 0 offen offset:4
	s_waitcnt vmcnt(0)
	v_cmpx_eq_f64_e32 0, v[122:123]
	s_cbranch_execz .LBB122_10
; %bb.7:
	v_mov_b32_e32 v120, 0
	s_mov_b32 s9, 0
	ds_read_b32 v122, v120 offset:472
	s_waitcnt lgkmcnt(0)
	v_readfirstlane_b32 s5, v122
	v_add_nc_u32_e32 v122, 1, v0
	s_cmp_eq_u32 s5, 0
	v_cmp_gt_i32_e32 vcc_lo, s5, v122
	s_cselect_b32 s14, -1, 0
	s_or_b32 s14, s14, vcc_lo
	s_and_b32 exec_lo, exec_lo, s14
	s_cbranch_execz .LBB122_10
; %bb.8:
	v_mov_b32_e32 v123, s5
.LBB122_9:                              ; =>This Inner Loop Header: Depth=1
	ds_cmpst_rtn_b32 v123, v120, v123, v122 offset:472
	s_waitcnt lgkmcnt(0)
	v_cmp_ne_u32_e32 vcc_lo, 0, v123
	v_cmp_le_i32_e64 s5, v123, v122
	s_and_b32 s5, vcc_lo, s5
	s_and_b32 s5, exec_lo, s5
	s_or_b32 s9, s5, s9
	s_andn2_b32 exec_lo, exec_lo, s9
	s_cbranch_execnz .LBB122_9
.LBB122_10:
	s_or_b32 exec_lo, exec_lo, s8
	v_mov_b32_e32 v120, 0
	s_barrier
	buffer_gl0_inv
	ds_read_b32 v122, v120 offset:472
	s_and_saveexec_b32 s5, s4
	s_cbranch_execz .LBB122_12
; %bb.11:
	s_lshl_b64 s[8:9], s[6:7], 2
	s_add_u32 s8, s10, s8
	s_addc_u32 s9, s11, s9
	s_waitcnt lgkmcnt(0)
	global_store_dword v120, v122, s[8:9]
.LBB122_12:
	s_or_b32 exec_lo, exec_lo, s5
	s_waitcnt lgkmcnt(0)
	v_cmp_ne_u32_e32 vcc_lo, 0, v122
	s_mov_b32 s5, 0
	s_cbranch_vccnz .LBB122_244
; %bb.13:
	s_clause 0x1
	buffer_load_dword v122, v119, s[0:3], 0 offen
	buffer_load_dword v123, v119, s[0:3], 0 offen offset:4
	s_waitcnt vmcnt(0)
	v_div_scale_f64 v[124:125], null, v[122:123], v[122:123], 1.0
	v_div_scale_f64 v[130:131], vcc_lo, 1.0, v[122:123], 1.0
	v_rcp_f64_e32 v[126:127], v[124:125]
	v_fma_f64 v[128:129], -v[124:125], v[126:127], 1.0
	v_fma_f64 v[126:127], v[126:127], v[128:129], v[126:127]
	v_fma_f64 v[128:129], -v[124:125], v[126:127], 1.0
	v_fma_f64 v[126:127], v[126:127], v[128:129], v[126:127]
	v_mul_f64 v[128:129], v[130:131], v[126:127]
	v_fma_f64 v[124:125], -v[124:125], v[128:129], v[130:131]
	v_div_fmas_f64 v[124:125], v[124:125], v[126:127], v[128:129]
	v_div_fixup_f64 v[123:124], v[124:125], v[122:123], 1.0
	v_add_nc_u32_e32 v122, 0x1e0, v121
	buffer_store_dword v124, v119, s[0:3], 0 offen offset:4
	buffer_store_dword v123, v119, s[0:3], 0 offen
	s_clause 0x1
	buffer_load_dword v126, off, s[0:3], 0 offset:12
	buffer_load_dword v125, off, s[0:3], 0 offset:8
	v_xor_b32_e32 v124, 0x80000000, v124
	s_waitcnt vmcnt(0)
	ds_write2_b64 v121, v[123:124], v[125:126] offset1:60
	s_waitcnt lgkmcnt(0)
	s_waitcnt_vscnt null, 0x0
	s_barrier
	buffer_gl0_inv
	s_and_saveexec_b32 s5, s4
	s_cbranch_execz .LBB122_15
; %bb.14:
	s_clause 0x1
	buffer_load_dword v123, v119, s[0:3], 0 offen
	buffer_load_dword v124, v119, s[0:3], 0 offen offset:4
	ds_read_b64 v[125:126], v122
	v_mov_b32_e32 v120, 0
	ds_read_b64 v[127:128], v120 offset:8
	s_waitcnt vmcnt(0) lgkmcnt(1)
	v_fma_f64 v[123:124], v[123:124], v[125:126], 0
	s_waitcnt lgkmcnt(0)
	v_mul_f64 v[123:124], v[123:124], v[127:128]
	buffer_store_dword v123, off, s[0:3], 0 offset:8
	buffer_store_dword v124, off, s[0:3], 0 offset:12
.LBB122_15:
	s_or_b32 exec_lo, exec_lo, s5
	s_waitcnt_vscnt null, 0x0
	s_barrier
	buffer_gl0_inv
	s_clause 0x1
	buffer_load_dword v123, off, s[0:3], 0 offset:16
	buffer_load_dword v124, off, s[0:3], 0 offset:20
	s_mov_b32 s5, exec_lo
	s_waitcnt vmcnt(0)
	ds_write_b64 v122, v[123:124]
	s_waitcnt lgkmcnt(0)
	s_barrier
	buffer_gl0_inv
	v_cmpx_gt_u32_e32 2, v0
	s_cbranch_execz .LBB122_19
; %bb.16:
	s_clause 0x1
	buffer_load_dword v123, v119, s[0:3], 0 offen
	buffer_load_dword v124, v119, s[0:3], 0 offen offset:4
	ds_read_b64 v[119:120], v122
	s_waitcnt vmcnt(0) lgkmcnt(0)
	v_fma_f64 v[119:120], v[123:124], v[119:120], 0
	s_and_saveexec_b32 s8, s4
	s_cbranch_execz .LBB122_18
; %bb.17:
	s_clause 0x1
	buffer_load_dword v123, off, s[0:3], 0 offset:8
	buffer_load_dword v124, off, s[0:3], 0 offset:12
	v_mov_b32_e32 v125, 0
	ds_read_b64 v[125:126], v125 offset:488
	s_waitcnt vmcnt(0) lgkmcnt(0)
	v_fma_f64 v[119:120], v[123:124], v[125:126], v[119:120]
.LBB122_18:
	s_or_b32 exec_lo, exec_lo, s8
	v_mov_b32_e32 v123, 0
	ds_read_b64 v[123:124], v123 offset:16
	s_waitcnt lgkmcnt(0)
	v_mul_f64 v[119:120], v[119:120], v[123:124]
	buffer_store_dword v120, off, s[0:3], 0 offset:20
	buffer_store_dword v119, off, s[0:3], 0 offset:16
.LBB122_19:
	s_or_b32 exec_lo, exec_lo, s5
	s_waitcnt_vscnt null, 0x0
	s_barrier
	buffer_gl0_inv
	s_clause 0x1
	buffer_load_dword v119, off, s[0:3], 0 offset:24
	buffer_load_dword v120, off, s[0:3], 0 offset:28
	v_add_nc_u32_e32 v123, -1, v0
	s_mov_b32 s4, exec_lo
	s_waitcnt vmcnt(0)
	ds_write_b64 v122, v[119:120]
	s_waitcnt lgkmcnt(0)
	s_barrier
	buffer_gl0_inv
	v_cmpx_gt_u32_e32 3, v0
	s_cbranch_execz .LBB122_23
; %bb.20:
	v_mov_b32_e32 v119, 0
	v_add_nc_u32_e32 v124, -1, v0
	v_add_nc_u32_e32 v125, 0x1e0, v121
	v_mov_b32_e32 v120, 0
	v_mov_b32_e32 v126, v121
	s_mov_b32 s5, 0
.LBB122_21:                             ; =>This Inner Loop Header: Depth=1
	s_clause 0x1
	buffer_load_dword v127, v126, s[0:3], 0 offen
	buffer_load_dword v128, v126, s[0:3], 0 offen offset:4
	ds_read_b64 v[129:130], v125
	v_add_nc_u32_e32 v124, 1, v124
	v_add_nc_u32_e32 v125, 8, v125
	v_add_nc_u32_e32 v126, 8, v126
	v_cmp_lt_u32_e32 vcc_lo, 1, v124
	s_or_b32 s5, vcc_lo, s5
	s_waitcnt vmcnt(0) lgkmcnt(0)
	v_fma_f64 v[119:120], v[127:128], v[129:130], v[119:120]
	s_andn2_b32 exec_lo, exec_lo, s5
	s_cbranch_execnz .LBB122_21
; %bb.22:
	s_or_b32 exec_lo, exec_lo, s5
	v_mov_b32_e32 v124, 0
	ds_read_b64 v[124:125], v124 offset:24
	s_waitcnt lgkmcnt(0)
	v_mul_f64 v[119:120], v[119:120], v[124:125]
	buffer_store_dword v120, off, s[0:3], 0 offset:28
	buffer_store_dword v119, off, s[0:3], 0 offset:24
.LBB122_23:
	s_or_b32 exec_lo, exec_lo, s4
	s_waitcnt_vscnt null, 0x0
	s_barrier
	buffer_gl0_inv
	s_clause 0x1
	buffer_load_dword v119, off, s[0:3], 0 offset:32
	buffer_load_dword v120, off, s[0:3], 0 offset:36
	s_mov_b32 s4, exec_lo
	s_waitcnt vmcnt(0)
	ds_write_b64 v122, v[119:120]
	s_waitcnt lgkmcnt(0)
	s_barrier
	buffer_gl0_inv
	v_cmpx_gt_u32_e32 4, v0
	s_cbranch_execz .LBB122_27
; %bb.24:
	v_mov_b32_e32 v119, 0
	v_add_nc_u32_e32 v124, -1, v0
	v_add_nc_u32_e32 v125, 0x1e0, v121
	v_mov_b32_e32 v120, 0
	v_mov_b32_e32 v126, v121
	s_mov_b32 s5, 0
.LBB122_25:                             ; =>This Inner Loop Header: Depth=1
	s_clause 0x1
	buffer_load_dword v127, v126, s[0:3], 0 offen
	buffer_load_dword v128, v126, s[0:3], 0 offen offset:4
	ds_read_b64 v[129:130], v125
	v_add_nc_u32_e32 v124, 1, v124
	v_add_nc_u32_e32 v125, 8, v125
	v_add_nc_u32_e32 v126, 8, v126
	v_cmp_lt_u32_e32 vcc_lo, 2, v124
	s_or_b32 s5, vcc_lo, s5
	s_waitcnt vmcnt(0) lgkmcnt(0)
	v_fma_f64 v[119:120], v[127:128], v[129:130], v[119:120]
	s_andn2_b32 exec_lo, exec_lo, s5
	s_cbranch_execnz .LBB122_25
; %bb.26:
	s_or_b32 exec_lo, exec_lo, s5
	v_mov_b32_e32 v124, 0
	ds_read_b64 v[124:125], v124 offset:32
	s_waitcnt lgkmcnt(0)
	v_mul_f64 v[119:120], v[119:120], v[124:125]
	buffer_store_dword v120, off, s[0:3], 0 offset:36
	buffer_store_dword v119, off, s[0:3], 0 offset:32
.LBB122_27:
	s_or_b32 exec_lo, exec_lo, s4
	s_waitcnt_vscnt null, 0x0
	s_barrier
	buffer_gl0_inv
	s_clause 0x1
	buffer_load_dword v119, off, s[0:3], 0 offset:40
	buffer_load_dword v120, off, s[0:3], 0 offset:44
	;; [unrolled: 45-line block ×20, first 2 shown]
	s_mov_b32 s4, exec_lo
	s_waitcnt vmcnt(0)
	ds_write_b64 v122, v[119:120]
	s_waitcnt lgkmcnt(0)
	s_barrier
	buffer_gl0_inv
	v_cmpx_gt_u32_e32 23, v0
	s_cbranch_execz .LBB122_103
; %bb.100:
	v_mov_b32_e32 v119, 0
	v_add_nc_u32_e32 v124, -1, v0
	v_add_nc_u32_e32 v125, 0x1e0, v121
	v_mov_b32_e32 v120, 0
	v_mov_b32_e32 v126, v121
	s_mov_b32 s5, 0
.LBB122_101:                            ; =>This Inner Loop Header: Depth=1
	s_clause 0x1
	buffer_load_dword v127, v126, s[0:3], 0 offen
	buffer_load_dword v128, v126, s[0:3], 0 offen offset:4
	ds_read_b64 v[129:130], v125
	v_add_nc_u32_e32 v124, 1, v124
	v_add_nc_u32_e32 v125, 8, v125
	v_add_nc_u32_e32 v126, 8, v126
	v_cmp_lt_u32_e32 vcc_lo, 21, v124
	s_or_b32 s5, vcc_lo, s5
	s_waitcnt vmcnt(0) lgkmcnt(0)
	v_fma_f64 v[119:120], v[127:128], v[129:130], v[119:120]
	s_andn2_b32 exec_lo, exec_lo, s5
	s_cbranch_execnz .LBB122_101
; %bb.102:
	s_or_b32 exec_lo, exec_lo, s5
	v_mov_b32_e32 v124, 0
	ds_read_b64 v[124:125], v124 offset:184
	s_waitcnt lgkmcnt(0)
	v_mul_f64 v[119:120], v[119:120], v[124:125]
	buffer_store_dword v120, off, s[0:3], 0 offset:188
	buffer_store_dword v119, off, s[0:3], 0 offset:184
.LBB122_103:
	s_or_b32 exec_lo, exec_lo, s4
	s_waitcnt_vscnt null, 0x0
	s_barrier
	buffer_gl0_inv
	s_clause 0x1
	buffer_load_dword v119, off, s[0:3], 0 offset:192
	buffer_load_dword v120, off, s[0:3], 0 offset:196
	s_mov_b32 s4, exec_lo
	s_waitcnt vmcnt(0)
	ds_write_b64 v122, v[119:120]
	s_waitcnt lgkmcnt(0)
	s_barrier
	buffer_gl0_inv
	v_cmpx_gt_u32_e32 24, v0
	s_cbranch_execz .LBB122_107
; %bb.104:
	v_mov_b32_e32 v119, 0
	v_add_nc_u32_e32 v124, -1, v0
	v_add_nc_u32_e32 v125, 0x1e0, v121
	v_mov_b32_e32 v120, 0
	v_mov_b32_e32 v126, v121
	s_mov_b32 s5, 0
.LBB122_105:                            ; =>This Inner Loop Header: Depth=1
	s_clause 0x1
	buffer_load_dword v127, v126, s[0:3], 0 offen
	buffer_load_dword v128, v126, s[0:3], 0 offen offset:4
	ds_read_b64 v[129:130], v125
	v_add_nc_u32_e32 v124, 1, v124
	v_add_nc_u32_e32 v125, 8, v125
	v_add_nc_u32_e32 v126, 8, v126
	v_cmp_lt_u32_e32 vcc_lo, 22, v124
	s_or_b32 s5, vcc_lo, s5
	s_waitcnt vmcnt(0) lgkmcnt(0)
	v_fma_f64 v[119:120], v[127:128], v[129:130], v[119:120]
	s_andn2_b32 exec_lo, exec_lo, s5
	s_cbranch_execnz .LBB122_105
; %bb.106:
	s_or_b32 exec_lo, exec_lo, s5
	v_mov_b32_e32 v124, 0
	ds_read_b64 v[124:125], v124 offset:192
	s_waitcnt lgkmcnt(0)
	v_mul_f64 v[119:120], v[119:120], v[124:125]
	buffer_store_dword v120, off, s[0:3], 0 offset:196
	buffer_store_dword v119, off, s[0:3], 0 offset:192
.LBB122_107:
	s_or_b32 exec_lo, exec_lo, s4
	s_waitcnt_vscnt null, 0x0
	s_barrier
	buffer_gl0_inv
	s_clause 0x1
	buffer_load_dword v119, off, s[0:3], 0 offset:200
	buffer_load_dword v120, off, s[0:3], 0 offset:204
	;; [unrolled: 45-line block ×35, first 2 shown]
	s_mov_b32 s4, exec_lo
	s_waitcnt vmcnt(0)
	ds_write_b64 v122, v[119:120]
	s_waitcnt lgkmcnt(0)
	s_barrier
	buffer_gl0_inv
	v_cmpx_ne_u32_e32 58, v0
	s_cbranch_execz .LBB122_243
; %bb.240:
	v_mov_b32_e32 v119, 0
	v_mov_b32_e32 v120, 0
	s_mov_b32 s5, 0
.LBB122_241:                            ; =>This Inner Loop Header: Depth=1
	s_clause 0x1
	buffer_load_dword v124, v121, s[0:3], 0 offen
	buffer_load_dword v125, v121, s[0:3], 0 offen offset:4
	ds_read_b64 v[126:127], v122
	v_add_nc_u32_e32 v123, 1, v123
	v_add_nc_u32_e32 v122, 8, v122
	;; [unrolled: 1-line block ×3, first 2 shown]
	v_cmp_lt_u32_e32 vcc_lo, 56, v123
	s_or_b32 s5, vcc_lo, s5
	s_waitcnt vmcnt(0) lgkmcnt(0)
	v_fma_f64 v[119:120], v[124:125], v[126:127], v[119:120]
	s_andn2_b32 exec_lo, exec_lo, s5
	s_cbranch_execnz .LBB122_241
; %bb.242:
	s_or_b32 exec_lo, exec_lo, s5
	v_mov_b32_e32 v121, 0
	ds_read_b64 v[121:122], v121 offset:464
	s_waitcnt lgkmcnt(0)
	v_mul_f64 v[119:120], v[119:120], v[121:122]
	buffer_store_dword v120, off, s[0:3], 0 offset:468
	buffer_store_dword v119, off, s[0:3], 0 offset:464
.LBB122_243:
	s_or_b32 exec_lo, exec_lo, s4
	s_mov_b32 s5, -1
	s_waitcnt_vscnt null, 0x0
	s_barrier
	buffer_gl0_inv
.LBB122_244:
	s_and_b32 vcc_lo, exec_lo, s5
	s_cbranch_vccz .LBB122_246
; %bb.245:
	s_lshl_b64 s[4:5], s[6:7], 2
	v_mov_b32_e32 v119, 0
	s_add_u32 s4, s10, s4
	s_addc_u32 s5, s11, s5
	global_load_dword v119, v119, s[4:5]
	s_waitcnt vmcnt(0)
	v_cmp_ne_u32_e32 vcc_lo, 0, v119
	s_cbranch_vccz .LBB122_247
.LBB122_246:
	s_endpgm
.LBB122_247:
	v_lshl_add_u32 v119, v0, 3, 0x1e0
	s_mov_b32 s4, exec_lo
	v_cmpx_eq_u32_e32 58, v0
	s_cbranch_execz .LBB122_249
; %bb.248:
	s_clause 0x1
	buffer_load_dword v120, off, s[0:3], 0 offset:456
	buffer_load_dword v121, off, s[0:3], 0 offset:460
	v_mov_b32_e32 v122, 0
	buffer_store_dword v122, off, s[0:3], 0 offset:456
	buffer_store_dword v122, off, s[0:3], 0 offset:460
	s_waitcnt vmcnt(0)
	ds_write_b64 v119, v[120:121]
.LBB122_249:
	s_or_b32 exec_lo, exec_lo, s4
	s_waitcnt lgkmcnt(0)
	s_waitcnt_vscnt null, 0x0
	s_barrier
	buffer_gl0_inv
	s_clause 0x3
	buffer_load_dword v121, off, s[0:3], 0 offset:464
	buffer_load_dword v122, off, s[0:3], 0 offset:468
	;; [unrolled: 1-line block ×4, first 2 shown]
	v_mov_b32_e32 v120, 0
	s_mov_b32 s4, exec_lo
	ds_read_b64 v[125:126], v120 offset:944
	s_waitcnt vmcnt(2) lgkmcnt(0)
	v_fma_f64 v[121:122], v[121:122], v[125:126], 0
	s_waitcnt vmcnt(0)
	v_add_f64 v[121:122], v[123:124], -v[121:122]
	buffer_store_dword v121, off, s[0:3], 0 offset:456
	buffer_store_dword v122, off, s[0:3], 0 offset:460
	v_cmpx_lt_u32_e32 56, v0
	s_cbranch_execz .LBB122_251
; %bb.250:
	s_clause 0x1
	buffer_load_dword v121, off, s[0:3], 0 offset:448
	buffer_load_dword v122, off, s[0:3], 0 offset:452
	buffer_store_dword v120, off, s[0:3], 0 offset:448
	buffer_store_dword v120, off, s[0:3], 0 offset:452
	s_waitcnt vmcnt(0)
	ds_write_b64 v119, v[121:122]
.LBB122_251:
	s_or_b32 exec_lo, exec_lo, s4
	s_waitcnt lgkmcnt(0)
	s_waitcnt_vscnt null, 0x0
	s_barrier
	buffer_gl0_inv
	s_clause 0x5
	buffer_load_dword v124, off, s[0:3], 0 offset:456
	buffer_load_dword v125, off, s[0:3], 0 offset:460
	;; [unrolled: 1-line block ×6, first 2 shown]
	ds_read2_b64 v[120:123], v120 offset0:117 offset1:118
	s_mov_b32 s4, exec_lo
	s_waitcnt vmcnt(4) lgkmcnt(0)
	v_fma_f64 v[120:121], v[124:125], v[120:121], 0
	s_waitcnt vmcnt(2)
	v_fma_f64 v[120:121], v[126:127], v[122:123], v[120:121]
	s_waitcnt vmcnt(0)
	v_add_f64 v[120:121], v[128:129], -v[120:121]
	buffer_store_dword v120, off, s[0:3], 0 offset:448
	buffer_store_dword v121, off, s[0:3], 0 offset:452
	v_cmpx_lt_u32_e32 55, v0
	s_cbranch_execz .LBB122_253
; %bb.252:
	s_clause 0x1
	buffer_load_dword v120, off, s[0:3], 0 offset:440
	buffer_load_dword v121, off, s[0:3], 0 offset:444
	v_mov_b32_e32 v122, 0
	buffer_store_dword v122, off, s[0:3], 0 offset:440
	buffer_store_dword v122, off, s[0:3], 0 offset:444
	s_waitcnt vmcnt(0)
	ds_write_b64 v119, v[120:121]
.LBB122_253:
	s_or_b32 exec_lo, exec_lo, s4
	s_waitcnt lgkmcnt(0)
	s_waitcnt_vscnt null, 0x0
	s_barrier
	buffer_gl0_inv
	s_clause 0x7
	buffer_load_dword v125, off, s[0:3], 0 offset:448
	buffer_load_dword v126, off, s[0:3], 0 offset:452
	;; [unrolled: 1-line block ×8, first 2 shown]
	v_mov_b32_e32 v120, 0
	ds_read_b128 v[121:124], v120 offset:928
	ds_read_b64 v[133:134], v120 offset:944
	s_mov_b32 s4, exec_lo
	s_waitcnt vmcnt(6) lgkmcnt(1)
	v_fma_f64 v[121:122], v[125:126], v[121:122], 0
	s_waitcnt vmcnt(4)
	v_fma_f64 v[121:122], v[127:128], v[123:124], v[121:122]
	s_waitcnt vmcnt(2) lgkmcnt(0)
	v_fma_f64 v[121:122], v[129:130], v[133:134], v[121:122]
	s_waitcnt vmcnt(0)
	v_add_f64 v[121:122], v[131:132], -v[121:122]
	buffer_store_dword v121, off, s[0:3], 0 offset:440
	buffer_store_dword v122, off, s[0:3], 0 offset:444
	v_cmpx_lt_u32_e32 54, v0
	s_cbranch_execz .LBB122_255
; %bb.254:
	s_clause 0x1
	buffer_load_dword v121, off, s[0:3], 0 offset:432
	buffer_load_dword v122, off, s[0:3], 0 offset:436
	buffer_store_dword v120, off, s[0:3], 0 offset:432
	buffer_store_dword v120, off, s[0:3], 0 offset:436
	s_waitcnt vmcnt(0)
	ds_write_b64 v119, v[121:122]
.LBB122_255:
	s_or_b32 exec_lo, exec_lo, s4
	s_waitcnt lgkmcnt(0)
	s_waitcnt_vscnt null, 0x0
	s_barrier
	buffer_gl0_inv
	s_clause 0x9
	buffer_load_dword v129, off, s[0:3], 0 offset:440
	buffer_load_dword v130, off, s[0:3], 0 offset:444
	;; [unrolled: 1-line block ×10, first 2 shown]
	ds_read2_b64 v[121:124], v120 offset0:115 offset1:116
	ds_read2_b64 v[125:128], v120 offset0:117 offset1:118
	s_mov_b32 s4, exec_lo
	s_waitcnt vmcnt(8) lgkmcnt(1)
	v_fma_f64 v[120:121], v[129:130], v[121:122], 0
	s_waitcnt vmcnt(6)
	v_fma_f64 v[120:121], v[131:132], v[123:124], v[120:121]
	s_waitcnt vmcnt(4) lgkmcnt(0)
	v_fma_f64 v[120:121], v[133:134], v[125:126], v[120:121]
	s_waitcnt vmcnt(2)
	v_fma_f64 v[120:121], v[135:136], v[127:128], v[120:121]
	s_waitcnt vmcnt(0)
	v_add_f64 v[120:121], v[137:138], -v[120:121]
	buffer_store_dword v120, off, s[0:3], 0 offset:432
	buffer_store_dword v121, off, s[0:3], 0 offset:436
	v_cmpx_lt_u32_e32 53, v0
	s_cbranch_execz .LBB122_257
; %bb.256:
	s_clause 0x1
	buffer_load_dword v120, off, s[0:3], 0 offset:424
	buffer_load_dword v121, off, s[0:3], 0 offset:428
	v_mov_b32_e32 v122, 0
	buffer_store_dword v122, off, s[0:3], 0 offset:424
	buffer_store_dword v122, off, s[0:3], 0 offset:428
	s_waitcnt vmcnt(0)
	ds_write_b64 v119, v[120:121]
.LBB122_257:
	s_or_b32 exec_lo, exec_lo, s4
	s_waitcnt lgkmcnt(0)
	s_waitcnt_vscnt null, 0x0
	s_barrier
	buffer_gl0_inv
	s_clause 0xb
	buffer_load_dword v129, off, s[0:3], 0 offset:432
	buffer_load_dword v130, off, s[0:3], 0 offset:436
	;; [unrolled: 1-line block ×12, first 2 shown]
	v_mov_b32_e32 v120, 0
	ds_read_b128 v[121:124], v120 offset:912
	ds_read_b128 v[125:128], v120 offset:928
	s_mov_b32 s4, exec_lo
	s_waitcnt vmcnt(10) lgkmcnt(1)
	v_fma_f64 v[121:122], v[129:130], v[121:122], 0
	s_waitcnt vmcnt(8)
	v_fma_f64 v[121:122], v[131:132], v[123:124], v[121:122]
	ds_read_b64 v[123:124], v120 offset:944
	s_waitcnt vmcnt(6) lgkmcnt(1)
	v_fma_f64 v[121:122], v[133:134], v[125:126], v[121:122]
	s_waitcnt vmcnt(4)
	v_fma_f64 v[121:122], v[135:136], v[127:128], v[121:122]
	s_waitcnt vmcnt(2) lgkmcnt(0)
	v_fma_f64 v[121:122], v[137:138], v[123:124], v[121:122]
	s_waitcnt vmcnt(0)
	v_add_f64 v[121:122], v[139:140], -v[121:122]
	buffer_store_dword v121, off, s[0:3], 0 offset:424
	buffer_store_dword v122, off, s[0:3], 0 offset:428
	v_cmpx_lt_u32_e32 52, v0
	s_cbranch_execz .LBB122_259
; %bb.258:
	s_clause 0x1
	buffer_load_dword v121, off, s[0:3], 0 offset:416
	buffer_load_dword v122, off, s[0:3], 0 offset:420
	buffer_store_dword v120, off, s[0:3], 0 offset:416
	buffer_store_dword v120, off, s[0:3], 0 offset:420
	s_waitcnt vmcnt(0)
	ds_write_b64 v119, v[121:122]
.LBB122_259:
	s_or_b32 exec_lo, exec_lo, s4
	s_waitcnt lgkmcnt(0)
	s_waitcnt_vscnt null, 0x0
	s_barrier
	buffer_gl0_inv
	s_clause 0xd
	buffer_load_dword v129, off, s[0:3], 0 offset:424
	buffer_load_dword v130, off, s[0:3], 0 offset:428
	buffer_load_dword v131, off, s[0:3], 0 offset:432
	buffer_load_dword v132, off, s[0:3], 0 offset:436
	buffer_load_dword v133, off, s[0:3], 0 offset:440
	buffer_load_dword v134, off, s[0:3], 0 offset:444
	buffer_load_dword v135, off, s[0:3], 0 offset:448
	buffer_load_dword v136, off, s[0:3], 0 offset:452
	buffer_load_dword v137, off, s[0:3], 0 offset:456
	buffer_load_dword v138, off, s[0:3], 0 offset:460
	buffer_load_dword v139, off, s[0:3], 0 offset:464
	buffer_load_dword v140, off, s[0:3], 0 offset:468
	buffer_load_dword v141, off, s[0:3], 0 offset:416
	buffer_load_dword v142, off, s[0:3], 0 offset:420
	ds_read2_b64 v[121:124], v120 offset0:113 offset1:114
	ds_read2_b64 v[125:128], v120 offset0:115 offset1:116
	s_mov_b32 s4, exec_lo
	s_waitcnt vmcnt(12) lgkmcnt(1)
	v_fma_f64 v[121:122], v[129:130], v[121:122], 0
	s_waitcnt vmcnt(10)
	v_fma_f64 v[121:122], v[131:132], v[123:124], v[121:122]
	s_waitcnt vmcnt(8) lgkmcnt(0)
	v_fma_f64 v[121:122], v[133:134], v[125:126], v[121:122]
	s_waitcnt vmcnt(6)
	v_fma_f64 v[124:125], v[135:136], v[127:128], v[121:122]
	ds_read2_b64 v[120:123], v120 offset0:117 offset1:118
	s_waitcnt vmcnt(4) lgkmcnt(0)
	v_fma_f64 v[120:121], v[137:138], v[120:121], v[124:125]
	s_waitcnt vmcnt(2)
	v_fma_f64 v[120:121], v[139:140], v[122:123], v[120:121]
	s_waitcnt vmcnt(0)
	v_add_f64 v[120:121], v[141:142], -v[120:121]
	buffer_store_dword v120, off, s[0:3], 0 offset:416
	buffer_store_dword v121, off, s[0:3], 0 offset:420
	v_cmpx_lt_u32_e32 51, v0
	s_cbranch_execz .LBB122_261
; %bb.260:
	s_clause 0x1
	buffer_load_dword v120, off, s[0:3], 0 offset:408
	buffer_load_dword v121, off, s[0:3], 0 offset:412
	v_mov_b32_e32 v122, 0
	buffer_store_dword v122, off, s[0:3], 0 offset:408
	buffer_store_dword v122, off, s[0:3], 0 offset:412
	s_waitcnt vmcnt(0)
	ds_write_b64 v119, v[120:121]
.LBB122_261:
	s_or_b32 exec_lo, exec_lo, s4
	s_waitcnt lgkmcnt(0)
	s_waitcnt_vscnt null, 0x0
	s_barrier
	buffer_gl0_inv
	s_clause 0xf
	buffer_load_dword v129, off, s[0:3], 0 offset:416
	buffer_load_dword v130, off, s[0:3], 0 offset:420
	buffer_load_dword v131, off, s[0:3], 0 offset:424
	buffer_load_dword v132, off, s[0:3], 0 offset:428
	buffer_load_dword v133, off, s[0:3], 0 offset:432
	buffer_load_dword v134, off, s[0:3], 0 offset:436
	buffer_load_dword v135, off, s[0:3], 0 offset:440
	buffer_load_dword v136, off, s[0:3], 0 offset:444
	buffer_load_dword v137, off, s[0:3], 0 offset:448
	buffer_load_dword v138, off, s[0:3], 0 offset:452
	buffer_load_dword v139, off, s[0:3], 0 offset:456
	buffer_load_dword v140, off, s[0:3], 0 offset:460
	buffer_load_dword v141, off, s[0:3], 0 offset:464
	buffer_load_dword v142, off, s[0:3], 0 offset:468
	buffer_load_dword v143, off, s[0:3], 0 offset:408
	buffer_load_dword v144, off, s[0:3], 0 offset:412
	v_mov_b32_e32 v120, 0
	ds_read_b128 v[121:124], v120 offset:896
	ds_read_b128 v[125:128], v120 offset:912
	s_mov_b32 s4, exec_lo
	s_waitcnt vmcnt(14) lgkmcnt(1)
	v_fma_f64 v[121:122], v[129:130], v[121:122], 0
	s_waitcnt vmcnt(12)
	v_fma_f64 v[121:122], v[131:132], v[123:124], v[121:122]
	s_waitcnt vmcnt(10) lgkmcnt(0)
	v_fma_f64 v[121:122], v[133:134], v[125:126], v[121:122]
	s_waitcnt vmcnt(8)
	v_fma_f64 v[125:126], v[135:136], v[127:128], v[121:122]
	ds_read_b128 v[121:124], v120 offset:928
	ds_read_b64 v[127:128], v120 offset:944
	s_waitcnt vmcnt(6) lgkmcnt(1)
	v_fma_f64 v[121:122], v[137:138], v[121:122], v[125:126]
	s_waitcnt vmcnt(4)
	v_fma_f64 v[121:122], v[139:140], v[123:124], v[121:122]
	s_waitcnt vmcnt(2) lgkmcnt(0)
	v_fma_f64 v[121:122], v[141:142], v[127:128], v[121:122]
	s_waitcnt vmcnt(0)
	v_add_f64 v[121:122], v[143:144], -v[121:122]
	buffer_store_dword v121, off, s[0:3], 0 offset:408
	buffer_store_dword v122, off, s[0:3], 0 offset:412
	v_cmpx_lt_u32_e32 50, v0
	s_cbranch_execz .LBB122_263
; %bb.262:
	s_clause 0x1
	buffer_load_dword v121, off, s[0:3], 0 offset:400
	buffer_load_dword v122, off, s[0:3], 0 offset:404
	buffer_store_dword v120, off, s[0:3], 0 offset:400
	buffer_store_dword v120, off, s[0:3], 0 offset:404
	s_waitcnt vmcnt(0)
	ds_write_b64 v119, v[121:122]
.LBB122_263:
	s_or_b32 exec_lo, exec_lo, s4
	s_waitcnt lgkmcnt(0)
	s_waitcnt_vscnt null, 0x0
	s_barrier
	buffer_gl0_inv
	s_clause 0x11
	buffer_load_dword v129, off, s[0:3], 0 offset:408
	buffer_load_dword v130, off, s[0:3], 0 offset:412
	;; [unrolled: 1-line block ×18, first 2 shown]
	ds_read2_b64 v[121:124], v120 offset0:111 offset1:112
	ds_read2_b64 v[125:128], v120 offset0:113 offset1:114
	s_mov_b32 s4, exec_lo
	s_waitcnt vmcnt(16) lgkmcnt(1)
	v_fma_f64 v[121:122], v[129:130], v[121:122], 0
	s_waitcnt vmcnt(14)
	v_fma_f64 v[121:122], v[131:132], v[123:124], v[121:122]
	s_waitcnt vmcnt(12) lgkmcnt(0)
	v_fma_f64 v[121:122], v[133:134], v[125:126], v[121:122]
	s_waitcnt vmcnt(10)
	v_fma_f64 v[129:130], v[135:136], v[127:128], v[121:122]
	ds_read2_b64 v[121:124], v120 offset0:115 offset1:116
	ds_read2_b64 v[125:128], v120 offset0:117 offset1:118
	s_waitcnt vmcnt(8) lgkmcnt(1)
	v_fma_f64 v[120:121], v[137:138], v[121:122], v[129:130]
	s_waitcnt vmcnt(6)
	v_fma_f64 v[120:121], v[139:140], v[123:124], v[120:121]
	s_waitcnt vmcnt(4) lgkmcnt(0)
	v_fma_f64 v[120:121], v[141:142], v[125:126], v[120:121]
	s_waitcnt vmcnt(2)
	v_fma_f64 v[120:121], v[143:144], v[127:128], v[120:121]
	s_waitcnt vmcnt(0)
	v_add_f64 v[120:121], v[145:146], -v[120:121]
	buffer_store_dword v120, off, s[0:3], 0 offset:400
	buffer_store_dword v121, off, s[0:3], 0 offset:404
	v_cmpx_lt_u32_e32 49, v0
	s_cbranch_execz .LBB122_265
; %bb.264:
	s_clause 0x1
	buffer_load_dword v120, off, s[0:3], 0 offset:392
	buffer_load_dword v121, off, s[0:3], 0 offset:396
	v_mov_b32_e32 v122, 0
	buffer_store_dword v122, off, s[0:3], 0 offset:392
	buffer_store_dword v122, off, s[0:3], 0 offset:396
	s_waitcnt vmcnt(0)
	ds_write_b64 v119, v[120:121]
.LBB122_265:
	s_or_b32 exec_lo, exec_lo, s4
	s_waitcnt lgkmcnt(0)
	s_waitcnt_vscnt null, 0x0
	s_barrier
	buffer_gl0_inv
	s_clause 0x13
	buffer_load_dword v129, off, s[0:3], 0 offset:400
	buffer_load_dword v130, off, s[0:3], 0 offset:404
	;; [unrolled: 1-line block ×20, first 2 shown]
	v_mov_b32_e32 v120, 0
	ds_read_b128 v[121:124], v120 offset:880
	ds_read_b128 v[125:128], v120 offset:896
	s_mov_b32 s4, exec_lo
	s_waitcnt vmcnt(18) lgkmcnt(1)
	v_fma_f64 v[121:122], v[129:130], v[121:122], 0
	s_waitcnt vmcnt(16)
	v_fma_f64 v[121:122], v[131:132], v[123:124], v[121:122]
	s_waitcnt vmcnt(14) lgkmcnt(0)
	v_fma_f64 v[121:122], v[133:134], v[125:126], v[121:122]
	s_waitcnt vmcnt(12)
	v_fma_f64 v[129:130], v[135:136], v[127:128], v[121:122]
	ds_read_b128 v[121:124], v120 offset:912
	ds_read_b128 v[125:128], v120 offset:928
	s_waitcnt vmcnt(10) lgkmcnt(1)
	v_fma_f64 v[121:122], v[137:138], v[121:122], v[129:130]
	s_waitcnt vmcnt(8)
	v_fma_f64 v[121:122], v[139:140], v[123:124], v[121:122]
	ds_read_b64 v[123:124], v120 offset:944
	s_waitcnt vmcnt(6) lgkmcnt(1)
	v_fma_f64 v[121:122], v[141:142], v[125:126], v[121:122]
	s_waitcnt vmcnt(3)
	v_fma_f64 v[121:122], v[143:144], v[127:128], v[121:122]
	s_waitcnt vmcnt(2) lgkmcnt(0)
	v_fma_f64 v[121:122], v[145:146], v[123:124], v[121:122]
	s_waitcnt vmcnt(0)
	v_add_f64 v[121:122], v[147:148], -v[121:122]
	buffer_store_dword v121, off, s[0:3], 0 offset:392
	buffer_store_dword v122, off, s[0:3], 0 offset:396
	v_cmpx_lt_u32_e32 48, v0
	s_cbranch_execz .LBB122_267
; %bb.266:
	s_clause 0x1
	buffer_load_dword v121, off, s[0:3], 0 offset:384
	buffer_load_dword v122, off, s[0:3], 0 offset:388
	buffer_store_dword v120, off, s[0:3], 0 offset:384
	buffer_store_dword v120, off, s[0:3], 0 offset:388
	s_waitcnt vmcnt(0)
	ds_write_b64 v119, v[121:122]
.LBB122_267:
	s_or_b32 exec_lo, exec_lo, s4
	s_waitcnt lgkmcnt(0)
	s_waitcnt_vscnt null, 0x0
	s_barrier
	buffer_gl0_inv
	s_clause 0x15
	buffer_load_dword v129, off, s[0:3], 0 offset:392
	buffer_load_dword v130, off, s[0:3], 0 offset:396
	;; [unrolled: 1-line block ×22, first 2 shown]
	ds_read2_b64 v[121:124], v120 offset0:109 offset1:110
	ds_read2_b64 v[125:128], v120 offset0:111 offset1:112
	s_mov_b32 s4, exec_lo
	s_waitcnt vmcnt(20) lgkmcnt(1)
	v_fma_f64 v[121:122], v[129:130], v[121:122], 0
	s_waitcnt vmcnt(18)
	v_fma_f64 v[121:122], v[131:132], v[123:124], v[121:122]
	s_waitcnt vmcnt(16) lgkmcnt(0)
	v_fma_f64 v[121:122], v[133:134], v[125:126], v[121:122]
	s_waitcnt vmcnt(14)
	v_fma_f64 v[129:130], v[135:136], v[127:128], v[121:122]
	ds_read2_b64 v[121:124], v120 offset0:113 offset1:114
	ds_read2_b64 v[125:128], v120 offset0:115 offset1:116
	s_waitcnt vmcnt(12) lgkmcnt(1)
	v_fma_f64 v[121:122], v[137:138], v[121:122], v[129:130]
	s_waitcnt vmcnt(10)
	v_fma_f64 v[121:122], v[139:140], v[123:124], v[121:122]
	s_waitcnt vmcnt(8) lgkmcnt(0)
	v_fma_f64 v[121:122], v[141:142], v[125:126], v[121:122]
	s_waitcnt vmcnt(4)
	v_fma_f64 v[124:125], v[143:144], v[127:128], v[121:122]
	ds_read2_b64 v[120:123], v120 offset0:117 offset1:118
	s_waitcnt vmcnt(3) lgkmcnt(0)
	v_fma_f64 v[120:121], v[147:148], v[120:121], v[124:125]
	s_waitcnt vmcnt(2)
	v_fma_f64 v[120:121], v[145:146], v[122:123], v[120:121]
	s_waitcnt vmcnt(0)
	v_add_f64 v[120:121], v[149:150], -v[120:121]
	buffer_store_dword v120, off, s[0:3], 0 offset:384
	buffer_store_dword v121, off, s[0:3], 0 offset:388
	v_cmpx_lt_u32_e32 47, v0
	s_cbranch_execz .LBB122_269
; %bb.268:
	s_clause 0x1
	buffer_load_dword v120, off, s[0:3], 0 offset:376
	buffer_load_dword v121, off, s[0:3], 0 offset:380
	v_mov_b32_e32 v122, 0
	buffer_store_dword v122, off, s[0:3], 0 offset:376
	buffer_store_dword v122, off, s[0:3], 0 offset:380
	s_waitcnt vmcnt(0)
	ds_write_b64 v119, v[120:121]
.LBB122_269:
	s_or_b32 exec_lo, exec_lo, s4
	s_waitcnt lgkmcnt(0)
	s_waitcnt_vscnt null, 0x0
	s_barrier
	buffer_gl0_inv
	s_clause 0x17
	buffer_load_dword v129, off, s[0:3], 0 offset:384
	buffer_load_dword v130, off, s[0:3], 0 offset:388
	;; [unrolled: 1-line block ×24, first 2 shown]
	v_mov_b32_e32 v120, 0
	ds_read_b128 v[121:124], v120 offset:864
	ds_read_b128 v[125:128], v120 offset:880
	s_mov_b32 s4, exec_lo
	s_waitcnt vmcnt(22) lgkmcnt(1)
	v_fma_f64 v[121:122], v[129:130], v[121:122], 0
	s_waitcnt vmcnt(20)
	v_fma_f64 v[121:122], v[131:132], v[123:124], v[121:122]
	s_waitcnt vmcnt(18) lgkmcnt(0)
	v_fma_f64 v[121:122], v[133:134], v[125:126], v[121:122]
	s_waitcnt vmcnt(16)
	v_fma_f64 v[129:130], v[135:136], v[127:128], v[121:122]
	ds_read_b128 v[121:124], v120 offset:896
	ds_read_b128 v[125:128], v120 offset:912
	s_waitcnt vmcnt(14) lgkmcnt(1)
	v_fma_f64 v[121:122], v[137:138], v[121:122], v[129:130]
	s_waitcnt vmcnt(12)
	v_fma_f64 v[121:122], v[139:140], v[123:124], v[121:122]
	s_waitcnt vmcnt(10) lgkmcnt(0)
	v_fma_f64 v[121:122], v[141:142], v[125:126], v[121:122]
	s_waitcnt vmcnt(5)
	v_fma_f64 v[125:126], v[143:144], v[127:128], v[121:122]
	ds_read_b128 v[121:124], v120 offset:928
	ds_read_b64 v[127:128], v120 offset:944
	s_waitcnt vmcnt(4) lgkmcnt(1)
	v_fma_f64 v[121:122], v[149:150], v[121:122], v[125:126]
	s_waitcnt vmcnt(3)
	v_fma_f64 v[121:122], v[147:148], v[123:124], v[121:122]
	s_waitcnt vmcnt(2) lgkmcnt(0)
	v_fma_f64 v[121:122], v[145:146], v[127:128], v[121:122]
	s_waitcnt vmcnt(0)
	v_add_f64 v[121:122], v[151:152], -v[121:122]
	buffer_store_dword v122, off, s[0:3], 0 offset:380
	buffer_store_dword v121, off, s[0:3], 0 offset:376
	v_cmpx_lt_u32_e32 46, v0
	s_cbranch_execz .LBB122_271
; %bb.270:
	s_clause 0x1
	buffer_load_dword v121, off, s[0:3], 0 offset:368
	buffer_load_dword v122, off, s[0:3], 0 offset:372
	buffer_store_dword v120, off, s[0:3], 0 offset:368
	buffer_store_dword v120, off, s[0:3], 0 offset:372
	s_waitcnt vmcnt(0)
	ds_write_b64 v119, v[121:122]
.LBB122_271:
	s_or_b32 exec_lo, exec_lo, s4
	s_waitcnt lgkmcnt(0)
	s_waitcnt_vscnt null, 0x0
	s_barrier
	buffer_gl0_inv
	s_clause 0x19
	buffer_load_dword v129, off, s[0:3], 0 offset:376
	buffer_load_dword v130, off, s[0:3], 0 offset:380
	;; [unrolled: 1-line block ×26, first 2 shown]
	ds_read2_b64 v[121:124], v120 offset0:107 offset1:108
	ds_read2_b64 v[125:128], v120 offset0:109 offset1:110
	s_mov_b32 s4, exec_lo
	s_waitcnt vmcnt(24) lgkmcnt(1)
	v_fma_f64 v[121:122], v[129:130], v[121:122], 0
	s_waitcnt vmcnt(22)
	v_fma_f64 v[121:122], v[131:132], v[123:124], v[121:122]
	s_waitcnt vmcnt(20) lgkmcnt(0)
	v_fma_f64 v[121:122], v[133:134], v[125:126], v[121:122]
	s_waitcnt vmcnt(18)
	v_fma_f64 v[129:130], v[135:136], v[127:128], v[121:122]
	ds_read2_b64 v[121:124], v120 offset0:111 offset1:112
	ds_read2_b64 v[125:128], v120 offset0:113 offset1:114
	s_waitcnt vmcnt(16) lgkmcnt(1)
	v_fma_f64 v[121:122], v[137:138], v[121:122], v[129:130]
	s_waitcnt vmcnt(14)
	v_fma_f64 v[121:122], v[139:140], v[123:124], v[121:122]
	s_waitcnt vmcnt(12) lgkmcnt(0)
	v_fma_f64 v[121:122], v[141:142], v[125:126], v[121:122]
	s_waitcnt vmcnt(7)
	v_fma_f64 v[129:130], v[143:144], v[127:128], v[121:122]
	ds_read2_b64 v[121:124], v120 offset0:115 offset1:116
	ds_read2_b64 v[125:128], v120 offset0:117 offset1:118
	s_waitcnt vmcnt(6) lgkmcnt(1)
	v_fma_f64 v[120:121], v[149:150], v[121:122], v[129:130]
	s_waitcnt vmcnt(5)
	v_fma_f64 v[120:121], v[147:148], v[123:124], v[120:121]
	s_waitcnt vmcnt(4) lgkmcnt(0)
	v_fma_f64 v[120:121], v[145:146], v[125:126], v[120:121]
	s_waitcnt vmcnt(2)
	v_fma_f64 v[120:121], v[151:152], v[127:128], v[120:121]
	s_waitcnt vmcnt(0)
	v_add_f64 v[120:121], v[153:154], -v[120:121]
	buffer_store_dword v121, off, s[0:3], 0 offset:372
	buffer_store_dword v120, off, s[0:3], 0 offset:368
	v_cmpx_lt_u32_e32 45, v0
	s_cbranch_execz .LBB122_273
; %bb.272:
	s_clause 0x1
	buffer_load_dword v120, off, s[0:3], 0 offset:360
	buffer_load_dword v121, off, s[0:3], 0 offset:364
	v_mov_b32_e32 v122, 0
	buffer_store_dword v122, off, s[0:3], 0 offset:360
	buffer_store_dword v122, off, s[0:3], 0 offset:364
	s_waitcnt vmcnt(0)
	ds_write_b64 v119, v[120:121]
.LBB122_273:
	s_or_b32 exec_lo, exec_lo, s4
	s_waitcnt lgkmcnt(0)
	s_waitcnt_vscnt null, 0x0
	s_barrier
	buffer_gl0_inv
	s_clause 0x1b
	buffer_load_dword v129, off, s[0:3], 0 offset:368
	buffer_load_dword v130, off, s[0:3], 0 offset:372
	;; [unrolled: 1-line block ×28, first 2 shown]
	v_mov_b32_e32 v120, 0
	ds_read_b128 v[121:124], v120 offset:848
	ds_read_b128 v[125:128], v120 offset:864
	s_mov_b32 s4, exec_lo
	s_waitcnt vmcnt(26) lgkmcnt(1)
	v_fma_f64 v[121:122], v[129:130], v[121:122], 0
	s_waitcnt vmcnt(24)
	v_fma_f64 v[121:122], v[131:132], v[123:124], v[121:122]
	s_waitcnt vmcnt(22) lgkmcnt(0)
	v_fma_f64 v[121:122], v[133:134], v[125:126], v[121:122]
	s_waitcnt vmcnt(20)
	v_fma_f64 v[129:130], v[135:136], v[127:128], v[121:122]
	ds_read_b128 v[121:124], v120 offset:880
	ds_read_b128 v[125:128], v120 offset:896
	s_waitcnt vmcnt(18) lgkmcnt(1)
	v_fma_f64 v[121:122], v[137:138], v[121:122], v[129:130]
	s_waitcnt vmcnt(16)
	v_fma_f64 v[121:122], v[139:140], v[123:124], v[121:122]
	s_waitcnt vmcnt(14) lgkmcnt(0)
	v_fma_f64 v[121:122], v[141:142], v[125:126], v[121:122]
	s_waitcnt vmcnt(9)
	v_fma_f64 v[129:130], v[143:144], v[127:128], v[121:122]
	ds_read_b128 v[121:124], v120 offset:912
	ds_read_b128 v[125:128], v120 offset:928
	s_waitcnt vmcnt(8) lgkmcnt(1)
	v_fma_f64 v[121:122], v[149:150], v[121:122], v[129:130]
	s_waitcnt vmcnt(7)
	v_fma_f64 v[121:122], v[147:148], v[123:124], v[121:122]
	ds_read_b64 v[123:124], v120 offset:944
	s_waitcnt vmcnt(6) lgkmcnt(1)
	v_fma_f64 v[121:122], v[145:146], v[125:126], v[121:122]
	s_waitcnt vmcnt(3)
	v_fma_f64 v[121:122], v[151:152], v[127:128], v[121:122]
	s_waitcnt vmcnt(2) lgkmcnt(0)
	v_fma_f64 v[121:122], v[153:154], v[123:124], v[121:122]
	s_waitcnt vmcnt(0)
	v_add_f64 v[121:122], v[155:156], -v[121:122]
	buffer_store_dword v122, off, s[0:3], 0 offset:364
	buffer_store_dword v121, off, s[0:3], 0 offset:360
	v_cmpx_lt_u32_e32 44, v0
	s_cbranch_execz .LBB122_275
; %bb.274:
	s_clause 0x1
	buffer_load_dword v121, off, s[0:3], 0 offset:352
	buffer_load_dword v122, off, s[0:3], 0 offset:356
	buffer_store_dword v120, off, s[0:3], 0 offset:352
	buffer_store_dword v120, off, s[0:3], 0 offset:356
	s_waitcnt vmcnt(0)
	ds_write_b64 v119, v[121:122]
.LBB122_275:
	s_or_b32 exec_lo, exec_lo, s4
	s_waitcnt lgkmcnt(0)
	s_waitcnt_vscnt null, 0x0
	s_barrier
	buffer_gl0_inv
	s_clause 0x1b
	buffer_load_dword v125, off, s[0:3], 0 offset:360
	buffer_load_dword v126, off, s[0:3], 0 offset:364
	;; [unrolled: 1-line block ×28, first 2 shown]
	ds_read2_b64 v[121:124], v120 offset0:105 offset1:106
	s_clause 0x1
	buffer_load_dword v153, off, s[0:3], 0 offset:352
	buffer_load_dword v154, off, s[0:3], 0 offset:356
	s_mov_b32 s4, exec_lo
	s_waitcnt vmcnt(28) lgkmcnt(0)
	v_fma_f64 v[121:122], v[125:126], v[121:122], 0
	s_waitcnt vmcnt(26)
	v_fma_f64 v[125:126], v[127:128], v[123:124], v[121:122]
	ds_read2_b64 v[121:124], v120 offset0:107 offset1:108
	s_waitcnt vmcnt(24) lgkmcnt(0)
	v_fma_f64 v[121:122], v[129:130], v[121:122], v[125:126]
	s_waitcnt vmcnt(22)
	v_fma_f64 v[125:126], v[131:132], v[123:124], v[121:122]
	ds_read2_b64 v[121:124], v120 offset0:109 offset1:110
	;; [unrolled: 5-line block ×6, first 2 shown]
	s_waitcnt vmcnt(4) lgkmcnt(0)
	v_fma_f64 v[120:121], v[149:150], v[120:121], v[124:125]
	s_waitcnt vmcnt(2)
	v_fma_f64 v[120:121], v[151:152], v[122:123], v[120:121]
	s_waitcnt vmcnt(0)
	v_add_f64 v[120:121], v[153:154], -v[120:121]
	buffer_store_dword v121, off, s[0:3], 0 offset:356
	buffer_store_dword v120, off, s[0:3], 0 offset:352
	v_cmpx_lt_u32_e32 43, v0
	s_cbranch_execz .LBB122_277
; %bb.276:
	s_clause 0x1
	buffer_load_dword v120, off, s[0:3], 0 offset:344
	buffer_load_dword v121, off, s[0:3], 0 offset:348
	v_mov_b32_e32 v122, 0
	buffer_store_dword v122, off, s[0:3], 0 offset:344
	buffer_store_dword v122, off, s[0:3], 0 offset:348
	s_waitcnt vmcnt(0)
	ds_write_b64 v119, v[120:121]
.LBB122_277:
	s_or_b32 exec_lo, exec_lo, s4
	s_waitcnt lgkmcnt(0)
	s_waitcnt_vscnt null, 0x0
	s_barrier
	buffer_gl0_inv
	s_clause 0x1b
	buffer_load_dword v125, off, s[0:3], 0 offset:352
	buffer_load_dword v126, off, s[0:3], 0 offset:356
	;; [unrolled: 1-line block ×28, first 2 shown]
	v_mov_b32_e32 v120, 0
	s_mov_b32 s4, exec_lo
	ds_read_b128 v[121:124], v120 offset:832
	s_clause 0x1
	buffer_load_dword v153, off, s[0:3], 0 offset:464
	buffer_load_dword v154, off, s[0:3], 0 offset:468
	s_waitcnt vmcnt(28) lgkmcnt(0)
	v_fma_f64 v[121:122], v[125:126], v[121:122], 0
	s_clause 0x1
	buffer_load_dword v125, off, s[0:3], 0 offset:344
	buffer_load_dword v126, off, s[0:3], 0 offset:348
	s_waitcnt vmcnt(28)
	v_fma_f64 v[127:128], v[127:128], v[123:124], v[121:122]
	ds_read_b128 v[121:124], v120 offset:848
	s_waitcnt vmcnt(26) lgkmcnt(0)
	v_fma_f64 v[121:122], v[129:130], v[121:122], v[127:128]
	s_waitcnt vmcnt(24)
	v_fma_f64 v[127:128], v[131:132], v[123:124], v[121:122]
	ds_read_b128 v[121:124], v120 offset:864
	s_waitcnt vmcnt(22) lgkmcnt(0)
	v_fma_f64 v[121:122], v[133:134], v[121:122], v[127:128]
	;; [unrolled: 5-line block ×6, first 2 shown]
	s_waitcnt vmcnt(4)
	v_fma_f64 v[121:122], v[151:152], v[123:124], v[121:122]
	ds_read_b64 v[123:124], v120 offset:944
	s_waitcnt vmcnt(2) lgkmcnt(0)
	v_fma_f64 v[121:122], v[153:154], v[123:124], v[121:122]
	s_waitcnt vmcnt(0)
	v_add_f64 v[121:122], v[125:126], -v[121:122]
	buffer_store_dword v122, off, s[0:3], 0 offset:348
	buffer_store_dword v121, off, s[0:3], 0 offset:344
	v_cmpx_lt_u32_e32 42, v0
	s_cbranch_execz .LBB122_279
; %bb.278:
	s_clause 0x1
	buffer_load_dword v121, off, s[0:3], 0 offset:336
	buffer_load_dword v122, off, s[0:3], 0 offset:340
	buffer_store_dword v120, off, s[0:3], 0 offset:336
	buffer_store_dword v120, off, s[0:3], 0 offset:340
	s_waitcnt vmcnt(0)
	ds_write_b64 v119, v[121:122]
.LBB122_279:
	s_or_b32 exec_lo, exec_lo, s4
	s_waitcnt lgkmcnt(0)
	s_waitcnt_vscnt null, 0x0
	s_barrier
	buffer_gl0_inv
	s_clause 0x1b
	buffer_load_dword v125, off, s[0:3], 0 offset:344
	buffer_load_dword v126, off, s[0:3], 0 offset:348
	;; [unrolled: 1-line block ×28, first 2 shown]
	ds_read2_b64 v[121:124], v120 offset0:103 offset1:104
	s_clause 0x1
	buffer_load_dword v153, off, s[0:3], 0 offset:456
	buffer_load_dword v154, off, s[0:3], 0 offset:460
	s_mov_b32 s4, exec_lo
	s_waitcnt vmcnt(28) lgkmcnt(0)
	v_fma_f64 v[121:122], v[125:126], v[121:122], 0
	s_clause 0x1
	buffer_load_dword v126, off, s[0:3], 0 offset:468
	buffer_load_dword v125, off, s[0:3], 0 offset:464
	s_waitcnt vmcnt(28)
	v_fma_f64 v[127:128], v[127:128], v[123:124], v[121:122]
	ds_read2_b64 v[121:124], v120 offset0:105 offset1:106
	s_clause 0x1
	buffer_load_dword v155, off, s[0:3], 0 offset:336
	buffer_load_dword v156, off, s[0:3], 0 offset:340
	s_waitcnt vmcnt(28) lgkmcnt(0)
	v_fma_f64 v[121:122], v[129:130], v[121:122], v[127:128]
	s_waitcnt vmcnt(26)
	v_fma_f64 v[127:128], v[131:132], v[123:124], v[121:122]
	ds_read2_b64 v[121:124], v120 offset0:107 offset1:108
	s_waitcnt vmcnt(24) lgkmcnt(0)
	v_fma_f64 v[121:122], v[133:134], v[121:122], v[127:128]
	s_waitcnt vmcnt(22)
	v_fma_f64 v[127:128], v[135:136], v[123:124], v[121:122]
	ds_read2_b64 v[121:124], v120 offset0:109 offset1:110
	;; [unrolled: 5-line block ×6, first 2 shown]
	s_waitcnt vmcnt(4) lgkmcnt(0)
	v_fma_f64 v[120:121], v[153:154], v[120:121], v[127:128]
	s_waitcnt vmcnt(2)
	v_fma_f64 v[120:121], v[125:126], v[122:123], v[120:121]
	s_waitcnt vmcnt(0)
	v_add_f64 v[120:121], v[155:156], -v[120:121]
	buffer_store_dword v121, off, s[0:3], 0 offset:340
	buffer_store_dword v120, off, s[0:3], 0 offset:336
	v_cmpx_lt_u32_e32 41, v0
	s_cbranch_execz .LBB122_281
; %bb.280:
	s_clause 0x1
	buffer_load_dword v120, off, s[0:3], 0 offset:328
	buffer_load_dword v121, off, s[0:3], 0 offset:332
	v_mov_b32_e32 v122, 0
	buffer_store_dword v122, off, s[0:3], 0 offset:328
	buffer_store_dword v122, off, s[0:3], 0 offset:332
	s_waitcnt vmcnt(0)
	ds_write_b64 v119, v[120:121]
.LBB122_281:
	s_or_b32 exec_lo, exec_lo, s4
	s_waitcnt lgkmcnt(0)
	s_waitcnt_vscnt null, 0x0
	s_barrier
	buffer_gl0_inv
	s_clause 0x1b
	buffer_load_dword v125, off, s[0:3], 0 offset:336
	buffer_load_dword v126, off, s[0:3], 0 offset:340
	;; [unrolled: 1-line block ×28, first 2 shown]
	v_mov_b32_e32 v120, 0
	s_mov_b32 s4, exec_lo
	ds_read_b128 v[121:124], v120 offset:816
	s_clause 0x1
	buffer_load_dword v153, off, s[0:3], 0 offset:448
	buffer_load_dword v154, off, s[0:3], 0 offset:452
	s_waitcnt vmcnt(28) lgkmcnt(0)
	v_fma_f64 v[121:122], v[125:126], v[121:122], 0
	s_clause 0x1
	buffer_load_dword v126, off, s[0:3], 0 offset:460
	buffer_load_dword v125, off, s[0:3], 0 offset:456
	s_waitcnt vmcnt(28)
	v_fma_f64 v[127:128], v[127:128], v[123:124], v[121:122]
	ds_read_b128 v[121:124], v120 offset:832
	s_clause 0x1
	buffer_load_dword v155, off, s[0:3], 0 offset:464
	buffer_load_dword v156, off, s[0:3], 0 offset:468
	s_waitcnt vmcnt(28) lgkmcnt(0)
	v_fma_f64 v[121:122], v[129:130], v[121:122], v[127:128]
	s_clause 0x1
	buffer_load_dword v127, off, s[0:3], 0 offset:328
	buffer_load_dword v128, off, s[0:3], 0 offset:332
	s_waitcnt vmcnt(28)
	v_fma_f64 v[129:130], v[131:132], v[123:124], v[121:122]
	ds_read_b128 v[121:124], v120 offset:848
	s_waitcnt vmcnt(26) lgkmcnt(0)
	v_fma_f64 v[121:122], v[133:134], v[121:122], v[129:130]
	s_waitcnt vmcnt(24)
	v_fma_f64 v[129:130], v[135:136], v[123:124], v[121:122]
	ds_read_b128 v[121:124], v120 offset:864
	s_waitcnt vmcnt(22) lgkmcnt(0)
	v_fma_f64 v[121:122], v[137:138], v[121:122], v[129:130]
	;; [unrolled: 5-line block ×6, first 2 shown]
	s_waitcnt vmcnt(4)
	v_fma_f64 v[121:122], v[125:126], v[123:124], v[121:122]
	ds_read_b64 v[123:124], v120 offset:944
	s_waitcnt vmcnt(2) lgkmcnt(0)
	v_fma_f64 v[121:122], v[155:156], v[123:124], v[121:122]
	s_waitcnt vmcnt(0)
	v_add_f64 v[121:122], v[127:128], -v[121:122]
	buffer_store_dword v122, off, s[0:3], 0 offset:332
	buffer_store_dword v121, off, s[0:3], 0 offset:328
	v_cmpx_lt_u32_e32 40, v0
	s_cbranch_execz .LBB122_283
; %bb.282:
	s_clause 0x1
	buffer_load_dword v121, off, s[0:3], 0 offset:320
	buffer_load_dword v122, off, s[0:3], 0 offset:324
	buffer_store_dword v120, off, s[0:3], 0 offset:320
	buffer_store_dword v120, off, s[0:3], 0 offset:324
	s_waitcnt vmcnt(0)
	ds_write_b64 v119, v[121:122]
.LBB122_283:
	s_or_b32 exec_lo, exec_lo, s4
	s_waitcnt lgkmcnt(0)
	s_waitcnt_vscnt null, 0x0
	s_barrier
	buffer_gl0_inv
	s_clause 0x1b
	buffer_load_dword v125, off, s[0:3], 0 offset:328
	buffer_load_dword v126, off, s[0:3], 0 offset:332
	;; [unrolled: 1-line block ×28, first 2 shown]
	ds_read2_b64 v[121:124], v120 offset0:101 offset1:102
	s_clause 0x1
	buffer_load_dword v153, off, s[0:3], 0 offset:440
	buffer_load_dword v154, off, s[0:3], 0 offset:444
	s_mov_b32 s4, exec_lo
	s_waitcnt vmcnt(28) lgkmcnt(0)
	v_fma_f64 v[121:122], v[125:126], v[121:122], 0
	s_clause 0x1
	buffer_load_dword v126, off, s[0:3], 0 offset:452
	buffer_load_dword v125, off, s[0:3], 0 offset:448
	s_waitcnt vmcnt(28)
	v_fma_f64 v[127:128], v[127:128], v[123:124], v[121:122]
	ds_read2_b64 v[121:124], v120 offset0:103 offset1:104
	s_clause 0x1
	buffer_load_dword v155, off, s[0:3], 0 offset:456
	buffer_load_dword v156, off, s[0:3], 0 offset:460
	s_waitcnt vmcnt(28) lgkmcnt(0)
	v_fma_f64 v[121:122], v[129:130], v[121:122], v[127:128]
	s_clause 0x1
	buffer_load_dword v127, off, s[0:3], 0 offset:464
	buffer_load_dword v128, off, s[0:3], 0 offset:468
	s_waitcnt vmcnt(28)
	v_fma_f64 v[129:130], v[131:132], v[123:124], v[121:122]
	ds_read2_b64 v[121:124], v120 offset0:105 offset1:106
	s_clause 0x1
	buffer_load_dword v131, off, s[0:3], 0 offset:320
	buffer_load_dword v132, off, s[0:3], 0 offset:324
	s_waitcnt vmcnt(28) lgkmcnt(0)
	v_fma_f64 v[121:122], v[133:134], v[121:122], v[129:130]
	s_waitcnt vmcnt(26)
	v_fma_f64 v[129:130], v[135:136], v[123:124], v[121:122]
	ds_read2_b64 v[121:124], v120 offset0:107 offset1:108
	s_waitcnt vmcnt(24) lgkmcnt(0)
	v_fma_f64 v[121:122], v[137:138], v[121:122], v[129:130]
	s_waitcnt vmcnt(22)
	v_fma_f64 v[129:130], v[139:140], v[123:124], v[121:122]
	ds_read2_b64 v[121:124], v120 offset0:109 offset1:110
	;; [unrolled: 5-line block ×6, first 2 shown]
	s_waitcnt vmcnt(4) lgkmcnt(0)
	v_fma_f64 v[120:121], v[155:156], v[120:121], v[124:125]
	s_waitcnt vmcnt(2)
	v_fma_f64 v[120:121], v[127:128], v[122:123], v[120:121]
	s_waitcnt vmcnt(0)
	v_add_f64 v[120:121], v[131:132], -v[120:121]
	buffer_store_dword v121, off, s[0:3], 0 offset:324
	buffer_store_dword v120, off, s[0:3], 0 offset:320
	v_cmpx_lt_u32_e32 39, v0
	s_cbranch_execz .LBB122_285
; %bb.284:
	s_clause 0x1
	buffer_load_dword v120, off, s[0:3], 0 offset:312
	buffer_load_dword v121, off, s[0:3], 0 offset:316
	v_mov_b32_e32 v122, 0
	buffer_store_dword v122, off, s[0:3], 0 offset:312
	buffer_store_dword v122, off, s[0:3], 0 offset:316
	s_waitcnt vmcnt(0)
	ds_write_b64 v119, v[120:121]
.LBB122_285:
	s_or_b32 exec_lo, exec_lo, s4
	s_waitcnt lgkmcnt(0)
	s_waitcnt_vscnt null, 0x0
	s_barrier
	buffer_gl0_inv
	s_clause 0x1b
	buffer_load_dword v125, off, s[0:3], 0 offset:320
	buffer_load_dword v126, off, s[0:3], 0 offset:324
	;; [unrolled: 1-line block ×28, first 2 shown]
	v_mov_b32_e32 v120, 0
	s_mov_b32 s4, exec_lo
	ds_read_b128 v[121:124], v120 offset:800
	s_clause 0x1
	buffer_load_dword v153, off, s[0:3], 0 offset:432
	buffer_load_dword v154, off, s[0:3], 0 offset:436
	s_waitcnt vmcnt(28) lgkmcnt(0)
	v_fma_f64 v[121:122], v[125:126], v[121:122], 0
	s_clause 0x1
	buffer_load_dword v126, off, s[0:3], 0 offset:444
	buffer_load_dword v125, off, s[0:3], 0 offset:440
	s_waitcnt vmcnt(28)
	v_fma_f64 v[127:128], v[127:128], v[123:124], v[121:122]
	ds_read_b128 v[121:124], v120 offset:816
	s_clause 0x1
	buffer_load_dword v155, off, s[0:3], 0 offset:448
	buffer_load_dword v156, off, s[0:3], 0 offset:452
	s_waitcnt vmcnt(28) lgkmcnt(0)
	v_fma_f64 v[121:122], v[129:130], v[121:122], v[127:128]
	s_clause 0x1
	buffer_load_dword v127, off, s[0:3], 0 offset:456
	buffer_load_dword v128, off, s[0:3], 0 offset:460
	s_waitcnt vmcnt(28)
	v_fma_f64 v[129:130], v[131:132], v[123:124], v[121:122]
	;; [unrolled: 11-line block ×3, first 2 shown]
	ds_read_b128 v[121:124], v120 offset:848
	s_waitcnt vmcnt(26) lgkmcnt(0)
	v_fma_f64 v[121:122], v[137:138], v[121:122], v[133:134]
	s_waitcnt vmcnt(24)
	v_fma_f64 v[133:134], v[139:140], v[123:124], v[121:122]
	ds_read_b128 v[121:124], v120 offset:864
	s_waitcnt vmcnt(22) lgkmcnt(0)
	v_fma_f64 v[121:122], v[141:142], v[121:122], v[133:134]
	s_waitcnt vmcnt(20)
	v_fma_f64 v[133:134], v[143:144], v[123:124], v[121:122]
	ds_read_b128 v[121:124], v120 offset:880
	s_waitcnt vmcnt(18) lgkmcnt(0)
	v_fma_f64 v[121:122], v[145:146], v[121:122], v[133:134]
	s_waitcnt vmcnt(16)
	v_fma_f64 v[133:134], v[147:148], v[123:124], v[121:122]
	ds_read_b128 v[121:124], v120 offset:896
	s_waitcnt vmcnt(14) lgkmcnt(0)
	v_fma_f64 v[121:122], v[149:150], v[121:122], v[133:134]
	s_waitcnt vmcnt(12)
	v_fma_f64 v[133:134], v[151:152], v[123:124], v[121:122]
	ds_read_b128 v[121:124], v120 offset:912
	s_waitcnt vmcnt(10) lgkmcnt(0)
	v_fma_f64 v[121:122], v[153:154], v[121:122], v[133:134]
	s_waitcnt vmcnt(8)
	v_fma_f64 v[125:126], v[125:126], v[123:124], v[121:122]
	ds_read_b128 v[121:124], v120 offset:928
	s_waitcnt vmcnt(6) lgkmcnt(0)
	v_fma_f64 v[121:122], v[155:156], v[121:122], v[125:126]
	s_waitcnt vmcnt(4)
	v_fma_f64 v[121:122], v[127:128], v[123:124], v[121:122]
	ds_read_b64 v[123:124], v120 offset:944
	s_waitcnt vmcnt(2) lgkmcnt(0)
	v_fma_f64 v[121:122], v[131:132], v[123:124], v[121:122]
	s_waitcnt vmcnt(0)
	v_add_f64 v[121:122], v[129:130], -v[121:122]
	buffer_store_dword v122, off, s[0:3], 0 offset:316
	buffer_store_dword v121, off, s[0:3], 0 offset:312
	v_cmpx_lt_u32_e32 38, v0
	s_cbranch_execz .LBB122_287
; %bb.286:
	s_clause 0x1
	buffer_load_dword v121, off, s[0:3], 0 offset:304
	buffer_load_dword v122, off, s[0:3], 0 offset:308
	buffer_store_dword v120, off, s[0:3], 0 offset:304
	buffer_store_dword v120, off, s[0:3], 0 offset:308
	s_waitcnt vmcnt(0)
	ds_write_b64 v119, v[121:122]
.LBB122_287:
	s_or_b32 exec_lo, exec_lo, s4
	s_waitcnt lgkmcnt(0)
	s_waitcnt_vscnt null, 0x0
	s_barrier
	buffer_gl0_inv
	s_clause 0x1b
	buffer_load_dword v125, off, s[0:3], 0 offset:312
	buffer_load_dword v126, off, s[0:3], 0 offset:316
	;; [unrolled: 1-line block ×28, first 2 shown]
	ds_read2_b64 v[121:124], v120 offset0:99 offset1:100
	s_clause 0x1
	buffer_load_dword v153, off, s[0:3], 0 offset:424
	buffer_load_dword v154, off, s[0:3], 0 offset:428
	s_mov_b32 s4, exec_lo
	s_waitcnt vmcnt(28) lgkmcnt(0)
	v_fma_f64 v[121:122], v[125:126], v[121:122], 0
	s_clause 0x1
	buffer_load_dword v126, off, s[0:3], 0 offset:436
	buffer_load_dword v125, off, s[0:3], 0 offset:432
	s_waitcnt vmcnt(28)
	v_fma_f64 v[127:128], v[127:128], v[123:124], v[121:122]
	ds_read2_b64 v[121:124], v120 offset0:101 offset1:102
	s_clause 0x1
	buffer_load_dword v155, off, s[0:3], 0 offset:440
	buffer_load_dword v156, off, s[0:3], 0 offset:444
	s_waitcnt vmcnt(28) lgkmcnt(0)
	v_fma_f64 v[121:122], v[129:130], v[121:122], v[127:128]
	s_clause 0x1
	buffer_load_dword v127, off, s[0:3], 0 offset:448
	buffer_load_dword v128, off, s[0:3], 0 offset:452
	s_waitcnt vmcnt(28)
	v_fma_f64 v[129:130], v[131:132], v[123:124], v[121:122]
	ds_read2_b64 v[121:124], v120 offset0:103 offset1:104
	s_clause 0x1
	buffer_load_dword v131, off, s[0:3], 0 offset:456
	buffer_load_dword v132, off, s[0:3], 0 offset:460
	;; [unrolled: 11-line block ×3, first 2 shown]
	s_waitcnt vmcnt(28) lgkmcnt(0)
	v_fma_f64 v[121:122], v[137:138], v[121:122], v[133:134]
	s_waitcnt vmcnt(26)
	v_fma_f64 v[133:134], v[139:140], v[123:124], v[121:122]
	ds_read2_b64 v[121:124], v120 offset0:107 offset1:108
	s_waitcnt vmcnt(24) lgkmcnt(0)
	v_fma_f64 v[121:122], v[141:142], v[121:122], v[133:134]
	s_waitcnt vmcnt(22)
	v_fma_f64 v[133:134], v[143:144], v[123:124], v[121:122]
	ds_read2_b64 v[121:124], v120 offset0:109 offset1:110
	;; [unrolled: 5-line block ×6, first 2 shown]
	s_waitcnt vmcnt(4) lgkmcnt(0)
	v_fma_f64 v[120:121], v[131:132], v[120:121], v[124:125]
	s_waitcnt vmcnt(2)
	v_fma_f64 v[120:121], v[129:130], v[122:123], v[120:121]
	s_waitcnt vmcnt(0)
	v_add_f64 v[120:121], v[135:136], -v[120:121]
	buffer_store_dword v121, off, s[0:3], 0 offset:308
	buffer_store_dword v120, off, s[0:3], 0 offset:304
	v_cmpx_lt_u32_e32 37, v0
	s_cbranch_execz .LBB122_289
; %bb.288:
	s_clause 0x1
	buffer_load_dword v120, off, s[0:3], 0 offset:296
	buffer_load_dword v121, off, s[0:3], 0 offset:300
	v_mov_b32_e32 v122, 0
	buffer_store_dword v122, off, s[0:3], 0 offset:296
	buffer_store_dword v122, off, s[0:3], 0 offset:300
	s_waitcnt vmcnt(0)
	ds_write_b64 v119, v[120:121]
.LBB122_289:
	s_or_b32 exec_lo, exec_lo, s4
	s_waitcnt lgkmcnt(0)
	s_waitcnt_vscnt null, 0x0
	s_barrier
	buffer_gl0_inv
	s_clause 0x1b
	buffer_load_dword v125, off, s[0:3], 0 offset:304
	buffer_load_dword v126, off, s[0:3], 0 offset:308
	;; [unrolled: 1-line block ×28, first 2 shown]
	v_mov_b32_e32 v120, 0
	s_mov_b32 s4, exec_lo
	ds_read_b128 v[121:124], v120 offset:784
	s_clause 0x1
	buffer_load_dword v153, off, s[0:3], 0 offset:416
	buffer_load_dword v154, off, s[0:3], 0 offset:420
	s_waitcnt vmcnt(28) lgkmcnt(0)
	v_fma_f64 v[121:122], v[125:126], v[121:122], 0
	s_clause 0x1
	buffer_load_dword v126, off, s[0:3], 0 offset:428
	buffer_load_dword v125, off, s[0:3], 0 offset:424
	s_waitcnt vmcnt(28)
	v_fma_f64 v[127:128], v[127:128], v[123:124], v[121:122]
	ds_read_b128 v[121:124], v120 offset:800
	s_clause 0x1
	buffer_load_dword v155, off, s[0:3], 0 offset:432
	buffer_load_dword v156, off, s[0:3], 0 offset:436
	s_waitcnt vmcnt(28) lgkmcnt(0)
	v_fma_f64 v[121:122], v[129:130], v[121:122], v[127:128]
	s_clause 0x1
	buffer_load_dword v127, off, s[0:3], 0 offset:440
	buffer_load_dword v128, off, s[0:3], 0 offset:444
	s_waitcnt vmcnt(28)
	v_fma_f64 v[129:130], v[131:132], v[123:124], v[121:122]
	;; [unrolled: 11-line block ×4, first 2 shown]
	ds_read_b128 v[121:124], v120 offset:848
	s_waitcnt vmcnt(26) lgkmcnt(0)
	v_fma_f64 v[121:122], v[141:142], v[121:122], v[137:138]
	s_waitcnt vmcnt(24)
	v_fma_f64 v[137:138], v[143:144], v[123:124], v[121:122]
	ds_read_b128 v[121:124], v120 offset:864
	s_waitcnt vmcnt(22) lgkmcnt(0)
	v_fma_f64 v[121:122], v[145:146], v[121:122], v[137:138]
	s_waitcnt vmcnt(20)
	v_fma_f64 v[137:138], v[147:148], v[123:124], v[121:122]
	;; [unrolled: 5-line block ×6, first 2 shown]
	ds_read_b64 v[123:124], v120 offset:944
	s_waitcnt vmcnt(2) lgkmcnt(0)
	v_fma_f64 v[121:122], v[135:136], v[123:124], v[121:122]
	s_waitcnt vmcnt(0)
	v_add_f64 v[121:122], v[133:134], -v[121:122]
	buffer_store_dword v122, off, s[0:3], 0 offset:300
	buffer_store_dword v121, off, s[0:3], 0 offset:296
	v_cmpx_lt_u32_e32 36, v0
	s_cbranch_execz .LBB122_291
; %bb.290:
	s_clause 0x1
	buffer_load_dword v121, off, s[0:3], 0 offset:288
	buffer_load_dword v122, off, s[0:3], 0 offset:292
	buffer_store_dword v120, off, s[0:3], 0 offset:288
	buffer_store_dword v120, off, s[0:3], 0 offset:292
	s_waitcnt vmcnt(0)
	ds_write_b64 v119, v[121:122]
.LBB122_291:
	s_or_b32 exec_lo, exec_lo, s4
	s_waitcnt lgkmcnt(0)
	s_waitcnt_vscnt null, 0x0
	s_barrier
	buffer_gl0_inv
	s_clause 0x1b
	buffer_load_dword v125, off, s[0:3], 0 offset:296
	buffer_load_dword v126, off, s[0:3], 0 offset:300
	;; [unrolled: 1-line block ×28, first 2 shown]
	ds_read2_b64 v[121:124], v120 offset0:97 offset1:98
	s_clause 0x1
	buffer_load_dword v153, off, s[0:3], 0 offset:408
	buffer_load_dword v154, off, s[0:3], 0 offset:412
	s_mov_b32 s4, exec_lo
	s_waitcnt vmcnt(28) lgkmcnt(0)
	v_fma_f64 v[121:122], v[125:126], v[121:122], 0
	s_clause 0x1
	buffer_load_dword v126, off, s[0:3], 0 offset:420
	buffer_load_dword v125, off, s[0:3], 0 offset:416
	s_waitcnt vmcnt(28)
	v_fma_f64 v[127:128], v[127:128], v[123:124], v[121:122]
	ds_read2_b64 v[121:124], v120 offset0:99 offset1:100
	s_clause 0x1
	buffer_load_dword v155, off, s[0:3], 0 offset:424
	buffer_load_dword v156, off, s[0:3], 0 offset:428
	s_waitcnt vmcnt(28) lgkmcnt(0)
	v_fma_f64 v[121:122], v[129:130], v[121:122], v[127:128]
	s_clause 0x1
	buffer_load_dword v127, off, s[0:3], 0 offset:432
	buffer_load_dword v128, off, s[0:3], 0 offset:436
	s_waitcnt vmcnt(28)
	v_fma_f64 v[129:130], v[131:132], v[123:124], v[121:122]
	ds_read2_b64 v[121:124], v120 offset0:101 offset1:102
	s_clause 0x1
	buffer_load_dword v131, off, s[0:3], 0 offset:440
	buffer_load_dword v132, off, s[0:3], 0 offset:444
	;; [unrolled: 11-line block ×4, first 2 shown]
	s_waitcnt vmcnt(28) lgkmcnt(0)
	v_fma_f64 v[121:122], v[141:142], v[121:122], v[137:138]
	s_waitcnt vmcnt(26)
	v_fma_f64 v[137:138], v[143:144], v[123:124], v[121:122]
	ds_read2_b64 v[121:124], v120 offset0:107 offset1:108
	s_waitcnt vmcnt(24) lgkmcnt(0)
	v_fma_f64 v[121:122], v[145:146], v[121:122], v[137:138]
	s_waitcnt vmcnt(22)
	v_fma_f64 v[137:138], v[147:148], v[123:124], v[121:122]
	ds_read2_b64 v[121:124], v120 offset0:109 offset1:110
	;; [unrolled: 5-line block ×6, first 2 shown]
	s_waitcnt vmcnt(4) lgkmcnt(0)
	v_fma_f64 v[120:121], v[135:136], v[120:121], v[124:125]
	s_waitcnt vmcnt(2)
	v_fma_f64 v[120:121], v[133:134], v[122:123], v[120:121]
	s_waitcnt vmcnt(0)
	v_add_f64 v[120:121], v[139:140], -v[120:121]
	buffer_store_dword v121, off, s[0:3], 0 offset:292
	buffer_store_dword v120, off, s[0:3], 0 offset:288
	v_cmpx_lt_u32_e32 35, v0
	s_cbranch_execz .LBB122_293
; %bb.292:
	s_clause 0x1
	buffer_load_dword v120, off, s[0:3], 0 offset:280
	buffer_load_dword v121, off, s[0:3], 0 offset:284
	v_mov_b32_e32 v122, 0
	buffer_store_dword v122, off, s[0:3], 0 offset:280
	buffer_store_dword v122, off, s[0:3], 0 offset:284
	s_waitcnt vmcnt(0)
	ds_write_b64 v119, v[120:121]
.LBB122_293:
	s_or_b32 exec_lo, exec_lo, s4
	s_waitcnt lgkmcnt(0)
	s_waitcnt_vscnt null, 0x0
	s_barrier
	buffer_gl0_inv
	s_clause 0x1b
	buffer_load_dword v125, off, s[0:3], 0 offset:288
	buffer_load_dword v126, off, s[0:3], 0 offset:292
	;; [unrolled: 1-line block ×28, first 2 shown]
	v_mov_b32_e32 v120, 0
	s_mov_b32 s4, exec_lo
	ds_read_b128 v[121:124], v120 offset:768
	s_clause 0x1
	buffer_load_dword v153, off, s[0:3], 0 offset:400
	buffer_load_dword v154, off, s[0:3], 0 offset:404
	s_waitcnt vmcnt(28) lgkmcnt(0)
	v_fma_f64 v[121:122], v[125:126], v[121:122], 0
	s_clause 0x1
	buffer_load_dword v126, off, s[0:3], 0 offset:412
	buffer_load_dword v125, off, s[0:3], 0 offset:408
	s_waitcnt vmcnt(28)
	v_fma_f64 v[127:128], v[127:128], v[123:124], v[121:122]
	ds_read_b128 v[121:124], v120 offset:784
	s_clause 0x1
	buffer_load_dword v155, off, s[0:3], 0 offset:416
	buffer_load_dword v156, off, s[0:3], 0 offset:420
	s_waitcnt vmcnt(28) lgkmcnt(0)
	v_fma_f64 v[121:122], v[129:130], v[121:122], v[127:128]
	s_clause 0x1
	buffer_load_dword v127, off, s[0:3], 0 offset:424
	buffer_load_dword v128, off, s[0:3], 0 offset:428
	s_waitcnt vmcnt(28)
	v_fma_f64 v[129:130], v[131:132], v[123:124], v[121:122]
	;; [unrolled: 11-line block ×5, first 2 shown]
	ds_read_b128 v[121:124], v120 offset:848
	s_waitcnt vmcnt(26) lgkmcnt(0)
	v_fma_f64 v[121:122], v[145:146], v[121:122], v[141:142]
	s_waitcnt vmcnt(24)
	v_fma_f64 v[141:142], v[147:148], v[123:124], v[121:122]
	ds_read_b128 v[121:124], v120 offset:864
	s_waitcnt vmcnt(22) lgkmcnt(0)
	v_fma_f64 v[121:122], v[149:150], v[121:122], v[141:142]
	s_waitcnt vmcnt(20)
	v_fma_f64 v[141:142], v[151:152], v[123:124], v[121:122]
	;; [unrolled: 5-line block ×6, first 2 shown]
	ds_read_b64 v[123:124], v120 offset:944
	s_waitcnt vmcnt(2) lgkmcnt(0)
	v_fma_f64 v[121:122], v[139:140], v[123:124], v[121:122]
	s_waitcnt vmcnt(0)
	v_add_f64 v[121:122], v[137:138], -v[121:122]
	buffer_store_dword v122, off, s[0:3], 0 offset:284
	buffer_store_dword v121, off, s[0:3], 0 offset:280
	v_cmpx_lt_u32_e32 34, v0
	s_cbranch_execz .LBB122_295
; %bb.294:
	s_clause 0x1
	buffer_load_dword v121, off, s[0:3], 0 offset:272
	buffer_load_dword v122, off, s[0:3], 0 offset:276
	buffer_store_dword v120, off, s[0:3], 0 offset:272
	buffer_store_dword v120, off, s[0:3], 0 offset:276
	s_waitcnt vmcnt(0)
	ds_write_b64 v119, v[121:122]
.LBB122_295:
	s_or_b32 exec_lo, exec_lo, s4
	s_waitcnt lgkmcnt(0)
	s_waitcnt_vscnt null, 0x0
	s_barrier
	buffer_gl0_inv
	s_clause 0x1b
	buffer_load_dword v125, off, s[0:3], 0 offset:280
	buffer_load_dword v126, off, s[0:3], 0 offset:284
	;; [unrolled: 1-line block ×28, first 2 shown]
	ds_read2_b64 v[121:124], v120 offset0:95 offset1:96
	s_clause 0x1
	buffer_load_dword v153, off, s[0:3], 0 offset:392
	buffer_load_dword v154, off, s[0:3], 0 offset:396
	s_mov_b32 s4, exec_lo
	s_waitcnt vmcnt(28) lgkmcnt(0)
	v_fma_f64 v[121:122], v[125:126], v[121:122], 0
	s_clause 0x1
	buffer_load_dword v126, off, s[0:3], 0 offset:404
	buffer_load_dword v125, off, s[0:3], 0 offset:400
	s_waitcnt vmcnt(28)
	v_fma_f64 v[127:128], v[127:128], v[123:124], v[121:122]
	ds_read2_b64 v[121:124], v120 offset0:97 offset1:98
	s_clause 0x1
	buffer_load_dword v155, off, s[0:3], 0 offset:408
	buffer_load_dword v156, off, s[0:3], 0 offset:412
	s_waitcnt vmcnt(28) lgkmcnt(0)
	v_fma_f64 v[121:122], v[129:130], v[121:122], v[127:128]
	s_clause 0x1
	buffer_load_dword v127, off, s[0:3], 0 offset:416
	buffer_load_dword v128, off, s[0:3], 0 offset:420
	s_waitcnt vmcnt(28)
	v_fma_f64 v[129:130], v[131:132], v[123:124], v[121:122]
	ds_read2_b64 v[121:124], v120 offset0:99 offset1:100
	s_clause 0x1
	buffer_load_dword v131, off, s[0:3], 0 offset:424
	buffer_load_dword v132, off, s[0:3], 0 offset:428
	;; [unrolled: 11-line block ×5, first 2 shown]
	s_waitcnt vmcnt(28) lgkmcnt(0)
	v_fma_f64 v[121:122], v[145:146], v[121:122], v[141:142]
	s_waitcnt vmcnt(26)
	v_fma_f64 v[141:142], v[147:148], v[123:124], v[121:122]
	ds_read2_b64 v[121:124], v120 offset0:107 offset1:108
	s_waitcnt vmcnt(24) lgkmcnt(0)
	v_fma_f64 v[121:122], v[149:150], v[121:122], v[141:142]
	s_waitcnt vmcnt(22)
	v_fma_f64 v[141:142], v[151:152], v[123:124], v[121:122]
	ds_read2_b64 v[121:124], v120 offset0:109 offset1:110
	;; [unrolled: 5-line block ×6, first 2 shown]
	s_waitcnt vmcnt(4) lgkmcnt(0)
	v_fma_f64 v[120:121], v[139:140], v[120:121], v[124:125]
	s_waitcnt vmcnt(2)
	v_fma_f64 v[120:121], v[137:138], v[122:123], v[120:121]
	s_waitcnt vmcnt(0)
	v_add_f64 v[120:121], v[143:144], -v[120:121]
	buffer_store_dword v121, off, s[0:3], 0 offset:276
	buffer_store_dword v120, off, s[0:3], 0 offset:272
	v_cmpx_lt_u32_e32 33, v0
	s_cbranch_execz .LBB122_297
; %bb.296:
	s_clause 0x1
	buffer_load_dword v120, off, s[0:3], 0 offset:264
	buffer_load_dword v121, off, s[0:3], 0 offset:268
	v_mov_b32_e32 v122, 0
	buffer_store_dword v122, off, s[0:3], 0 offset:264
	buffer_store_dword v122, off, s[0:3], 0 offset:268
	s_waitcnt vmcnt(0)
	ds_write_b64 v119, v[120:121]
.LBB122_297:
	s_or_b32 exec_lo, exec_lo, s4
	s_waitcnt lgkmcnt(0)
	s_waitcnt_vscnt null, 0x0
	s_barrier
	buffer_gl0_inv
	s_clause 0x1b
	buffer_load_dword v125, off, s[0:3], 0 offset:272
	buffer_load_dword v126, off, s[0:3], 0 offset:276
	;; [unrolled: 1-line block ×28, first 2 shown]
	v_mov_b32_e32 v120, 0
	s_mov_b32 s4, exec_lo
	ds_read_b128 v[121:124], v120 offset:752
	s_clause 0x1
	buffer_load_dword v153, off, s[0:3], 0 offset:384
	buffer_load_dword v154, off, s[0:3], 0 offset:388
	s_waitcnt vmcnt(28) lgkmcnt(0)
	v_fma_f64 v[121:122], v[125:126], v[121:122], 0
	s_clause 0x1
	buffer_load_dword v126, off, s[0:3], 0 offset:396
	buffer_load_dword v125, off, s[0:3], 0 offset:392
	s_waitcnt vmcnt(28)
	v_fma_f64 v[127:128], v[127:128], v[123:124], v[121:122]
	ds_read_b128 v[121:124], v120 offset:768
	s_clause 0x1
	buffer_load_dword v155, off, s[0:3], 0 offset:400
	buffer_load_dword v156, off, s[0:3], 0 offset:404
	s_waitcnt vmcnt(28) lgkmcnt(0)
	v_fma_f64 v[121:122], v[129:130], v[121:122], v[127:128]
	s_clause 0x1
	buffer_load_dword v127, off, s[0:3], 0 offset:408
	buffer_load_dword v128, off, s[0:3], 0 offset:412
	s_waitcnt vmcnt(28)
	v_fma_f64 v[129:130], v[131:132], v[123:124], v[121:122]
	;; [unrolled: 11-line block ×6, first 2 shown]
	ds_read_b128 v[121:124], v120 offset:848
	s_waitcnt vmcnt(26) lgkmcnt(0)
	v_fma_f64 v[121:122], v[149:150], v[121:122], v[145:146]
	s_waitcnt vmcnt(24)
	v_fma_f64 v[145:146], v[151:152], v[123:124], v[121:122]
	ds_read_b128 v[121:124], v120 offset:864
	s_waitcnt vmcnt(22) lgkmcnt(0)
	v_fma_f64 v[121:122], v[153:154], v[121:122], v[145:146]
	s_waitcnt vmcnt(20)
	v_fma_f64 v[125:126], v[125:126], v[123:124], v[121:122]
	ds_read_b128 v[121:124], v120 offset:880
	s_waitcnt vmcnt(18) lgkmcnt(0)
	v_fma_f64 v[121:122], v[155:156], v[121:122], v[125:126]
	s_waitcnt vmcnt(16)
	v_fma_f64 v[125:126], v[127:128], v[123:124], v[121:122]
	ds_read_b128 v[121:124], v120 offset:896
	s_waitcnt vmcnt(14) lgkmcnt(0)
	v_fma_f64 v[121:122], v[131:132], v[121:122], v[125:126]
	s_waitcnt vmcnt(12)
	v_fma_f64 v[125:126], v[129:130], v[123:124], v[121:122]
	ds_read_b128 v[121:124], v120 offset:912
	s_waitcnt vmcnt(10) lgkmcnt(0)
	v_fma_f64 v[121:122], v[135:136], v[121:122], v[125:126]
	s_waitcnt vmcnt(8)
	v_fma_f64 v[125:126], v[133:134], v[123:124], v[121:122]
	ds_read_b128 v[121:124], v120 offset:928
	s_waitcnt vmcnt(6) lgkmcnt(0)
	v_fma_f64 v[121:122], v[139:140], v[121:122], v[125:126]
	s_waitcnt vmcnt(4)
	v_fma_f64 v[121:122], v[137:138], v[123:124], v[121:122]
	ds_read_b64 v[123:124], v120 offset:944
	s_waitcnt vmcnt(2) lgkmcnt(0)
	v_fma_f64 v[121:122], v[143:144], v[123:124], v[121:122]
	s_waitcnt vmcnt(0)
	v_add_f64 v[121:122], v[141:142], -v[121:122]
	buffer_store_dword v122, off, s[0:3], 0 offset:268
	buffer_store_dword v121, off, s[0:3], 0 offset:264
	v_cmpx_lt_u32_e32 32, v0
	s_cbranch_execz .LBB122_299
; %bb.298:
	s_clause 0x1
	buffer_load_dword v121, off, s[0:3], 0 offset:256
	buffer_load_dword v122, off, s[0:3], 0 offset:260
	buffer_store_dword v120, off, s[0:3], 0 offset:256
	buffer_store_dword v120, off, s[0:3], 0 offset:260
	s_waitcnt vmcnt(0)
	ds_write_b64 v119, v[121:122]
.LBB122_299:
	s_or_b32 exec_lo, exec_lo, s4
	s_waitcnt lgkmcnt(0)
	s_waitcnt_vscnt null, 0x0
	s_barrier
	buffer_gl0_inv
	s_clause 0x1b
	buffer_load_dword v125, off, s[0:3], 0 offset:264
	buffer_load_dword v126, off, s[0:3], 0 offset:268
	buffer_load_dword v127, off, s[0:3], 0 offset:272
	buffer_load_dword v128, off, s[0:3], 0 offset:276
	buffer_load_dword v129, off, s[0:3], 0 offset:280
	buffer_load_dword v130, off, s[0:3], 0 offset:284
	buffer_load_dword v131, off, s[0:3], 0 offset:288
	buffer_load_dword v132, off, s[0:3], 0 offset:292
	buffer_load_dword v133, off, s[0:3], 0 offset:296
	buffer_load_dword v134, off, s[0:3], 0 offset:300
	buffer_load_dword v135, off, s[0:3], 0 offset:304
	buffer_load_dword v136, off, s[0:3], 0 offset:308
	buffer_load_dword v137, off, s[0:3], 0 offset:312
	buffer_load_dword v138, off, s[0:3], 0 offset:316
	buffer_load_dword v140, off, s[0:3], 0 offset:324
	buffer_load_dword v139, off, s[0:3], 0 offset:320
	buffer_load_dword v141, off, s[0:3], 0 offset:328
	buffer_load_dword v142, off, s[0:3], 0 offset:332
	buffer_load_dword v143, off, s[0:3], 0 offset:336
	buffer_load_dword v144, off, s[0:3], 0 offset:340
	buffer_load_dword v145, off, s[0:3], 0 offset:344
	buffer_load_dword v146, off, s[0:3], 0 offset:348
	buffer_load_dword v148, off, s[0:3], 0 offset:356
	buffer_load_dword v147, off, s[0:3], 0 offset:352
	buffer_load_dword v149, off, s[0:3], 0 offset:360
	buffer_load_dword v150, off, s[0:3], 0 offset:364
	buffer_load_dword v151, off, s[0:3], 0 offset:368
	buffer_load_dword v152, off, s[0:3], 0 offset:372
	ds_read2_b64 v[121:124], v120 offset0:93 offset1:94
	s_clause 0x1
	buffer_load_dword v153, off, s[0:3], 0 offset:376
	buffer_load_dword v154, off, s[0:3], 0 offset:380
	s_mov_b32 s4, exec_lo
	s_waitcnt vmcnt(28) lgkmcnt(0)
	v_fma_f64 v[121:122], v[125:126], v[121:122], 0
	s_clause 0x1
	buffer_load_dword v126, off, s[0:3], 0 offset:388
	buffer_load_dword v125, off, s[0:3], 0 offset:384
	s_waitcnt vmcnt(28)
	v_fma_f64 v[127:128], v[127:128], v[123:124], v[121:122]
	ds_read2_b64 v[121:124], v120 offset0:95 offset1:96
	s_clause 0x1
	buffer_load_dword v155, off, s[0:3], 0 offset:392
	buffer_load_dword v156, off, s[0:3], 0 offset:396
	s_waitcnt vmcnt(28) lgkmcnt(0)
	v_fma_f64 v[121:122], v[129:130], v[121:122], v[127:128]
	s_clause 0x1
	buffer_load_dword v127, off, s[0:3], 0 offset:400
	buffer_load_dword v128, off, s[0:3], 0 offset:404
	s_waitcnt vmcnt(28)
	v_fma_f64 v[129:130], v[131:132], v[123:124], v[121:122]
	ds_read2_b64 v[121:124], v120 offset0:97 offset1:98
	s_clause 0x1
	buffer_load_dword v131, off, s[0:3], 0 offset:408
	buffer_load_dword v132, off, s[0:3], 0 offset:412
	;; [unrolled: 11-line block ×6, first 2 shown]
	s_waitcnt vmcnt(28) lgkmcnt(0)
	v_fma_f64 v[121:122], v[149:150], v[121:122], v[145:146]
	s_waitcnt vmcnt(26)
	v_fma_f64 v[145:146], v[151:152], v[123:124], v[121:122]
	ds_read2_b64 v[121:124], v120 offset0:107 offset1:108
	s_waitcnt vmcnt(24) lgkmcnt(0)
	v_fma_f64 v[121:122], v[153:154], v[121:122], v[145:146]
	s_waitcnt vmcnt(22)
	v_fma_f64 v[125:126], v[125:126], v[123:124], v[121:122]
	ds_read2_b64 v[121:124], v120 offset0:109 offset1:110
	;; [unrolled: 5-line block ×6, first 2 shown]
	s_waitcnt vmcnt(4) lgkmcnt(0)
	v_fma_f64 v[120:121], v[143:144], v[120:121], v[124:125]
	s_waitcnt vmcnt(2)
	v_fma_f64 v[120:121], v[141:142], v[122:123], v[120:121]
	s_waitcnt vmcnt(0)
	v_add_f64 v[120:121], v[147:148], -v[120:121]
	buffer_store_dword v121, off, s[0:3], 0 offset:260
	buffer_store_dword v120, off, s[0:3], 0 offset:256
	v_cmpx_lt_u32_e32 31, v0
	s_cbranch_execz .LBB122_301
; %bb.300:
	s_clause 0x1
	buffer_load_dword v120, off, s[0:3], 0 offset:248
	buffer_load_dword v121, off, s[0:3], 0 offset:252
	v_mov_b32_e32 v122, 0
	buffer_store_dword v122, off, s[0:3], 0 offset:248
	buffer_store_dword v122, off, s[0:3], 0 offset:252
	s_waitcnt vmcnt(0)
	ds_write_b64 v119, v[120:121]
.LBB122_301:
	s_or_b32 exec_lo, exec_lo, s4
	s_waitcnt lgkmcnt(0)
	s_waitcnt_vscnt null, 0x0
	s_barrier
	buffer_gl0_inv
	s_clause 0x1b
	buffer_load_dword v125, off, s[0:3], 0 offset:256
	buffer_load_dword v126, off, s[0:3], 0 offset:260
	;; [unrolled: 1-line block ×28, first 2 shown]
	v_mov_b32_e32 v120, 0
	s_mov_b32 s4, exec_lo
	ds_read_b128 v[121:124], v120 offset:736
	s_clause 0x1
	buffer_load_dword v153, off, s[0:3], 0 offset:368
	buffer_load_dword v154, off, s[0:3], 0 offset:372
	s_waitcnt vmcnt(28) lgkmcnt(0)
	v_fma_f64 v[121:122], v[125:126], v[121:122], 0
	s_clause 0x1
	buffer_load_dword v126, off, s[0:3], 0 offset:380
	buffer_load_dword v125, off, s[0:3], 0 offset:376
	s_waitcnt vmcnt(28)
	v_fma_f64 v[127:128], v[127:128], v[123:124], v[121:122]
	ds_read_b128 v[121:124], v120 offset:752
	s_clause 0x1
	buffer_load_dword v155, off, s[0:3], 0 offset:384
	buffer_load_dword v156, off, s[0:3], 0 offset:388
	s_waitcnt vmcnt(28) lgkmcnt(0)
	v_fma_f64 v[121:122], v[129:130], v[121:122], v[127:128]
	s_clause 0x1
	buffer_load_dword v127, off, s[0:3], 0 offset:392
	buffer_load_dword v128, off, s[0:3], 0 offset:396
	s_waitcnt vmcnt(28)
	v_fma_f64 v[129:130], v[131:132], v[123:124], v[121:122]
	;; [unrolled: 11-line block ×7, first 2 shown]
	ds_read_b128 v[121:124], v120 offset:848
	s_waitcnt vmcnt(26) lgkmcnt(0)
	v_fma_f64 v[121:122], v[153:154], v[121:122], v[149:150]
	s_waitcnt vmcnt(24)
	v_fma_f64 v[125:126], v[125:126], v[123:124], v[121:122]
	ds_read_b128 v[121:124], v120 offset:864
	s_waitcnt vmcnt(22) lgkmcnt(0)
	v_fma_f64 v[121:122], v[155:156], v[121:122], v[125:126]
	s_waitcnt vmcnt(20)
	v_fma_f64 v[125:126], v[127:128], v[123:124], v[121:122]
	;; [unrolled: 5-line block ×6, first 2 shown]
	ds_read_b64 v[123:124], v120 offset:944
	s_waitcnt vmcnt(2) lgkmcnt(0)
	v_fma_f64 v[121:122], v[147:148], v[123:124], v[121:122]
	s_waitcnt vmcnt(0)
	v_add_f64 v[121:122], v[145:146], -v[121:122]
	buffer_store_dword v122, off, s[0:3], 0 offset:252
	buffer_store_dword v121, off, s[0:3], 0 offset:248
	v_cmpx_lt_u32_e32 30, v0
	s_cbranch_execz .LBB122_303
; %bb.302:
	s_clause 0x1
	buffer_load_dword v121, off, s[0:3], 0 offset:240
	buffer_load_dword v122, off, s[0:3], 0 offset:244
	buffer_store_dword v120, off, s[0:3], 0 offset:240
	buffer_store_dword v120, off, s[0:3], 0 offset:244
	s_waitcnt vmcnt(0)
	ds_write_b64 v119, v[121:122]
.LBB122_303:
	s_or_b32 exec_lo, exec_lo, s4
	s_waitcnt lgkmcnt(0)
	s_waitcnt_vscnt null, 0x0
	s_barrier
	buffer_gl0_inv
	s_clause 0x1b
	buffer_load_dword v125, off, s[0:3], 0 offset:248
	buffer_load_dword v126, off, s[0:3], 0 offset:252
	;; [unrolled: 1-line block ×28, first 2 shown]
	ds_read2_b64 v[121:124], v120 offset0:91 offset1:92
	s_clause 0x1
	buffer_load_dword v153, off, s[0:3], 0 offset:360
	buffer_load_dword v154, off, s[0:3], 0 offset:364
	s_mov_b32 s4, exec_lo
	s_waitcnt vmcnt(28) lgkmcnt(0)
	v_fma_f64 v[121:122], v[125:126], v[121:122], 0
	s_clause 0x1
	buffer_load_dword v126, off, s[0:3], 0 offset:372
	buffer_load_dword v125, off, s[0:3], 0 offset:368
	s_waitcnt vmcnt(28)
	v_fma_f64 v[127:128], v[127:128], v[123:124], v[121:122]
	ds_read2_b64 v[121:124], v120 offset0:93 offset1:94
	s_clause 0x1
	buffer_load_dword v155, off, s[0:3], 0 offset:376
	buffer_load_dword v156, off, s[0:3], 0 offset:380
	s_waitcnt vmcnt(28) lgkmcnt(0)
	v_fma_f64 v[121:122], v[129:130], v[121:122], v[127:128]
	s_clause 0x1
	buffer_load_dword v127, off, s[0:3], 0 offset:384
	buffer_load_dword v128, off, s[0:3], 0 offset:388
	s_waitcnt vmcnt(28)
	v_fma_f64 v[129:130], v[131:132], v[123:124], v[121:122]
	ds_read2_b64 v[121:124], v120 offset0:95 offset1:96
	s_clause 0x1
	buffer_load_dword v131, off, s[0:3], 0 offset:392
	buffer_load_dword v132, off, s[0:3], 0 offset:396
	;; [unrolled: 11-line block ×7, first 2 shown]
	s_waitcnt vmcnt(28) lgkmcnt(0)
	v_fma_f64 v[121:122], v[153:154], v[121:122], v[149:150]
	s_waitcnt vmcnt(26)
	v_fma_f64 v[125:126], v[125:126], v[123:124], v[121:122]
	ds_read2_b64 v[121:124], v120 offset0:107 offset1:108
	s_waitcnt vmcnt(24) lgkmcnt(0)
	v_fma_f64 v[121:122], v[155:156], v[121:122], v[125:126]
	s_waitcnt vmcnt(22)
	v_fma_f64 v[125:126], v[127:128], v[123:124], v[121:122]
	ds_read2_b64 v[121:124], v120 offset0:109 offset1:110
	;; [unrolled: 5-line block ×6, first 2 shown]
	s_waitcnt vmcnt(4) lgkmcnt(0)
	v_fma_f64 v[120:121], v[147:148], v[120:121], v[124:125]
	s_waitcnt vmcnt(2)
	v_fma_f64 v[120:121], v[145:146], v[122:123], v[120:121]
	s_waitcnt vmcnt(0)
	v_add_f64 v[120:121], v[151:152], -v[120:121]
	buffer_store_dword v121, off, s[0:3], 0 offset:244
	buffer_store_dword v120, off, s[0:3], 0 offset:240
	v_cmpx_lt_u32_e32 29, v0
	s_cbranch_execz .LBB122_305
; %bb.304:
	s_clause 0x1
	buffer_load_dword v120, off, s[0:3], 0 offset:232
	buffer_load_dword v121, off, s[0:3], 0 offset:236
	v_mov_b32_e32 v122, 0
	buffer_store_dword v122, off, s[0:3], 0 offset:232
	buffer_store_dword v122, off, s[0:3], 0 offset:236
	s_waitcnt vmcnt(0)
	ds_write_b64 v119, v[120:121]
.LBB122_305:
	s_or_b32 exec_lo, exec_lo, s4
	s_waitcnt lgkmcnt(0)
	s_waitcnt_vscnt null, 0x0
	s_barrier
	buffer_gl0_inv
	s_clause 0x1b
	buffer_load_dword v125, off, s[0:3], 0 offset:240
	buffer_load_dword v126, off, s[0:3], 0 offset:244
	;; [unrolled: 1-line block ×28, first 2 shown]
	v_mov_b32_e32 v120, 0
	s_mov_b32 s4, exec_lo
	ds_read_b128 v[121:124], v120 offset:720
	s_clause 0x1
	buffer_load_dword v153, off, s[0:3], 0 offset:352
	buffer_load_dword v154, off, s[0:3], 0 offset:356
	s_waitcnt vmcnt(28) lgkmcnt(0)
	v_fma_f64 v[121:122], v[125:126], v[121:122], 0
	s_clause 0x1
	buffer_load_dword v126, off, s[0:3], 0 offset:364
	buffer_load_dword v125, off, s[0:3], 0 offset:360
	s_waitcnt vmcnt(28)
	v_fma_f64 v[127:128], v[127:128], v[123:124], v[121:122]
	ds_read_b128 v[121:124], v120 offset:736
	s_clause 0x1
	buffer_load_dword v155, off, s[0:3], 0 offset:368
	buffer_load_dword v156, off, s[0:3], 0 offset:372
	s_waitcnt vmcnt(28) lgkmcnt(0)
	v_fma_f64 v[121:122], v[129:130], v[121:122], v[127:128]
	s_clause 0x1
	buffer_load_dword v127, off, s[0:3], 0 offset:376
	buffer_load_dword v128, off, s[0:3], 0 offset:380
	s_waitcnt vmcnt(28)
	v_fma_f64 v[129:130], v[131:132], v[123:124], v[121:122]
	;; [unrolled: 11-line block ×8, first 2 shown]
	ds_read_b128 v[121:124], v120 offset:848
	s_waitcnt vmcnt(26) lgkmcnt(0)
	v_fma_f64 v[121:122], v[155:156], v[121:122], v[125:126]
	s_waitcnt vmcnt(24)
	v_fma_f64 v[125:126], v[127:128], v[123:124], v[121:122]
	ds_read_b128 v[121:124], v120 offset:864
	s_waitcnt vmcnt(22) lgkmcnt(0)
	v_fma_f64 v[121:122], v[131:132], v[121:122], v[125:126]
	s_waitcnt vmcnt(20)
	v_fma_f64 v[125:126], v[129:130], v[123:124], v[121:122]
	;; [unrolled: 5-line block ×6, first 2 shown]
	ds_read_b64 v[123:124], v120 offset:944
	s_waitcnt vmcnt(2) lgkmcnt(0)
	v_fma_f64 v[121:122], v[151:152], v[123:124], v[121:122]
	s_waitcnt vmcnt(0)
	v_add_f64 v[121:122], v[149:150], -v[121:122]
	buffer_store_dword v122, off, s[0:3], 0 offset:236
	buffer_store_dword v121, off, s[0:3], 0 offset:232
	v_cmpx_lt_u32_e32 28, v0
	s_cbranch_execz .LBB122_307
; %bb.306:
	s_clause 0x1
	buffer_load_dword v121, off, s[0:3], 0 offset:224
	buffer_load_dword v122, off, s[0:3], 0 offset:228
	buffer_store_dword v120, off, s[0:3], 0 offset:224
	buffer_store_dword v120, off, s[0:3], 0 offset:228
	s_waitcnt vmcnt(0)
	ds_write_b64 v119, v[121:122]
.LBB122_307:
	s_or_b32 exec_lo, exec_lo, s4
	s_waitcnt lgkmcnt(0)
	s_waitcnt_vscnt null, 0x0
	s_barrier
	buffer_gl0_inv
	s_clause 0x1b
	buffer_load_dword v125, off, s[0:3], 0 offset:232
	buffer_load_dword v126, off, s[0:3], 0 offset:236
	;; [unrolled: 1-line block ×28, first 2 shown]
	ds_read2_b64 v[121:124], v120 offset0:89 offset1:90
	s_clause 0x1
	buffer_load_dword v153, off, s[0:3], 0 offset:344
	buffer_load_dword v154, off, s[0:3], 0 offset:348
	s_mov_b32 s4, exec_lo
	s_waitcnt vmcnt(28) lgkmcnt(0)
	v_fma_f64 v[121:122], v[125:126], v[121:122], 0
	s_clause 0x1
	buffer_load_dword v126, off, s[0:3], 0 offset:356
	buffer_load_dword v125, off, s[0:3], 0 offset:352
	s_waitcnt vmcnt(28)
	v_fma_f64 v[127:128], v[127:128], v[123:124], v[121:122]
	ds_read2_b64 v[121:124], v120 offset0:91 offset1:92
	s_clause 0x1
	buffer_load_dword v155, off, s[0:3], 0 offset:360
	buffer_load_dword v156, off, s[0:3], 0 offset:364
	s_waitcnt vmcnt(28) lgkmcnt(0)
	v_fma_f64 v[121:122], v[129:130], v[121:122], v[127:128]
	s_clause 0x1
	buffer_load_dword v127, off, s[0:3], 0 offset:368
	buffer_load_dword v128, off, s[0:3], 0 offset:372
	s_waitcnt vmcnt(28)
	v_fma_f64 v[129:130], v[131:132], v[123:124], v[121:122]
	ds_read2_b64 v[121:124], v120 offset0:93 offset1:94
	s_clause 0x1
	buffer_load_dword v131, off, s[0:3], 0 offset:376
	buffer_load_dword v132, off, s[0:3], 0 offset:380
	;; [unrolled: 11-line block ×8, first 2 shown]
	s_waitcnt vmcnt(28) lgkmcnt(0)
	v_fma_f64 v[121:122], v[155:156], v[121:122], v[125:126]
	s_waitcnt vmcnt(26)
	v_fma_f64 v[125:126], v[127:128], v[123:124], v[121:122]
	ds_read2_b64 v[121:124], v120 offset0:107 offset1:108
	s_waitcnt vmcnt(24) lgkmcnt(0)
	v_fma_f64 v[121:122], v[131:132], v[121:122], v[125:126]
	s_waitcnt vmcnt(22)
	v_fma_f64 v[125:126], v[129:130], v[123:124], v[121:122]
	ds_read2_b64 v[121:124], v120 offset0:109 offset1:110
	;; [unrolled: 5-line block ×6, first 2 shown]
	s_waitcnt vmcnt(4) lgkmcnt(0)
	v_fma_f64 v[120:121], v[151:152], v[120:121], v[124:125]
	s_waitcnt vmcnt(2)
	v_fma_f64 v[120:121], v[149:150], v[122:123], v[120:121]
	s_waitcnt vmcnt(0)
	v_add_f64 v[120:121], v[153:154], -v[120:121]
	buffer_store_dword v121, off, s[0:3], 0 offset:228
	buffer_store_dword v120, off, s[0:3], 0 offset:224
	v_cmpx_lt_u32_e32 27, v0
	s_cbranch_execz .LBB122_309
; %bb.308:
	s_clause 0x1
	buffer_load_dword v120, off, s[0:3], 0 offset:216
	buffer_load_dword v121, off, s[0:3], 0 offset:220
	v_mov_b32_e32 v122, 0
	buffer_store_dword v122, off, s[0:3], 0 offset:216
	buffer_store_dword v122, off, s[0:3], 0 offset:220
	s_waitcnt vmcnt(0)
	ds_write_b64 v119, v[120:121]
.LBB122_309:
	s_or_b32 exec_lo, exec_lo, s4
	s_waitcnt lgkmcnt(0)
	s_waitcnt_vscnt null, 0x0
	s_barrier
	buffer_gl0_inv
	s_clause 0x1b
	buffer_load_dword v125, off, s[0:3], 0 offset:224
	buffer_load_dword v126, off, s[0:3], 0 offset:228
	;; [unrolled: 1-line block ×28, first 2 shown]
	v_mov_b32_e32 v120, 0
	s_mov_b32 s4, exec_lo
	ds_read_b128 v[121:124], v120 offset:704
	s_clause 0x1
	buffer_load_dword v153, off, s[0:3], 0 offset:336
	buffer_load_dword v154, off, s[0:3], 0 offset:340
	s_waitcnt vmcnt(28) lgkmcnt(0)
	v_fma_f64 v[121:122], v[125:126], v[121:122], 0
	s_clause 0x1
	buffer_load_dword v126, off, s[0:3], 0 offset:348
	buffer_load_dword v125, off, s[0:3], 0 offset:344
	s_waitcnt vmcnt(28)
	v_fma_f64 v[127:128], v[127:128], v[123:124], v[121:122]
	ds_read_b128 v[121:124], v120 offset:720
	s_clause 0x1
	buffer_load_dword v155, off, s[0:3], 0 offset:352
	buffer_load_dword v156, off, s[0:3], 0 offset:356
	s_waitcnt vmcnt(28) lgkmcnt(0)
	v_fma_f64 v[121:122], v[129:130], v[121:122], v[127:128]
	s_clause 0x1
	buffer_load_dword v127, off, s[0:3], 0 offset:360
	buffer_load_dword v128, off, s[0:3], 0 offset:364
	s_waitcnt vmcnt(28)
	v_fma_f64 v[129:130], v[131:132], v[123:124], v[121:122]
	;; [unrolled: 11-line block ×9, first 2 shown]
	ds_read_b128 v[121:124], v120 offset:848
	s_waitcnt vmcnt(26) lgkmcnt(0)
	v_fma_f64 v[121:122], v[131:132], v[121:122], v[127:128]
	s_waitcnt vmcnt(24)
	v_fma_f64 v[127:128], v[129:130], v[123:124], v[121:122]
	ds_read_b128 v[121:124], v120 offset:864
	s_waitcnt vmcnt(22) lgkmcnt(0)
	v_fma_f64 v[121:122], v[135:136], v[121:122], v[127:128]
	s_waitcnt vmcnt(20)
	v_fma_f64 v[127:128], v[133:134], v[123:124], v[121:122]
	;; [unrolled: 5-line block ×6, first 2 shown]
	ds_read_b64 v[123:124], v120 offset:944
	s_waitcnt vmcnt(2) lgkmcnt(0)
	v_fma_f64 v[121:122], v[153:154], v[123:124], v[121:122]
	s_waitcnt vmcnt(0)
	v_add_f64 v[121:122], v[125:126], -v[121:122]
	buffer_store_dword v122, off, s[0:3], 0 offset:220
	buffer_store_dword v121, off, s[0:3], 0 offset:216
	v_cmpx_lt_u32_e32 26, v0
	s_cbranch_execz .LBB122_311
; %bb.310:
	s_clause 0x1
	buffer_load_dword v121, off, s[0:3], 0 offset:208
	buffer_load_dword v122, off, s[0:3], 0 offset:212
	buffer_store_dword v120, off, s[0:3], 0 offset:208
	buffer_store_dword v120, off, s[0:3], 0 offset:212
	s_waitcnt vmcnt(0)
	ds_write_b64 v119, v[121:122]
.LBB122_311:
	s_or_b32 exec_lo, exec_lo, s4
	s_waitcnt lgkmcnt(0)
	s_waitcnt_vscnt null, 0x0
	s_barrier
	buffer_gl0_inv
	s_clause 0x1b
	buffer_load_dword v125, off, s[0:3], 0 offset:216
	buffer_load_dword v126, off, s[0:3], 0 offset:220
	;; [unrolled: 1-line block ×28, first 2 shown]
	ds_read2_b64 v[121:124], v120 offset0:87 offset1:88
	s_clause 0x1
	buffer_load_dword v153, off, s[0:3], 0 offset:328
	buffer_load_dword v154, off, s[0:3], 0 offset:332
	s_mov_b32 s4, exec_lo
	s_waitcnt vmcnt(28) lgkmcnt(0)
	v_fma_f64 v[121:122], v[125:126], v[121:122], 0
	s_clause 0x1
	buffer_load_dword v126, off, s[0:3], 0 offset:340
	buffer_load_dword v125, off, s[0:3], 0 offset:336
	s_waitcnt vmcnt(28)
	v_fma_f64 v[127:128], v[127:128], v[123:124], v[121:122]
	ds_read2_b64 v[121:124], v120 offset0:89 offset1:90
	s_clause 0x1
	buffer_load_dword v155, off, s[0:3], 0 offset:344
	buffer_load_dword v156, off, s[0:3], 0 offset:348
	s_waitcnt vmcnt(28) lgkmcnt(0)
	v_fma_f64 v[121:122], v[129:130], v[121:122], v[127:128]
	s_clause 0x1
	buffer_load_dword v127, off, s[0:3], 0 offset:352
	buffer_load_dword v128, off, s[0:3], 0 offset:356
	s_waitcnt vmcnt(28)
	v_fma_f64 v[129:130], v[131:132], v[123:124], v[121:122]
	ds_read2_b64 v[121:124], v120 offset0:91 offset1:92
	s_clause 0x1
	buffer_load_dword v131, off, s[0:3], 0 offset:360
	buffer_load_dword v132, off, s[0:3], 0 offset:364
	;; [unrolled: 11-line block ×9, first 2 shown]
	s_waitcnt vmcnt(28) lgkmcnt(0)
	v_fma_f64 v[121:122], v[131:132], v[121:122], v[127:128]
	s_waitcnt vmcnt(26)
	v_fma_f64 v[127:128], v[129:130], v[123:124], v[121:122]
	ds_read2_b64 v[121:124], v120 offset0:107 offset1:108
	s_waitcnt vmcnt(24) lgkmcnt(0)
	v_fma_f64 v[121:122], v[135:136], v[121:122], v[127:128]
	s_waitcnt vmcnt(22)
	v_fma_f64 v[127:128], v[133:134], v[123:124], v[121:122]
	ds_read2_b64 v[121:124], v120 offset0:109 offset1:110
	;; [unrolled: 5-line block ×6, first 2 shown]
	s_waitcnt vmcnt(4) lgkmcnt(0)
	v_fma_f64 v[120:121], v[153:154], v[120:121], v[127:128]
	s_waitcnt vmcnt(2)
	v_fma_f64 v[120:121], v[125:126], v[122:123], v[120:121]
	s_waitcnt vmcnt(0)
	v_add_f64 v[120:121], v[155:156], -v[120:121]
	buffer_store_dword v121, off, s[0:3], 0 offset:212
	buffer_store_dword v120, off, s[0:3], 0 offset:208
	v_cmpx_lt_u32_e32 25, v0
	s_cbranch_execz .LBB122_313
; %bb.312:
	s_clause 0x1
	buffer_load_dword v120, off, s[0:3], 0 offset:200
	buffer_load_dword v121, off, s[0:3], 0 offset:204
	v_mov_b32_e32 v122, 0
	buffer_store_dword v122, off, s[0:3], 0 offset:200
	buffer_store_dword v122, off, s[0:3], 0 offset:204
	s_waitcnt vmcnt(0)
	ds_write_b64 v119, v[120:121]
.LBB122_313:
	s_or_b32 exec_lo, exec_lo, s4
	s_waitcnt lgkmcnt(0)
	s_waitcnt_vscnt null, 0x0
	s_barrier
	buffer_gl0_inv
	s_clause 0x1b
	buffer_load_dword v125, off, s[0:3], 0 offset:208
	buffer_load_dword v126, off, s[0:3], 0 offset:212
	;; [unrolled: 1-line block ×28, first 2 shown]
	v_mov_b32_e32 v120, 0
	s_mov_b32 s4, exec_lo
	ds_read_b128 v[121:124], v120 offset:688
	s_clause 0x1
	buffer_load_dword v153, off, s[0:3], 0 offset:320
	buffer_load_dword v154, off, s[0:3], 0 offset:324
	s_waitcnt vmcnt(28) lgkmcnt(0)
	v_fma_f64 v[121:122], v[125:126], v[121:122], 0
	s_clause 0x1
	buffer_load_dword v126, off, s[0:3], 0 offset:332
	buffer_load_dword v125, off, s[0:3], 0 offset:328
	s_waitcnt vmcnt(28)
	v_fma_f64 v[127:128], v[127:128], v[123:124], v[121:122]
	ds_read_b128 v[121:124], v120 offset:704
	s_clause 0x1
	buffer_load_dword v155, off, s[0:3], 0 offset:336
	buffer_load_dword v156, off, s[0:3], 0 offset:340
	s_waitcnt vmcnt(28) lgkmcnt(0)
	v_fma_f64 v[121:122], v[129:130], v[121:122], v[127:128]
	s_clause 0x1
	buffer_load_dword v127, off, s[0:3], 0 offset:344
	buffer_load_dword v128, off, s[0:3], 0 offset:348
	s_waitcnt vmcnt(28)
	v_fma_f64 v[129:130], v[131:132], v[123:124], v[121:122]
	ds_read_b128 v[121:124], v120 offset:720
	s_clause 0x1
	buffer_load_dword v131, off, s[0:3], 0 offset:352
	buffer_load_dword v132, off, s[0:3], 0 offset:356
	s_waitcnt vmcnt(28) lgkmcnt(0)
	v_fma_f64 v[121:122], v[133:134], v[121:122], v[129:130]
	s_clause 0x1
	buffer_load_dword v130, off, s[0:3], 0 offset:364
	buffer_load_dword v129, off, s[0:3], 0 offset:360
	s_waitcnt vmcnt(28)
	v_fma_f64 v[133:134], v[135:136], v[123:124], v[121:122]
	ds_read_b128 v[121:124], v120 offset:736
	s_clause 0x1
	buffer_load_dword v135, off, s[0:3], 0 offset:368
	buffer_load_dword v136, off, s[0:3], 0 offset:372
	s_waitcnt vmcnt(28) lgkmcnt(0)
	v_fma_f64 v[121:122], v[137:138], v[121:122], v[133:134]
	s_clause 0x1
	buffer_load_dword v133, off, s[0:3], 0 offset:376
	buffer_load_dword v134, off, s[0:3], 0 offset:380
	s_waitcnt vmcnt(28)
	v_fma_f64 v[137:138], v[139:140], v[123:124], v[121:122]
	ds_read_b128 v[121:124], v120 offset:752
	s_clause 0x1
	buffer_load_dword v139, off, s[0:3], 0 offset:384
	buffer_load_dword v140, off, s[0:3], 0 offset:388
	s_waitcnt vmcnt(28) lgkmcnt(0)
	v_fma_f64 v[121:122], v[141:142], v[121:122], v[137:138]
	s_clause 0x1
	buffer_load_dword v138, off, s[0:3], 0 offset:396
	buffer_load_dword v137, off, s[0:3], 0 offset:392
	s_waitcnt vmcnt(28)
	v_fma_f64 v[141:142], v[143:144], v[123:124], v[121:122]
	ds_read_b128 v[121:124], v120 offset:768
	s_clause 0x1
	buffer_load_dword v143, off, s[0:3], 0 offset:400
	buffer_load_dword v144, off, s[0:3], 0 offset:404
	s_waitcnt vmcnt(28) lgkmcnt(0)
	v_fma_f64 v[121:122], v[145:146], v[121:122], v[141:142]
	s_clause 0x1
	buffer_load_dword v141, off, s[0:3], 0 offset:408
	buffer_load_dword v142, off, s[0:3], 0 offset:412
	s_waitcnt vmcnt(28)
	v_fma_f64 v[145:146], v[147:148], v[123:124], v[121:122]
	ds_read_b128 v[121:124], v120 offset:784
	s_clause 0x1
	buffer_load_dword v147, off, s[0:3], 0 offset:416
	buffer_load_dword v148, off, s[0:3], 0 offset:420
	s_waitcnt vmcnt(28) lgkmcnt(0)
	v_fma_f64 v[121:122], v[149:150], v[121:122], v[145:146]
	s_clause 0x1
	buffer_load_dword v146, off, s[0:3], 0 offset:428
	buffer_load_dword v145, off, s[0:3], 0 offset:424
	s_waitcnt vmcnt(28)
	v_fma_f64 v[149:150], v[151:152], v[123:124], v[121:122]
	ds_read_b128 v[121:124], v120 offset:800
	s_clause 0x1
	buffer_load_dword v151, off, s[0:3], 0 offset:432
	buffer_load_dword v152, off, s[0:3], 0 offset:436
	s_waitcnt vmcnt(28) lgkmcnt(0)
	v_fma_f64 v[121:122], v[153:154], v[121:122], v[149:150]
	s_clause 0x1
	buffer_load_dword v149, off, s[0:3], 0 offset:440
	buffer_load_dword v150, off, s[0:3], 0 offset:444
	s_waitcnt vmcnt(28)
	v_fma_f64 v[125:126], v[125:126], v[123:124], v[121:122]
	ds_read_b128 v[121:124], v120 offset:816
	s_clause 0x1
	buffer_load_dword v153, off, s[0:3], 0 offset:448
	buffer_load_dword v154, off, s[0:3], 0 offset:452
	s_waitcnt vmcnt(28) lgkmcnt(0)
	v_fma_f64 v[121:122], v[155:156], v[121:122], v[125:126]
	s_clause 0x1
	buffer_load_dword v126, off, s[0:3], 0 offset:460
	buffer_load_dword v125, off, s[0:3], 0 offset:456
	s_waitcnt vmcnt(28)
	v_fma_f64 v[127:128], v[127:128], v[123:124], v[121:122]
	ds_read_b128 v[121:124], v120 offset:832
	s_clause 0x1
	buffer_load_dword v155, off, s[0:3], 0 offset:464
	buffer_load_dword v156, off, s[0:3], 0 offset:468
	s_waitcnt vmcnt(28) lgkmcnt(0)
	v_fma_f64 v[121:122], v[131:132], v[121:122], v[127:128]
	s_clause 0x1
	buffer_load_dword v127, off, s[0:3], 0 offset:200
	buffer_load_dword v128, off, s[0:3], 0 offset:204
	s_waitcnt vmcnt(28)
	v_fma_f64 v[129:130], v[129:130], v[123:124], v[121:122]
	ds_read_b128 v[121:124], v120 offset:848
	s_waitcnt vmcnt(26) lgkmcnt(0)
	v_fma_f64 v[121:122], v[135:136], v[121:122], v[129:130]
	s_waitcnt vmcnt(24)
	v_fma_f64 v[129:130], v[133:134], v[123:124], v[121:122]
	ds_read_b128 v[121:124], v120 offset:864
	s_waitcnt vmcnt(22) lgkmcnt(0)
	v_fma_f64 v[121:122], v[139:140], v[121:122], v[129:130]
	s_waitcnt vmcnt(20)
	v_fma_f64 v[129:130], v[137:138], v[123:124], v[121:122]
	;; [unrolled: 5-line block ×6, first 2 shown]
	ds_read_b64 v[123:124], v120 offset:944
	s_waitcnt vmcnt(2) lgkmcnt(0)
	v_fma_f64 v[121:122], v[155:156], v[123:124], v[121:122]
	s_waitcnt vmcnt(0)
	v_add_f64 v[121:122], v[127:128], -v[121:122]
	buffer_store_dword v122, off, s[0:3], 0 offset:204
	buffer_store_dword v121, off, s[0:3], 0 offset:200
	v_cmpx_lt_u32_e32 24, v0
	s_cbranch_execz .LBB122_315
; %bb.314:
	s_clause 0x1
	buffer_load_dword v121, off, s[0:3], 0 offset:192
	buffer_load_dword v122, off, s[0:3], 0 offset:196
	buffer_store_dword v120, off, s[0:3], 0 offset:192
	buffer_store_dword v120, off, s[0:3], 0 offset:196
	s_waitcnt vmcnt(0)
	ds_write_b64 v119, v[121:122]
.LBB122_315:
	s_or_b32 exec_lo, exec_lo, s4
	s_waitcnt lgkmcnt(0)
	s_waitcnt_vscnt null, 0x0
	s_barrier
	buffer_gl0_inv
	s_clause 0x1b
	buffer_load_dword v125, off, s[0:3], 0 offset:200
	buffer_load_dword v126, off, s[0:3], 0 offset:204
	buffer_load_dword v127, off, s[0:3], 0 offset:208
	buffer_load_dword v128, off, s[0:3], 0 offset:212
	buffer_load_dword v129, off, s[0:3], 0 offset:216
	buffer_load_dword v130, off, s[0:3], 0 offset:220
	buffer_load_dword v131, off, s[0:3], 0 offset:224
	buffer_load_dword v132, off, s[0:3], 0 offset:228
	buffer_load_dword v133, off, s[0:3], 0 offset:232
	buffer_load_dword v134, off, s[0:3], 0 offset:236
	buffer_load_dword v135, off, s[0:3], 0 offset:240
	buffer_load_dword v136, off, s[0:3], 0 offset:244
	buffer_load_dword v137, off, s[0:3], 0 offset:248
	buffer_load_dword v138, off, s[0:3], 0 offset:252
	buffer_load_dword v140, off, s[0:3], 0 offset:260
	buffer_load_dword v139, off, s[0:3], 0 offset:256
	buffer_load_dword v141, off, s[0:3], 0 offset:264
	buffer_load_dword v142, off, s[0:3], 0 offset:268
	buffer_load_dword v143, off, s[0:3], 0 offset:272
	buffer_load_dword v144, off, s[0:3], 0 offset:276
	buffer_load_dword v145, off, s[0:3], 0 offset:280
	buffer_load_dword v146, off, s[0:3], 0 offset:284
	buffer_load_dword v148, off, s[0:3], 0 offset:292
	buffer_load_dword v147, off, s[0:3], 0 offset:288
	buffer_load_dword v149, off, s[0:3], 0 offset:296
	buffer_load_dword v150, off, s[0:3], 0 offset:300
	buffer_load_dword v151, off, s[0:3], 0 offset:304
	buffer_load_dword v152, off, s[0:3], 0 offset:308
	ds_read2_b64 v[121:124], v120 offset0:85 offset1:86
	s_clause 0x1
	buffer_load_dword v153, off, s[0:3], 0 offset:312
	buffer_load_dword v154, off, s[0:3], 0 offset:316
	s_mov_b32 s4, exec_lo
	s_waitcnt vmcnt(28) lgkmcnt(0)
	v_fma_f64 v[121:122], v[125:126], v[121:122], 0
	s_clause 0x1
	buffer_load_dword v126, off, s[0:3], 0 offset:324
	buffer_load_dword v125, off, s[0:3], 0 offset:320
	s_waitcnt vmcnt(28)
	v_fma_f64 v[127:128], v[127:128], v[123:124], v[121:122]
	ds_read2_b64 v[121:124], v120 offset0:87 offset1:88
	s_clause 0x1
	buffer_load_dword v155, off, s[0:3], 0 offset:328
	buffer_load_dword v156, off, s[0:3], 0 offset:332
	s_waitcnt vmcnt(28) lgkmcnt(0)
	v_fma_f64 v[121:122], v[129:130], v[121:122], v[127:128]
	s_clause 0x1
	buffer_load_dword v127, off, s[0:3], 0 offset:336
	buffer_load_dword v128, off, s[0:3], 0 offset:340
	s_waitcnt vmcnt(28)
	v_fma_f64 v[129:130], v[131:132], v[123:124], v[121:122]
	ds_read2_b64 v[121:124], v120 offset0:89 offset1:90
	s_clause 0x1
	buffer_load_dword v131, off, s[0:3], 0 offset:344
	buffer_load_dword v132, off, s[0:3], 0 offset:348
	;; [unrolled: 11-line block ×10, first 2 shown]
	s_waitcnt vmcnt(28) lgkmcnt(0)
	v_fma_f64 v[121:122], v[135:136], v[121:122], v[129:130]
	s_waitcnt vmcnt(26)
	v_fma_f64 v[129:130], v[133:134], v[123:124], v[121:122]
	ds_read2_b64 v[121:124], v120 offset0:107 offset1:108
	s_waitcnt vmcnt(24) lgkmcnt(0)
	v_fma_f64 v[121:122], v[139:140], v[121:122], v[129:130]
	s_waitcnt vmcnt(22)
	v_fma_f64 v[129:130], v[137:138], v[123:124], v[121:122]
	ds_read2_b64 v[121:124], v120 offset0:109 offset1:110
	;; [unrolled: 5-line block ×6, first 2 shown]
	s_waitcnt vmcnt(4) lgkmcnt(0)
	v_fma_f64 v[120:121], v[155:156], v[120:121], v[124:125]
	s_waitcnt vmcnt(2)
	v_fma_f64 v[120:121], v[127:128], v[122:123], v[120:121]
	s_waitcnt vmcnt(0)
	v_add_f64 v[120:121], v[131:132], -v[120:121]
	buffer_store_dword v121, off, s[0:3], 0 offset:196
	buffer_store_dword v120, off, s[0:3], 0 offset:192
	v_cmpx_lt_u32_e32 23, v0
	s_cbranch_execz .LBB122_317
; %bb.316:
	s_clause 0x1
	buffer_load_dword v120, off, s[0:3], 0 offset:184
	buffer_load_dword v121, off, s[0:3], 0 offset:188
	v_mov_b32_e32 v122, 0
	buffer_store_dword v122, off, s[0:3], 0 offset:184
	buffer_store_dword v122, off, s[0:3], 0 offset:188
	s_waitcnt vmcnt(0)
	ds_write_b64 v119, v[120:121]
.LBB122_317:
	s_or_b32 exec_lo, exec_lo, s4
	s_waitcnt lgkmcnt(0)
	s_waitcnt_vscnt null, 0x0
	s_barrier
	buffer_gl0_inv
	s_clause 0x1b
	buffer_load_dword v125, off, s[0:3], 0 offset:192
	buffer_load_dword v126, off, s[0:3], 0 offset:196
	;; [unrolled: 1-line block ×28, first 2 shown]
	v_mov_b32_e32 v120, 0
	s_mov_b32 s4, exec_lo
	ds_read_b128 v[121:124], v120 offset:672
	s_clause 0x1
	buffer_load_dword v153, off, s[0:3], 0 offset:304
	buffer_load_dword v154, off, s[0:3], 0 offset:308
	s_waitcnt vmcnt(28) lgkmcnt(0)
	v_fma_f64 v[121:122], v[125:126], v[121:122], 0
	s_clause 0x1
	buffer_load_dword v126, off, s[0:3], 0 offset:316
	buffer_load_dword v125, off, s[0:3], 0 offset:312
	s_waitcnt vmcnt(28)
	v_fma_f64 v[127:128], v[127:128], v[123:124], v[121:122]
	ds_read_b128 v[121:124], v120 offset:688
	s_clause 0x1
	buffer_load_dword v155, off, s[0:3], 0 offset:320
	buffer_load_dword v156, off, s[0:3], 0 offset:324
	s_waitcnt vmcnt(28) lgkmcnt(0)
	v_fma_f64 v[121:122], v[129:130], v[121:122], v[127:128]
	s_clause 0x1
	buffer_load_dword v127, off, s[0:3], 0 offset:328
	buffer_load_dword v128, off, s[0:3], 0 offset:332
	s_waitcnt vmcnt(28)
	v_fma_f64 v[129:130], v[131:132], v[123:124], v[121:122]
	;; [unrolled: 11-line block ×11, first 2 shown]
	ds_read_b128 v[121:124], v120 offset:848
	s_waitcnt vmcnt(26) lgkmcnt(0)
	v_fma_f64 v[121:122], v[139:140], v[121:122], v[133:134]
	s_waitcnt vmcnt(24)
	v_fma_f64 v[133:134], v[137:138], v[123:124], v[121:122]
	ds_read_b128 v[121:124], v120 offset:864
	s_waitcnt vmcnt(22) lgkmcnt(0)
	v_fma_f64 v[121:122], v[143:144], v[121:122], v[133:134]
	s_waitcnt vmcnt(20)
	v_fma_f64 v[133:134], v[141:142], v[123:124], v[121:122]
	;; [unrolled: 5-line block ×6, first 2 shown]
	ds_read_b64 v[123:124], v120 offset:944
	s_waitcnt vmcnt(2) lgkmcnt(0)
	v_fma_f64 v[121:122], v[131:132], v[123:124], v[121:122]
	s_waitcnt vmcnt(0)
	v_add_f64 v[121:122], v[129:130], -v[121:122]
	buffer_store_dword v122, off, s[0:3], 0 offset:188
	buffer_store_dword v121, off, s[0:3], 0 offset:184
	v_cmpx_lt_u32_e32 22, v0
	s_cbranch_execz .LBB122_319
; %bb.318:
	s_clause 0x1
	buffer_load_dword v121, off, s[0:3], 0 offset:176
	buffer_load_dword v122, off, s[0:3], 0 offset:180
	buffer_store_dword v120, off, s[0:3], 0 offset:176
	buffer_store_dword v120, off, s[0:3], 0 offset:180
	s_waitcnt vmcnt(0)
	ds_write_b64 v119, v[121:122]
.LBB122_319:
	s_or_b32 exec_lo, exec_lo, s4
	s_waitcnt lgkmcnt(0)
	s_waitcnt_vscnt null, 0x0
	s_barrier
	buffer_gl0_inv
	s_clause 0x1b
	buffer_load_dword v125, off, s[0:3], 0 offset:184
	buffer_load_dword v126, off, s[0:3], 0 offset:188
	;; [unrolled: 1-line block ×28, first 2 shown]
	ds_read2_b64 v[121:124], v120 offset0:83 offset1:84
	s_clause 0x1
	buffer_load_dword v153, off, s[0:3], 0 offset:296
	buffer_load_dword v154, off, s[0:3], 0 offset:300
	s_mov_b32 s4, exec_lo
	s_waitcnt vmcnt(28) lgkmcnt(0)
	v_fma_f64 v[121:122], v[125:126], v[121:122], 0
	s_clause 0x1
	buffer_load_dword v126, off, s[0:3], 0 offset:308
	buffer_load_dword v125, off, s[0:3], 0 offset:304
	s_waitcnt vmcnt(28)
	v_fma_f64 v[127:128], v[127:128], v[123:124], v[121:122]
	ds_read2_b64 v[121:124], v120 offset0:85 offset1:86
	s_clause 0x1
	buffer_load_dword v155, off, s[0:3], 0 offset:312
	buffer_load_dword v156, off, s[0:3], 0 offset:316
	s_waitcnt vmcnt(28) lgkmcnt(0)
	v_fma_f64 v[121:122], v[129:130], v[121:122], v[127:128]
	s_clause 0x1
	buffer_load_dword v127, off, s[0:3], 0 offset:320
	buffer_load_dword v128, off, s[0:3], 0 offset:324
	s_waitcnt vmcnt(28)
	v_fma_f64 v[129:130], v[131:132], v[123:124], v[121:122]
	ds_read2_b64 v[121:124], v120 offset0:87 offset1:88
	s_clause 0x1
	buffer_load_dword v131, off, s[0:3], 0 offset:328
	buffer_load_dword v132, off, s[0:3], 0 offset:332
	;; [unrolled: 11-line block ×11, first 2 shown]
	s_waitcnt vmcnt(28) lgkmcnt(0)
	v_fma_f64 v[121:122], v[139:140], v[121:122], v[133:134]
	s_waitcnt vmcnt(26)
	v_fma_f64 v[133:134], v[137:138], v[123:124], v[121:122]
	ds_read2_b64 v[121:124], v120 offset0:107 offset1:108
	s_waitcnt vmcnt(24) lgkmcnt(0)
	v_fma_f64 v[121:122], v[143:144], v[121:122], v[133:134]
	s_waitcnt vmcnt(22)
	v_fma_f64 v[133:134], v[141:142], v[123:124], v[121:122]
	ds_read2_b64 v[121:124], v120 offset0:109 offset1:110
	;; [unrolled: 5-line block ×6, first 2 shown]
	s_waitcnt vmcnt(4) lgkmcnt(0)
	v_fma_f64 v[120:121], v[131:132], v[120:121], v[124:125]
	s_waitcnt vmcnt(2)
	v_fma_f64 v[120:121], v[129:130], v[122:123], v[120:121]
	s_waitcnt vmcnt(0)
	v_add_f64 v[120:121], v[135:136], -v[120:121]
	buffer_store_dword v121, off, s[0:3], 0 offset:180
	buffer_store_dword v120, off, s[0:3], 0 offset:176
	v_cmpx_lt_u32_e32 21, v0
	s_cbranch_execz .LBB122_321
; %bb.320:
	s_clause 0x1
	buffer_load_dword v120, off, s[0:3], 0 offset:168
	buffer_load_dword v121, off, s[0:3], 0 offset:172
	v_mov_b32_e32 v122, 0
	buffer_store_dword v122, off, s[0:3], 0 offset:168
	buffer_store_dword v122, off, s[0:3], 0 offset:172
	s_waitcnt vmcnt(0)
	ds_write_b64 v119, v[120:121]
.LBB122_321:
	s_or_b32 exec_lo, exec_lo, s4
	s_waitcnt lgkmcnt(0)
	s_waitcnt_vscnt null, 0x0
	s_barrier
	buffer_gl0_inv
	s_clause 0x1b
	buffer_load_dword v125, off, s[0:3], 0 offset:176
	buffer_load_dword v126, off, s[0:3], 0 offset:180
	;; [unrolled: 1-line block ×28, first 2 shown]
	v_mov_b32_e32 v120, 0
	s_mov_b32 s4, exec_lo
	ds_read_b128 v[121:124], v120 offset:656
	s_clause 0x1
	buffer_load_dword v153, off, s[0:3], 0 offset:288
	buffer_load_dword v154, off, s[0:3], 0 offset:292
	s_waitcnt vmcnt(28) lgkmcnt(0)
	v_fma_f64 v[121:122], v[125:126], v[121:122], 0
	s_clause 0x1
	buffer_load_dword v126, off, s[0:3], 0 offset:300
	buffer_load_dword v125, off, s[0:3], 0 offset:296
	s_waitcnt vmcnt(28)
	v_fma_f64 v[127:128], v[127:128], v[123:124], v[121:122]
	ds_read_b128 v[121:124], v120 offset:672
	s_clause 0x1
	buffer_load_dword v155, off, s[0:3], 0 offset:304
	buffer_load_dword v156, off, s[0:3], 0 offset:308
	s_waitcnt vmcnt(28) lgkmcnt(0)
	v_fma_f64 v[121:122], v[129:130], v[121:122], v[127:128]
	s_clause 0x1
	buffer_load_dword v127, off, s[0:3], 0 offset:312
	buffer_load_dword v128, off, s[0:3], 0 offset:316
	s_waitcnt vmcnt(28)
	v_fma_f64 v[129:130], v[131:132], v[123:124], v[121:122]
	;; [unrolled: 11-line block ×12, first 2 shown]
	ds_read_b128 v[121:124], v120 offset:848
	s_waitcnt vmcnt(26) lgkmcnt(0)
	v_fma_f64 v[121:122], v[143:144], v[121:122], v[137:138]
	s_waitcnt vmcnt(24)
	v_fma_f64 v[137:138], v[141:142], v[123:124], v[121:122]
	ds_read_b128 v[121:124], v120 offset:864
	s_waitcnt vmcnt(22) lgkmcnt(0)
	v_fma_f64 v[121:122], v[147:148], v[121:122], v[137:138]
	s_waitcnt vmcnt(20)
	v_fma_f64 v[137:138], v[145:146], v[123:124], v[121:122]
	ds_read_b128 v[121:124], v120 offset:880
	s_waitcnt vmcnt(18) lgkmcnt(0)
	v_fma_f64 v[121:122], v[151:152], v[121:122], v[137:138]
	s_waitcnt vmcnt(16)
	v_fma_f64 v[137:138], v[149:150], v[123:124], v[121:122]
	ds_read_b128 v[121:124], v120 offset:896
	s_waitcnt vmcnt(14) lgkmcnt(0)
	v_fma_f64 v[121:122], v[153:154], v[121:122], v[137:138]
	s_waitcnt vmcnt(12)
	v_fma_f64 v[125:126], v[125:126], v[123:124], v[121:122]
	ds_read_b128 v[121:124], v120 offset:912
	s_waitcnt vmcnt(10) lgkmcnt(0)
	v_fma_f64 v[121:122], v[155:156], v[121:122], v[125:126]
	s_waitcnt vmcnt(8)
	v_fma_f64 v[125:126], v[127:128], v[123:124], v[121:122]
	ds_read_b128 v[121:124], v120 offset:928
	s_waitcnt vmcnt(6) lgkmcnt(0)
	v_fma_f64 v[121:122], v[131:132], v[121:122], v[125:126]
	s_waitcnt vmcnt(4)
	v_fma_f64 v[121:122], v[129:130], v[123:124], v[121:122]
	ds_read_b64 v[123:124], v120 offset:944
	s_waitcnt vmcnt(2) lgkmcnt(0)
	v_fma_f64 v[121:122], v[135:136], v[123:124], v[121:122]
	s_waitcnt vmcnt(0)
	v_add_f64 v[121:122], v[133:134], -v[121:122]
	buffer_store_dword v122, off, s[0:3], 0 offset:172
	buffer_store_dword v121, off, s[0:3], 0 offset:168
	v_cmpx_lt_u32_e32 20, v0
	s_cbranch_execz .LBB122_323
; %bb.322:
	s_clause 0x1
	buffer_load_dword v121, off, s[0:3], 0 offset:160
	buffer_load_dword v122, off, s[0:3], 0 offset:164
	buffer_store_dword v120, off, s[0:3], 0 offset:160
	buffer_store_dword v120, off, s[0:3], 0 offset:164
	s_waitcnt vmcnt(0)
	ds_write_b64 v119, v[121:122]
.LBB122_323:
	s_or_b32 exec_lo, exec_lo, s4
	s_waitcnt lgkmcnt(0)
	s_waitcnt_vscnt null, 0x0
	s_barrier
	buffer_gl0_inv
	s_clause 0x1b
	buffer_load_dword v125, off, s[0:3], 0 offset:168
	buffer_load_dword v126, off, s[0:3], 0 offset:172
	;; [unrolled: 1-line block ×28, first 2 shown]
	ds_read2_b64 v[121:124], v120 offset0:81 offset1:82
	s_clause 0x1
	buffer_load_dword v153, off, s[0:3], 0 offset:280
	buffer_load_dword v154, off, s[0:3], 0 offset:284
	s_mov_b32 s4, exec_lo
	s_waitcnt vmcnt(28) lgkmcnt(0)
	v_fma_f64 v[121:122], v[125:126], v[121:122], 0
	s_clause 0x1
	buffer_load_dword v126, off, s[0:3], 0 offset:292
	buffer_load_dword v125, off, s[0:3], 0 offset:288
	s_waitcnt vmcnt(28)
	v_fma_f64 v[127:128], v[127:128], v[123:124], v[121:122]
	ds_read2_b64 v[121:124], v120 offset0:83 offset1:84
	s_clause 0x1
	buffer_load_dword v155, off, s[0:3], 0 offset:296
	buffer_load_dword v156, off, s[0:3], 0 offset:300
	s_waitcnt vmcnt(28) lgkmcnt(0)
	v_fma_f64 v[121:122], v[129:130], v[121:122], v[127:128]
	s_clause 0x1
	buffer_load_dword v127, off, s[0:3], 0 offset:304
	buffer_load_dword v128, off, s[0:3], 0 offset:308
	s_waitcnt vmcnt(28)
	v_fma_f64 v[129:130], v[131:132], v[123:124], v[121:122]
	ds_read2_b64 v[121:124], v120 offset0:85 offset1:86
	s_clause 0x1
	buffer_load_dword v131, off, s[0:3], 0 offset:312
	buffer_load_dword v132, off, s[0:3], 0 offset:316
	;; [unrolled: 11-line block ×12, first 2 shown]
	s_waitcnt vmcnt(28) lgkmcnt(0)
	v_fma_f64 v[121:122], v[143:144], v[121:122], v[137:138]
	s_waitcnt vmcnt(26)
	v_fma_f64 v[137:138], v[141:142], v[123:124], v[121:122]
	ds_read2_b64 v[121:124], v120 offset0:107 offset1:108
	s_waitcnt vmcnt(24) lgkmcnt(0)
	v_fma_f64 v[121:122], v[147:148], v[121:122], v[137:138]
	s_waitcnt vmcnt(22)
	v_fma_f64 v[137:138], v[145:146], v[123:124], v[121:122]
	ds_read2_b64 v[121:124], v120 offset0:109 offset1:110
	;; [unrolled: 5-line block ×6, first 2 shown]
	s_waitcnt vmcnt(4) lgkmcnt(0)
	v_fma_f64 v[120:121], v[135:136], v[120:121], v[124:125]
	s_waitcnt vmcnt(2)
	v_fma_f64 v[120:121], v[133:134], v[122:123], v[120:121]
	s_waitcnt vmcnt(0)
	v_add_f64 v[120:121], v[139:140], -v[120:121]
	buffer_store_dword v121, off, s[0:3], 0 offset:164
	buffer_store_dword v120, off, s[0:3], 0 offset:160
	v_cmpx_lt_u32_e32 19, v0
	s_cbranch_execz .LBB122_325
; %bb.324:
	s_clause 0x1
	buffer_load_dword v120, off, s[0:3], 0 offset:152
	buffer_load_dword v121, off, s[0:3], 0 offset:156
	v_mov_b32_e32 v122, 0
	buffer_store_dword v122, off, s[0:3], 0 offset:152
	buffer_store_dword v122, off, s[0:3], 0 offset:156
	s_waitcnt vmcnt(0)
	ds_write_b64 v119, v[120:121]
.LBB122_325:
	s_or_b32 exec_lo, exec_lo, s4
	s_waitcnt lgkmcnt(0)
	s_waitcnt_vscnt null, 0x0
	s_barrier
	buffer_gl0_inv
	s_clause 0x1b
	buffer_load_dword v125, off, s[0:3], 0 offset:160
	buffer_load_dword v126, off, s[0:3], 0 offset:164
	;; [unrolled: 1-line block ×28, first 2 shown]
	v_mov_b32_e32 v120, 0
	s_mov_b32 s4, exec_lo
	ds_read_b128 v[121:124], v120 offset:640
	s_clause 0x1
	buffer_load_dword v153, off, s[0:3], 0 offset:272
	buffer_load_dword v154, off, s[0:3], 0 offset:276
	s_waitcnt vmcnt(28) lgkmcnt(0)
	v_fma_f64 v[121:122], v[125:126], v[121:122], 0
	s_clause 0x1
	buffer_load_dword v126, off, s[0:3], 0 offset:284
	buffer_load_dword v125, off, s[0:3], 0 offset:280
	s_waitcnt vmcnt(28)
	v_fma_f64 v[127:128], v[127:128], v[123:124], v[121:122]
	ds_read_b128 v[121:124], v120 offset:656
	s_clause 0x1
	buffer_load_dword v155, off, s[0:3], 0 offset:288
	buffer_load_dword v156, off, s[0:3], 0 offset:292
	s_waitcnt vmcnt(28) lgkmcnt(0)
	v_fma_f64 v[121:122], v[129:130], v[121:122], v[127:128]
	s_clause 0x1
	buffer_load_dword v127, off, s[0:3], 0 offset:296
	buffer_load_dword v128, off, s[0:3], 0 offset:300
	s_waitcnt vmcnt(28)
	v_fma_f64 v[129:130], v[131:132], v[123:124], v[121:122]
	;; [unrolled: 11-line block ×13, first 2 shown]
	ds_read_b128 v[121:124], v120 offset:848
	s_waitcnt vmcnt(26) lgkmcnt(0)
	v_fma_f64 v[121:122], v[147:148], v[121:122], v[141:142]
	s_waitcnt vmcnt(24)
	v_fma_f64 v[141:142], v[145:146], v[123:124], v[121:122]
	ds_read_b128 v[121:124], v120 offset:864
	s_waitcnt vmcnt(22) lgkmcnt(0)
	v_fma_f64 v[121:122], v[151:152], v[121:122], v[141:142]
	s_waitcnt vmcnt(20)
	v_fma_f64 v[141:142], v[149:150], v[123:124], v[121:122]
	;; [unrolled: 5-line block ×6, first 2 shown]
	ds_read_b64 v[123:124], v120 offset:944
	s_waitcnt vmcnt(2) lgkmcnt(0)
	v_fma_f64 v[121:122], v[139:140], v[123:124], v[121:122]
	s_waitcnt vmcnt(0)
	v_add_f64 v[121:122], v[137:138], -v[121:122]
	buffer_store_dword v122, off, s[0:3], 0 offset:156
	buffer_store_dword v121, off, s[0:3], 0 offset:152
	v_cmpx_lt_u32_e32 18, v0
	s_cbranch_execz .LBB122_327
; %bb.326:
	s_clause 0x1
	buffer_load_dword v121, off, s[0:3], 0 offset:144
	buffer_load_dword v122, off, s[0:3], 0 offset:148
	buffer_store_dword v120, off, s[0:3], 0 offset:144
	buffer_store_dword v120, off, s[0:3], 0 offset:148
	s_waitcnt vmcnt(0)
	ds_write_b64 v119, v[121:122]
.LBB122_327:
	s_or_b32 exec_lo, exec_lo, s4
	s_waitcnt lgkmcnt(0)
	s_waitcnt_vscnt null, 0x0
	s_barrier
	buffer_gl0_inv
	s_clause 0x1b
	buffer_load_dword v125, off, s[0:3], 0 offset:152
	buffer_load_dword v126, off, s[0:3], 0 offset:156
	buffer_load_dword v127, off, s[0:3], 0 offset:160
	buffer_load_dword v128, off, s[0:3], 0 offset:164
	buffer_load_dword v129, off, s[0:3], 0 offset:168
	buffer_load_dword v130, off, s[0:3], 0 offset:172
	buffer_load_dword v131, off, s[0:3], 0 offset:176
	buffer_load_dword v132, off, s[0:3], 0 offset:180
	buffer_load_dword v133, off, s[0:3], 0 offset:184
	buffer_load_dword v134, off, s[0:3], 0 offset:188
	buffer_load_dword v135, off, s[0:3], 0 offset:192
	buffer_load_dword v136, off, s[0:3], 0 offset:196
	buffer_load_dword v137, off, s[0:3], 0 offset:200
	buffer_load_dword v138, off, s[0:3], 0 offset:204
	buffer_load_dword v140, off, s[0:3], 0 offset:212
	buffer_load_dword v139, off, s[0:3], 0 offset:208
	buffer_load_dword v141, off, s[0:3], 0 offset:216
	buffer_load_dword v142, off, s[0:3], 0 offset:220
	buffer_load_dword v143, off, s[0:3], 0 offset:224
	buffer_load_dword v144, off, s[0:3], 0 offset:228
	buffer_load_dword v145, off, s[0:3], 0 offset:232
	buffer_load_dword v146, off, s[0:3], 0 offset:236
	buffer_load_dword v148, off, s[0:3], 0 offset:244
	buffer_load_dword v147, off, s[0:3], 0 offset:240
	buffer_load_dword v149, off, s[0:3], 0 offset:248
	buffer_load_dword v150, off, s[0:3], 0 offset:252
	buffer_load_dword v151, off, s[0:3], 0 offset:256
	buffer_load_dword v152, off, s[0:3], 0 offset:260
	ds_read2_b64 v[121:124], v120 offset0:79 offset1:80
	s_clause 0x1
	buffer_load_dword v153, off, s[0:3], 0 offset:264
	buffer_load_dword v154, off, s[0:3], 0 offset:268
	s_mov_b32 s4, exec_lo
	s_waitcnt vmcnt(28) lgkmcnt(0)
	v_fma_f64 v[121:122], v[125:126], v[121:122], 0
	s_clause 0x1
	buffer_load_dword v126, off, s[0:3], 0 offset:276
	buffer_load_dword v125, off, s[0:3], 0 offset:272
	s_waitcnt vmcnt(28)
	v_fma_f64 v[127:128], v[127:128], v[123:124], v[121:122]
	ds_read2_b64 v[121:124], v120 offset0:81 offset1:82
	s_clause 0x1
	buffer_load_dword v155, off, s[0:3], 0 offset:280
	buffer_load_dword v156, off, s[0:3], 0 offset:284
	s_waitcnt vmcnt(28) lgkmcnt(0)
	v_fma_f64 v[121:122], v[129:130], v[121:122], v[127:128]
	s_clause 0x1
	buffer_load_dword v127, off, s[0:3], 0 offset:288
	buffer_load_dword v128, off, s[0:3], 0 offset:292
	s_waitcnt vmcnt(28)
	v_fma_f64 v[129:130], v[131:132], v[123:124], v[121:122]
	ds_read2_b64 v[121:124], v120 offset0:83 offset1:84
	s_clause 0x1
	buffer_load_dword v131, off, s[0:3], 0 offset:296
	buffer_load_dword v132, off, s[0:3], 0 offset:300
	;; [unrolled: 11-line block ×13, first 2 shown]
	s_waitcnt vmcnt(28) lgkmcnt(0)
	v_fma_f64 v[121:122], v[147:148], v[121:122], v[141:142]
	s_waitcnt vmcnt(26)
	v_fma_f64 v[141:142], v[145:146], v[123:124], v[121:122]
	ds_read2_b64 v[121:124], v120 offset0:107 offset1:108
	s_waitcnt vmcnt(24) lgkmcnt(0)
	v_fma_f64 v[121:122], v[151:152], v[121:122], v[141:142]
	s_waitcnt vmcnt(22)
	v_fma_f64 v[141:142], v[149:150], v[123:124], v[121:122]
	ds_read2_b64 v[121:124], v120 offset0:109 offset1:110
	s_waitcnt vmcnt(20) lgkmcnt(0)
	v_fma_f64 v[121:122], v[153:154], v[121:122], v[141:142]
	s_waitcnt vmcnt(18)
	v_fma_f64 v[125:126], v[125:126], v[123:124], v[121:122]
	ds_read2_b64 v[121:124], v120 offset0:111 offset1:112
	s_waitcnt vmcnt(16) lgkmcnt(0)
	v_fma_f64 v[121:122], v[155:156], v[121:122], v[125:126]
	s_waitcnt vmcnt(14)
	v_fma_f64 v[125:126], v[127:128], v[123:124], v[121:122]
	ds_read2_b64 v[121:124], v120 offset0:113 offset1:114
	s_waitcnt vmcnt(12) lgkmcnt(0)
	v_fma_f64 v[121:122], v[131:132], v[121:122], v[125:126]
	s_waitcnt vmcnt(10)
	v_fma_f64 v[125:126], v[129:130], v[123:124], v[121:122]
	ds_read2_b64 v[121:124], v120 offset0:115 offset1:116
	s_waitcnt vmcnt(8) lgkmcnt(0)
	v_fma_f64 v[121:122], v[135:136], v[121:122], v[125:126]
	s_waitcnt vmcnt(6)
	v_fma_f64 v[124:125], v[133:134], v[123:124], v[121:122]
	ds_read2_b64 v[120:123], v120 offset0:117 offset1:118
	s_waitcnt vmcnt(4) lgkmcnt(0)
	v_fma_f64 v[120:121], v[139:140], v[120:121], v[124:125]
	s_waitcnt vmcnt(2)
	v_fma_f64 v[120:121], v[137:138], v[122:123], v[120:121]
	s_waitcnt vmcnt(0)
	v_add_f64 v[120:121], v[143:144], -v[120:121]
	buffer_store_dword v121, off, s[0:3], 0 offset:148
	buffer_store_dword v120, off, s[0:3], 0 offset:144
	v_cmpx_lt_u32_e32 17, v0
	s_cbranch_execz .LBB122_329
; %bb.328:
	s_clause 0x1
	buffer_load_dword v120, off, s[0:3], 0 offset:136
	buffer_load_dword v121, off, s[0:3], 0 offset:140
	v_mov_b32_e32 v122, 0
	buffer_store_dword v122, off, s[0:3], 0 offset:136
	buffer_store_dword v122, off, s[0:3], 0 offset:140
	s_waitcnt vmcnt(0)
	ds_write_b64 v119, v[120:121]
.LBB122_329:
	s_or_b32 exec_lo, exec_lo, s4
	s_waitcnt lgkmcnt(0)
	s_waitcnt_vscnt null, 0x0
	s_barrier
	buffer_gl0_inv
	s_clause 0x1b
	buffer_load_dword v125, off, s[0:3], 0 offset:144
	buffer_load_dword v126, off, s[0:3], 0 offset:148
	;; [unrolled: 1-line block ×28, first 2 shown]
	v_mov_b32_e32 v120, 0
	s_mov_b32 s4, exec_lo
	ds_read_b128 v[121:124], v120 offset:624
	s_clause 0x1
	buffer_load_dword v153, off, s[0:3], 0 offset:256
	buffer_load_dword v154, off, s[0:3], 0 offset:260
	s_waitcnt vmcnt(28) lgkmcnt(0)
	v_fma_f64 v[121:122], v[125:126], v[121:122], 0
	s_clause 0x1
	buffer_load_dword v126, off, s[0:3], 0 offset:268
	buffer_load_dword v125, off, s[0:3], 0 offset:264
	s_waitcnt vmcnt(28)
	v_fma_f64 v[127:128], v[127:128], v[123:124], v[121:122]
	ds_read_b128 v[121:124], v120 offset:640
	s_clause 0x1
	buffer_load_dword v155, off, s[0:3], 0 offset:272
	buffer_load_dword v156, off, s[0:3], 0 offset:276
	s_waitcnt vmcnt(28) lgkmcnt(0)
	v_fma_f64 v[121:122], v[129:130], v[121:122], v[127:128]
	s_clause 0x1
	buffer_load_dword v127, off, s[0:3], 0 offset:280
	buffer_load_dword v128, off, s[0:3], 0 offset:284
	s_waitcnt vmcnt(28)
	v_fma_f64 v[129:130], v[131:132], v[123:124], v[121:122]
	;; [unrolled: 11-line block ×14, first 2 shown]
	ds_read_b128 v[121:124], v120 offset:848
	s_waitcnt vmcnt(26) lgkmcnt(0)
	v_fma_f64 v[121:122], v[151:152], v[121:122], v[145:146]
	s_waitcnt vmcnt(24)
	v_fma_f64 v[145:146], v[149:150], v[123:124], v[121:122]
	ds_read_b128 v[121:124], v120 offset:864
	s_waitcnt vmcnt(22) lgkmcnt(0)
	v_fma_f64 v[121:122], v[153:154], v[121:122], v[145:146]
	s_waitcnt vmcnt(20)
	v_fma_f64 v[125:126], v[125:126], v[123:124], v[121:122]
	;; [unrolled: 5-line block ×6, first 2 shown]
	ds_read_b64 v[123:124], v120 offset:944
	s_waitcnt vmcnt(2) lgkmcnt(0)
	v_fma_f64 v[121:122], v[143:144], v[123:124], v[121:122]
	s_waitcnt vmcnt(0)
	v_add_f64 v[121:122], v[141:142], -v[121:122]
	buffer_store_dword v122, off, s[0:3], 0 offset:140
	buffer_store_dword v121, off, s[0:3], 0 offset:136
	v_cmpx_lt_u32_e32 16, v0
	s_cbranch_execz .LBB122_331
; %bb.330:
	s_clause 0x1
	buffer_load_dword v121, off, s[0:3], 0 offset:128
	buffer_load_dword v122, off, s[0:3], 0 offset:132
	buffer_store_dword v120, off, s[0:3], 0 offset:128
	buffer_store_dword v120, off, s[0:3], 0 offset:132
	s_waitcnt vmcnt(0)
	ds_write_b64 v119, v[121:122]
.LBB122_331:
	s_or_b32 exec_lo, exec_lo, s4
	s_waitcnt lgkmcnt(0)
	s_waitcnt_vscnt null, 0x0
	s_barrier
	buffer_gl0_inv
	s_clause 0x1b
	buffer_load_dword v125, off, s[0:3], 0 offset:136
	buffer_load_dword v126, off, s[0:3], 0 offset:140
	;; [unrolled: 1-line block ×28, first 2 shown]
	ds_read2_b64 v[121:124], v120 offset0:77 offset1:78
	s_clause 0x1
	buffer_load_dword v153, off, s[0:3], 0 offset:248
	buffer_load_dword v154, off, s[0:3], 0 offset:252
	s_mov_b32 s4, exec_lo
	s_waitcnt vmcnt(28) lgkmcnt(0)
	v_fma_f64 v[121:122], v[125:126], v[121:122], 0
	s_clause 0x1
	buffer_load_dword v126, off, s[0:3], 0 offset:260
	buffer_load_dword v125, off, s[0:3], 0 offset:256
	s_waitcnt vmcnt(28)
	v_fma_f64 v[127:128], v[127:128], v[123:124], v[121:122]
	ds_read2_b64 v[121:124], v120 offset0:79 offset1:80
	s_clause 0x1
	buffer_load_dword v155, off, s[0:3], 0 offset:264
	buffer_load_dword v156, off, s[0:3], 0 offset:268
	s_waitcnt vmcnt(28) lgkmcnt(0)
	v_fma_f64 v[121:122], v[129:130], v[121:122], v[127:128]
	s_clause 0x1
	buffer_load_dword v127, off, s[0:3], 0 offset:272
	buffer_load_dword v128, off, s[0:3], 0 offset:276
	s_waitcnt vmcnt(28)
	v_fma_f64 v[129:130], v[131:132], v[123:124], v[121:122]
	ds_read2_b64 v[121:124], v120 offset0:81 offset1:82
	s_clause 0x1
	buffer_load_dword v131, off, s[0:3], 0 offset:280
	buffer_load_dword v132, off, s[0:3], 0 offset:284
	;; [unrolled: 11-line block ×14, first 2 shown]
	s_waitcnt vmcnt(28) lgkmcnt(0)
	v_fma_f64 v[121:122], v[151:152], v[121:122], v[145:146]
	s_waitcnt vmcnt(26)
	v_fma_f64 v[145:146], v[149:150], v[123:124], v[121:122]
	ds_read2_b64 v[121:124], v120 offset0:107 offset1:108
	s_waitcnt vmcnt(24) lgkmcnt(0)
	v_fma_f64 v[121:122], v[153:154], v[121:122], v[145:146]
	s_waitcnt vmcnt(22)
	v_fma_f64 v[125:126], v[125:126], v[123:124], v[121:122]
	ds_read2_b64 v[121:124], v120 offset0:109 offset1:110
	;; [unrolled: 5-line block ×6, first 2 shown]
	s_waitcnt vmcnt(4) lgkmcnt(0)
	v_fma_f64 v[120:121], v[143:144], v[120:121], v[124:125]
	s_waitcnt vmcnt(2)
	v_fma_f64 v[120:121], v[141:142], v[122:123], v[120:121]
	s_waitcnt vmcnt(0)
	v_add_f64 v[120:121], v[147:148], -v[120:121]
	buffer_store_dword v121, off, s[0:3], 0 offset:132
	buffer_store_dword v120, off, s[0:3], 0 offset:128
	v_cmpx_lt_u32_e32 15, v0
	s_cbranch_execz .LBB122_333
; %bb.332:
	s_clause 0x1
	buffer_load_dword v120, off, s[0:3], 0 offset:120
	buffer_load_dword v121, off, s[0:3], 0 offset:124
	v_mov_b32_e32 v122, 0
	buffer_store_dword v122, off, s[0:3], 0 offset:120
	buffer_store_dword v122, off, s[0:3], 0 offset:124
	s_waitcnt vmcnt(0)
	ds_write_b64 v119, v[120:121]
.LBB122_333:
	s_or_b32 exec_lo, exec_lo, s4
	s_waitcnt lgkmcnt(0)
	s_waitcnt_vscnt null, 0x0
	s_barrier
	buffer_gl0_inv
	s_clause 0x1b
	buffer_load_dword v125, off, s[0:3], 0 offset:128
	buffer_load_dword v126, off, s[0:3], 0 offset:132
	;; [unrolled: 1-line block ×28, first 2 shown]
	v_mov_b32_e32 v120, 0
	s_mov_b32 s4, exec_lo
	ds_read_b128 v[121:124], v120 offset:608
	s_clause 0x1
	buffer_load_dword v153, off, s[0:3], 0 offset:240
	buffer_load_dword v154, off, s[0:3], 0 offset:244
	s_waitcnt vmcnt(28) lgkmcnt(0)
	v_fma_f64 v[121:122], v[125:126], v[121:122], 0
	s_clause 0x1
	buffer_load_dword v126, off, s[0:3], 0 offset:252
	buffer_load_dword v125, off, s[0:3], 0 offset:248
	s_waitcnt vmcnt(28)
	v_fma_f64 v[127:128], v[127:128], v[123:124], v[121:122]
	ds_read_b128 v[121:124], v120 offset:624
	s_clause 0x1
	buffer_load_dword v155, off, s[0:3], 0 offset:256
	buffer_load_dword v156, off, s[0:3], 0 offset:260
	s_waitcnt vmcnt(28) lgkmcnt(0)
	v_fma_f64 v[121:122], v[129:130], v[121:122], v[127:128]
	s_clause 0x1
	buffer_load_dword v127, off, s[0:3], 0 offset:264
	buffer_load_dword v128, off, s[0:3], 0 offset:268
	s_waitcnt vmcnt(28)
	v_fma_f64 v[129:130], v[131:132], v[123:124], v[121:122]
	;; [unrolled: 11-line block ×15, first 2 shown]
	ds_read_b128 v[121:124], v120 offset:848
	s_waitcnt vmcnt(26) lgkmcnt(0)
	v_fma_f64 v[121:122], v[153:154], v[121:122], v[149:150]
	s_waitcnt vmcnt(24)
	v_fma_f64 v[125:126], v[125:126], v[123:124], v[121:122]
	ds_read_b128 v[121:124], v120 offset:864
	s_waitcnt vmcnt(22) lgkmcnt(0)
	v_fma_f64 v[121:122], v[155:156], v[121:122], v[125:126]
	s_waitcnt vmcnt(20)
	v_fma_f64 v[125:126], v[127:128], v[123:124], v[121:122]
	ds_read_b128 v[121:124], v120 offset:880
	s_waitcnt vmcnt(18) lgkmcnt(0)
	v_fma_f64 v[121:122], v[131:132], v[121:122], v[125:126]
	s_waitcnt vmcnt(16)
	v_fma_f64 v[125:126], v[129:130], v[123:124], v[121:122]
	ds_read_b128 v[121:124], v120 offset:896
	s_waitcnt vmcnt(14) lgkmcnt(0)
	v_fma_f64 v[121:122], v[135:136], v[121:122], v[125:126]
	s_waitcnt vmcnt(12)
	v_fma_f64 v[125:126], v[133:134], v[123:124], v[121:122]
	ds_read_b128 v[121:124], v120 offset:912
	s_waitcnt vmcnt(10) lgkmcnt(0)
	v_fma_f64 v[121:122], v[139:140], v[121:122], v[125:126]
	s_waitcnt vmcnt(8)
	v_fma_f64 v[125:126], v[137:138], v[123:124], v[121:122]
	ds_read_b128 v[121:124], v120 offset:928
	s_waitcnt vmcnt(6) lgkmcnt(0)
	v_fma_f64 v[121:122], v[143:144], v[121:122], v[125:126]
	s_waitcnt vmcnt(4)
	v_fma_f64 v[121:122], v[141:142], v[123:124], v[121:122]
	ds_read_b64 v[123:124], v120 offset:944
	s_waitcnt vmcnt(2) lgkmcnt(0)
	v_fma_f64 v[121:122], v[147:148], v[123:124], v[121:122]
	s_waitcnt vmcnt(0)
	v_add_f64 v[121:122], v[145:146], -v[121:122]
	buffer_store_dword v122, off, s[0:3], 0 offset:124
	buffer_store_dword v121, off, s[0:3], 0 offset:120
	v_cmpx_lt_u32_e32 14, v0
	s_cbranch_execz .LBB122_335
; %bb.334:
	s_clause 0x1
	buffer_load_dword v121, off, s[0:3], 0 offset:112
	buffer_load_dword v122, off, s[0:3], 0 offset:116
	buffer_store_dword v120, off, s[0:3], 0 offset:112
	buffer_store_dword v120, off, s[0:3], 0 offset:116
	s_waitcnt vmcnt(0)
	ds_write_b64 v119, v[121:122]
.LBB122_335:
	s_or_b32 exec_lo, exec_lo, s4
	s_waitcnt lgkmcnt(0)
	s_waitcnt_vscnt null, 0x0
	s_barrier
	buffer_gl0_inv
	s_clause 0x1b
	buffer_load_dword v125, off, s[0:3], 0 offset:120
	buffer_load_dword v126, off, s[0:3], 0 offset:124
	;; [unrolled: 1-line block ×28, first 2 shown]
	ds_read2_b64 v[121:124], v120 offset0:75 offset1:76
	s_clause 0x1
	buffer_load_dword v153, off, s[0:3], 0 offset:232
	buffer_load_dword v154, off, s[0:3], 0 offset:236
	s_mov_b32 s4, exec_lo
	s_waitcnt vmcnt(28) lgkmcnt(0)
	v_fma_f64 v[121:122], v[125:126], v[121:122], 0
	s_clause 0x1
	buffer_load_dword v126, off, s[0:3], 0 offset:244
	buffer_load_dword v125, off, s[0:3], 0 offset:240
	s_waitcnt vmcnt(28)
	v_fma_f64 v[127:128], v[127:128], v[123:124], v[121:122]
	ds_read2_b64 v[121:124], v120 offset0:77 offset1:78
	s_clause 0x1
	buffer_load_dword v155, off, s[0:3], 0 offset:248
	buffer_load_dword v156, off, s[0:3], 0 offset:252
	s_waitcnt vmcnt(28) lgkmcnt(0)
	v_fma_f64 v[121:122], v[129:130], v[121:122], v[127:128]
	s_clause 0x1
	buffer_load_dword v127, off, s[0:3], 0 offset:256
	buffer_load_dword v128, off, s[0:3], 0 offset:260
	s_waitcnt vmcnt(28)
	v_fma_f64 v[129:130], v[131:132], v[123:124], v[121:122]
	ds_read2_b64 v[121:124], v120 offset0:79 offset1:80
	s_clause 0x1
	buffer_load_dword v131, off, s[0:3], 0 offset:264
	buffer_load_dword v132, off, s[0:3], 0 offset:268
	;; [unrolled: 11-line block ×15, first 2 shown]
	s_waitcnt vmcnt(28) lgkmcnt(0)
	v_fma_f64 v[121:122], v[153:154], v[121:122], v[149:150]
	s_waitcnt vmcnt(26)
	v_fma_f64 v[125:126], v[125:126], v[123:124], v[121:122]
	ds_read2_b64 v[121:124], v120 offset0:107 offset1:108
	s_waitcnt vmcnt(24) lgkmcnt(0)
	v_fma_f64 v[121:122], v[155:156], v[121:122], v[125:126]
	s_waitcnt vmcnt(22)
	v_fma_f64 v[125:126], v[127:128], v[123:124], v[121:122]
	ds_read2_b64 v[121:124], v120 offset0:109 offset1:110
	;; [unrolled: 5-line block ×6, first 2 shown]
	s_waitcnt vmcnt(4) lgkmcnt(0)
	v_fma_f64 v[120:121], v[147:148], v[120:121], v[124:125]
	s_waitcnt vmcnt(2)
	v_fma_f64 v[120:121], v[145:146], v[122:123], v[120:121]
	s_waitcnt vmcnt(0)
	v_add_f64 v[120:121], v[151:152], -v[120:121]
	buffer_store_dword v121, off, s[0:3], 0 offset:116
	buffer_store_dword v120, off, s[0:3], 0 offset:112
	v_cmpx_lt_u32_e32 13, v0
	s_cbranch_execz .LBB122_337
; %bb.336:
	s_clause 0x1
	buffer_load_dword v120, off, s[0:3], 0 offset:104
	buffer_load_dword v121, off, s[0:3], 0 offset:108
	v_mov_b32_e32 v122, 0
	buffer_store_dword v122, off, s[0:3], 0 offset:104
	buffer_store_dword v122, off, s[0:3], 0 offset:108
	s_waitcnt vmcnt(0)
	ds_write_b64 v119, v[120:121]
.LBB122_337:
	s_or_b32 exec_lo, exec_lo, s4
	s_waitcnt lgkmcnt(0)
	s_waitcnt_vscnt null, 0x0
	s_barrier
	buffer_gl0_inv
	s_clause 0x1b
	buffer_load_dword v125, off, s[0:3], 0 offset:112
	buffer_load_dword v126, off, s[0:3], 0 offset:116
	;; [unrolled: 1-line block ×28, first 2 shown]
	v_mov_b32_e32 v120, 0
	s_mov_b32 s4, exec_lo
	ds_read_b128 v[121:124], v120 offset:592
	s_clause 0x1
	buffer_load_dword v153, off, s[0:3], 0 offset:224
	buffer_load_dword v154, off, s[0:3], 0 offset:228
	s_waitcnt vmcnt(28) lgkmcnt(0)
	v_fma_f64 v[121:122], v[125:126], v[121:122], 0
	s_clause 0x1
	buffer_load_dword v126, off, s[0:3], 0 offset:236
	buffer_load_dword v125, off, s[0:3], 0 offset:232
	s_waitcnt vmcnt(28)
	v_fma_f64 v[127:128], v[127:128], v[123:124], v[121:122]
	ds_read_b128 v[121:124], v120 offset:608
	s_clause 0x1
	buffer_load_dword v155, off, s[0:3], 0 offset:240
	buffer_load_dword v156, off, s[0:3], 0 offset:244
	s_waitcnt vmcnt(28) lgkmcnt(0)
	v_fma_f64 v[121:122], v[129:130], v[121:122], v[127:128]
	s_clause 0x1
	buffer_load_dword v127, off, s[0:3], 0 offset:248
	buffer_load_dword v128, off, s[0:3], 0 offset:252
	s_waitcnt vmcnt(28)
	v_fma_f64 v[129:130], v[131:132], v[123:124], v[121:122]
	;; [unrolled: 11-line block ×16, first 2 shown]
	ds_read_b128 v[121:124], v120 offset:848
	s_waitcnt vmcnt(26) lgkmcnt(0)
	v_fma_f64 v[121:122], v[155:156], v[121:122], v[125:126]
	s_waitcnt vmcnt(24)
	v_fma_f64 v[125:126], v[127:128], v[123:124], v[121:122]
	ds_read_b128 v[121:124], v120 offset:864
	s_waitcnt vmcnt(22) lgkmcnt(0)
	v_fma_f64 v[121:122], v[131:132], v[121:122], v[125:126]
	s_waitcnt vmcnt(20)
	v_fma_f64 v[125:126], v[129:130], v[123:124], v[121:122]
	;; [unrolled: 5-line block ×6, first 2 shown]
	ds_read_b64 v[123:124], v120 offset:944
	s_waitcnt vmcnt(2) lgkmcnt(0)
	v_fma_f64 v[121:122], v[151:152], v[123:124], v[121:122]
	s_waitcnt vmcnt(0)
	v_add_f64 v[121:122], v[149:150], -v[121:122]
	buffer_store_dword v122, off, s[0:3], 0 offset:108
	buffer_store_dword v121, off, s[0:3], 0 offset:104
	v_cmpx_lt_u32_e32 12, v0
	s_cbranch_execz .LBB122_339
; %bb.338:
	s_clause 0x1
	buffer_load_dword v121, off, s[0:3], 0 offset:96
	buffer_load_dword v122, off, s[0:3], 0 offset:100
	buffer_store_dword v120, off, s[0:3], 0 offset:96
	buffer_store_dword v120, off, s[0:3], 0 offset:100
	s_waitcnt vmcnt(0)
	ds_write_b64 v119, v[121:122]
.LBB122_339:
	s_or_b32 exec_lo, exec_lo, s4
	s_waitcnt lgkmcnt(0)
	s_waitcnt_vscnt null, 0x0
	s_barrier
	buffer_gl0_inv
	s_clause 0x1b
	buffer_load_dword v125, off, s[0:3], 0 offset:104
	buffer_load_dword v126, off, s[0:3], 0 offset:108
	;; [unrolled: 1-line block ×28, first 2 shown]
	ds_read2_b64 v[121:124], v120 offset0:73 offset1:74
	s_clause 0x1
	buffer_load_dword v153, off, s[0:3], 0 offset:216
	buffer_load_dword v154, off, s[0:3], 0 offset:220
	s_mov_b32 s4, exec_lo
	s_waitcnt vmcnt(28) lgkmcnt(0)
	v_fma_f64 v[121:122], v[125:126], v[121:122], 0
	s_clause 0x1
	buffer_load_dword v126, off, s[0:3], 0 offset:228
	buffer_load_dword v125, off, s[0:3], 0 offset:224
	s_waitcnt vmcnt(28)
	v_fma_f64 v[127:128], v[127:128], v[123:124], v[121:122]
	ds_read2_b64 v[121:124], v120 offset0:75 offset1:76
	s_clause 0x1
	buffer_load_dword v155, off, s[0:3], 0 offset:232
	buffer_load_dword v156, off, s[0:3], 0 offset:236
	s_waitcnt vmcnt(28) lgkmcnt(0)
	v_fma_f64 v[121:122], v[129:130], v[121:122], v[127:128]
	s_clause 0x1
	buffer_load_dword v127, off, s[0:3], 0 offset:240
	buffer_load_dword v128, off, s[0:3], 0 offset:244
	s_waitcnt vmcnt(28)
	v_fma_f64 v[129:130], v[131:132], v[123:124], v[121:122]
	ds_read2_b64 v[121:124], v120 offset0:77 offset1:78
	s_clause 0x1
	buffer_load_dword v131, off, s[0:3], 0 offset:248
	buffer_load_dword v132, off, s[0:3], 0 offset:252
	;; [unrolled: 11-line block ×16, first 2 shown]
	s_waitcnt vmcnt(28) lgkmcnt(0)
	v_fma_f64 v[121:122], v[155:156], v[121:122], v[125:126]
	s_waitcnt vmcnt(26)
	v_fma_f64 v[125:126], v[127:128], v[123:124], v[121:122]
	ds_read2_b64 v[121:124], v120 offset0:107 offset1:108
	s_waitcnt vmcnt(24) lgkmcnt(0)
	v_fma_f64 v[121:122], v[131:132], v[121:122], v[125:126]
	s_waitcnt vmcnt(22)
	v_fma_f64 v[125:126], v[129:130], v[123:124], v[121:122]
	ds_read2_b64 v[121:124], v120 offset0:109 offset1:110
	;; [unrolled: 5-line block ×6, first 2 shown]
	s_waitcnt vmcnt(4) lgkmcnt(0)
	v_fma_f64 v[120:121], v[151:152], v[120:121], v[124:125]
	s_waitcnt vmcnt(2)
	v_fma_f64 v[120:121], v[149:150], v[122:123], v[120:121]
	s_waitcnt vmcnt(0)
	v_add_f64 v[120:121], v[153:154], -v[120:121]
	buffer_store_dword v121, off, s[0:3], 0 offset:100
	buffer_store_dword v120, off, s[0:3], 0 offset:96
	v_cmpx_lt_u32_e32 11, v0
	s_cbranch_execz .LBB122_341
; %bb.340:
	s_clause 0x1
	buffer_load_dword v120, off, s[0:3], 0 offset:88
	buffer_load_dword v121, off, s[0:3], 0 offset:92
	v_mov_b32_e32 v122, 0
	buffer_store_dword v122, off, s[0:3], 0 offset:88
	buffer_store_dword v122, off, s[0:3], 0 offset:92
	s_waitcnt vmcnt(0)
	ds_write_b64 v119, v[120:121]
.LBB122_341:
	s_or_b32 exec_lo, exec_lo, s4
	s_waitcnt lgkmcnt(0)
	s_waitcnt_vscnt null, 0x0
	s_barrier
	buffer_gl0_inv
	s_clause 0x1b
	buffer_load_dword v125, off, s[0:3], 0 offset:96
	buffer_load_dword v126, off, s[0:3], 0 offset:100
	;; [unrolled: 1-line block ×28, first 2 shown]
	v_mov_b32_e32 v120, 0
	s_mov_b32 s4, exec_lo
	ds_read_b128 v[121:124], v120 offset:576
	s_clause 0x1
	buffer_load_dword v153, off, s[0:3], 0 offset:208
	buffer_load_dword v154, off, s[0:3], 0 offset:212
	s_waitcnt vmcnt(28) lgkmcnt(0)
	v_fma_f64 v[121:122], v[125:126], v[121:122], 0
	s_clause 0x1
	buffer_load_dword v126, off, s[0:3], 0 offset:220
	buffer_load_dword v125, off, s[0:3], 0 offset:216
	s_waitcnt vmcnt(28)
	v_fma_f64 v[127:128], v[127:128], v[123:124], v[121:122]
	ds_read_b128 v[121:124], v120 offset:592
	s_clause 0x1
	buffer_load_dword v155, off, s[0:3], 0 offset:224
	buffer_load_dword v156, off, s[0:3], 0 offset:228
	s_waitcnt vmcnt(28) lgkmcnt(0)
	v_fma_f64 v[121:122], v[129:130], v[121:122], v[127:128]
	s_clause 0x1
	buffer_load_dword v127, off, s[0:3], 0 offset:232
	buffer_load_dword v128, off, s[0:3], 0 offset:236
	s_waitcnt vmcnt(28)
	v_fma_f64 v[129:130], v[131:132], v[123:124], v[121:122]
	;; [unrolled: 11-line block ×17, first 2 shown]
	ds_read_b128 v[121:124], v120 offset:848
	s_waitcnt vmcnt(26) lgkmcnt(0)
	v_fma_f64 v[121:122], v[131:132], v[121:122], v[127:128]
	s_waitcnt vmcnt(24)
	v_fma_f64 v[127:128], v[129:130], v[123:124], v[121:122]
	ds_read_b128 v[121:124], v120 offset:864
	s_waitcnt vmcnt(22) lgkmcnt(0)
	v_fma_f64 v[121:122], v[135:136], v[121:122], v[127:128]
	s_waitcnt vmcnt(20)
	v_fma_f64 v[127:128], v[133:134], v[123:124], v[121:122]
	;; [unrolled: 5-line block ×6, first 2 shown]
	ds_read_b64 v[123:124], v120 offset:944
	s_waitcnt vmcnt(2) lgkmcnt(0)
	v_fma_f64 v[121:122], v[153:154], v[123:124], v[121:122]
	s_waitcnt vmcnt(0)
	v_add_f64 v[121:122], v[125:126], -v[121:122]
	buffer_store_dword v122, off, s[0:3], 0 offset:92
	buffer_store_dword v121, off, s[0:3], 0 offset:88
	v_cmpx_lt_u32_e32 10, v0
	s_cbranch_execz .LBB122_343
; %bb.342:
	s_clause 0x1
	buffer_load_dword v121, off, s[0:3], 0 offset:80
	buffer_load_dword v122, off, s[0:3], 0 offset:84
	buffer_store_dword v120, off, s[0:3], 0 offset:80
	buffer_store_dword v120, off, s[0:3], 0 offset:84
	s_waitcnt vmcnt(0)
	ds_write_b64 v119, v[121:122]
.LBB122_343:
	s_or_b32 exec_lo, exec_lo, s4
	s_waitcnt lgkmcnt(0)
	s_waitcnt_vscnt null, 0x0
	s_barrier
	buffer_gl0_inv
	s_clause 0x1b
	buffer_load_dword v125, off, s[0:3], 0 offset:88
	buffer_load_dword v126, off, s[0:3], 0 offset:92
	;; [unrolled: 1-line block ×28, first 2 shown]
	ds_read2_b64 v[121:124], v120 offset0:71 offset1:72
	s_clause 0x1
	buffer_load_dword v153, off, s[0:3], 0 offset:200
	buffer_load_dword v154, off, s[0:3], 0 offset:204
	s_mov_b32 s4, exec_lo
	s_waitcnt vmcnt(28) lgkmcnt(0)
	v_fma_f64 v[121:122], v[125:126], v[121:122], 0
	s_clause 0x1
	buffer_load_dword v126, off, s[0:3], 0 offset:212
	buffer_load_dword v125, off, s[0:3], 0 offset:208
	s_waitcnt vmcnt(28)
	v_fma_f64 v[127:128], v[127:128], v[123:124], v[121:122]
	ds_read2_b64 v[121:124], v120 offset0:73 offset1:74
	s_clause 0x1
	buffer_load_dword v155, off, s[0:3], 0 offset:216
	buffer_load_dword v156, off, s[0:3], 0 offset:220
	s_waitcnt vmcnt(28) lgkmcnt(0)
	v_fma_f64 v[121:122], v[129:130], v[121:122], v[127:128]
	s_clause 0x1
	buffer_load_dword v127, off, s[0:3], 0 offset:224
	buffer_load_dword v128, off, s[0:3], 0 offset:228
	s_waitcnt vmcnt(28)
	v_fma_f64 v[129:130], v[131:132], v[123:124], v[121:122]
	ds_read2_b64 v[121:124], v120 offset0:75 offset1:76
	s_clause 0x1
	buffer_load_dword v131, off, s[0:3], 0 offset:232
	buffer_load_dword v132, off, s[0:3], 0 offset:236
	;; [unrolled: 11-line block ×17, first 2 shown]
	s_waitcnt vmcnt(28) lgkmcnt(0)
	v_fma_f64 v[121:122], v[131:132], v[121:122], v[127:128]
	s_waitcnt vmcnt(26)
	v_fma_f64 v[127:128], v[129:130], v[123:124], v[121:122]
	ds_read2_b64 v[121:124], v120 offset0:107 offset1:108
	s_waitcnt vmcnt(24) lgkmcnt(0)
	v_fma_f64 v[121:122], v[135:136], v[121:122], v[127:128]
	s_waitcnt vmcnt(22)
	v_fma_f64 v[127:128], v[133:134], v[123:124], v[121:122]
	ds_read2_b64 v[121:124], v120 offset0:109 offset1:110
	;; [unrolled: 5-line block ×6, first 2 shown]
	s_waitcnt vmcnt(4) lgkmcnt(0)
	v_fma_f64 v[120:121], v[153:154], v[120:121], v[127:128]
	s_waitcnt vmcnt(2)
	v_fma_f64 v[120:121], v[125:126], v[122:123], v[120:121]
	s_waitcnt vmcnt(0)
	v_add_f64 v[120:121], v[155:156], -v[120:121]
	buffer_store_dword v121, off, s[0:3], 0 offset:84
	buffer_store_dword v120, off, s[0:3], 0 offset:80
	v_cmpx_lt_u32_e32 9, v0
	s_cbranch_execz .LBB122_345
; %bb.344:
	s_clause 0x1
	buffer_load_dword v120, off, s[0:3], 0 offset:72
	buffer_load_dword v121, off, s[0:3], 0 offset:76
	v_mov_b32_e32 v122, 0
	buffer_store_dword v122, off, s[0:3], 0 offset:72
	buffer_store_dword v122, off, s[0:3], 0 offset:76
	s_waitcnt vmcnt(0)
	ds_write_b64 v119, v[120:121]
.LBB122_345:
	s_or_b32 exec_lo, exec_lo, s4
	s_waitcnt lgkmcnt(0)
	s_waitcnt_vscnt null, 0x0
	s_barrier
	buffer_gl0_inv
	s_clause 0x1b
	buffer_load_dword v125, off, s[0:3], 0 offset:80
	buffer_load_dword v126, off, s[0:3], 0 offset:84
	;; [unrolled: 1-line block ×28, first 2 shown]
	v_mov_b32_e32 v120, 0
	s_mov_b32 s4, exec_lo
	ds_read_b128 v[121:124], v120 offset:560
	s_clause 0x1
	buffer_load_dword v153, off, s[0:3], 0 offset:192
	buffer_load_dword v154, off, s[0:3], 0 offset:196
	s_waitcnt vmcnt(28) lgkmcnt(0)
	v_fma_f64 v[121:122], v[125:126], v[121:122], 0
	s_clause 0x1
	buffer_load_dword v126, off, s[0:3], 0 offset:204
	buffer_load_dword v125, off, s[0:3], 0 offset:200
	s_waitcnt vmcnt(28)
	v_fma_f64 v[127:128], v[127:128], v[123:124], v[121:122]
	ds_read_b128 v[121:124], v120 offset:576
	s_clause 0x1
	buffer_load_dword v155, off, s[0:3], 0 offset:208
	buffer_load_dword v156, off, s[0:3], 0 offset:212
	s_waitcnt vmcnt(28) lgkmcnt(0)
	v_fma_f64 v[121:122], v[129:130], v[121:122], v[127:128]
	s_clause 0x1
	buffer_load_dword v127, off, s[0:3], 0 offset:216
	buffer_load_dword v128, off, s[0:3], 0 offset:220
	s_waitcnt vmcnt(28)
	v_fma_f64 v[129:130], v[131:132], v[123:124], v[121:122]
	;; [unrolled: 11-line block ×18, first 2 shown]
	ds_read_b128 v[121:124], v120 offset:848
	s_waitcnt vmcnt(26) lgkmcnt(0)
	v_fma_f64 v[121:122], v[135:136], v[121:122], v[129:130]
	s_waitcnt vmcnt(24)
	v_fma_f64 v[129:130], v[133:134], v[123:124], v[121:122]
	ds_read_b128 v[121:124], v120 offset:864
	s_waitcnt vmcnt(22) lgkmcnt(0)
	v_fma_f64 v[121:122], v[139:140], v[121:122], v[129:130]
	s_waitcnt vmcnt(20)
	v_fma_f64 v[129:130], v[137:138], v[123:124], v[121:122]
	;; [unrolled: 5-line block ×6, first 2 shown]
	ds_read_b64 v[123:124], v120 offset:944
	s_waitcnt vmcnt(2) lgkmcnt(0)
	v_fma_f64 v[121:122], v[155:156], v[123:124], v[121:122]
	s_waitcnt vmcnt(0)
	v_add_f64 v[121:122], v[127:128], -v[121:122]
	buffer_store_dword v122, off, s[0:3], 0 offset:76
	buffer_store_dword v121, off, s[0:3], 0 offset:72
	v_cmpx_lt_u32_e32 8, v0
	s_cbranch_execz .LBB122_347
; %bb.346:
	s_clause 0x1
	buffer_load_dword v121, off, s[0:3], 0 offset:64
	buffer_load_dword v122, off, s[0:3], 0 offset:68
	buffer_store_dword v120, off, s[0:3], 0 offset:64
	buffer_store_dword v120, off, s[0:3], 0 offset:68
	s_waitcnt vmcnt(0)
	ds_write_b64 v119, v[121:122]
.LBB122_347:
	s_or_b32 exec_lo, exec_lo, s4
	s_waitcnt lgkmcnt(0)
	s_waitcnt_vscnt null, 0x0
	s_barrier
	buffer_gl0_inv
	s_clause 0x1b
	buffer_load_dword v125, off, s[0:3], 0 offset:72
	buffer_load_dword v126, off, s[0:3], 0 offset:76
	;; [unrolled: 1-line block ×28, first 2 shown]
	ds_read2_b64 v[121:124], v120 offset0:69 offset1:70
	s_clause 0x1
	buffer_load_dword v153, off, s[0:3], 0 offset:184
	buffer_load_dword v154, off, s[0:3], 0 offset:188
	s_mov_b32 s4, exec_lo
	s_waitcnt vmcnt(28) lgkmcnt(0)
	v_fma_f64 v[121:122], v[125:126], v[121:122], 0
	s_clause 0x1
	buffer_load_dword v126, off, s[0:3], 0 offset:196
	buffer_load_dword v125, off, s[0:3], 0 offset:192
	s_waitcnt vmcnt(28)
	v_fma_f64 v[127:128], v[127:128], v[123:124], v[121:122]
	ds_read2_b64 v[121:124], v120 offset0:71 offset1:72
	s_clause 0x1
	buffer_load_dword v155, off, s[0:3], 0 offset:200
	buffer_load_dword v156, off, s[0:3], 0 offset:204
	s_waitcnt vmcnt(28) lgkmcnt(0)
	v_fma_f64 v[121:122], v[129:130], v[121:122], v[127:128]
	s_clause 0x1
	buffer_load_dword v127, off, s[0:3], 0 offset:208
	buffer_load_dword v128, off, s[0:3], 0 offset:212
	s_waitcnt vmcnt(28)
	v_fma_f64 v[129:130], v[131:132], v[123:124], v[121:122]
	ds_read2_b64 v[121:124], v120 offset0:73 offset1:74
	s_clause 0x1
	buffer_load_dword v131, off, s[0:3], 0 offset:216
	buffer_load_dword v132, off, s[0:3], 0 offset:220
	;; [unrolled: 11-line block ×18, first 2 shown]
	s_waitcnt vmcnt(28) lgkmcnt(0)
	v_fma_f64 v[121:122], v[135:136], v[121:122], v[129:130]
	s_waitcnt vmcnt(26)
	v_fma_f64 v[129:130], v[133:134], v[123:124], v[121:122]
	ds_read2_b64 v[121:124], v120 offset0:107 offset1:108
	s_waitcnt vmcnt(24) lgkmcnt(0)
	v_fma_f64 v[121:122], v[139:140], v[121:122], v[129:130]
	s_waitcnt vmcnt(22)
	v_fma_f64 v[129:130], v[137:138], v[123:124], v[121:122]
	ds_read2_b64 v[121:124], v120 offset0:109 offset1:110
	;; [unrolled: 5-line block ×6, first 2 shown]
	s_waitcnt vmcnt(4) lgkmcnt(0)
	v_fma_f64 v[120:121], v[155:156], v[120:121], v[124:125]
	s_waitcnt vmcnt(2)
	v_fma_f64 v[120:121], v[127:128], v[122:123], v[120:121]
	s_waitcnt vmcnt(0)
	v_add_f64 v[120:121], v[131:132], -v[120:121]
	buffer_store_dword v121, off, s[0:3], 0 offset:68
	buffer_store_dword v120, off, s[0:3], 0 offset:64
	v_cmpx_lt_u32_e32 7, v0
	s_cbranch_execz .LBB122_349
; %bb.348:
	s_clause 0x1
	buffer_load_dword v120, off, s[0:3], 0 offset:56
	buffer_load_dword v121, off, s[0:3], 0 offset:60
	v_mov_b32_e32 v122, 0
	buffer_store_dword v122, off, s[0:3], 0 offset:56
	buffer_store_dword v122, off, s[0:3], 0 offset:60
	s_waitcnt vmcnt(0)
	ds_write_b64 v119, v[120:121]
.LBB122_349:
	s_or_b32 exec_lo, exec_lo, s4
	s_waitcnt lgkmcnt(0)
	s_waitcnt_vscnt null, 0x0
	s_barrier
	buffer_gl0_inv
	s_clause 0x1b
	buffer_load_dword v125, off, s[0:3], 0 offset:64
	buffer_load_dword v126, off, s[0:3], 0 offset:68
	;; [unrolled: 1-line block ×28, first 2 shown]
	v_mov_b32_e32 v120, 0
	s_mov_b32 s4, exec_lo
	ds_read_b128 v[121:124], v120 offset:544
	s_clause 0x1
	buffer_load_dword v153, off, s[0:3], 0 offset:176
	buffer_load_dword v154, off, s[0:3], 0 offset:180
	s_waitcnt vmcnt(28) lgkmcnt(0)
	v_fma_f64 v[121:122], v[125:126], v[121:122], 0
	s_clause 0x1
	buffer_load_dword v126, off, s[0:3], 0 offset:188
	buffer_load_dword v125, off, s[0:3], 0 offset:184
	s_waitcnt vmcnt(28)
	v_fma_f64 v[127:128], v[127:128], v[123:124], v[121:122]
	ds_read_b128 v[121:124], v120 offset:560
	s_clause 0x1
	buffer_load_dword v155, off, s[0:3], 0 offset:192
	buffer_load_dword v156, off, s[0:3], 0 offset:196
	s_waitcnt vmcnt(28) lgkmcnt(0)
	v_fma_f64 v[121:122], v[129:130], v[121:122], v[127:128]
	s_clause 0x1
	buffer_load_dword v127, off, s[0:3], 0 offset:200
	buffer_load_dword v128, off, s[0:3], 0 offset:204
	s_waitcnt vmcnt(28)
	v_fma_f64 v[129:130], v[131:132], v[123:124], v[121:122]
	;; [unrolled: 11-line block ×19, first 2 shown]
	ds_read_b128 v[121:124], v120 offset:848
	s_waitcnt vmcnt(26) lgkmcnt(0)
	v_fma_f64 v[121:122], v[139:140], v[121:122], v[133:134]
	s_waitcnt vmcnt(24)
	v_fma_f64 v[133:134], v[137:138], v[123:124], v[121:122]
	ds_read_b128 v[121:124], v120 offset:864
	s_waitcnt vmcnt(22) lgkmcnt(0)
	v_fma_f64 v[121:122], v[143:144], v[121:122], v[133:134]
	s_waitcnt vmcnt(20)
	v_fma_f64 v[133:134], v[141:142], v[123:124], v[121:122]
	;; [unrolled: 5-line block ×6, first 2 shown]
	ds_read_b64 v[123:124], v120 offset:944
	s_waitcnt vmcnt(2) lgkmcnt(0)
	v_fma_f64 v[121:122], v[131:132], v[123:124], v[121:122]
	s_waitcnt vmcnt(0)
	v_add_f64 v[121:122], v[129:130], -v[121:122]
	buffer_store_dword v122, off, s[0:3], 0 offset:60
	buffer_store_dword v121, off, s[0:3], 0 offset:56
	v_cmpx_lt_u32_e32 6, v0
	s_cbranch_execz .LBB122_351
; %bb.350:
	s_clause 0x1
	buffer_load_dword v121, off, s[0:3], 0 offset:48
	buffer_load_dword v122, off, s[0:3], 0 offset:52
	buffer_store_dword v120, off, s[0:3], 0 offset:48
	buffer_store_dword v120, off, s[0:3], 0 offset:52
	s_waitcnt vmcnt(0)
	ds_write_b64 v119, v[121:122]
.LBB122_351:
	s_or_b32 exec_lo, exec_lo, s4
	s_waitcnt lgkmcnt(0)
	s_waitcnt_vscnt null, 0x0
	s_barrier
	buffer_gl0_inv
	s_clause 0x1b
	buffer_load_dword v125, off, s[0:3], 0 offset:56
	buffer_load_dword v126, off, s[0:3], 0 offset:60
	;; [unrolled: 1-line block ×28, first 2 shown]
	ds_read2_b64 v[121:124], v120 offset0:67 offset1:68
	s_clause 0x1
	buffer_load_dword v153, off, s[0:3], 0 offset:168
	buffer_load_dword v154, off, s[0:3], 0 offset:172
	s_mov_b32 s4, exec_lo
	s_waitcnt vmcnt(28) lgkmcnt(0)
	v_fma_f64 v[121:122], v[125:126], v[121:122], 0
	s_clause 0x1
	buffer_load_dword v126, off, s[0:3], 0 offset:180
	buffer_load_dword v125, off, s[0:3], 0 offset:176
	s_waitcnt vmcnt(28)
	v_fma_f64 v[127:128], v[127:128], v[123:124], v[121:122]
	ds_read2_b64 v[121:124], v120 offset0:69 offset1:70
	s_clause 0x1
	buffer_load_dword v155, off, s[0:3], 0 offset:184
	buffer_load_dword v156, off, s[0:3], 0 offset:188
	s_waitcnt vmcnt(28) lgkmcnt(0)
	v_fma_f64 v[121:122], v[129:130], v[121:122], v[127:128]
	s_clause 0x1
	buffer_load_dword v127, off, s[0:3], 0 offset:192
	buffer_load_dword v128, off, s[0:3], 0 offset:196
	s_waitcnt vmcnt(28)
	v_fma_f64 v[129:130], v[131:132], v[123:124], v[121:122]
	ds_read2_b64 v[121:124], v120 offset0:71 offset1:72
	s_clause 0x1
	buffer_load_dword v131, off, s[0:3], 0 offset:200
	buffer_load_dword v132, off, s[0:3], 0 offset:204
	;; [unrolled: 11-line block ×19, first 2 shown]
	s_waitcnt vmcnt(28) lgkmcnt(0)
	v_fma_f64 v[121:122], v[139:140], v[121:122], v[133:134]
	s_waitcnt vmcnt(26)
	v_fma_f64 v[133:134], v[137:138], v[123:124], v[121:122]
	ds_read2_b64 v[121:124], v120 offset0:107 offset1:108
	s_waitcnt vmcnt(24) lgkmcnt(0)
	v_fma_f64 v[121:122], v[143:144], v[121:122], v[133:134]
	s_waitcnt vmcnt(22)
	v_fma_f64 v[133:134], v[141:142], v[123:124], v[121:122]
	ds_read2_b64 v[121:124], v120 offset0:109 offset1:110
	;; [unrolled: 5-line block ×6, first 2 shown]
	s_waitcnt vmcnt(4) lgkmcnt(0)
	v_fma_f64 v[120:121], v[131:132], v[120:121], v[124:125]
	s_waitcnt vmcnt(2)
	v_fma_f64 v[120:121], v[129:130], v[122:123], v[120:121]
	s_waitcnt vmcnt(0)
	v_add_f64 v[120:121], v[135:136], -v[120:121]
	buffer_store_dword v121, off, s[0:3], 0 offset:52
	buffer_store_dword v120, off, s[0:3], 0 offset:48
	v_cmpx_lt_u32_e32 5, v0
	s_cbranch_execz .LBB122_353
; %bb.352:
	s_clause 0x1
	buffer_load_dword v120, off, s[0:3], 0 offset:40
	buffer_load_dword v121, off, s[0:3], 0 offset:44
	v_mov_b32_e32 v122, 0
	buffer_store_dword v122, off, s[0:3], 0 offset:40
	buffer_store_dword v122, off, s[0:3], 0 offset:44
	s_waitcnt vmcnt(0)
	ds_write_b64 v119, v[120:121]
.LBB122_353:
	s_or_b32 exec_lo, exec_lo, s4
	s_waitcnt lgkmcnt(0)
	s_waitcnt_vscnt null, 0x0
	s_barrier
	buffer_gl0_inv
	s_clause 0x1b
	buffer_load_dword v125, off, s[0:3], 0 offset:48
	buffer_load_dword v126, off, s[0:3], 0 offset:52
	;; [unrolled: 1-line block ×28, first 2 shown]
	v_mov_b32_e32 v120, 0
	s_mov_b32 s4, exec_lo
	ds_read_b128 v[121:124], v120 offset:528
	s_clause 0x1
	buffer_load_dword v153, off, s[0:3], 0 offset:160
	buffer_load_dword v154, off, s[0:3], 0 offset:164
	s_waitcnt vmcnt(28) lgkmcnt(0)
	v_fma_f64 v[121:122], v[125:126], v[121:122], 0
	s_clause 0x1
	buffer_load_dword v126, off, s[0:3], 0 offset:172
	buffer_load_dword v125, off, s[0:3], 0 offset:168
	s_waitcnt vmcnt(28)
	v_fma_f64 v[127:128], v[127:128], v[123:124], v[121:122]
	ds_read_b128 v[121:124], v120 offset:544
	s_clause 0x1
	buffer_load_dword v155, off, s[0:3], 0 offset:176
	buffer_load_dword v156, off, s[0:3], 0 offset:180
	s_waitcnt vmcnt(28) lgkmcnt(0)
	v_fma_f64 v[121:122], v[129:130], v[121:122], v[127:128]
	s_clause 0x1
	buffer_load_dword v127, off, s[0:3], 0 offset:184
	buffer_load_dword v128, off, s[0:3], 0 offset:188
	s_waitcnt vmcnt(28)
	v_fma_f64 v[129:130], v[131:132], v[123:124], v[121:122]
	ds_read_b128 v[121:124], v120 offset:560
	s_clause 0x1
	buffer_load_dword v131, off, s[0:3], 0 offset:192
	buffer_load_dword v132, off, s[0:3], 0 offset:196
	s_waitcnt vmcnt(28) lgkmcnt(0)
	v_fma_f64 v[121:122], v[133:134], v[121:122], v[129:130]
	s_clause 0x1
	buffer_load_dword v130, off, s[0:3], 0 offset:204
	buffer_load_dword v129, off, s[0:3], 0 offset:200
	s_waitcnt vmcnt(28)
	v_fma_f64 v[133:134], v[135:136], v[123:124], v[121:122]
	ds_read_b128 v[121:124], v120 offset:576
	s_clause 0x1
	buffer_load_dword v135, off, s[0:3], 0 offset:208
	buffer_load_dword v136, off, s[0:3], 0 offset:212
	s_waitcnt vmcnt(28) lgkmcnt(0)
	v_fma_f64 v[121:122], v[137:138], v[121:122], v[133:134]
	s_clause 0x1
	buffer_load_dword v133, off, s[0:3], 0 offset:216
	buffer_load_dword v134, off, s[0:3], 0 offset:220
	s_waitcnt vmcnt(28)
	v_fma_f64 v[137:138], v[139:140], v[123:124], v[121:122]
	ds_read_b128 v[121:124], v120 offset:592
	s_clause 0x1
	buffer_load_dword v139, off, s[0:3], 0 offset:224
	buffer_load_dword v140, off, s[0:3], 0 offset:228
	s_waitcnt vmcnt(28) lgkmcnt(0)
	v_fma_f64 v[121:122], v[141:142], v[121:122], v[137:138]
	s_clause 0x1
	buffer_load_dword v138, off, s[0:3], 0 offset:236
	buffer_load_dword v137, off, s[0:3], 0 offset:232
	s_waitcnt vmcnt(28)
	v_fma_f64 v[141:142], v[143:144], v[123:124], v[121:122]
	ds_read_b128 v[121:124], v120 offset:608
	s_clause 0x1
	buffer_load_dword v143, off, s[0:3], 0 offset:240
	buffer_load_dword v144, off, s[0:3], 0 offset:244
	s_waitcnt vmcnt(28) lgkmcnt(0)
	v_fma_f64 v[121:122], v[145:146], v[121:122], v[141:142]
	s_clause 0x1
	buffer_load_dword v141, off, s[0:3], 0 offset:248
	buffer_load_dword v142, off, s[0:3], 0 offset:252
	s_waitcnt vmcnt(28)
	v_fma_f64 v[145:146], v[147:148], v[123:124], v[121:122]
	ds_read_b128 v[121:124], v120 offset:624
	s_clause 0x1
	buffer_load_dword v147, off, s[0:3], 0 offset:256
	buffer_load_dword v148, off, s[0:3], 0 offset:260
	s_waitcnt vmcnt(28) lgkmcnt(0)
	v_fma_f64 v[121:122], v[149:150], v[121:122], v[145:146]
	s_clause 0x1
	buffer_load_dword v146, off, s[0:3], 0 offset:268
	buffer_load_dword v145, off, s[0:3], 0 offset:264
	s_waitcnt vmcnt(28)
	v_fma_f64 v[149:150], v[151:152], v[123:124], v[121:122]
	ds_read_b128 v[121:124], v120 offset:640
	s_clause 0x1
	buffer_load_dword v151, off, s[0:3], 0 offset:272
	buffer_load_dword v152, off, s[0:3], 0 offset:276
	s_waitcnt vmcnt(28) lgkmcnt(0)
	v_fma_f64 v[121:122], v[153:154], v[121:122], v[149:150]
	s_clause 0x1
	buffer_load_dword v149, off, s[0:3], 0 offset:280
	buffer_load_dword v150, off, s[0:3], 0 offset:284
	s_waitcnt vmcnt(28)
	v_fma_f64 v[125:126], v[125:126], v[123:124], v[121:122]
	ds_read_b128 v[121:124], v120 offset:656
	s_clause 0x1
	buffer_load_dword v153, off, s[0:3], 0 offset:288
	buffer_load_dword v154, off, s[0:3], 0 offset:292
	s_waitcnt vmcnt(28) lgkmcnt(0)
	v_fma_f64 v[121:122], v[155:156], v[121:122], v[125:126]
	s_clause 0x1
	buffer_load_dword v126, off, s[0:3], 0 offset:300
	buffer_load_dword v125, off, s[0:3], 0 offset:296
	s_waitcnt vmcnt(28)
	v_fma_f64 v[127:128], v[127:128], v[123:124], v[121:122]
	ds_read_b128 v[121:124], v120 offset:672
	s_clause 0x1
	buffer_load_dword v155, off, s[0:3], 0 offset:304
	buffer_load_dword v156, off, s[0:3], 0 offset:308
	s_waitcnt vmcnt(28) lgkmcnt(0)
	v_fma_f64 v[121:122], v[131:132], v[121:122], v[127:128]
	s_clause 0x1
	buffer_load_dword v127, off, s[0:3], 0 offset:312
	buffer_load_dword v128, off, s[0:3], 0 offset:316
	s_waitcnt vmcnt(28)
	v_fma_f64 v[129:130], v[129:130], v[123:124], v[121:122]
	ds_read_b128 v[121:124], v120 offset:688
	s_clause 0x1
	buffer_load_dword v131, off, s[0:3], 0 offset:320
	buffer_load_dword v132, off, s[0:3], 0 offset:324
	s_waitcnt vmcnt(28) lgkmcnt(0)
	v_fma_f64 v[121:122], v[135:136], v[121:122], v[129:130]
	s_clause 0x1
	buffer_load_dword v130, off, s[0:3], 0 offset:332
	buffer_load_dword v129, off, s[0:3], 0 offset:328
	s_waitcnt vmcnt(28)
	v_fma_f64 v[133:134], v[133:134], v[123:124], v[121:122]
	ds_read_b128 v[121:124], v120 offset:704
	s_clause 0x1
	buffer_load_dword v135, off, s[0:3], 0 offset:336
	buffer_load_dword v136, off, s[0:3], 0 offset:340
	s_waitcnt vmcnt(28) lgkmcnt(0)
	v_fma_f64 v[121:122], v[139:140], v[121:122], v[133:134]
	s_clause 0x1
	buffer_load_dword v133, off, s[0:3], 0 offset:344
	buffer_load_dword v134, off, s[0:3], 0 offset:348
	s_waitcnt vmcnt(28)
	v_fma_f64 v[137:138], v[137:138], v[123:124], v[121:122]
	ds_read_b128 v[121:124], v120 offset:720
	s_clause 0x1
	buffer_load_dword v139, off, s[0:3], 0 offset:352
	buffer_load_dword v140, off, s[0:3], 0 offset:356
	s_waitcnt vmcnt(28) lgkmcnt(0)
	v_fma_f64 v[121:122], v[143:144], v[121:122], v[137:138]
	s_clause 0x1
	buffer_load_dword v138, off, s[0:3], 0 offset:364
	buffer_load_dword v137, off, s[0:3], 0 offset:360
	s_waitcnt vmcnt(28)
	v_fma_f64 v[141:142], v[141:142], v[123:124], v[121:122]
	ds_read_b128 v[121:124], v120 offset:736
	s_clause 0x1
	buffer_load_dword v143, off, s[0:3], 0 offset:368
	buffer_load_dword v144, off, s[0:3], 0 offset:372
	s_waitcnt vmcnt(28) lgkmcnt(0)
	v_fma_f64 v[121:122], v[147:148], v[121:122], v[141:142]
	s_clause 0x1
	buffer_load_dword v141, off, s[0:3], 0 offset:376
	buffer_load_dword v142, off, s[0:3], 0 offset:380
	s_waitcnt vmcnt(28)
	v_fma_f64 v[145:146], v[145:146], v[123:124], v[121:122]
	ds_read_b128 v[121:124], v120 offset:752
	s_clause 0x1
	buffer_load_dword v147, off, s[0:3], 0 offset:384
	buffer_load_dword v148, off, s[0:3], 0 offset:388
	s_waitcnt vmcnt(28) lgkmcnt(0)
	v_fma_f64 v[121:122], v[151:152], v[121:122], v[145:146]
	s_clause 0x1
	buffer_load_dword v146, off, s[0:3], 0 offset:396
	buffer_load_dword v145, off, s[0:3], 0 offset:392
	s_waitcnt vmcnt(28)
	v_fma_f64 v[149:150], v[149:150], v[123:124], v[121:122]
	ds_read_b128 v[121:124], v120 offset:768
	s_clause 0x1
	buffer_load_dword v151, off, s[0:3], 0 offset:400
	buffer_load_dword v152, off, s[0:3], 0 offset:404
	s_waitcnt vmcnt(28) lgkmcnt(0)
	v_fma_f64 v[121:122], v[153:154], v[121:122], v[149:150]
	s_clause 0x1
	buffer_load_dword v149, off, s[0:3], 0 offset:408
	buffer_load_dword v150, off, s[0:3], 0 offset:412
	s_waitcnt vmcnt(28)
	v_fma_f64 v[125:126], v[125:126], v[123:124], v[121:122]
	ds_read_b128 v[121:124], v120 offset:784
	s_clause 0x1
	buffer_load_dword v153, off, s[0:3], 0 offset:416
	buffer_load_dword v154, off, s[0:3], 0 offset:420
	s_waitcnt vmcnt(28) lgkmcnt(0)
	v_fma_f64 v[121:122], v[155:156], v[121:122], v[125:126]
	s_clause 0x1
	buffer_load_dword v126, off, s[0:3], 0 offset:428
	buffer_load_dword v125, off, s[0:3], 0 offset:424
	s_waitcnt vmcnt(28)
	v_fma_f64 v[127:128], v[127:128], v[123:124], v[121:122]
	ds_read_b128 v[121:124], v120 offset:800
	s_clause 0x1
	buffer_load_dword v155, off, s[0:3], 0 offset:432
	buffer_load_dword v156, off, s[0:3], 0 offset:436
	s_waitcnt vmcnt(28) lgkmcnt(0)
	v_fma_f64 v[121:122], v[131:132], v[121:122], v[127:128]
	s_clause 0x1
	buffer_load_dword v127, off, s[0:3], 0 offset:440
	buffer_load_dword v128, off, s[0:3], 0 offset:444
	s_waitcnt vmcnt(28)
	v_fma_f64 v[129:130], v[129:130], v[123:124], v[121:122]
	ds_read_b128 v[121:124], v120 offset:816
	s_clause 0x1
	buffer_load_dword v131, off, s[0:3], 0 offset:448
	buffer_load_dword v132, off, s[0:3], 0 offset:452
	s_waitcnt vmcnt(28) lgkmcnt(0)
	v_fma_f64 v[121:122], v[135:136], v[121:122], v[129:130]
	s_clause 0x1
	buffer_load_dword v130, off, s[0:3], 0 offset:460
	buffer_load_dword v129, off, s[0:3], 0 offset:456
	s_waitcnt vmcnt(28)
	v_fma_f64 v[133:134], v[133:134], v[123:124], v[121:122]
	ds_read_b128 v[121:124], v120 offset:832
	s_clause 0x1
	buffer_load_dword v135, off, s[0:3], 0 offset:464
	buffer_load_dword v136, off, s[0:3], 0 offset:468
	s_waitcnt vmcnt(28) lgkmcnt(0)
	v_fma_f64 v[121:122], v[139:140], v[121:122], v[133:134]
	s_clause 0x1
	buffer_load_dword v133, off, s[0:3], 0 offset:40
	buffer_load_dword v134, off, s[0:3], 0 offset:44
	s_waitcnt vmcnt(28)
	v_fma_f64 v[137:138], v[137:138], v[123:124], v[121:122]
	ds_read_b128 v[121:124], v120 offset:848
	s_waitcnt vmcnt(26) lgkmcnt(0)
	v_fma_f64 v[121:122], v[143:144], v[121:122], v[137:138]
	s_waitcnt vmcnt(24)
	v_fma_f64 v[137:138], v[141:142], v[123:124], v[121:122]
	ds_read_b128 v[121:124], v120 offset:864
	s_waitcnt vmcnt(22) lgkmcnt(0)
	v_fma_f64 v[121:122], v[147:148], v[121:122], v[137:138]
	s_waitcnt vmcnt(20)
	v_fma_f64 v[137:138], v[145:146], v[123:124], v[121:122]
	;; [unrolled: 5-line block ×6, first 2 shown]
	ds_read_b64 v[123:124], v120 offset:944
	s_waitcnt vmcnt(2) lgkmcnt(0)
	v_fma_f64 v[121:122], v[135:136], v[123:124], v[121:122]
	s_waitcnt vmcnt(0)
	v_add_f64 v[121:122], v[133:134], -v[121:122]
	buffer_store_dword v122, off, s[0:3], 0 offset:44
	buffer_store_dword v121, off, s[0:3], 0 offset:40
	v_cmpx_lt_u32_e32 4, v0
	s_cbranch_execz .LBB122_355
; %bb.354:
	s_clause 0x1
	buffer_load_dword v121, off, s[0:3], 0 offset:32
	buffer_load_dword v122, off, s[0:3], 0 offset:36
	buffer_store_dword v120, off, s[0:3], 0 offset:32
	buffer_store_dword v120, off, s[0:3], 0 offset:36
	s_waitcnt vmcnt(0)
	ds_write_b64 v119, v[121:122]
.LBB122_355:
	s_or_b32 exec_lo, exec_lo, s4
	s_waitcnt lgkmcnt(0)
	s_waitcnt_vscnt null, 0x0
	s_barrier
	buffer_gl0_inv
	s_clause 0x1b
	buffer_load_dword v125, off, s[0:3], 0 offset:40
	buffer_load_dword v126, off, s[0:3], 0 offset:44
	;; [unrolled: 1-line block ×28, first 2 shown]
	ds_read2_b64 v[121:124], v120 offset0:65 offset1:66
	s_clause 0x1
	buffer_load_dword v153, off, s[0:3], 0 offset:152
	buffer_load_dword v154, off, s[0:3], 0 offset:156
	s_mov_b32 s4, exec_lo
	s_waitcnt vmcnt(28) lgkmcnt(0)
	v_fma_f64 v[121:122], v[125:126], v[121:122], 0
	s_clause 0x1
	buffer_load_dword v126, off, s[0:3], 0 offset:164
	buffer_load_dword v125, off, s[0:3], 0 offset:160
	s_waitcnt vmcnt(28)
	v_fma_f64 v[127:128], v[127:128], v[123:124], v[121:122]
	ds_read2_b64 v[121:124], v120 offset0:67 offset1:68
	s_clause 0x1
	buffer_load_dword v155, off, s[0:3], 0 offset:168
	buffer_load_dword v156, off, s[0:3], 0 offset:172
	s_waitcnt vmcnt(28) lgkmcnt(0)
	v_fma_f64 v[121:122], v[129:130], v[121:122], v[127:128]
	s_clause 0x1
	buffer_load_dword v127, off, s[0:3], 0 offset:176
	buffer_load_dword v128, off, s[0:3], 0 offset:180
	s_waitcnt vmcnt(28)
	v_fma_f64 v[129:130], v[131:132], v[123:124], v[121:122]
	ds_read2_b64 v[121:124], v120 offset0:69 offset1:70
	s_clause 0x1
	buffer_load_dword v131, off, s[0:3], 0 offset:184
	buffer_load_dword v132, off, s[0:3], 0 offset:188
	;; [unrolled: 11-line block ×20, first 2 shown]
	s_waitcnt vmcnt(28) lgkmcnt(0)
	v_fma_f64 v[121:122], v[143:144], v[121:122], v[137:138]
	s_waitcnt vmcnt(26)
	v_fma_f64 v[137:138], v[141:142], v[123:124], v[121:122]
	ds_read2_b64 v[121:124], v120 offset0:107 offset1:108
	s_waitcnt vmcnt(24) lgkmcnt(0)
	v_fma_f64 v[121:122], v[147:148], v[121:122], v[137:138]
	s_waitcnt vmcnt(22)
	v_fma_f64 v[137:138], v[145:146], v[123:124], v[121:122]
	ds_read2_b64 v[121:124], v120 offset0:109 offset1:110
	s_waitcnt vmcnt(20) lgkmcnt(0)
	v_fma_f64 v[121:122], v[151:152], v[121:122], v[137:138]
	s_waitcnt vmcnt(18)
	v_fma_f64 v[137:138], v[149:150], v[123:124], v[121:122]
	ds_read2_b64 v[121:124], v120 offset0:111 offset1:112
	s_waitcnt vmcnt(16) lgkmcnt(0)
	v_fma_f64 v[121:122], v[153:154], v[121:122], v[137:138]
	s_waitcnt vmcnt(14)
	v_fma_f64 v[125:126], v[125:126], v[123:124], v[121:122]
	ds_read2_b64 v[121:124], v120 offset0:113 offset1:114
	s_waitcnt vmcnt(12) lgkmcnt(0)
	v_fma_f64 v[121:122], v[155:156], v[121:122], v[125:126]
	s_waitcnt vmcnt(10)
	v_fma_f64 v[125:126], v[127:128], v[123:124], v[121:122]
	ds_read2_b64 v[121:124], v120 offset0:115 offset1:116
	s_waitcnt vmcnt(8) lgkmcnt(0)
	v_fma_f64 v[121:122], v[131:132], v[121:122], v[125:126]
	s_waitcnt vmcnt(6)
	v_fma_f64 v[124:125], v[129:130], v[123:124], v[121:122]
	ds_read2_b64 v[120:123], v120 offset0:117 offset1:118
	s_waitcnt vmcnt(4) lgkmcnt(0)
	v_fma_f64 v[120:121], v[135:136], v[120:121], v[124:125]
	s_waitcnt vmcnt(2)
	v_fma_f64 v[120:121], v[133:134], v[122:123], v[120:121]
	s_waitcnt vmcnt(0)
	v_add_f64 v[120:121], v[139:140], -v[120:121]
	buffer_store_dword v121, off, s[0:3], 0 offset:36
	buffer_store_dword v120, off, s[0:3], 0 offset:32
	v_cmpx_lt_u32_e32 3, v0
	s_cbranch_execz .LBB122_357
; %bb.356:
	s_clause 0x1
	buffer_load_dword v120, off, s[0:3], 0 offset:24
	buffer_load_dword v121, off, s[0:3], 0 offset:28
	v_mov_b32_e32 v122, 0
	buffer_store_dword v122, off, s[0:3], 0 offset:24
	buffer_store_dword v122, off, s[0:3], 0 offset:28
	s_waitcnt vmcnt(0)
	ds_write_b64 v119, v[120:121]
.LBB122_357:
	s_or_b32 exec_lo, exec_lo, s4
	s_waitcnt lgkmcnt(0)
	s_waitcnt_vscnt null, 0x0
	s_barrier
	buffer_gl0_inv
	s_clause 0x1b
	buffer_load_dword v125, off, s[0:3], 0 offset:32
	buffer_load_dword v126, off, s[0:3], 0 offset:36
	;; [unrolled: 1-line block ×28, first 2 shown]
	v_mov_b32_e32 v120, 0
	s_mov_b32 s4, exec_lo
	ds_read_b128 v[121:124], v120 offset:512
	s_clause 0x1
	buffer_load_dword v153, off, s[0:3], 0 offset:144
	buffer_load_dword v154, off, s[0:3], 0 offset:148
	s_waitcnt vmcnt(28) lgkmcnt(0)
	v_fma_f64 v[121:122], v[125:126], v[121:122], 0
	s_clause 0x1
	buffer_load_dword v126, off, s[0:3], 0 offset:156
	buffer_load_dword v125, off, s[0:3], 0 offset:152
	s_waitcnt vmcnt(28)
	v_fma_f64 v[127:128], v[127:128], v[123:124], v[121:122]
	ds_read_b128 v[121:124], v120 offset:528
	s_clause 0x1
	buffer_load_dword v155, off, s[0:3], 0 offset:160
	buffer_load_dword v156, off, s[0:3], 0 offset:164
	s_waitcnt vmcnt(28) lgkmcnt(0)
	v_fma_f64 v[121:122], v[129:130], v[121:122], v[127:128]
	s_clause 0x1
	buffer_load_dword v127, off, s[0:3], 0 offset:168
	buffer_load_dword v128, off, s[0:3], 0 offset:172
	s_waitcnt vmcnt(28)
	v_fma_f64 v[129:130], v[131:132], v[123:124], v[121:122]
	;; [unrolled: 11-line block ×21, first 2 shown]
	ds_read_b128 v[121:124], v120 offset:848
	s_waitcnt vmcnt(26) lgkmcnt(0)
	v_fma_f64 v[121:122], v[147:148], v[121:122], v[141:142]
	s_waitcnt vmcnt(24)
	v_fma_f64 v[141:142], v[145:146], v[123:124], v[121:122]
	ds_read_b128 v[121:124], v120 offset:864
	s_waitcnt vmcnt(22) lgkmcnt(0)
	v_fma_f64 v[121:122], v[151:152], v[121:122], v[141:142]
	s_waitcnt vmcnt(20)
	v_fma_f64 v[141:142], v[149:150], v[123:124], v[121:122]
	;; [unrolled: 5-line block ×6, first 2 shown]
	ds_read_b64 v[123:124], v120 offset:944
	s_waitcnt vmcnt(2) lgkmcnt(0)
	v_fma_f64 v[121:122], v[139:140], v[123:124], v[121:122]
	s_waitcnt vmcnt(0)
	v_add_f64 v[121:122], v[137:138], -v[121:122]
	buffer_store_dword v122, off, s[0:3], 0 offset:28
	buffer_store_dword v121, off, s[0:3], 0 offset:24
	v_cmpx_lt_u32_e32 2, v0
	s_cbranch_execz .LBB122_359
; %bb.358:
	s_clause 0x1
	buffer_load_dword v121, off, s[0:3], 0 offset:16
	buffer_load_dword v122, off, s[0:3], 0 offset:20
	buffer_store_dword v120, off, s[0:3], 0 offset:16
	buffer_store_dword v120, off, s[0:3], 0 offset:20
	s_waitcnt vmcnt(0)
	ds_write_b64 v119, v[121:122]
.LBB122_359:
	s_or_b32 exec_lo, exec_lo, s4
	s_waitcnt lgkmcnt(0)
	s_waitcnt_vscnt null, 0x0
	s_barrier
	buffer_gl0_inv
	s_clause 0x1b
	buffer_load_dword v125, off, s[0:3], 0 offset:24
	buffer_load_dword v126, off, s[0:3], 0 offset:28
	;; [unrolled: 1-line block ×28, first 2 shown]
	ds_read2_b64 v[121:124], v120 offset0:63 offset1:64
	s_clause 0x1
	buffer_load_dword v153, off, s[0:3], 0 offset:136
	buffer_load_dword v154, off, s[0:3], 0 offset:140
	s_mov_b32 s4, exec_lo
	s_waitcnt vmcnt(28) lgkmcnt(0)
	v_fma_f64 v[121:122], v[125:126], v[121:122], 0
	s_clause 0x1
	buffer_load_dword v126, off, s[0:3], 0 offset:148
	buffer_load_dword v125, off, s[0:3], 0 offset:144
	s_waitcnt vmcnt(28)
	v_fma_f64 v[127:128], v[127:128], v[123:124], v[121:122]
	ds_read2_b64 v[121:124], v120 offset0:65 offset1:66
	s_clause 0x1
	buffer_load_dword v155, off, s[0:3], 0 offset:152
	buffer_load_dword v156, off, s[0:3], 0 offset:156
	s_waitcnt vmcnt(28) lgkmcnt(0)
	v_fma_f64 v[121:122], v[129:130], v[121:122], v[127:128]
	s_clause 0x1
	buffer_load_dword v127, off, s[0:3], 0 offset:160
	buffer_load_dword v128, off, s[0:3], 0 offset:164
	s_waitcnt vmcnt(28)
	v_fma_f64 v[129:130], v[131:132], v[123:124], v[121:122]
	ds_read2_b64 v[121:124], v120 offset0:67 offset1:68
	s_clause 0x1
	buffer_load_dword v131, off, s[0:3], 0 offset:168
	buffer_load_dword v132, off, s[0:3], 0 offset:172
	;; [unrolled: 11-line block ×21, first 2 shown]
	s_waitcnt vmcnt(28) lgkmcnt(0)
	v_fma_f64 v[121:122], v[147:148], v[121:122], v[141:142]
	s_waitcnt vmcnt(26)
	v_fma_f64 v[141:142], v[145:146], v[123:124], v[121:122]
	ds_read2_b64 v[121:124], v120 offset0:107 offset1:108
	s_waitcnt vmcnt(24) lgkmcnt(0)
	v_fma_f64 v[121:122], v[151:152], v[121:122], v[141:142]
	s_waitcnt vmcnt(22)
	v_fma_f64 v[141:142], v[149:150], v[123:124], v[121:122]
	ds_read2_b64 v[121:124], v120 offset0:109 offset1:110
	;; [unrolled: 5-line block ×6, first 2 shown]
	s_waitcnt vmcnt(4) lgkmcnt(0)
	v_fma_f64 v[120:121], v[139:140], v[120:121], v[124:125]
	s_waitcnt vmcnt(2)
	v_fma_f64 v[120:121], v[137:138], v[122:123], v[120:121]
	s_waitcnt vmcnt(0)
	v_add_f64 v[120:121], v[143:144], -v[120:121]
	buffer_store_dword v121, off, s[0:3], 0 offset:20
	buffer_store_dword v120, off, s[0:3], 0 offset:16
	v_cmpx_lt_u32_e32 1, v0
	s_cbranch_execz .LBB122_361
; %bb.360:
	s_clause 0x1
	buffer_load_dword v120, off, s[0:3], 0 offset:8
	buffer_load_dword v121, off, s[0:3], 0 offset:12
	v_mov_b32_e32 v122, 0
	buffer_store_dword v122, off, s[0:3], 0 offset:8
	buffer_store_dword v122, off, s[0:3], 0 offset:12
	s_waitcnt vmcnt(0)
	ds_write_b64 v119, v[120:121]
.LBB122_361:
	s_or_b32 exec_lo, exec_lo, s4
	s_waitcnt lgkmcnt(0)
	s_waitcnt_vscnt null, 0x0
	s_barrier
	buffer_gl0_inv
	s_clause 0x1b
	buffer_load_dword v126, off, s[0:3], 0 offset:16
	buffer_load_dword v127, off, s[0:3], 0 offset:20
	;; [unrolled: 1-line block ×28, first 2 shown]
	v_mov_b32_e32 v121, 0
	s_mov_b32 s4, exec_lo
	ds_read_b128 v[122:125], v121 offset:496
	s_clause 0x1
	buffer_load_dword v154, off, s[0:3], 0 offset:128
	buffer_load_dword v155, off, s[0:3], 0 offset:132
	s_waitcnt vmcnt(28) lgkmcnt(0)
	v_fma_f64 v[122:123], v[126:127], v[122:123], 0
	s_clause 0x1
	buffer_load_dword v127, off, s[0:3], 0 offset:140
	buffer_load_dword v126, off, s[0:3], 0 offset:136
	s_waitcnt vmcnt(28)
	v_fma_f64 v[128:129], v[128:129], v[124:125], v[122:123]
	ds_read_b128 v[122:125], v121 offset:512
	s_clause 0x1
	buffer_load_dword v156, off, s[0:3], 0 offset:144
	buffer_load_dword v157, off, s[0:3], 0 offset:148
	s_waitcnt vmcnt(28) lgkmcnt(0)
	v_fma_f64 v[122:123], v[130:131], v[122:123], v[128:129]
	s_clause 0x1
	buffer_load_dword v128, off, s[0:3], 0 offset:152
	buffer_load_dword v129, off, s[0:3], 0 offset:156
	s_waitcnt vmcnt(28)
	v_fma_f64 v[130:131], v[132:133], v[124:125], v[122:123]
	;; [unrolled: 11-line block ×22, first 2 shown]
	ds_read_b128 v[122:125], v121 offset:848
	s_waitcnt vmcnt(26) lgkmcnt(0)
	v_fma_f64 v[122:123], v[152:153], v[122:123], v[146:147]
	s_waitcnt vmcnt(24)
	v_fma_f64 v[146:147], v[150:151], v[124:125], v[122:123]
	ds_read_b128 v[122:125], v121 offset:864
	s_waitcnt vmcnt(22) lgkmcnt(0)
	v_fma_f64 v[122:123], v[154:155], v[122:123], v[146:147]
	s_waitcnt vmcnt(20)
	v_fma_f64 v[126:127], v[126:127], v[124:125], v[122:123]
	;; [unrolled: 5-line block ×6, first 2 shown]
	ds_read_b64 v[124:125], v121 offset:944
	s_waitcnt vmcnt(2) lgkmcnt(0)
	v_fma_f64 v[122:123], v[144:145], v[124:125], v[122:123]
	s_waitcnt vmcnt(0)
	v_add_f64 v[122:123], v[142:143], -v[122:123]
	buffer_store_dword v123, off, s[0:3], 0 offset:12
	buffer_store_dword v122, off, s[0:3], 0 offset:8
	v_cmpx_ne_u32_e32 0, v0
	s_cbranch_execz .LBB122_363
; %bb.362:
	s_clause 0x1
	buffer_load_dword v122, off, s[0:3], 0
	buffer_load_dword v123, off, s[0:3], 0 offset:4
	buffer_store_dword v121, off, s[0:3], 0
	buffer_store_dword v121, off, s[0:3], 0 offset:4
	s_waitcnt vmcnt(0)
	ds_write_b64 v119, v[122:123]
.LBB122_363:
	s_or_b32 exec_lo, exec_lo, s4
	s_waitcnt lgkmcnt(0)
	s_waitcnt_vscnt null, 0x0
	s_barrier
	buffer_gl0_inv
	s_clause 0x1b
	buffer_load_dword v119, off, s[0:3], 0 offset:8
	buffer_load_dword v120, off, s[0:3], 0 offset:12
	;; [unrolled: 1-line block ×28, first 2 shown]
	ds_read2_b64 v[122:125], v121 offset0:61 offset1:62
	s_clause 0x3
	buffer_load_dword v152, off, s[0:3], 0 offset:120
	buffer_load_dword v153, off, s[0:3], 0 offset:124
	;; [unrolled: 1-line block ×4, first 2 shown]
	s_and_b32 vcc_lo, exec_lo, s16
	s_waitcnt vmcnt(30) lgkmcnt(0)
	v_fma_f64 v[119:120], v[119:120], v[122:123], 0
	s_waitcnt vmcnt(28)
	v_fma_f64 v[119:120], v[126:127], v[124:125], v[119:120]
	ds_read2_b64 v[122:125], v121 offset0:63 offset1:64
	s_clause 0x1
	buffer_load_dword v126, off, s[0:3], 0 offset:136
	buffer_load_dword v127, off, s[0:3], 0 offset:140
	s_waitcnt vmcnt(28) lgkmcnt(0)
	v_fma_f64 v[119:120], v[128:129], v[122:123], v[119:120]
	s_clause 0x1
	buffer_load_dword v128, off, s[0:3], 0 offset:144
	buffer_load_dword v129, off, s[0:3], 0 offset:148
	s_waitcnt vmcnt(28)
	v_fma_f64 v[119:120], v[130:131], v[124:125], v[119:120]
	ds_read2_b64 v[122:125], v121 offset0:65 offset1:66
	s_clause 0x1
	buffer_load_dword v130, off, s[0:3], 0 offset:152
	buffer_load_dword v131, off, s[0:3], 0 offset:156
	s_waitcnt vmcnt(28) lgkmcnt(0)
	v_fma_f64 v[119:120], v[132:133], v[122:123], v[119:120]
	s_clause 0x1
	buffer_load_dword v133, off, s[0:3], 0 offset:164
	buffer_load_dword v132, off, s[0:3], 0 offset:160
	;; [unrolled: 11-line block ×21, first 2 shown]
	s_waitcnt vmcnt(28)
	v_fma_f64 v[148:149], v[150:151], v[124:125], v[122:123]
	ds_read2_b64 v[122:125], v121 offset0:105 offset1:106
	s_clause 0x1
	buffer_load_dword v150, off, s[0:3], 0
	buffer_load_dword v151, off, s[0:3], 0 offset:4
	s_waitcnt vmcnt(28) lgkmcnt(0)
	v_fma_f64 v[122:123], v[152:153], v[122:123], v[148:149]
	s_waitcnt vmcnt(26)
	v_fma_f64 v[148:149], v[154:155], v[124:125], v[122:123]
	ds_read2_b64 v[122:125], v121 offset0:107 offset1:108
	s_waitcnt vmcnt(24) lgkmcnt(0)
	v_fma_f64 v[122:123], v[126:127], v[122:123], v[148:149]
	s_waitcnt vmcnt(22)
	v_fma_f64 v[126:127], v[128:129], v[124:125], v[122:123]
	ds_read2_b64 v[122:125], v121 offset0:109 offset1:110
	;; [unrolled: 5-line block ×6, first 2 shown]
	s_waitcnt vmcnt(4) lgkmcnt(0)
	v_fma_f64 v[121:122], v[119:120], v[121:122], v[125:126]
	s_waitcnt vmcnt(2)
	v_fma_f64 v[121:122], v[146:147], v[123:124], v[121:122]
	s_waitcnt vmcnt(0)
	v_add_f64 v[121:122], v[150:151], -v[121:122]
	buffer_store_dword v122, off, s[0:3], 0 offset:4
	buffer_store_dword v121, off, s[0:3], 0
	s_cbranch_vccz .LBB122_480
; %bb.364:
	v_mov_b32_e32 v0, 0
	global_load_dword v121, v0, s[12:13] offset:228
	s_waitcnt vmcnt(0)
	v_add_nc_u32_e32 v121, -1, v121
	v_cmp_ne_u32_e32 vcc_lo, 57, v121
	s_cbranch_vccz .LBB122_366
; %bb.365:
	v_lshlrev_b32_e32 v121, 3, v121
	s_clause 0x1
	buffer_load_dword v122, v121, s[0:3], 0 offen
	buffer_load_dword v123, v121, s[0:3], 0 offen offset:4
	s_waitcnt vmcnt(1)
	buffer_store_dword v122, off, s[0:3], 0 offset:456
	s_waitcnt vmcnt(0)
	buffer_store_dword v123, off, s[0:3], 0 offset:460
	buffer_store_dword v119, v121, s[0:3], 0 offen
	buffer_store_dword v120, v121, s[0:3], 0 offen offset:4
.LBB122_366:
	global_load_dword v0, v0, s[12:13] offset:224
	s_waitcnt vmcnt(0)
	v_add_nc_u32_e32 v0, -1, v0
	v_cmp_eq_u32_e32 vcc_lo, 56, v0
	s_cbranch_vccnz .LBB122_368
; %bb.367:
	v_lshlrev_b32_e32 v0, 3, v0
	s_clause 0x3
	buffer_load_dword v119, v0, s[0:3], 0 offen
	buffer_load_dword v120, v0, s[0:3], 0 offen offset:4
	buffer_load_dword v121, off, s[0:3], 0 offset:452
	buffer_load_dword v122, off, s[0:3], 0 offset:448
	s_waitcnt vmcnt(3)
	buffer_store_dword v119, off, s[0:3], 0 offset:448
	s_waitcnt vmcnt(2)
	buffer_store_dword v120, off, s[0:3], 0 offset:452
	s_waitcnt vmcnt(1)
	buffer_store_dword v121, v0, s[0:3], 0 offen offset:4
	s_waitcnt vmcnt(0)
	buffer_store_dword v122, v0, s[0:3], 0 offen
.LBB122_368:
	v_mov_b32_e32 v0, 0
	global_load_dword v119, v0, s[12:13] offset:220
	s_waitcnt vmcnt(0)
	v_add_nc_u32_e32 v119, -1, v119
	v_cmp_eq_u32_e32 vcc_lo, 55, v119
	s_cbranch_vccnz .LBB122_370
; %bb.369:
	v_lshlrev_b32_e32 v119, 3, v119
	s_clause 0x3
	buffer_load_dword v120, v119, s[0:3], 0 offen
	buffer_load_dword v121, v119, s[0:3], 0 offen offset:4
	buffer_load_dword v122, off, s[0:3], 0 offset:440
	buffer_load_dword v123, off, s[0:3], 0 offset:444
	s_waitcnt vmcnt(3)
	buffer_store_dword v120, off, s[0:3], 0 offset:440
	s_waitcnt vmcnt(2)
	buffer_store_dword v121, off, s[0:3], 0 offset:444
	s_waitcnt vmcnt(1)
	buffer_store_dword v122, v119, s[0:3], 0 offen
	s_waitcnt vmcnt(0)
	buffer_store_dword v123, v119, s[0:3], 0 offen offset:4
.LBB122_370:
	global_load_dword v0, v0, s[12:13] offset:216
	s_waitcnt vmcnt(0)
	v_add_nc_u32_e32 v0, -1, v0
	v_cmp_eq_u32_e32 vcc_lo, 54, v0
	s_cbranch_vccnz .LBB122_372
; %bb.371:
	v_lshlrev_b32_e32 v0, 3, v0
	s_clause 0x3
	buffer_load_dword v119, v0, s[0:3], 0 offen
	buffer_load_dword v120, v0, s[0:3], 0 offen offset:4
	buffer_load_dword v121, off, s[0:3], 0 offset:436
	buffer_load_dword v122, off, s[0:3], 0 offset:432
	s_waitcnt vmcnt(3)
	buffer_store_dword v119, off, s[0:3], 0 offset:432
	s_waitcnt vmcnt(2)
	buffer_store_dword v120, off, s[0:3], 0 offset:436
	s_waitcnt vmcnt(1)
	buffer_store_dword v121, v0, s[0:3], 0 offen offset:4
	s_waitcnt vmcnt(0)
	buffer_store_dword v122, v0, s[0:3], 0 offen
.LBB122_372:
	v_mov_b32_e32 v0, 0
	global_load_dword v119, v0, s[12:13] offset:212
	s_waitcnt vmcnt(0)
	v_add_nc_u32_e32 v119, -1, v119
	v_cmp_eq_u32_e32 vcc_lo, 53, v119
	s_cbranch_vccnz .LBB122_374
; %bb.373:
	v_lshlrev_b32_e32 v119, 3, v119
	s_clause 0x3
	buffer_load_dword v120, v119, s[0:3], 0 offen
	buffer_load_dword v121, v119, s[0:3], 0 offen offset:4
	buffer_load_dword v122, off, s[0:3], 0 offset:424
	buffer_load_dword v123, off, s[0:3], 0 offset:428
	s_waitcnt vmcnt(3)
	buffer_store_dword v120, off, s[0:3], 0 offset:424
	s_waitcnt vmcnt(2)
	buffer_store_dword v121, off, s[0:3], 0 offset:428
	s_waitcnt vmcnt(1)
	buffer_store_dword v122, v119, s[0:3], 0 offen
	s_waitcnt vmcnt(0)
	buffer_store_dword v123, v119, s[0:3], 0 offen offset:4
.LBB122_374:
	;; [unrolled: 43-line block ×28, first 2 shown]
	global_load_dword v0, v0, s[12:13]
	s_clause 0x1
	buffer_load_dword v121, off, s[0:3], 0
	buffer_load_dword v122, off, s[0:3], 0 offset:4
	s_waitcnt vmcnt(2)
	v_add_nc_u32_e32 v0, -1, v0
	v_cmp_eq_u32_e32 vcc_lo, 0, v0
	s_cbranch_vccnz .LBB122_480
; %bb.479:
	v_lshlrev_b32_e32 v0, 3, v0
	s_clause 0x1
	buffer_load_dword v119, v0, s[0:3], 0 offen offset:4
	buffer_load_dword v120, v0, s[0:3], 0 offen
	s_waitcnt vmcnt(1)
	buffer_store_dword v119, off, s[0:3], 0 offset:4
	s_waitcnt vmcnt(0)
	buffer_store_dword v120, off, s[0:3], 0
	buffer_store_dword v122, v0, s[0:3], 0 offen offset:4
	buffer_store_dword v121, v0, s[0:3], 0 offen
	s_clause 0x1
	buffer_load_dword v121, off, s[0:3], 0
	buffer_load_dword v122, off, s[0:3], 0 offset:4
.LBB122_480:
	s_waitcnt vmcnt(0)
	flat_store_dwordx2 v[1:2], v[121:122]
	s_clause 0x1
	buffer_load_dword v0, off, s[0:3], 0 offset:8
	buffer_load_dword v1, off, s[0:3], 0 offset:12
	s_waitcnt vmcnt(0)
	flat_store_dwordx2 v[3:4], v[0:1]
	s_clause 0x1
	buffer_load_dword v0, off, s[0:3], 0 offset:16
	buffer_load_dword v1, off, s[0:3], 0 offset:20
	;; [unrolled: 5-line block ×58, first 2 shown]
	s_waitcnt vmcnt(0)
	flat_store_dwordx2 v[117:118], v[0:1]
	s_endpgm
	.section	.rodata,"a",@progbits
	.p2align	6, 0x0
	.amdhsa_kernel _ZN9rocsolver6v33100L18getri_kernel_smallILi59EdPKPdEEvT1_iilPiilS6_bb
		.amdhsa_group_segment_fixed_size 952
		.amdhsa_private_segment_fixed_size 480
		.amdhsa_kernarg_size 60
		.amdhsa_user_sgpr_count 6
		.amdhsa_user_sgpr_private_segment_buffer 1
		.amdhsa_user_sgpr_dispatch_ptr 0
		.amdhsa_user_sgpr_queue_ptr 0
		.amdhsa_user_sgpr_kernarg_segment_ptr 1
		.amdhsa_user_sgpr_dispatch_id 0
		.amdhsa_user_sgpr_flat_scratch_init 0
		.amdhsa_user_sgpr_private_segment_size 0
		.amdhsa_wavefront_size32 1
		.amdhsa_uses_dynamic_stack 0
		.amdhsa_system_sgpr_private_segment_wavefront_offset 1
		.amdhsa_system_sgpr_workgroup_id_x 1
		.amdhsa_system_sgpr_workgroup_id_y 0
		.amdhsa_system_sgpr_workgroup_id_z 0
		.amdhsa_system_sgpr_workgroup_info 0
		.amdhsa_system_vgpr_workitem_id 0
		.amdhsa_next_free_vgpr 158
		.amdhsa_next_free_sgpr 20
		.amdhsa_reserve_vcc 1
		.amdhsa_reserve_flat_scratch 0
		.amdhsa_float_round_mode_32 0
		.amdhsa_float_round_mode_16_64 0
		.amdhsa_float_denorm_mode_32 3
		.amdhsa_float_denorm_mode_16_64 3
		.amdhsa_dx10_clamp 1
		.amdhsa_ieee_mode 1
		.amdhsa_fp16_overflow 0
		.amdhsa_workgroup_processor_mode 1
		.amdhsa_memory_ordered 1
		.amdhsa_forward_progress 1
		.amdhsa_shared_vgpr_count 0
		.amdhsa_exception_fp_ieee_invalid_op 0
		.amdhsa_exception_fp_denorm_src 0
		.amdhsa_exception_fp_ieee_div_zero 0
		.amdhsa_exception_fp_ieee_overflow 0
		.amdhsa_exception_fp_ieee_underflow 0
		.amdhsa_exception_fp_ieee_inexact 0
		.amdhsa_exception_int_div_zero 0
	.end_amdhsa_kernel
	.section	.text._ZN9rocsolver6v33100L18getri_kernel_smallILi59EdPKPdEEvT1_iilPiilS6_bb,"axG",@progbits,_ZN9rocsolver6v33100L18getri_kernel_smallILi59EdPKPdEEvT1_iilPiilS6_bb,comdat
.Lfunc_end122:
	.size	_ZN9rocsolver6v33100L18getri_kernel_smallILi59EdPKPdEEvT1_iilPiilS6_bb, .Lfunc_end122-_ZN9rocsolver6v33100L18getri_kernel_smallILi59EdPKPdEEvT1_iilPiilS6_bb
                                        ; -- End function
	.set _ZN9rocsolver6v33100L18getri_kernel_smallILi59EdPKPdEEvT1_iilPiilS6_bb.num_vgpr, 158
	.set _ZN9rocsolver6v33100L18getri_kernel_smallILi59EdPKPdEEvT1_iilPiilS6_bb.num_agpr, 0
	.set _ZN9rocsolver6v33100L18getri_kernel_smallILi59EdPKPdEEvT1_iilPiilS6_bb.numbered_sgpr, 20
	.set _ZN9rocsolver6v33100L18getri_kernel_smallILi59EdPKPdEEvT1_iilPiilS6_bb.num_named_barrier, 0
	.set _ZN9rocsolver6v33100L18getri_kernel_smallILi59EdPKPdEEvT1_iilPiilS6_bb.private_seg_size, 480
	.set _ZN9rocsolver6v33100L18getri_kernel_smallILi59EdPKPdEEvT1_iilPiilS6_bb.uses_vcc, 1
	.set _ZN9rocsolver6v33100L18getri_kernel_smallILi59EdPKPdEEvT1_iilPiilS6_bb.uses_flat_scratch, 0
	.set _ZN9rocsolver6v33100L18getri_kernel_smallILi59EdPKPdEEvT1_iilPiilS6_bb.has_dyn_sized_stack, 0
	.set _ZN9rocsolver6v33100L18getri_kernel_smallILi59EdPKPdEEvT1_iilPiilS6_bb.has_recursion, 0
	.set _ZN9rocsolver6v33100L18getri_kernel_smallILi59EdPKPdEEvT1_iilPiilS6_bb.has_indirect_call, 0
	.section	.AMDGPU.csdata,"",@progbits
; Kernel info:
; codeLenInByte = 92296
; TotalNumSgprs: 22
; NumVgprs: 158
; ScratchSize: 480
; MemoryBound: 1
; FloatMode: 240
; IeeeMode: 1
; LDSByteSize: 952 bytes/workgroup (compile time only)
; SGPRBlocks: 0
; VGPRBlocks: 19
; NumSGPRsForWavesPerEU: 22
; NumVGPRsForWavesPerEU: 158
; Occupancy: 6
; WaveLimiterHint : 1
; COMPUTE_PGM_RSRC2:SCRATCH_EN: 1
; COMPUTE_PGM_RSRC2:USER_SGPR: 6
; COMPUTE_PGM_RSRC2:TRAP_HANDLER: 0
; COMPUTE_PGM_RSRC2:TGID_X_EN: 1
; COMPUTE_PGM_RSRC2:TGID_Y_EN: 0
; COMPUTE_PGM_RSRC2:TGID_Z_EN: 0
; COMPUTE_PGM_RSRC2:TIDIG_COMP_CNT: 0
	.section	.text._ZN9rocsolver6v33100L18getri_kernel_smallILi60EdPKPdEEvT1_iilPiilS6_bb,"axG",@progbits,_ZN9rocsolver6v33100L18getri_kernel_smallILi60EdPKPdEEvT1_iilPiilS6_bb,comdat
	.globl	_ZN9rocsolver6v33100L18getri_kernel_smallILi60EdPKPdEEvT1_iilPiilS6_bb ; -- Begin function _ZN9rocsolver6v33100L18getri_kernel_smallILi60EdPKPdEEvT1_iilPiilS6_bb
	.p2align	8
	.type	_ZN9rocsolver6v33100L18getri_kernel_smallILi60EdPKPdEEvT1_iilPiilS6_bb,@function
_ZN9rocsolver6v33100L18getri_kernel_smallILi60EdPKPdEEvT1_iilPiilS6_bb: ; @_ZN9rocsolver6v33100L18getri_kernel_smallILi60EdPKPdEEvT1_iilPiilS6_bb
; %bb.0:
	s_add_u32 s0, s0, s7
	s_addc_u32 s1, s1, 0
	s_mov_b32 s7, exec_lo
	v_cmpx_gt_u32_e32 60, v0
	s_cbranch_execz .LBB123_250
; %bb.1:
	s_clause 0x2
	s_load_dword s17, s[4:5], 0x38
	s_load_dwordx2 s[12:13], s[4:5], 0x0
	s_load_dwordx4 s[8:11], s[4:5], 0x28
	s_waitcnt lgkmcnt(0)
	s_bitcmp1_b32 s17, 8
	s_cselect_b32 s16, -1, 0
	s_ashr_i32 s7, s6, 31
	s_lshl_b64 s[14:15], s[6:7], 3
	s_add_u32 s12, s12, s14
	s_addc_u32 s13, s13, s15
	s_load_dwordx2 s[14:15], s[12:13], 0x0
	s_bfe_u32 s12, s17, 0x10008
	s_cmp_eq_u32 s12, 0
                                        ; implicit-def: $sgpr12_sgpr13
	s_cbranch_scc1 .LBB123_3
; %bb.2:
	s_clause 0x1
	s_load_dword s12, s[4:5], 0x20
	s_load_dwordx2 s[18:19], s[4:5], 0x18
	s_mul_i32 s13, s8, s7
	s_mul_hi_u32 s17, s8, s6
	s_mul_i32 s9, s9, s6
	s_add_i32 s13, s17, s13
	s_mul_i32 s8, s8, s6
	s_add_i32 s9, s13, s9
	s_lshl_b64 s[8:9], s[8:9], 2
	s_waitcnt lgkmcnt(0)
	s_ashr_i32 s13, s12, 31
	s_add_u32 s17, s18, s8
	s_addc_u32 s18, s19, s9
	s_lshl_b64 s[8:9], s[12:13], 2
	s_add_u32 s12, s17, s8
	s_addc_u32 s13, s18, s9
.LBB123_3:
	s_clause 0x1
	s_load_dwordx2 s[8:9], s[4:5], 0x8
	s_load_dword s17, s[4:5], 0x38
	v_lshlrev_b32_e32 v123, 3, v0
	s_waitcnt lgkmcnt(0)
	s_ashr_i32 s5, s8, 31
	s_mov_b32 s4, s8
	v_add3_u32 v9, s9, s9, v0
	s_lshl_b64 s[4:5], s[4:5], 3
	s_add_u32 s4, s14, s4
	s_addc_u32 s5, s15, s5
	v_add_co_u32 v1, s8, s4, v123
	v_add_co_ci_u32_e64 v2, null, s5, 0, s8
	s_mov_b32 s14, s9
	s_ashr_i32 s15, s9, 31
	v_ashrrev_i32_e32 v10, 31, v9
	flat_load_dwordx2 v[5:6], v[1:2]
	s_lshl_b64 s[14:15], s[14:15], 3
	v_add_nc_u32_e32 v12, s9, v9
	v_add_co_u32 v3, vcc_lo, v1, s14
	v_add_co_ci_u32_e64 v4, null, s15, v2, vcc_lo
	v_ashrrev_i32_e32 v13, 31, v12
	s_bitcmp0_b32 s17, 0
	s_waitcnt vmcnt(0) lgkmcnt(0)
	buffer_store_dword v6, off, s[0:3], 0 offset:4
	buffer_store_dword v5, off, s[0:3], 0
	flat_load_dwordx2 v[7:8], v[3:4]
	v_lshlrev_b64 v[5:6], 3, v[9:10]
	s_waitcnt vmcnt(0) lgkmcnt(0)
	buffer_store_dword v8, off, s[0:3], 0 offset:12
	buffer_store_dword v7, off, s[0:3], 0 offset:8
	v_add_co_u32 v5, vcc_lo, s4, v5
	v_add_co_ci_u32_e64 v6, null, s5, v6, vcc_lo
	v_lshlrev_b64 v[7:8], 3, v[12:13]
	flat_load_dwordx2 v[10:11], v[5:6]
	s_waitcnt vmcnt(0) lgkmcnt(0)
	buffer_store_dword v11, off, s[0:3], 0 offset:20
	buffer_store_dword v10, off, s[0:3], 0 offset:16
	v_add_co_u32 v7, vcc_lo, s4, v7
	v_add_co_ci_u32_e64 v8, null, s5, v8, vcc_lo
	v_add_nc_u32_e32 v11, s9, v12
	flat_load_dwordx2 v[13:14], v[7:8]
	s_waitcnt vmcnt(0) lgkmcnt(0)
	buffer_store_dword v14, off, s[0:3], 0 offset:28
	buffer_store_dword v13, off, s[0:3], 0 offset:24
	v_ashrrev_i32_e32 v12, 31, v11
	v_add_nc_u32_e32 v15, s9, v11
	v_lshlrev_b64 v[9:10], 3, v[11:12]
	v_ashrrev_i32_e32 v16, 31, v15
	v_add_nc_u32_e32 v18, s9, v15
	v_add_co_u32 v9, vcc_lo, s4, v9
	v_add_co_ci_u32_e64 v10, null, s5, v10, vcc_lo
	v_lshlrev_b64 v[11:12], 3, v[15:16]
	v_ashrrev_i32_e32 v19, 31, v18
	flat_load_dwordx2 v[13:14], v[9:10]
	s_waitcnt vmcnt(0) lgkmcnt(0)
	buffer_store_dword v14, off, s[0:3], 0 offset:36
	buffer_store_dword v13, off, s[0:3], 0 offset:32
	v_add_co_u32 v11, vcc_lo, s4, v11
	v_add_co_ci_u32_e64 v12, null, s5, v12, vcc_lo
	v_lshlrev_b64 v[13:14], 3, v[18:19]
	flat_load_dwordx2 v[16:17], v[11:12]
	s_waitcnt vmcnt(0) lgkmcnt(0)
	buffer_store_dword v17, off, s[0:3], 0 offset:44
	buffer_store_dword v16, off, s[0:3], 0 offset:40
	v_add_co_u32 v13, vcc_lo, s4, v13
	v_add_co_ci_u32_e64 v14, null, s5, v14, vcc_lo
	v_add_nc_u32_e32 v17, s9, v18
	flat_load_dwordx2 v[19:20], v[13:14]
	s_waitcnt vmcnt(0) lgkmcnt(0)
	buffer_store_dword v20, off, s[0:3], 0 offset:52
	buffer_store_dword v19, off, s[0:3], 0 offset:48
	v_ashrrev_i32_e32 v18, 31, v17
	v_add_nc_u32_e32 v21, s9, v17
	v_lshlrev_b64 v[15:16], 3, v[17:18]
	v_ashrrev_i32_e32 v22, 31, v21
	v_add_nc_u32_e32 v24, s9, v21
	v_add_co_u32 v15, vcc_lo, s4, v15
	v_add_co_ci_u32_e64 v16, null, s5, v16, vcc_lo
	v_lshlrev_b64 v[17:18], 3, v[21:22]
	v_ashrrev_i32_e32 v25, 31, v24
	flat_load_dwordx2 v[19:20], v[15:16]
	;; [unrolled: 27-line block ×18, first 2 shown]
	s_waitcnt vmcnt(0) lgkmcnt(0)
	buffer_store_dword v116, off, s[0:3], 0 offset:444
	buffer_store_dword v115, off, s[0:3], 0 offset:440
	v_add_co_u32 v113, vcc_lo, s4, v113
	v_add_co_ci_u32_e64 v114, null, s5, v114, vcc_lo
	v_lshlrev_b64 v[115:116], 3, v[120:121]
	flat_load_dwordx2 v[118:119], v[113:114]
	s_waitcnt vmcnt(0) lgkmcnt(0)
	buffer_store_dword v119, off, s[0:3], 0 offset:452
	buffer_store_dword v118, off, s[0:3], 0 offset:448
	v_add_co_u32 v115, vcc_lo, s4, v115
	v_add_co_ci_u32_e64 v116, null, s5, v116, vcc_lo
	v_add_nc_u32_e32 v119, s9, v120
	flat_load_dwordx2 v[121:122], v[115:116]
	s_waitcnt vmcnt(0) lgkmcnt(0)
	buffer_store_dword v122, off, s[0:3], 0 offset:460
	buffer_store_dword v121, off, s[0:3], 0 offset:456
	v_ashrrev_i32_e32 v120, 31, v119
	v_lshlrev_b64 v[117:118], 3, v[119:120]
	v_add_nc_u32_e32 v119, s9, v119
	v_add_co_u32 v117, vcc_lo, s4, v117
	v_add_co_ci_u32_e64 v118, null, s5, v118, vcc_lo
	v_ashrrev_i32_e32 v120, 31, v119
	flat_load_dwordx2 v[121:122], v[117:118]
	s_waitcnt vmcnt(0) lgkmcnt(0)
	buffer_store_dword v122, off, s[0:3], 0 offset:468
	buffer_store_dword v121, off, s[0:3], 0 offset:464
	v_lshlrev_b64 v[119:120], 3, v[119:120]
	v_add_co_u32 v119, vcc_lo, s4, v119
	v_add_co_ci_u32_e64 v120, null, s5, v120, vcc_lo
	s_mov_b32 s5, -1
	flat_load_dwordx2 v[121:122], v[119:120]
	s_waitcnt vmcnt(0) lgkmcnt(0)
	buffer_store_dword v122, off, s[0:3], 0 offset:476
	buffer_store_dword v121, off, s[0:3], 0 offset:472
	s_cbranch_scc1 .LBB123_248
; %bb.4:
	v_cmp_eq_u32_e64 s4, 0, v0
	s_and_saveexec_b32 s5, s4
; %bb.5:
	v_mov_b32_e32 v121, 0
	ds_write_b32 v121, v121 offset:960
; %bb.6:
	s_or_b32 exec_lo, exec_lo, s5
	v_lshl_add_u32 v121, v0, 3, 0
	s_waitcnt lgkmcnt(0)
	s_waitcnt_vscnt null, 0x0
	s_barrier
	buffer_gl0_inv
	s_mov_b32 s8, exec_lo
	s_clause 0x1
	buffer_load_dword v124, v121, s[0:3], 0 offen
	buffer_load_dword v125, v121, s[0:3], 0 offen offset:4
	s_waitcnt vmcnt(0)
	v_cmpx_eq_f64_e32 0, v[124:125]
	s_cbranch_execz .LBB123_10
; %bb.7:
	v_mov_b32_e32 v122, 0
	s_mov_b32 s9, 0
	ds_read_b32 v124, v122 offset:960
	s_waitcnt lgkmcnt(0)
	v_readfirstlane_b32 s5, v124
	v_add_nc_u32_e32 v124, 1, v0
	s_cmp_eq_u32 s5, 0
	v_cmp_gt_i32_e32 vcc_lo, s5, v124
	s_cselect_b32 s14, -1, 0
	s_or_b32 s14, s14, vcc_lo
	s_and_b32 exec_lo, exec_lo, s14
	s_cbranch_execz .LBB123_10
; %bb.8:
	v_mov_b32_e32 v125, s5
.LBB123_9:                              ; =>This Inner Loop Header: Depth=1
	ds_cmpst_rtn_b32 v125, v122, v125, v124 offset:960
	s_waitcnt lgkmcnt(0)
	v_cmp_ne_u32_e32 vcc_lo, 0, v125
	v_cmp_le_i32_e64 s5, v125, v124
	s_and_b32 s5, vcc_lo, s5
	s_and_b32 s5, exec_lo, s5
	s_or_b32 s9, s5, s9
	s_andn2_b32 exec_lo, exec_lo, s9
	s_cbranch_execnz .LBB123_9
.LBB123_10:
	s_or_b32 exec_lo, exec_lo, s8
	v_mov_b32_e32 v122, 0
	s_barrier
	buffer_gl0_inv
	ds_read_b32 v124, v122 offset:960
	s_and_saveexec_b32 s5, s4
	s_cbranch_execz .LBB123_12
; %bb.11:
	s_lshl_b64 s[8:9], s[6:7], 2
	s_add_u32 s8, s10, s8
	s_addc_u32 s9, s11, s9
	s_waitcnt lgkmcnt(0)
	global_store_dword v122, v124, s[8:9]
.LBB123_12:
	s_or_b32 exec_lo, exec_lo, s5
	s_waitcnt lgkmcnt(0)
	v_cmp_ne_u32_e32 vcc_lo, 0, v124
	s_mov_b32 s5, 0
	s_cbranch_vccnz .LBB123_248
; %bb.13:
	s_clause 0x1
	buffer_load_dword v124, v121, s[0:3], 0 offen
	buffer_load_dword v125, v121, s[0:3], 0 offen offset:4
	s_waitcnt vmcnt(0)
	v_div_scale_f64 v[126:127], null, v[124:125], v[124:125], 1.0
	v_div_scale_f64 v[132:133], vcc_lo, 1.0, v[124:125], 1.0
	v_rcp_f64_e32 v[128:129], v[126:127]
	v_fma_f64 v[130:131], -v[126:127], v[128:129], 1.0
	v_fma_f64 v[128:129], v[128:129], v[130:131], v[128:129]
	v_fma_f64 v[130:131], -v[126:127], v[128:129], 1.0
	v_fma_f64 v[128:129], v[128:129], v[130:131], v[128:129]
	v_mul_f64 v[130:131], v[132:133], v[128:129]
	v_fma_f64 v[126:127], -v[126:127], v[130:131], v[132:133]
	v_div_fmas_f64 v[126:127], v[126:127], v[128:129], v[130:131]
	v_div_fixup_f64 v[125:126], v[126:127], v[124:125], 1.0
	v_add_nc_u32_e32 v124, 0x1e0, v123
	buffer_store_dword v126, v121, s[0:3], 0 offen offset:4
	buffer_store_dword v125, v121, s[0:3], 0 offen
	s_clause 0x1
	buffer_load_dword v128, off, s[0:3], 0 offset:12
	buffer_load_dword v127, off, s[0:3], 0 offset:8
	v_xor_b32_e32 v126, 0x80000000, v126
	s_waitcnt vmcnt(0)
	ds_write2_b64 v123, v[125:126], v[127:128] offset1:60
	s_waitcnt lgkmcnt(0)
	s_waitcnt_vscnt null, 0x0
	s_barrier
	buffer_gl0_inv
	s_and_saveexec_b32 s5, s4
	s_cbranch_execz .LBB123_15
; %bb.14:
	s_clause 0x1
	buffer_load_dword v125, v121, s[0:3], 0 offen
	buffer_load_dword v126, v121, s[0:3], 0 offen offset:4
	ds_read_b64 v[127:128], v124
	v_mov_b32_e32 v122, 0
	ds_read_b64 v[129:130], v122 offset:8
	s_waitcnt vmcnt(0) lgkmcnt(1)
	v_fma_f64 v[125:126], v[125:126], v[127:128], 0
	s_waitcnt lgkmcnt(0)
	v_mul_f64 v[125:126], v[125:126], v[129:130]
	buffer_store_dword v125, off, s[0:3], 0 offset:8
	buffer_store_dword v126, off, s[0:3], 0 offset:12
.LBB123_15:
	s_or_b32 exec_lo, exec_lo, s5
	s_waitcnt_vscnt null, 0x0
	s_barrier
	buffer_gl0_inv
	s_clause 0x1
	buffer_load_dword v125, off, s[0:3], 0 offset:16
	buffer_load_dword v126, off, s[0:3], 0 offset:20
	s_mov_b32 s5, exec_lo
	s_waitcnt vmcnt(0)
	ds_write_b64 v124, v[125:126]
	s_waitcnt lgkmcnt(0)
	s_barrier
	buffer_gl0_inv
	v_cmpx_gt_u32_e32 2, v0
	s_cbranch_execz .LBB123_19
; %bb.16:
	s_clause 0x1
	buffer_load_dword v125, v121, s[0:3], 0 offen
	buffer_load_dword v126, v121, s[0:3], 0 offen offset:4
	ds_read_b64 v[121:122], v124
	s_waitcnt vmcnt(0) lgkmcnt(0)
	v_fma_f64 v[121:122], v[125:126], v[121:122], 0
	s_and_saveexec_b32 s8, s4
	s_cbranch_execz .LBB123_18
; %bb.17:
	s_clause 0x1
	buffer_load_dword v125, off, s[0:3], 0 offset:8
	buffer_load_dword v126, off, s[0:3], 0 offset:12
	v_mov_b32_e32 v127, 0
	ds_read_b64 v[127:128], v127 offset:488
	s_waitcnt vmcnt(0) lgkmcnt(0)
	v_fma_f64 v[121:122], v[125:126], v[127:128], v[121:122]
.LBB123_18:
	s_or_b32 exec_lo, exec_lo, s8
	v_mov_b32_e32 v125, 0
	ds_read_b64 v[125:126], v125 offset:16
	s_waitcnt lgkmcnt(0)
	v_mul_f64 v[121:122], v[121:122], v[125:126]
	buffer_store_dword v122, off, s[0:3], 0 offset:20
	buffer_store_dword v121, off, s[0:3], 0 offset:16
.LBB123_19:
	s_or_b32 exec_lo, exec_lo, s5
	s_waitcnt_vscnt null, 0x0
	s_barrier
	buffer_gl0_inv
	s_clause 0x1
	buffer_load_dword v121, off, s[0:3], 0 offset:24
	buffer_load_dword v122, off, s[0:3], 0 offset:28
	v_add_nc_u32_e32 v125, -1, v0
	s_mov_b32 s4, exec_lo
	s_waitcnt vmcnt(0)
	ds_write_b64 v124, v[121:122]
	s_waitcnt lgkmcnt(0)
	s_barrier
	buffer_gl0_inv
	v_cmpx_gt_u32_e32 3, v0
	s_cbranch_execz .LBB123_23
; %bb.20:
	v_mov_b32_e32 v121, 0
	v_add_nc_u32_e32 v126, -1, v0
	v_add_nc_u32_e32 v127, 0x1e0, v123
	v_mov_b32_e32 v122, 0
	v_mov_b32_e32 v128, v123
	s_mov_b32 s5, 0
.LBB123_21:                             ; =>This Inner Loop Header: Depth=1
	s_clause 0x1
	buffer_load_dword v129, v128, s[0:3], 0 offen
	buffer_load_dword v130, v128, s[0:3], 0 offen offset:4
	ds_read_b64 v[131:132], v127
	v_add_nc_u32_e32 v126, 1, v126
	v_add_nc_u32_e32 v127, 8, v127
	v_add_nc_u32_e32 v128, 8, v128
	v_cmp_lt_u32_e32 vcc_lo, 1, v126
	s_or_b32 s5, vcc_lo, s5
	s_waitcnt vmcnt(0) lgkmcnt(0)
	v_fma_f64 v[121:122], v[129:130], v[131:132], v[121:122]
	s_andn2_b32 exec_lo, exec_lo, s5
	s_cbranch_execnz .LBB123_21
; %bb.22:
	s_or_b32 exec_lo, exec_lo, s5
	v_mov_b32_e32 v126, 0
	ds_read_b64 v[126:127], v126 offset:24
	s_waitcnt lgkmcnt(0)
	v_mul_f64 v[121:122], v[121:122], v[126:127]
	buffer_store_dword v122, off, s[0:3], 0 offset:28
	buffer_store_dword v121, off, s[0:3], 0 offset:24
.LBB123_23:
	s_or_b32 exec_lo, exec_lo, s4
	s_waitcnt_vscnt null, 0x0
	s_barrier
	buffer_gl0_inv
	s_clause 0x1
	buffer_load_dword v121, off, s[0:3], 0 offset:32
	buffer_load_dword v122, off, s[0:3], 0 offset:36
	s_mov_b32 s4, exec_lo
	s_waitcnt vmcnt(0)
	ds_write_b64 v124, v[121:122]
	s_waitcnt lgkmcnt(0)
	s_barrier
	buffer_gl0_inv
	v_cmpx_gt_u32_e32 4, v0
	s_cbranch_execz .LBB123_27
; %bb.24:
	v_mov_b32_e32 v121, 0
	v_add_nc_u32_e32 v126, -1, v0
	v_add_nc_u32_e32 v127, 0x1e0, v123
	v_mov_b32_e32 v122, 0
	v_mov_b32_e32 v128, v123
	s_mov_b32 s5, 0
.LBB123_25:                             ; =>This Inner Loop Header: Depth=1
	s_clause 0x1
	buffer_load_dword v129, v128, s[0:3], 0 offen
	buffer_load_dword v130, v128, s[0:3], 0 offen offset:4
	ds_read_b64 v[131:132], v127
	v_add_nc_u32_e32 v126, 1, v126
	v_add_nc_u32_e32 v127, 8, v127
	v_add_nc_u32_e32 v128, 8, v128
	v_cmp_lt_u32_e32 vcc_lo, 2, v126
	s_or_b32 s5, vcc_lo, s5
	s_waitcnt vmcnt(0) lgkmcnt(0)
	v_fma_f64 v[121:122], v[129:130], v[131:132], v[121:122]
	s_andn2_b32 exec_lo, exec_lo, s5
	s_cbranch_execnz .LBB123_25
; %bb.26:
	s_or_b32 exec_lo, exec_lo, s5
	v_mov_b32_e32 v126, 0
	ds_read_b64 v[126:127], v126 offset:32
	s_waitcnt lgkmcnt(0)
	v_mul_f64 v[121:122], v[121:122], v[126:127]
	buffer_store_dword v122, off, s[0:3], 0 offset:36
	buffer_store_dword v121, off, s[0:3], 0 offset:32
.LBB123_27:
	s_or_b32 exec_lo, exec_lo, s4
	s_waitcnt_vscnt null, 0x0
	s_barrier
	buffer_gl0_inv
	s_clause 0x1
	buffer_load_dword v121, off, s[0:3], 0 offset:40
	buffer_load_dword v122, off, s[0:3], 0 offset:44
	;; [unrolled: 45-line block ×20, first 2 shown]
	s_mov_b32 s4, exec_lo
	s_waitcnt vmcnt(0)
	ds_write_b64 v124, v[121:122]
	s_waitcnt lgkmcnt(0)
	s_barrier
	buffer_gl0_inv
	v_cmpx_gt_u32_e32 23, v0
	s_cbranch_execz .LBB123_103
; %bb.100:
	v_mov_b32_e32 v121, 0
	v_add_nc_u32_e32 v126, -1, v0
	v_add_nc_u32_e32 v127, 0x1e0, v123
	v_mov_b32_e32 v122, 0
	v_mov_b32_e32 v128, v123
	s_mov_b32 s5, 0
.LBB123_101:                            ; =>This Inner Loop Header: Depth=1
	s_clause 0x1
	buffer_load_dword v129, v128, s[0:3], 0 offen
	buffer_load_dword v130, v128, s[0:3], 0 offen offset:4
	ds_read_b64 v[131:132], v127
	v_add_nc_u32_e32 v126, 1, v126
	v_add_nc_u32_e32 v127, 8, v127
	v_add_nc_u32_e32 v128, 8, v128
	v_cmp_lt_u32_e32 vcc_lo, 21, v126
	s_or_b32 s5, vcc_lo, s5
	s_waitcnt vmcnt(0) lgkmcnt(0)
	v_fma_f64 v[121:122], v[129:130], v[131:132], v[121:122]
	s_andn2_b32 exec_lo, exec_lo, s5
	s_cbranch_execnz .LBB123_101
; %bb.102:
	s_or_b32 exec_lo, exec_lo, s5
	v_mov_b32_e32 v126, 0
	ds_read_b64 v[126:127], v126 offset:184
	s_waitcnt lgkmcnt(0)
	v_mul_f64 v[121:122], v[121:122], v[126:127]
	buffer_store_dword v122, off, s[0:3], 0 offset:188
	buffer_store_dword v121, off, s[0:3], 0 offset:184
.LBB123_103:
	s_or_b32 exec_lo, exec_lo, s4
	s_waitcnt_vscnt null, 0x0
	s_barrier
	buffer_gl0_inv
	s_clause 0x1
	buffer_load_dword v121, off, s[0:3], 0 offset:192
	buffer_load_dword v122, off, s[0:3], 0 offset:196
	s_mov_b32 s4, exec_lo
	s_waitcnt vmcnt(0)
	ds_write_b64 v124, v[121:122]
	s_waitcnt lgkmcnt(0)
	s_barrier
	buffer_gl0_inv
	v_cmpx_gt_u32_e32 24, v0
	s_cbranch_execz .LBB123_107
; %bb.104:
	v_mov_b32_e32 v121, 0
	v_add_nc_u32_e32 v126, -1, v0
	v_add_nc_u32_e32 v127, 0x1e0, v123
	v_mov_b32_e32 v122, 0
	v_mov_b32_e32 v128, v123
	s_mov_b32 s5, 0
.LBB123_105:                            ; =>This Inner Loop Header: Depth=1
	s_clause 0x1
	buffer_load_dword v129, v128, s[0:3], 0 offen
	buffer_load_dword v130, v128, s[0:3], 0 offen offset:4
	ds_read_b64 v[131:132], v127
	v_add_nc_u32_e32 v126, 1, v126
	v_add_nc_u32_e32 v127, 8, v127
	v_add_nc_u32_e32 v128, 8, v128
	v_cmp_lt_u32_e32 vcc_lo, 22, v126
	s_or_b32 s5, vcc_lo, s5
	s_waitcnt vmcnt(0) lgkmcnt(0)
	v_fma_f64 v[121:122], v[129:130], v[131:132], v[121:122]
	s_andn2_b32 exec_lo, exec_lo, s5
	s_cbranch_execnz .LBB123_105
; %bb.106:
	s_or_b32 exec_lo, exec_lo, s5
	v_mov_b32_e32 v126, 0
	ds_read_b64 v[126:127], v126 offset:192
	s_waitcnt lgkmcnt(0)
	v_mul_f64 v[121:122], v[121:122], v[126:127]
	buffer_store_dword v122, off, s[0:3], 0 offset:196
	buffer_store_dword v121, off, s[0:3], 0 offset:192
.LBB123_107:
	s_or_b32 exec_lo, exec_lo, s4
	s_waitcnt_vscnt null, 0x0
	s_barrier
	buffer_gl0_inv
	s_clause 0x1
	buffer_load_dword v121, off, s[0:3], 0 offset:200
	buffer_load_dword v122, off, s[0:3], 0 offset:204
	;; [unrolled: 45-line block ×36, first 2 shown]
	s_mov_b32 s4, exec_lo
	s_waitcnt vmcnt(0)
	ds_write_b64 v124, v[121:122]
	s_waitcnt lgkmcnt(0)
	s_barrier
	buffer_gl0_inv
	v_cmpx_ne_u32_e32 59, v0
	s_cbranch_execz .LBB123_247
; %bb.244:
	v_mov_b32_e32 v121, 0
	v_mov_b32_e32 v122, 0
	s_mov_b32 s5, 0
.LBB123_245:                            ; =>This Inner Loop Header: Depth=1
	s_clause 0x1
	buffer_load_dword v126, v123, s[0:3], 0 offen
	buffer_load_dword v127, v123, s[0:3], 0 offen offset:4
	ds_read_b64 v[128:129], v124
	v_add_nc_u32_e32 v125, 1, v125
	v_add_nc_u32_e32 v124, 8, v124
	;; [unrolled: 1-line block ×3, first 2 shown]
	v_cmp_lt_u32_e32 vcc_lo, 57, v125
	s_or_b32 s5, vcc_lo, s5
	s_waitcnt vmcnt(0) lgkmcnt(0)
	v_fma_f64 v[121:122], v[126:127], v[128:129], v[121:122]
	s_andn2_b32 exec_lo, exec_lo, s5
	s_cbranch_execnz .LBB123_245
; %bb.246:
	s_or_b32 exec_lo, exec_lo, s5
	v_mov_b32_e32 v123, 0
	ds_read_b64 v[123:124], v123 offset:472
	s_waitcnt lgkmcnt(0)
	v_mul_f64 v[121:122], v[121:122], v[123:124]
	buffer_store_dword v122, off, s[0:3], 0 offset:476
	buffer_store_dword v121, off, s[0:3], 0 offset:472
.LBB123_247:
	s_or_b32 exec_lo, exec_lo, s4
	s_mov_b32 s5, -1
	s_waitcnt_vscnt null, 0x0
	s_barrier
	buffer_gl0_inv
.LBB123_248:
	s_and_b32 vcc_lo, exec_lo, s5
	s_cbranch_vccz .LBB123_250
; %bb.249:
	s_lshl_b64 s[4:5], s[6:7], 2
	v_mov_b32_e32 v121, 0
	s_add_u32 s4, s10, s4
	s_addc_u32 s5, s11, s5
	global_load_dword v121, v121, s[4:5]
	s_waitcnt vmcnt(0)
	v_cmp_ne_u32_e32 vcc_lo, 0, v121
	s_cbranch_vccz .LBB123_251
.LBB123_250:
	s_endpgm
.LBB123_251:
	v_lshl_add_u32 v121, v0, 3, 0x1e0
	s_mov_b32 s4, exec_lo
	v_cmpx_eq_u32_e32 59, v0
	s_cbranch_execz .LBB123_253
; %bb.252:
	s_clause 0x1
	buffer_load_dword v122, off, s[0:3], 0 offset:464
	buffer_load_dword v123, off, s[0:3], 0 offset:468
	v_mov_b32_e32 v124, 0
	buffer_store_dword v124, off, s[0:3], 0 offset:464
	buffer_store_dword v124, off, s[0:3], 0 offset:468
	s_waitcnt vmcnt(0)
	ds_write_b64 v121, v[122:123]
.LBB123_253:
	s_or_b32 exec_lo, exec_lo, s4
	s_waitcnt lgkmcnt(0)
	s_waitcnt_vscnt null, 0x0
	s_barrier
	buffer_gl0_inv
	s_clause 0x3
	buffer_load_dword v123, off, s[0:3], 0 offset:472
	buffer_load_dword v124, off, s[0:3], 0 offset:476
	;; [unrolled: 1-line block ×4, first 2 shown]
	v_mov_b32_e32 v122, 0
	s_mov_b32 s4, exec_lo
	ds_read_b64 v[127:128], v122 offset:952
	s_waitcnt vmcnt(2) lgkmcnt(0)
	v_fma_f64 v[123:124], v[123:124], v[127:128], 0
	s_waitcnt vmcnt(0)
	v_add_f64 v[123:124], v[125:126], -v[123:124]
	buffer_store_dword v123, off, s[0:3], 0 offset:464
	buffer_store_dword v124, off, s[0:3], 0 offset:468
	v_cmpx_lt_u32_e32 57, v0
	s_cbranch_execz .LBB123_255
; %bb.254:
	s_clause 0x1
	buffer_load_dword v123, off, s[0:3], 0 offset:456
	buffer_load_dword v124, off, s[0:3], 0 offset:460
	buffer_store_dword v122, off, s[0:3], 0 offset:456
	buffer_store_dword v122, off, s[0:3], 0 offset:460
	s_waitcnt vmcnt(0)
	ds_write_b64 v121, v[123:124]
.LBB123_255:
	s_or_b32 exec_lo, exec_lo, s4
	s_waitcnt lgkmcnt(0)
	s_waitcnt_vscnt null, 0x0
	s_barrier
	buffer_gl0_inv
	s_clause 0x5
	buffer_load_dword v126, off, s[0:3], 0 offset:464
	buffer_load_dword v127, off, s[0:3], 0 offset:468
	;; [unrolled: 1-line block ×6, first 2 shown]
	ds_read_b128 v[122:125], v122 offset:944
	s_mov_b32 s4, exec_lo
	s_waitcnt vmcnt(4) lgkmcnt(0)
	v_fma_f64 v[122:123], v[126:127], v[122:123], 0
	s_waitcnt vmcnt(2)
	v_fma_f64 v[122:123], v[128:129], v[124:125], v[122:123]
	s_waitcnt vmcnt(0)
	v_add_f64 v[122:123], v[130:131], -v[122:123]
	buffer_store_dword v122, off, s[0:3], 0 offset:456
	buffer_store_dword v123, off, s[0:3], 0 offset:460
	v_cmpx_lt_u32_e32 56, v0
	s_cbranch_execz .LBB123_257
; %bb.256:
	s_clause 0x1
	buffer_load_dword v122, off, s[0:3], 0 offset:448
	buffer_load_dword v123, off, s[0:3], 0 offset:452
	v_mov_b32_e32 v124, 0
	buffer_store_dword v124, off, s[0:3], 0 offset:448
	buffer_store_dword v124, off, s[0:3], 0 offset:452
	s_waitcnt vmcnt(0)
	ds_write_b64 v121, v[122:123]
.LBB123_257:
	s_or_b32 exec_lo, exec_lo, s4
	s_waitcnt lgkmcnt(0)
	s_waitcnt_vscnt null, 0x0
	s_barrier
	buffer_gl0_inv
	s_clause 0x7
	buffer_load_dword v127, off, s[0:3], 0 offset:456
	buffer_load_dword v128, off, s[0:3], 0 offset:460
	;; [unrolled: 1-line block ×8, first 2 shown]
	v_mov_b32_e32 v122, 0
	ds_read2_b64 v[123:126], v122 offset0:117 offset1:118
	ds_read_b64 v[135:136], v122 offset:952
	s_mov_b32 s4, exec_lo
	s_waitcnt vmcnt(6) lgkmcnt(1)
	v_fma_f64 v[123:124], v[127:128], v[123:124], 0
	s_waitcnt vmcnt(4)
	v_fma_f64 v[123:124], v[129:130], v[125:126], v[123:124]
	s_waitcnt vmcnt(2) lgkmcnt(0)
	v_fma_f64 v[123:124], v[131:132], v[135:136], v[123:124]
	s_waitcnt vmcnt(0)
	v_add_f64 v[123:124], v[133:134], -v[123:124]
	buffer_store_dword v123, off, s[0:3], 0 offset:448
	buffer_store_dword v124, off, s[0:3], 0 offset:452
	v_cmpx_lt_u32_e32 55, v0
	s_cbranch_execz .LBB123_259
; %bb.258:
	s_clause 0x1
	buffer_load_dword v123, off, s[0:3], 0 offset:440
	buffer_load_dword v124, off, s[0:3], 0 offset:444
	buffer_store_dword v122, off, s[0:3], 0 offset:440
	buffer_store_dword v122, off, s[0:3], 0 offset:444
	s_waitcnt vmcnt(0)
	ds_write_b64 v121, v[123:124]
.LBB123_259:
	s_or_b32 exec_lo, exec_lo, s4
	s_waitcnt lgkmcnt(0)
	s_waitcnt_vscnt null, 0x0
	s_barrier
	buffer_gl0_inv
	s_clause 0x9
	buffer_load_dword v131, off, s[0:3], 0 offset:448
	buffer_load_dword v132, off, s[0:3], 0 offset:452
	buffer_load_dword v133, off, s[0:3], 0 offset:456
	buffer_load_dword v134, off, s[0:3], 0 offset:460
	buffer_load_dword v135, off, s[0:3], 0 offset:464
	buffer_load_dword v136, off, s[0:3], 0 offset:468
	buffer_load_dword v137, off, s[0:3], 0 offset:472
	buffer_load_dword v138, off, s[0:3], 0 offset:476
	buffer_load_dword v139, off, s[0:3], 0 offset:440
	buffer_load_dword v140, off, s[0:3], 0 offset:444
	ds_read_b128 v[123:126], v122 offset:928
	ds_read_b128 v[127:130], v122 offset:944
	s_mov_b32 s4, exec_lo
	s_waitcnt vmcnt(8) lgkmcnt(1)
	v_fma_f64 v[122:123], v[131:132], v[123:124], 0
	s_waitcnt vmcnt(6)
	v_fma_f64 v[122:123], v[133:134], v[125:126], v[122:123]
	s_waitcnt vmcnt(4) lgkmcnt(0)
	v_fma_f64 v[122:123], v[135:136], v[127:128], v[122:123]
	s_waitcnt vmcnt(2)
	v_fma_f64 v[122:123], v[137:138], v[129:130], v[122:123]
	s_waitcnt vmcnt(0)
	v_add_f64 v[122:123], v[139:140], -v[122:123]
	buffer_store_dword v122, off, s[0:3], 0 offset:440
	buffer_store_dword v123, off, s[0:3], 0 offset:444
	v_cmpx_lt_u32_e32 54, v0
	s_cbranch_execz .LBB123_261
; %bb.260:
	s_clause 0x1
	buffer_load_dword v122, off, s[0:3], 0 offset:432
	buffer_load_dword v123, off, s[0:3], 0 offset:436
	v_mov_b32_e32 v124, 0
	buffer_store_dword v124, off, s[0:3], 0 offset:432
	buffer_store_dword v124, off, s[0:3], 0 offset:436
	s_waitcnt vmcnt(0)
	ds_write_b64 v121, v[122:123]
.LBB123_261:
	s_or_b32 exec_lo, exec_lo, s4
	s_waitcnt lgkmcnt(0)
	s_waitcnt_vscnt null, 0x0
	s_barrier
	buffer_gl0_inv
	s_clause 0xb
	buffer_load_dword v131, off, s[0:3], 0 offset:440
	buffer_load_dword v132, off, s[0:3], 0 offset:444
	;; [unrolled: 1-line block ×12, first 2 shown]
	v_mov_b32_e32 v122, 0
	ds_read2_b64 v[123:126], v122 offset0:115 offset1:116
	ds_read2_b64 v[127:130], v122 offset0:117 offset1:118
	s_mov_b32 s4, exec_lo
	s_waitcnt vmcnt(10) lgkmcnt(1)
	v_fma_f64 v[123:124], v[131:132], v[123:124], 0
	s_waitcnt vmcnt(8)
	v_fma_f64 v[123:124], v[133:134], v[125:126], v[123:124]
	ds_read_b64 v[125:126], v122 offset:952
	s_waitcnt vmcnt(6) lgkmcnt(1)
	v_fma_f64 v[123:124], v[135:136], v[127:128], v[123:124]
	s_waitcnt vmcnt(4)
	v_fma_f64 v[123:124], v[137:138], v[129:130], v[123:124]
	s_waitcnt vmcnt(2) lgkmcnt(0)
	v_fma_f64 v[123:124], v[139:140], v[125:126], v[123:124]
	s_waitcnt vmcnt(0)
	v_add_f64 v[123:124], v[141:142], -v[123:124]
	buffer_store_dword v123, off, s[0:3], 0 offset:432
	buffer_store_dword v124, off, s[0:3], 0 offset:436
	v_cmpx_lt_u32_e32 53, v0
	s_cbranch_execz .LBB123_263
; %bb.262:
	s_clause 0x1
	buffer_load_dword v123, off, s[0:3], 0 offset:424
	buffer_load_dword v124, off, s[0:3], 0 offset:428
	buffer_store_dword v122, off, s[0:3], 0 offset:424
	buffer_store_dword v122, off, s[0:3], 0 offset:428
	s_waitcnt vmcnt(0)
	ds_write_b64 v121, v[123:124]
.LBB123_263:
	s_or_b32 exec_lo, exec_lo, s4
	s_waitcnt lgkmcnt(0)
	s_waitcnt_vscnt null, 0x0
	s_barrier
	buffer_gl0_inv
	s_clause 0xd
	buffer_load_dword v131, off, s[0:3], 0 offset:432
	buffer_load_dword v132, off, s[0:3], 0 offset:436
	;; [unrolled: 1-line block ×14, first 2 shown]
	ds_read_b128 v[123:126], v122 offset:912
	ds_read_b128 v[127:130], v122 offset:928
	s_mov_b32 s4, exec_lo
	s_waitcnt vmcnt(12) lgkmcnt(1)
	v_fma_f64 v[123:124], v[131:132], v[123:124], 0
	s_waitcnt vmcnt(10)
	v_fma_f64 v[123:124], v[133:134], v[125:126], v[123:124]
	s_waitcnt vmcnt(8) lgkmcnt(0)
	v_fma_f64 v[123:124], v[135:136], v[127:128], v[123:124]
	s_waitcnt vmcnt(6)
	v_fma_f64 v[126:127], v[137:138], v[129:130], v[123:124]
	ds_read_b128 v[122:125], v122 offset:944
	s_waitcnt vmcnt(4) lgkmcnt(0)
	v_fma_f64 v[122:123], v[139:140], v[122:123], v[126:127]
	s_waitcnt vmcnt(2)
	v_fma_f64 v[122:123], v[141:142], v[124:125], v[122:123]
	s_waitcnt vmcnt(0)
	v_add_f64 v[122:123], v[143:144], -v[122:123]
	buffer_store_dword v122, off, s[0:3], 0 offset:424
	buffer_store_dword v123, off, s[0:3], 0 offset:428
	v_cmpx_lt_u32_e32 52, v0
	s_cbranch_execz .LBB123_265
; %bb.264:
	s_clause 0x1
	buffer_load_dword v122, off, s[0:3], 0 offset:416
	buffer_load_dword v123, off, s[0:3], 0 offset:420
	v_mov_b32_e32 v124, 0
	buffer_store_dword v124, off, s[0:3], 0 offset:416
	buffer_store_dword v124, off, s[0:3], 0 offset:420
	s_waitcnt vmcnt(0)
	ds_write_b64 v121, v[122:123]
.LBB123_265:
	s_or_b32 exec_lo, exec_lo, s4
	s_waitcnt lgkmcnt(0)
	s_waitcnt_vscnt null, 0x0
	s_barrier
	buffer_gl0_inv
	s_clause 0xf
	buffer_load_dword v131, off, s[0:3], 0 offset:424
	buffer_load_dword v132, off, s[0:3], 0 offset:428
	;; [unrolled: 1-line block ×16, first 2 shown]
	v_mov_b32_e32 v122, 0
	ds_read2_b64 v[123:126], v122 offset0:113 offset1:114
	ds_read2_b64 v[127:130], v122 offset0:115 offset1:116
	s_mov_b32 s4, exec_lo
	s_waitcnt vmcnt(14) lgkmcnt(1)
	v_fma_f64 v[123:124], v[131:132], v[123:124], 0
	s_waitcnt vmcnt(12)
	v_fma_f64 v[123:124], v[133:134], v[125:126], v[123:124]
	s_waitcnt vmcnt(10) lgkmcnt(0)
	v_fma_f64 v[123:124], v[135:136], v[127:128], v[123:124]
	s_waitcnt vmcnt(8)
	v_fma_f64 v[127:128], v[137:138], v[129:130], v[123:124]
	ds_read2_b64 v[123:126], v122 offset0:117 offset1:118
	ds_read_b64 v[129:130], v122 offset:952
	s_waitcnt vmcnt(6) lgkmcnt(1)
	v_fma_f64 v[123:124], v[139:140], v[123:124], v[127:128]
	s_waitcnt vmcnt(4)
	v_fma_f64 v[123:124], v[141:142], v[125:126], v[123:124]
	s_waitcnt vmcnt(2) lgkmcnt(0)
	v_fma_f64 v[123:124], v[143:144], v[129:130], v[123:124]
	s_waitcnt vmcnt(0)
	v_add_f64 v[123:124], v[145:146], -v[123:124]
	buffer_store_dword v123, off, s[0:3], 0 offset:416
	buffer_store_dword v124, off, s[0:3], 0 offset:420
	v_cmpx_lt_u32_e32 51, v0
	s_cbranch_execz .LBB123_267
; %bb.266:
	s_clause 0x1
	buffer_load_dword v123, off, s[0:3], 0 offset:408
	buffer_load_dword v124, off, s[0:3], 0 offset:412
	buffer_store_dword v122, off, s[0:3], 0 offset:408
	buffer_store_dword v122, off, s[0:3], 0 offset:412
	s_waitcnt vmcnt(0)
	ds_write_b64 v121, v[123:124]
.LBB123_267:
	s_or_b32 exec_lo, exec_lo, s4
	s_waitcnt lgkmcnt(0)
	s_waitcnt_vscnt null, 0x0
	s_barrier
	buffer_gl0_inv
	s_clause 0x11
	buffer_load_dword v131, off, s[0:3], 0 offset:416
	buffer_load_dword v132, off, s[0:3], 0 offset:420
	;; [unrolled: 1-line block ×18, first 2 shown]
	ds_read_b128 v[123:126], v122 offset:896
	ds_read_b128 v[127:130], v122 offset:912
	s_mov_b32 s4, exec_lo
	s_waitcnt vmcnt(16) lgkmcnt(1)
	v_fma_f64 v[123:124], v[131:132], v[123:124], 0
	s_waitcnt vmcnt(14)
	v_fma_f64 v[123:124], v[133:134], v[125:126], v[123:124]
	s_waitcnt vmcnt(12) lgkmcnt(0)
	v_fma_f64 v[123:124], v[135:136], v[127:128], v[123:124]
	s_waitcnt vmcnt(10)
	v_fma_f64 v[131:132], v[137:138], v[129:130], v[123:124]
	ds_read_b128 v[123:126], v122 offset:928
	ds_read_b128 v[127:130], v122 offset:944
	s_waitcnt vmcnt(8) lgkmcnt(1)
	v_fma_f64 v[122:123], v[139:140], v[123:124], v[131:132]
	s_waitcnt vmcnt(6)
	v_fma_f64 v[122:123], v[141:142], v[125:126], v[122:123]
	s_waitcnt vmcnt(4) lgkmcnt(0)
	v_fma_f64 v[122:123], v[143:144], v[127:128], v[122:123]
	s_waitcnt vmcnt(2)
	v_fma_f64 v[122:123], v[145:146], v[129:130], v[122:123]
	s_waitcnt vmcnt(0)
	v_add_f64 v[122:123], v[147:148], -v[122:123]
	buffer_store_dword v122, off, s[0:3], 0 offset:408
	buffer_store_dword v123, off, s[0:3], 0 offset:412
	v_cmpx_lt_u32_e32 50, v0
	s_cbranch_execz .LBB123_269
; %bb.268:
	s_clause 0x1
	buffer_load_dword v122, off, s[0:3], 0 offset:400
	buffer_load_dword v123, off, s[0:3], 0 offset:404
	v_mov_b32_e32 v124, 0
	buffer_store_dword v124, off, s[0:3], 0 offset:400
	buffer_store_dword v124, off, s[0:3], 0 offset:404
	s_waitcnt vmcnt(0)
	ds_write_b64 v121, v[122:123]
.LBB123_269:
	s_or_b32 exec_lo, exec_lo, s4
	s_waitcnt lgkmcnt(0)
	s_waitcnt_vscnt null, 0x0
	s_barrier
	buffer_gl0_inv
	s_clause 0x13
	buffer_load_dword v131, off, s[0:3], 0 offset:408
	buffer_load_dword v132, off, s[0:3], 0 offset:412
	buffer_load_dword v133, off, s[0:3], 0 offset:416
	buffer_load_dword v134, off, s[0:3], 0 offset:420
	buffer_load_dword v135, off, s[0:3], 0 offset:424
	buffer_load_dword v136, off, s[0:3], 0 offset:428
	buffer_load_dword v137, off, s[0:3], 0 offset:432
	buffer_load_dword v138, off, s[0:3], 0 offset:436
	buffer_load_dword v139, off, s[0:3], 0 offset:440
	buffer_load_dword v140, off, s[0:3], 0 offset:444
	buffer_load_dword v141, off, s[0:3], 0 offset:448
	buffer_load_dword v142, off, s[0:3], 0 offset:452
	buffer_load_dword v143, off, s[0:3], 0 offset:456
	buffer_load_dword v144, off, s[0:3], 0 offset:460
	buffer_load_dword v146, off, s[0:3], 0 offset:468
	buffer_load_dword v147, off, s[0:3], 0 offset:472
	buffer_load_dword v145, off, s[0:3], 0 offset:464
	buffer_load_dword v148, off, s[0:3], 0 offset:476
	buffer_load_dword v149, off, s[0:3], 0 offset:400
	buffer_load_dword v150, off, s[0:3], 0 offset:404
	v_mov_b32_e32 v122, 0
	ds_read2_b64 v[123:126], v122 offset0:111 offset1:112
	ds_read2_b64 v[127:130], v122 offset0:113 offset1:114
	s_mov_b32 s4, exec_lo
	s_waitcnt vmcnt(18) lgkmcnt(1)
	v_fma_f64 v[123:124], v[131:132], v[123:124], 0
	s_waitcnt vmcnt(16)
	v_fma_f64 v[123:124], v[133:134], v[125:126], v[123:124]
	s_waitcnt vmcnt(14) lgkmcnt(0)
	v_fma_f64 v[123:124], v[135:136], v[127:128], v[123:124]
	s_waitcnt vmcnt(12)
	v_fma_f64 v[131:132], v[137:138], v[129:130], v[123:124]
	ds_read2_b64 v[123:126], v122 offset0:115 offset1:116
	ds_read2_b64 v[127:130], v122 offset0:117 offset1:118
	s_waitcnt vmcnt(10) lgkmcnt(1)
	v_fma_f64 v[123:124], v[139:140], v[123:124], v[131:132]
	s_waitcnt vmcnt(8)
	v_fma_f64 v[123:124], v[141:142], v[125:126], v[123:124]
	ds_read_b64 v[125:126], v122 offset:952
	s_waitcnt vmcnt(6) lgkmcnt(1)
	v_fma_f64 v[123:124], v[143:144], v[127:128], v[123:124]
	s_waitcnt vmcnt(3)
	v_fma_f64 v[123:124], v[145:146], v[129:130], v[123:124]
	s_waitcnt vmcnt(2) lgkmcnt(0)
	v_fma_f64 v[123:124], v[147:148], v[125:126], v[123:124]
	s_waitcnt vmcnt(0)
	v_add_f64 v[123:124], v[149:150], -v[123:124]
	buffer_store_dword v123, off, s[0:3], 0 offset:400
	buffer_store_dword v124, off, s[0:3], 0 offset:404
	v_cmpx_lt_u32_e32 49, v0
	s_cbranch_execz .LBB123_271
; %bb.270:
	s_clause 0x1
	buffer_load_dword v123, off, s[0:3], 0 offset:392
	buffer_load_dword v124, off, s[0:3], 0 offset:396
	buffer_store_dword v122, off, s[0:3], 0 offset:392
	buffer_store_dword v122, off, s[0:3], 0 offset:396
	s_waitcnt vmcnt(0)
	ds_write_b64 v121, v[123:124]
.LBB123_271:
	s_or_b32 exec_lo, exec_lo, s4
	s_waitcnt lgkmcnt(0)
	s_waitcnt_vscnt null, 0x0
	s_barrier
	buffer_gl0_inv
	s_clause 0x15
	buffer_load_dword v131, off, s[0:3], 0 offset:400
	buffer_load_dword v132, off, s[0:3], 0 offset:404
	buffer_load_dword v133, off, s[0:3], 0 offset:408
	buffer_load_dword v134, off, s[0:3], 0 offset:412
	buffer_load_dword v135, off, s[0:3], 0 offset:416
	buffer_load_dword v136, off, s[0:3], 0 offset:420
	buffer_load_dword v137, off, s[0:3], 0 offset:424
	buffer_load_dword v138, off, s[0:3], 0 offset:428
	buffer_load_dword v139, off, s[0:3], 0 offset:432
	buffer_load_dword v140, off, s[0:3], 0 offset:436
	buffer_load_dword v141, off, s[0:3], 0 offset:440
	buffer_load_dword v142, off, s[0:3], 0 offset:444
	buffer_load_dword v143, off, s[0:3], 0 offset:448
	buffer_load_dword v144, off, s[0:3], 0 offset:452
	buffer_load_dword v146, off, s[0:3], 0 offset:460
	buffer_load_dword v147, off, s[0:3], 0 offset:472
	buffer_load_dword v149, off, s[0:3], 0 offset:464
	buffer_load_dword v145, off, s[0:3], 0 offset:456
	buffer_load_dword v150, off, s[0:3], 0 offset:468
	buffer_load_dword v148, off, s[0:3], 0 offset:476
	buffer_load_dword v151, off, s[0:3], 0 offset:392
	buffer_load_dword v152, off, s[0:3], 0 offset:396
	ds_read_b128 v[123:126], v122 offset:880
	ds_read_b128 v[127:130], v122 offset:896
	s_mov_b32 s4, exec_lo
	s_waitcnt vmcnt(20) lgkmcnt(1)
	v_fma_f64 v[123:124], v[131:132], v[123:124], 0
	s_waitcnt vmcnt(18)
	v_fma_f64 v[123:124], v[133:134], v[125:126], v[123:124]
	s_waitcnt vmcnt(16) lgkmcnt(0)
	v_fma_f64 v[123:124], v[135:136], v[127:128], v[123:124]
	s_waitcnt vmcnt(14)
	v_fma_f64 v[131:132], v[137:138], v[129:130], v[123:124]
	ds_read_b128 v[123:126], v122 offset:912
	ds_read_b128 v[127:130], v122 offset:928
	s_waitcnt vmcnt(12) lgkmcnt(1)
	v_fma_f64 v[123:124], v[139:140], v[123:124], v[131:132]
	s_waitcnt vmcnt(10)
	v_fma_f64 v[123:124], v[141:142], v[125:126], v[123:124]
	s_waitcnt vmcnt(8) lgkmcnt(0)
	v_fma_f64 v[123:124], v[143:144], v[127:128], v[123:124]
	s_waitcnt vmcnt(4)
	v_fma_f64 v[126:127], v[145:146], v[129:130], v[123:124]
	ds_read_b128 v[122:125], v122 offset:944
	s_waitcnt vmcnt(3) lgkmcnt(0)
	v_fma_f64 v[122:123], v[149:150], v[122:123], v[126:127]
	s_waitcnt vmcnt(2)
	v_fma_f64 v[122:123], v[147:148], v[124:125], v[122:123]
	s_waitcnt vmcnt(0)
	v_add_f64 v[122:123], v[151:152], -v[122:123]
	buffer_store_dword v122, off, s[0:3], 0 offset:392
	buffer_store_dword v123, off, s[0:3], 0 offset:396
	v_cmpx_lt_u32_e32 48, v0
	s_cbranch_execz .LBB123_273
; %bb.272:
	s_clause 0x1
	buffer_load_dword v122, off, s[0:3], 0 offset:384
	buffer_load_dword v123, off, s[0:3], 0 offset:388
	v_mov_b32_e32 v124, 0
	buffer_store_dword v124, off, s[0:3], 0 offset:384
	buffer_store_dword v124, off, s[0:3], 0 offset:388
	s_waitcnt vmcnt(0)
	ds_write_b64 v121, v[122:123]
.LBB123_273:
	s_or_b32 exec_lo, exec_lo, s4
	s_waitcnt lgkmcnt(0)
	s_waitcnt_vscnt null, 0x0
	s_barrier
	buffer_gl0_inv
	s_clause 0x17
	buffer_load_dword v131, off, s[0:3], 0 offset:392
	buffer_load_dword v132, off, s[0:3], 0 offset:396
	;; [unrolled: 1-line block ×24, first 2 shown]
	v_mov_b32_e32 v122, 0
	ds_read2_b64 v[123:126], v122 offset0:109 offset1:110
	ds_read2_b64 v[127:130], v122 offset0:111 offset1:112
	s_mov_b32 s4, exec_lo
	s_waitcnt vmcnt(22) lgkmcnt(1)
	v_fma_f64 v[123:124], v[131:132], v[123:124], 0
	s_waitcnt vmcnt(20)
	v_fma_f64 v[123:124], v[133:134], v[125:126], v[123:124]
	s_waitcnt vmcnt(18) lgkmcnt(0)
	v_fma_f64 v[123:124], v[135:136], v[127:128], v[123:124]
	s_waitcnt vmcnt(16)
	v_fma_f64 v[131:132], v[137:138], v[129:130], v[123:124]
	ds_read2_b64 v[123:126], v122 offset0:113 offset1:114
	ds_read2_b64 v[127:130], v122 offset0:115 offset1:116
	s_waitcnt vmcnt(14) lgkmcnt(1)
	v_fma_f64 v[123:124], v[139:140], v[123:124], v[131:132]
	s_waitcnt vmcnt(12)
	v_fma_f64 v[123:124], v[141:142], v[125:126], v[123:124]
	s_waitcnt vmcnt(10) lgkmcnt(0)
	v_fma_f64 v[123:124], v[143:144], v[127:128], v[123:124]
	s_waitcnt vmcnt(5)
	v_fma_f64 v[127:128], v[145:146], v[129:130], v[123:124]
	ds_read2_b64 v[123:126], v122 offset0:117 offset1:118
	ds_read_b64 v[129:130], v122 offset:952
	s_waitcnt vmcnt(4) lgkmcnt(1)
	v_fma_f64 v[123:124], v[151:152], v[123:124], v[127:128]
	s_waitcnt vmcnt(3)
	v_fma_f64 v[123:124], v[149:150], v[125:126], v[123:124]
	s_waitcnt vmcnt(2) lgkmcnt(0)
	v_fma_f64 v[123:124], v[147:148], v[129:130], v[123:124]
	s_waitcnt vmcnt(0)
	v_add_f64 v[123:124], v[153:154], -v[123:124]
	buffer_store_dword v124, off, s[0:3], 0 offset:388
	buffer_store_dword v123, off, s[0:3], 0 offset:384
	v_cmpx_lt_u32_e32 47, v0
	s_cbranch_execz .LBB123_275
; %bb.274:
	s_clause 0x1
	buffer_load_dword v123, off, s[0:3], 0 offset:376
	buffer_load_dword v124, off, s[0:3], 0 offset:380
	buffer_store_dword v122, off, s[0:3], 0 offset:376
	buffer_store_dword v122, off, s[0:3], 0 offset:380
	s_waitcnt vmcnt(0)
	ds_write_b64 v121, v[123:124]
.LBB123_275:
	s_or_b32 exec_lo, exec_lo, s4
	s_waitcnt lgkmcnt(0)
	s_waitcnt_vscnt null, 0x0
	s_barrier
	buffer_gl0_inv
	s_clause 0x19
	buffer_load_dword v131, off, s[0:3], 0 offset:384
	buffer_load_dword v132, off, s[0:3], 0 offset:388
	buffer_load_dword v133, off, s[0:3], 0 offset:392
	buffer_load_dword v134, off, s[0:3], 0 offset:396
	buffer_load_dword v135, off, s[0:3], 0 offset:400
	buffer_load_dword v136, off, s[0:3], 0 offset:404
	buffer_load_dword v137, off, s[0:3], 0 offset:408
	buffer_load_dword v138, off, s[0:3], 0 offset:412
	buffer_load_dword v139, off, s[0:3], 0 offset:416
	buffer_load_dword v140, off, s[0:3], 0 offset:420
	buffer_load_dword v141, off, s[0:3], 0 offset:424
	buffer_load_dword v142, off, s[0:3], 0 offset:428
	buffer_load_dword v143, off, s[0:3], 0 offset:432
	buffer_load_dword v144, off, s[0:3], 0 offset:436
	buffer_load_dword v146, off, s[0:3], 0 offset:444
	buffer_load_dword v147, off, s[0:3], 0 offset:464
	buffer_load_dword v149, off, s[0:3], 0 offset:456
	buffer_load_dword v151, off, s[0:3], 0 offset:448
	buffer_load_dword v145, off, s[0:3], 0 offset:440
	buffer_load_dword v152, off, s[0:3], 0 offset:452
	buffer_load_dword v150, off, s[0:3], 0 offset:460
	buffer_load_dword v148, off, s[0:3], 0 offset:468
	buffer_load_dword v154, off, s[0:3], 0 offset:476
	buffer_load_dword v153, off, s[0:3], 0 offset:472
	buffer_load_dword v155, off, s[0:3], 0 offset:376
	buffer_load_dword v156, off, s[0:3], 0 offset:380
	ds_read_b128 v[123:126], v122 offset:864
	ds_read_b128 v[127:130], v122 offset:880
	s_mov_b32 s4, exec_lo
	s_waitcnt vmcnt(24) lgkmcnt(1)
	v_fma_f64 v[123:124], v[131:132], v[123:124], 0
	s_waitcnt vmcnt(22)
	v_fma_f64 v[123:124], v[133:134], v[125:126], v[123:124]
	s_waitcnt vmcnt(20) lgkmcnt(0)
	v_fma_f64 v[123:124], v[135:136], v[127:128], v[123:124]
	s_waitcnt vmcnt(18)
	v_fma_f64 v[131:132], v[137:138], v[129:130], v[123:124]
	ds_read_b128 v[123:126], v122 offset:896
	ds_read_b128 v[127:130], v122 offset:912
	s_waitcnt vmcnt(16) lgkmcnt(1)
	v_fma_f64 v[123:124], v[139:140], v[123:124], v[131:132]
	s_waitcnt vmcnt(14)
	v_fma_f64 v[123:124], v[141:142], v[125:126], v[123:124]
	s_waitcnt vmcnt(12) lgkmcnt(0)
	v_fma_f64 v[123:124], v[143:144], v[127:128], v[123:124]
	s_waitcnt vmcnt(7)
	v_fma_f64 v[131:132], v[145:146], v[129:130], v[123:124]
	ds_read_b128 v[123:126], v122 offset:928
	ds_read_b128 v[127:130], v122 offset:944
	s_waitcnt vmcnt(6) lgkmcnt(1)
	v_fma_f64 v[122:123], v[151:152], v[123:124], v[131:132]
	s_waitcnt vmcnt(5)
	v_fma_f64 v[122:123], v[149:150], v[125:126], v[122:123]
	s_waitcnt vmcnt(4) lgkmcnt(0)
	v_fma_f64 v[122:123], v[147:148], v[127:128], v[122:123]
	s_waitcnt vmcnt(2)
	v_fma_f64 v[122:123], v[153:154], v[129:130], v[122:123]
	s_waitcnt vmcnt(0)
	v_add_f64 v[122:123], v[155:156], -v[122:123]
	buffer_store_dword v123, off, s[0:3], 0 offset:380
	buffer_store_dword v122, off, s[0:3], 0 offset:376
	v_cmpx_lt_u32_e32 46, v0
	s_cbranch_execz .LBB123_277
; %bb.276:
	s_clause 0x1
	buffer_load_dword v122, off, s[0:3], 0 offset:368
	buffer_load_dword v123, off, s[0:3], 0 offset:372
	v_mov_b32_e32 v124, 0
	buffer_store_dword v124, off, s[0:3], 0 offset:368
	buffer_store_dword v124, off, s[0:3], 0 offset:372
	s_waitcnt vmcnt(0)
	ds_write_b64 v121, v[122:123]
.LBB123_277:
	s_or_b32 exec_lo, exec_lo, s4
	s_waitcnt lgkmcnt(0)
	s_waitcnt_vscnt null, 0x0
	s_barrier
	buffer_gl0_inv
	s_clause 0x1b
	buffer_load_dword v127, off, s[0:3], 0 offset:376
	buffer_load_dword v128, off, s[0:3], 0 offset:380
	;; [unrolled: 1-line block ×28, first 2 shown]
	v_mov_b32_e32 v122, 0
	s_mov_b32 s4, exec_lo
	ds_read2_b64 v[123:126], v122 offset0:107 offset1:108
	s_waitcnt vmcnt(26) lgkmcnt(0)
	v_fma_f64 v[123:124], v[127:128], v[123:124], 0
	s_waitcnt vmcnt(24)
	v_fma_f64 v[127:128], v[129:130], v[125:126], v[123:124]
	ds_read2_b64 v[123:126], v122 offset0:109 offset1:110
	s_waitcnt vmcnt(22) lgkmcnt(0)
	v_fma_f64 v[123:124], v[131:132], v[123:124], v[127:128]
	s_waitcnt vmcnt(20)
	v_fma_f64 v[127:128], v[133:134], v[125:126], v[123:124]
	;; [unrolled: 5-line block ×6, first 2 shown]
	ds_read_b64 v[125:126], v122 offset:952
	s_waitcnt vmcnt(2) lgkmcnt(0)
	v_fma_f64 v[123:124], v[151:152], v[125:126], v[123:124]
	s_waitcnt vmcnt(0)
	v_add_f64 v[123:124], v[153:154], -v[123:124]
	buffer_store_dword v124, off, s[0:3], 0 offset:372
	buffer_store_dword v123, off, s[0:3], 0 offset:368
	v_cmpx_lt_u32_e32 45, v0
	s_cbranch_execz .LBB123_279
; %bb.278:
	s_clause 0x1
	buffer_load_dword v123, off, s[0:3], 0 offset:360
	buffer_load_dword v124, off, s[0:3], 0 offset:364
	buffer_store_dword v122, off, s[0:3], 0 offset:360
	buffer_store_dword v122, off, s[0:3], 0 offset:364
	s_waitcnt vmcnt(0)
	ds_write_b64 v121, v[123:124]
.LBB123_279:
	s_or_b32 exec_lo, exec_lo, s4
	s_waitcnt lgkmcnt(0)
	s_waitcnt_vscnt null, 0x0
	s_barrier
	buffer_gl0_inv
	s_clause 0x1b
	buffer_load_dword v127, off, s[0:3], 0 offset:368
	buffer_load_dword v128, off, s[0:3], 0 offset:372
	;; [unrolled: 1-line block ×28, first 2 shown]
	ds_read_b128 v[123:126], v122 offset:848
	s_clause 0x1
	buffer_load_dword v155, off, s[0:3], 0 offset:360
	buffer_load_dword v156, off, s[0:3], 0 offset:364
	s_mov_b32 s4, exec_lo
	s_waitcnt vmcnt(28) lgkmcnt(0)
	v_fma_f64 v[123:124], v[127:128], v[123:124], 0
	s_waitcnt vmcnt(26)
	v_fma_f64 v[127:128], v[129:130], v[125:126], v[123:124]
	ds_read_b128 v[123:126], v122 offset:864
	s_waitcnt vmcnt(24) lgkmcnt(0)
	v_fma_f64 v[123:124], v[131:132], v[123:124], v[127:128]
	s_waitcnt vmcnt(22)
	v_fma_f64 v[127:128], v[133:134], v[125:126], v[123:124]
	ds_read_b128 v[123:126], v122 offset:880
	s_waitcnt vmcnt(20) lgkmcnt(0)
	v_fma_f64 v[123:124], v[135:136], v[123:124], v[127:128]
	s_waitcnt vmcnt(18)
	v_fma_f64 v[127:128], v[137:138], v[125:126], v[123:124]
	ds_read_b128 v[123:126], v122 offset:896
	s_waitcnt vmcnt(16) lgkmcnt(0)
	v_fma_f64 v[123:124], v[139:140], v[123:124], v[127:128]
	s_waitcnt vmcnt(14)
	v_fma_f64 v[127:128], v[141:142], v[125:126], v[123:124]
	ds_read_b128 v[123:126], v122 offset:912
	s_waitcnt vmcnt(12) lgkmcnt(0)
	v_fma_f64 v[123:124], v[143:144], v[123:124], v[127:128]
	s_waitcnt vmcnt(10)
	v_fma_f64 v[127:128], v[145:146], v[125:126], v[123:124]
	ds_read_b128 v[123:126], v122 offset:928
	s_waitcnt vmcnt(8) lgkmcnt(0)
	v_fma_f64 v[123:124], v[147:148], v[123:124], v[127:128]
	s_waitcnt vmcnt(6)
	v_fma_f64 v[126:127], v[149:150], v[125:126], v[123:124]
	ds_read_b128 v[122:125], v122 offset:944
	s_waitcnt vmcnt(4) lgkmcnt(0)
	v_fma_f64 v[122:123], v[151:152], v[122:123], v[126:127]
	s_waitcnt vmcnt(2)
	v_fma_f64 v[122:123], v[153:154], v[124:125], v[122:123]
	s_waitcnt vmcnt(0)
	v_add_f64 v[122:123], v[155:156], -v[122:123]
	buffer_store_dword v123, off, s[0:3], 0 offset:364
	buffer_store_dword v122, off, s[0:3], 0 offset:360
	v_cmpx_lt_u32_e32 44, v0
	s_cbranch_execz .LBB123_281
; %bb.280:
	s_clause 0x1
	buffer_load_dword v122, off, s[0:3], 0 offset:352
	buffer_load_dword v123, off, s[0:3], 0 offset:356
	v_mov_b32_e32 v124, 0
	buffer_store_dword v124, off, s[0:3], 0 offset:352
	buffer_store_dword v124, off, s[0:3], 0 offset:356
	s_waitcnt vmcnt(0)
	ds_write_b64 v121, v[122:123]
.LBB123_281:
	s_or_b32 exec_lo, exec_lo, s4
	s_waitcnt lgkmcnt(0)
	s_waitcnt_vscnt null, 0x0
	s_barrier
	buffer_gl0_inv
	s_clause 0x1b
	buffer_load_dword v127, off, s[0:3], 0 offset:360
	buffer_load_dword v128, off, s[0:3], 0 offset:364
	;; [unrolled: 1-line block ×28, first 2 shown]
	v_mov_b32_e32 v122, 0
	s_mov_b32 s4, exec_lo
	ds_read2_b64 v[123:126], v122 offset0:105 offset1:106
	s_clause 0x1
	buffer_load_dword v155, off, s[0:3], 0 offset:472
	buffer_load_dword v156, off, s[0:3], 0 offset:476
	s_waitcnt vmcnt(28) lgkmcnt(0)
	v_fma_f64 v[123:124], v[127:128], v[123:124], 0
	s_clause 0x1
	buffer_load_dword v127, off, s[0:3], 0 offset:352
	buffer_load_dword v128, off, s[0:3], 0 offset:356
	s_waitcnt vmcnt(28)
	v_fma_f64 v[129:130], v[129:130], v[125:126], v[123:124]
	ds_read2_b64 v[123:126], v122 offset0:107 offset1:108
	s_waitcnt vmcnt(26) lgkmcnt(0)
	v_fma_f64 v[123:124], v[131:132], v[123:124], v[129:130]
	s_waitcnt vmcnt(24)
	v_fma_f64 v[129:130], v[133:134], v[125:126], v[123:124]
	ds_read2_b64 v[123:126], v122 offset0:109 offset1:110
	s_waitcnt vmcnt(22) lgkmcnt(0)
	v_fma_f64 v[123:124], v[135:136], v[123:124], v[129:130]
	;; [unrolled: 5-line block ×6, first 2 shown]
	s_waitcnt vmcnt(4)
	v_fma_f64 v[123:124], v[153:154], v[125:126], v[123:124]
	ds_read_b64 v[125:126], v122 offset:952
	s_waitcnt vmcnt(2) lgkmcnt(0)
	v_fma_f64 v[123:124], v[155:156], v[125:126], v[123:124]
	s_waitcnt vmcnt(0)
	v_add_f64 v[123:124], v[127:128], -v[123:124]
	buffer_store_dword v124, off, s[0:3], 0 offset:356
	buffer_store_dword v123, off, s[0:3], 0 offset:352
	v_cmpx_lt_u32_e32 43, v0
	s_cbranch_execz .LBB123_283
; %bb.282:
	s_clause 0x1
	buffer_load_dword v123, off, s[0:3], 0 offset:344
	buffer_load_dword v124, off, s[0:3], 0 offset:348
	buffer_store_dword v122, off, s[0:3], 0 offset:344
	buffer_store_dword v122, off, s[0:3], 0 offset:348
	s_waitcnt vmcnt(0)
	ds_write_b64 v121, v[123:124]
.LBB123_283:
	s_or_b32 exec_lo, exec_lo, s4
	s_waitcnt lgkmcnt(0)
	s_waitcnt_vscnt null, 0x0
	s_barrier
	buffer_gl0_inv
	s_clause 0x1b
	buffer_load_dword v127, off, s[0:3], 0 offset:352
	buffer_load_dword v128, off, s[0:3], 0 offset:356
	buffer_load_dword v129, off, s[0:3], 0 offset:360
	buffer_load_dword v130, off, s[0:3], 0 offset:364
	buffer_load_dword v131, off, s[0:3], 0 offset:368
	buffer_load_dword v132, off, s[0:3], 0 offset:372
	buffer_load_dword v133, off, s[0:3], 0 offset:376
	buffer_load_dword v134, off, s[0:3], 0 offset:380
	buffer_load_dword v135, off, s[0:3], 0 offset:384
	buffer_load_dword v136, off, s[0:3], 0 offset:388
	buffer_load_dword v137, off, s[0:3], 0 offset:392
	buffer_load_dword v138, off, s[0:3], 0 offset:396
	buffer_load_dword v139, off, s[0:3], 0 offset:400
	buffer_load_dword v140, off, s[0:3], 0 offset:404
	buffer_load_dword v142, off, s[0:3], 0 offset:412
	buffer_load_dword v141, off, s[0:3], 0 offset:408
	buffer_load_dword v143, off, s[0:3], 0 offset:416
	buffer_load_dword v144, off, s[0:3], 0 offset:420
	buffer_load_dword v145, off, s[0:3], 0 offset:424
	buffer_load_dword v146, off, s[0:3], 0 offset:428
	buffer_load_dword v147, off, s[0:3], 0 offset:432
	buffer_load_dword v148, off, s[0:3], 0 offset:436
	buffer_load_dword v150, off, s[0:3], 0 offset:444
	buffer_load_dword v149, off, s[0:3], 0 offset:440
	buffer_load_dword v151, off, s[0:3], 0 offset:448
	buffer_load_dword v152, off, s[0:3], 0 offset:452
	buffer_load_dword v153, off, s[0:3], 0 offset:456
	buffer_load_dword v154, off, s[0:3], 0 offset:460
	ds_read_b128 v[123:126], v122 offset:832
	s_clause 0x1
	buffer_load_dword v155, off, s[0:3], 0 offset:464
	buffer_load_dword v156, off, s[0:3], 0 offset:468
	s_mov_b32 s4, exec_lo
	s_waitcnt vmcnt(28) lgkmcnt(0)
	v_fma_f64 v[123:124], v[127:128], v[123:124], 0
	s_clause 0x1
	buffer_load_dword v128, off, s[0:3], 0 offset:476
	buffer_load_dword v127, off, s[0:3], 0 offset:472
	s_waitcnt vmcnt(28)
	v_fma_f64 v[129:130], v[129:130], v[125:126], v[123:124]
	ds_read_b128 v[123:126], v122 offset:848
	s_clause 0x1
	buffer_load_dword v157, off, s[0:3], 0 offset:344
	buffer_load_dword v158, off, s[0:3], 0 offset:348
	s_waitcnt vmcnt(28) lgkmcnt(0)
	v_fma_f64 v[123:124], v[131:132], v[123:124], v[129:130]
	s_waitcnt vmcnt(26)
	v_fma_f64 v[129:130], v[133:134], v[125:126], v[123:124]
	ds_read_b128 v[123:126], v122 offset:864
	s_waitcnt vmcnt(24) lgkmcnt(0)
	v_fma_f64 v[123:124], v[135:136], v[123:124], v[129:130]
	s_waitcnt vmcnt(22)
	v_fma_f64 v[129:130], v[137:138], v[125:126], v[123:124]
	ds_read_b128 v[123:126], v122 offset:880
	;; [unrolled: 5-line block ×6, first 2 shown]
	s_waitcnt vmcnt(4) lgkmcnt(0)
	v_fma_f64 v[122:123], v[155:156], v[122:123], v[129:130]
	s_waitcnt vmcnt(2)
	v_fma_f64 v[122:123], v[127:128], v[124:125], v[122:123]
	s_waitcnt vmcnt(0)
	v_add_f64 v[122:123], v[157:158], -v[122:123]
	buffer_store_dword v123, off, s[0:3], 0 offset:348
	buffer_store_dword v122, off, s[0:3], 0 offset:344
	v_cmpx_lt_u32_e32 42, v0
	s_cbranch_execz .LBB123_285
; %bb.284:
	s_clause 0x1
	buffer_load_dword v122, off, s[0:3], 0 offset:336
	buffer_load_dword v123, off, s[0:3], 0 offset:340
	v_mov_b32_e32 v124, 0
	buffer_store_dword v124, off, s[0:3], 0 offset:336
	buffer_store_dword v124, off, s[0:3], 0 offset:340
	s_waitcnt vmcnt(0)
	ds_write_b64 v121, v[122:123]
.LBB123_285:
	s_or_b32 exec_lo, exec_lo, s4
	s_waitcnt lgkmcnt(0)
	s_waitcnt_vscnt null, 0x0
	s_barrier
	buffer_gl0_inv
	s_clause 0x1c
	buffer_load_dword v131, off, s[0:3], 0 offset:344
	buffer_load_dword v132, off, s[0:3], 0 offset:348
	;; [unrolled: 1-line block ×29, first 2 shown]
	v_mov_b32_e32 v122, 0
	buffer_load_dword v156, off, s[0:3], 0 offset:460
	s_mov_b32 s4, exec_lo
	ds_read2_b64 v[123:126], v122 offset0:103 offset1:104
	ds_read2_b64 v[127:130], v122 offset0:105 offset1:106
	s_waitcnt vmcnt(28) lgkmcnt(1)
	v_fma_f64 v[123:124], v[131:132], v[123:124], 0
	s_clause 0x3
	buffer_load_dword v132, off, s[0:3], 0 offset:468
	buffer_load_dword v161, off, s[0:3], 0 offset:472
	buffer_load_dword v131, off, s[0:3], 0 offset:464
	buffer_load_dword v162, off, s[0:3], 0 offset:476
	s_waitcnt vmcnt(30)
	v_fma_f64 v[123:124], v[133:134], v[125:126], v[123:124]
	s_clause 0x1
	buffer_load_dword v133, off, s[0:3], 0 offset:336
	buffer_load_dword v134, off, s[0:3], 0 offset:340
	s_waitcnt vmcnt(30) lgkmcnt(0)
	v_fma_f64 v[123:124], v[135:136], v[127:128], v[123:124]
	s_waitcnt vmcnt(28)
	v_fma_f64 v[135:136], v[137:138], v[129:130], v[123:124]
	ds_read2_b64 v[123:126], v122 offset0:107 offset1:108
	ds_read2_b64 v[127:130], v122 offset0:109 offset1:110
	s_waitcnt vmcnt(26) lgkmcnt(1)
	v_fma_f64 v[123:124], v[139:140], v[123:124], v[135:136]
	s_waitcnt vmcnt(24)
	v_fma_f64 v[123:124], v[141:142], v[125:126], v[123:124]
	s_waitcnt vmcnt(22) lgkmcnt(0)
	v_fma_f64 v[123:124], v[143:144], v[127:128], v[123:124]
	s_waitcnt vmcnt(17)
	v_fma_f64 v[135:136], v[145:146], v[129:130], v[123:124]
	ds_read2_b64 v[123:126], v122 offset0:111 offset1:112
	ds_read2_b64 v[127:130], v122 offset0:113 offset1:114
	s_waitcnt vmcnt(16) lgkmcnt(1)
	v_fma_f64 v[123:124], v[151:152], v[123:124], v[135:136]
	s_waitcnt vmcnt(15)
	v_fma_f64 v[123:124], v[149:150], v[125:126], v[123:124]
	;; [unrolled: 10-line block ×3, first 2 shown]
	ds_read_b64 v[125:126], v122 offset:952
	s_waitcnt vmcnt(6) lgkmcnt(1)
	v_fma_f64 v[123:124], v[155:156], v[127:128], v[123:124]
	s_waitcnt vmcnt(3)
	v_fma_f64 v[123:124], v[131:132], v[129:130], v[123:124]
	s_waitcnt vmcnt(2) lgkmcnt(0)
	v_fma_f64 v[123:124], v[161:162], v[125:126], v[123:124]
	s_waitcnt vmcnt(0)
	v_add_f64 v[123:124], v[133:134], -v[123:124]
	buffer_store_dword v124, off, s[0:3], 0 offset:340
	buffer_store_dword v123, off, s[0:3], 0 offset:336
	v_cmpx_lt_u32_e32 41, v0
	s_cbranch_execz .LBB123_287
; %bb.286:
	s_clause 0x1
	buffer_load_dword v123, off, s[0:3], 0 offset:328
	buffer_load_dword v124, off, s[0:3], 0 offset:332
	buffer_store_dword v122, off, s[0:3], 0 offset:328
	buffer_store_dword v122, off, s[0:3], 0 offset:332
	s_waitcnt vmcnt(0)
	ds_write_b64 v121, v[123:124]
.LBB123_287:
	s_or_b32 exec_lo, exec_lo, s4
	s_waitcnt lgkmcnt(0)
	s_waitcnt_vscnt null, 0x0
	s_barrier
	buffer_gl0_inv
	s_clause 0x1c
	buffer_load_dword v131, off, s[0:3], 0 offset:336
	buffer_load_dword v132, off, s[0:3], 0 offset:340
	;; [unrolled: 1-line block ×29, first 2 shown]
	ds_read_b128 v[123:126], v122 offset:816
	ds_read_b128 v[127:130], v122 offset:832
	buffer_load_dword v156, off, s[0:3], 0 offset:452
	s_mov_b32 s4, exec_lo
	s_waitcnt vmcnt(28) lgkmcnt(1)
	v_fma_f64 v[123:124], v[131:132], v[123:124], 0
	s_clause 0x5
	buffer_load_dword v132, off, s[0:3], 0 offset:460
	buffer_load_dword v161, off, s[0:3], 0 offset:472
	;; [unrolled: 1-line block ×6, first 2 shown]
	s_waitcnt vmcnt(32)
	v_fma_f64 v[123:124], v[133:134], v[125:126], v[123:124]
	s_waitcnt vmcnt(30) lgkmcnt(0)
	v_fma_f64 v[123:124], v[135:136], v[127:128], v[123:124]
	s_waitcnt vmcnt(28)
	v_fma_f64 v[133:134], v[137:138], v[129:130], v[123:124]
	ds_read_b128 v[123:126], v122 offset:848
	s_clause 0x1
	buffer_load_dword v135, off, s[0:3], 0 offset:328
	buffer_load_dword v136, off, s[0:3], 0 offset:332
	ds_read_b128 v[127:130], v122 offset:864
	s_waitcnt vmcnt(28) lgkmcnt(1)
	v_fma_f64 v[123:124], v[139:140], v[123:124], v[133:134]
	s_waitcnt vmcnt(26)
	v_fma_f64 v[123:124], v[141:142], v[125:126], v[123:124]
	s_waitcnt vmcnt(24) lgkmcnt(0)
	v_fma_f64 v[123:124], v[143:144], v[127:128], v[123:124]
	s_waitcnt vmcnt(19)
	v_fma_f64 v[133:134], v[145:146], v[129:130], v[123:124]
	ds_read_b128 v[123:126], v122 offset:880
	ds_read_b128 v[127:130], v122 offset:896
	s_waitcnt vmcnt(18) lgkmcnt(1)
	v_fma_f64 v[123:124], v[151:152], v[123:124], v[133:134]
	s_waitcnt vmcnt(17)
	v_fma_f64 v[123:124], v[149:150], v[125:126], v[123:124]
	s_waitcnt vmcnt(16) lgkmcnt(0)
	v_fma_f64 v[123:124], v[147:148], v[127:128], v[123:124]
	s_waitcnt vmcnt(11)
	v_fma_f64 v[133:134], v[153:154], v[129:130], v[123:124]
	ds_read_b128 v[123:126], v122 offset:912
	;; [unrolled: 10-line block ×3, first 2 shown]
	s_waitcnt vmcnt(3) lgkmcnt(0)
	v_fma_f64 v[122:123], v[163:164], v[122:123], v[126:127]
	s_waitcnt vmcnt(2)
	v_fma_f64 v[122:123], v[161:162], v[124:125], v[122:123]
	s_waitcnt vmcnt(0)
	v_add_f64 v[122:123], v[135:136], -v[122:123]
	buffer_store_dword v123, off, s[0:3], 0 offset:332
	buffer_store_dword v122, off, s[0:3], 0 offset:328
	v_cmpx_lt_u32_e32 40, v0
	s_cbranch_execz .LBB123_289
; %bb.288:
	s_clause 0x1
	buffer_load_dword v122, off, s[0:3], 0 offset:320
	buffer_load_dword v123, off, s[0:3], 0 offset:324
	v_mov_b32_e32 v124, 0
	buffer_store_dword v124, off, s[0:3], 0 offset:320
	buffer_store_dword v124, off, s[0:3], 0 offset:324
	s_waitcnt vmcnt(0)
	ds_write_b64 v121, v[122:123]
.LBB123_289:
	s_or_b32 exec_lo, exec_lo, s4
	s_waitcnt lgkmcnt(0)
	s_waitcnt_vscnt null, 0x0
	s_barrier
	buffer_gl0_inv
	s_clause 0x1c
	buffer_load_dword v131, off, s[0:3], 0 offset:328
	buffer_load_dword v132, off, s[0:3], 0 offset:332
	;; [unrolled: 1-line block ×29, first 2 shown]
	v_mov_b32_e32 v122, 0
	buffer_load_dword v156, off, s[0:3], 0 offset:444
	s_mov_b32 s4, exec_lo
	ds_read2_b64 v[123:126], v122 offset0:101 offset1:102
	ds_read2_b64 v[127:130], v122 offset0:103 offset1:104
	s_waitcnt vmcnt(28) lgkmcnt(1)
	v_fma_f64 v[123:124], v[131:132], v[123:124], 0
	s_clause 0x7
	buffer_load_dword v132, off, s[0:3], 0 offset:452
	buffer_load_dword v161, off, s[0:3], 0 offset:472
	buffer_load_dword v163, off, s[0:3], 0 offset:464
	buffer_load_dword v165, off, s[0:3], 0 offset:456
	buffer_load_dword v131, off, s[0:3], 0 offset:448
	buffer_load_dword v166, off, s[0:3], 0 offset:460
	buffer_load_dword v164, off, s[0:3], 0 offset:468
	buffer_load_dword v162, off, s[0:3], 0 offset:476
	s_waitcnt vmcnt(34)
	v_fma_f64 v[123:124], v[133:134], v[125:126], v[123:124]
	s_waitcnt vmcnt(32) lgkmcnt(0)
	v_fma_f64 v[123:124], v[135:136], v[127:128], v[123:124]
	s_waitcnt vmcnt(30)
	v_fma_f64 v[133:134], v[137:138], v[129:130], v[123:124]
	ds_read2_b64 v[123:126], v122 offset0:105 offset1:106
	ds_read2_b64 v[127:130], v122 offset0:107 offset1:108
	s_waitcnt vmcnt(28) lgkmcnt(1)
	v_fma_f64 v[123:124], v[139:140], v[123:124], v[133:134]
	s_clause 0x1
	buffer_load_dword v133, off, s[0:3], 0 offset:320
	buffer_load_dword v134, off, s[0:3], 0 offset:324
	s_waitcnt vmcnt(28)
	v_fma_f64 v[123:124], v[141:142], v[125:126], v[123:124]
	s_waitcnt vmcnt(26) lgkmcnt(0)
	v_fma_f64 v[123:124], v[143:144], v[127:128], v[123:124]
	s_waitcnt vmcnt(21)
	v_fma_f64 v[135:136], v[145:146], v[129:130], v[123:124]
	ds_read2_b64 v[123:126], v122 offset0:109 offset1:110
	ds_read2_b64 v[127:130], v122 offset0:111 offset1:112
	s_waitcnt vmcnt(20) lgkmcnt(1)
	v_fma_f64 v[123:124], v[151:152], v[123:124], v[135:136]
	s_waitcnt vmcnt(19)
	v_fma_f64 v[123:124], v[149:150], v[125:126], v[123:124]
	s_waitcnt vmcnt(18) lgkmcnt(0)
	v_fma_f64 v[123:124], v[147:148], v[127:128], v[123:124]
	s_waitcnt vmcnt(13)
	v_fma_f64 v[135:136], v[153:154], v[129:130], v[123:124]
	ds_read2_b64 v[123:126], v122 offset0:113 offset1:114
	ds_read2_b64 v[127:130], v122 offset0:115 offset1:116
	s_waitcnt vmcnt(12) lgkmcnt(1)
	v_fma_f64 v[123:124], v[159:160], v[123:124], v[135:136]
	s_waitcnt vmcnt(11)
	v_fma_f64 v[123:124], v[157:158], v[125:126], v[123:124]
	s_waitcnt vmcnt(10) lgkmcnt(0)
	v_fma_f64 v[123:124], v[155:156], v[127:128], v[123:124]
	s_waitcnt vmcnt(5)
	v_fma_f64 v[127:128], v[131:132], v[129:130], v[123:124]
	ds_read2_b64 v[123:126], v122 offset0:117 offset1:118
	ds_read_b64 v[129:130], v122 offset:952
	s_waitcnt vmcnt(4) lgkmcnt(1)
	v_fma_f64 v[123:124], v[165:166], v[123:124], v[127:128]
	s_waitcnt vmcnt(3)
	v_fma_f64 v[123:124], v[163:164], v[125:126], v[123:124]
	s_waitcnt vmcnt(2) lgkmcnt(0)
	v_fma_f64 v[123:124], v[161:162], v[129:130], v[123:124]
	s_waitcnt vmcnt(0)
	v_add_f64 v[123:124], v[133:134], -v[123:124]
	buffer_store_dword v124, off, s[0:3], 0 offset:324
	buffer_store_dword v123, off, s[0:3], 0 offset:320
	v_cmpx_lt_u32_e32 39, v0
	s_cbranch_execz .LBB123_291
; %bb.290:
	s_clause 0x1
	buffer_load_dword v123, off, s[0:3], 0 offset:312
	buffer_load_dword v124, off, s[0:3], 0 offset:316
	buffer_store_dword v122, off, s[0:3], 0 offset:312
	buffer_store_dword v122, off, s[0:3], 0 offset:316
	s_waitcnt vmcnt(0)
	ds_write_b64 v121, v[123:124]
.LBB123_291:
	s_or_b32 exec_lo, exec_lo, s4
	s_waitcnt lgkmcnt(0)
	s_waitcnt_vscnt null, 0x0
	s_barrier
	buffer_gl0_inv
	s_clause 0x1c
	buffer_load_dword v131, off, s[0:3], 0 offset:320
	buffer_load_dword v132, off, s[0:3], 0 offset:324
	;; [unrolled: 1-line block ×29, first 2 shown]
	ds_read_b128 v[123:126], v122 offset:800
	ds_read_b128 v[127:130], v122 offset:816
	buffer_load_dword v156, off, s[0:3], 0 offset:436
	s_mov_b32 s4, exec_lo
	s_waitcnt vmcnt(28) lgkmcnt(1)
	v_fma_f64 v[123:124], v[131:132], v[123:124], 0
	s_clause 0x7
	buffer_load_dword v132, off, s[0:3], 0 offset:444
	buffer_load_dword v161, off, s[0:3], 0 offset:464
	;; [unrolled: 1-line block ×8, first 2 shown]
	s_waitcnt vmcnt(34)
	v_fma_f64 v[123:124], v[133:134], v[125:126], v[123:124]
	s_waitcnt vmcnt(32) lgkmcnt(0)
	v_fma_f64 v[123:124], v[135:136], v[127:128], v[123:124]
	s_waitcnt vmcnt(30)
	v_fma_f64 v[133:134], v[137:138], v[129:130], v[123:124]
	ds_read_b128 v[123:126], v122 offset:832
	ds_read_b128 v[127:130], v122 offset:848
	s_waitcnt vmcnt(28) lgkmcnt(1)
	v_fma_f64 v[123:124], v[139:140], v[123:124], v[133:134]
	s_clause 0x3
	buffer_load_dword v134, off, s[0:3], 0 offset:476
	buffer_load_dword v133, off, s[0:3], 0 offset:472
	;; [unrolled: 1-line block ×4, first 2 shown]
	s_waitcnt vmcnt(30)
	v_fma_f64 v[123:124], v[141:142], v[125:126], v[123:124]
	s_waitcnt vmcnt(28) lgkmcnt(0)
	v_fma_f64 v[123:124], v[143:144], v[127:128], v[123:124]
	s_waitcnt vmcnt(23)
	v_fma_f64 v[137:138], v[145:146], v[129:130], v[123:124]
	ds_read_b128 v[123:126], v122 offset:864
	ds_read_b128 v[127:130], v122 offset:880
	s_waitcnt vmcnt(22) lgkmcnt(1)
	v_fma_f64 v[123:124], v[151:152], v[123:124], v[137:138]
	s_waitcnt vmcnt(21)
	v_fma_f64 v[123:124], v[149:150], v[125:126], v[123:124]
	s_waitcnt vmcnt(20) lgkmcnt(0)
	v_fma_f64 v[123:124], v[147:148], v[127:128], v[123:124]
	s_waitcnt vmcnt(15)
	v_fma_f64 v[137:138], v[153:154], v[129:130], v[123:124]
	ds_read_b128 v[123:126], v122 offset:896
	ds_read_b128 v[127:130], v122 offset:912
	s_waitcnt vmcnt(14) lgkmcnt(1)
	v_fma_f64 v[123:124], v[159:160], v[123:124], v[137:138]
	;; [unrolled: 10-line block ×3, first 2 shown]
	s_waitcnt vmcnt(5)
	v_fma_f64 v[122:123], v[163:164], v[125:126], v[122:123]
	s_waitcnt vmcnt(4) lgkmcnt(0)
	v_fma_f64 v[122:123], v[161:162], v[127:128], v[122:123]
	s_waitcnt vmcnt(2)
	v_fma_f64 v[122:123], v[133:134], v[129:130], v[122:123]
	s_waitcnt vmcnt(0)
	v_add_f64 v[122:123], v[135:136], -v[122:123]
	buffer_store_dword v123, off, s[0:3], 0 offset:316
	buffer_store_dword v122, off, s[0:3], 0 offset:312
	v_cmpx_lt_u32_e32 38, v0
	s_cbranch_execz .LBB123_293
; %bb.292:
	s_clause 0x1
	buffer_load_dword v122, off, s[0:3], 0 offset:304
	buffer_load_dword v123, off, s[0:3], 0 offset:308
	v_mov_b32_e32 v124, 0
	buffer_store_dword v124, off, s[0:3], 0 offset:304
	buffer_store_dword v124, off, s[0:3], 0 offset:308
	s_waitcnt vmcnt(0)
	ds_write_b64 v121, v[122:123]
.LBB123_293:
	s_or_b32 exec_lo, exec_lo, s4
	s_waitcnt lgkmcnt(0)
	s_waitcnt_vscnt null, 0x0
	s_barrier
	buffer_gl0_inv
	s_clause 0x1c
	buffer_load_dword v131, off, s[0:3], 0 offset:312
	buffer_load_dword v132, off, s[0:3], 0 offset:316
	;; [unrolled: 1-line block ×29, first 2 shown]
	v_mov_b32_e32 v122, 0
	buffer_load_dword v156, off, s[0:3], 0 offset:428
	s_mov_b32 s4, exec_lo
	ds_read2_b64 v[123:126], v122 offset0:99 offset1:100
	ds_read2_b64 v[127:130], v122 offset0:101 offset1:102
	s_waitcnt vmcnt(28) lgkmcnt(1)
	v_fma_f64 v[123:124], v[131:132], v[123:124], 0
	s_clause 0x7
	buffer_load_dword v132, off, s[0:3], 0 offset:436
	buffer_load_dword v161, off, s[0:3], 0 offset:456
	;; [unrolled: 1-line block ×8, first 2 shown]
	s_waitcnt vmcnt(34)
	v_fma_f64 v[123:124], v[133:134], v[125:126], v[123:124]
	s_waitcnt vmcnt(32) lgkmcnt(0)
	v_fma_f64 v[123:124], v[135:136], v[127:128], v[123:124]
	s_waitcnt vmcnt(30)
	v_fma_f64 v[133:134], v[137:138], v[129:130], v[123:124]
	ds_read2_b64 v[123:126], v122 offset0:103 offset1:104
	ds_read2_b64 v[127:130], v122 offset0:105 offset1:106
	s_waitcnt vmcnt(28) lgkmcnt(1)
	v_fma_f64 v[123:124], v[139:140], v[123:124], v[133:134]
	s_clause 0x5
	buffer_load_dword v134, off, s[0:3], 0 offset:468
	buffer_load_dword v135, off, s[0:3], 0 offset:472
	;; [unrolled: 1-line block ×6, first 2 shown]
	s_waitcnt vmcnt(32)
	v_fma_f64 v[123:124], v[141:142], v[125:126], v[123:124]
	s_waitcnt vmcnt(30) lgkmcnt(0)
	v_fma_f64 v[123:124], v[143:144], v[127:128], v[123:124]
	s_waitcnt vmcnt(25)
	v_fma_f64 v[139:140], v[145:146], v[129:130], v[123:124]
	ds_read2_b64 v[123:126], v122 offset0:107 offset1:108
	ds_read2_b64 v[127:130], v122 offset0:109 offset1:110
	s_waitcnt vmcnt(24) lgkmcnt(1)
	v_fma_f64 v[123:124], v[151:152], v[123:124], v[139:140]
	s_waitcnt vmcnt(23)
	v_fma_f64 v[123:124], v[149:150], v[125:126], v[123:124]
	s_waitcnt vmcnt(22) lgkmcnt(0)
	v_fma_f64 v[123:124], v[147:148], v[127:128], v[123:124]
	s_waitcnt vmcnt(17)
	v_fma_f64 v[139:140], v[153:154], v[129:130], v[123:124]
	ds_read2_b64 v[123:126], v122 offset0:111 offset1:112
	ds_read2_b64 v[127:130], v122 offset0:113 offset1:114
	s_waitcnt vmcnt(16) lgkmcnt(1)
	v_fma_f64 v[123:124], v[159:160], v[123:124], v[139:140]
	;; [unrolled: 10-line block ×3, first 2 shown]
	s_waitcnt vmcnt(7)
	v_fma_f64 v[123:124], v[163:164], v[125:126], v[123:124]
	ds_read_b64 v[125:126], v122 offset:952
	s_waitcnt vmcnt(6) lgkmcnt(1)
	v_fma_f64 v[123:124], v[161:162], v[127:128], v[123:124]
	s_waitcnt vmcnt(3)
	v_fma_f64 v[123:124], v[133:134], v[129:130], v[123:124]
	s_waitcnt vmcnt(2) lgkmcnt(0)
	v_fma_f64 v[123:124], v[135:136], v[125:126], v[123:124]
	s_waitcnt vmcnt(0)
	v_add_f64 v[123:124], v[137:138], -v[123:124]
	buffer_store_dword v124, off, s[0:3], 0 offset:308
	buffer_store_dword v123, off, s[0:3], 0 offset:304
	v_cmpx_lt_u32_e32 37, v0
	s_cbranch_execz .LBB123_295
; %bb.294:
	s_clause 0x1
	buffer_load_dword v123, off, s[0:3], 0 offset:296
	buffer_load_dword v124, off, s[0:3], 0 offset:300
	buffer_store_dword v122, off, s[0:3], 0 offset:296
	buffer_store_dword v122, off, s[0:3], 0 offset:300
	s_waitcnt vmcnt(0)
	ds_write_b64 v121, v[123:124]
.LBB123_295:
	s_or_b32 exec_lo, exec_lo, s4
	s_waitcnt lgkmcnt(0)
	s_waitcnt_vscnt null, 0x0
	s_barrier
	buffer_gl0_inv
	s_clause 0x1c
	buffer_load_dword v131, off, s[0:3], 0 offset:304
	buffer_load_dword v132, off, s[0:3], 0 offset:308
	buffer_load_dword v133, off, s[0:3], 0 offset:312
	buffer_load_dword v134, off, s[0:3], 0 offset:316
	buffer_load_dword v135, off, s[0:3], 0 offset:320
	buffer_load_dword v136, off, s[0:3], 0 offset:324
	buffer_load_dword v137, off, s[0:3], 0 offset:328
	buffer_load_dword v138, off, s[0:3], 0 offset:332
	buffer_load_dword v139, off, s[0:3], 0 offset:336
	buffer_load_dword v140, off, s[0:3], 0 offset:340
	buffer_load_dword v141, off, s[0:3], 0 offset:344
	buffer_load_dword v142, off, s[0:3], 0 offset:348
	buffer_load_dword v143, off, s[0:3], 0 offset:352
	buffer_load_dword v144, off, s[0:3], 0 offset:356
	buffer_load_dword v146, off, s[0:3], 0 offset:364
	buffer_load_dword v147, off, s[0:3], 0 offset:384
	buffer_load_dword v149, off, s[0:3], 0 offset:376
	buffer_load_dword v151, off, s[0:3], 0 offset:368
	buffer_load_dword v145, off, s[0:3], 0 offset:360
	buffer_load_dword v152, off, s[0:3], 0 offset:372
	buffer_load_dword v150, off, s[0:3], 0 offset:380
	buffer_load_dword v148, off, s[0:3], 0 offset:388
	buffer_load_dword v154, off, s[0:3], 0 offset:396
	buffer_load_dword v155, off, s[0:3], 0 offset:416
	buffer_load_dword v157, off, s[0:3], 0 offset:408
	buffer_load_dword v159, off, s[0:3], 0 offset:400
	buffer_load_dword v153, off, s[0:3], 0 offset:392
	buffer_load_dword v160, off, s[0:3], 0 offset:404
	buffer_load_dword v158, off, s[0:3], 0 offset:412
	ds_read_b128 v[123:126], v122 offset:784
	ds_read_b128 v[127:130], v122 offset:800
	buffer_load_dword v156, off, s[0:3], 0 offset:420
	s_mov_b32 s4, exec_lo
	s_waitcnt vmcnt(28) lgkmcnt(1)
	v_fma_f64 v[123:124], v[131:132], v[123:124], 0
	s_clause 0x7
	buffer_load_dword v132, off, s[0:3], 0 offset:428
	buffer_load_dword v161, off, s[0:3], 0 offset:448
	;; [unrolled: 1-line block ×8, first 2 shown]
	s_waitcnt vmcnt(34)
	v_fma_f64 v[123:124], v[133:134], v[125:126], v[123:124]
	s_waitcnt vmcnt(32) lgkmcnt(0)
	v_fma_f64 v[123:124], v[135:136], v[127:128], v[123:124]
	s_waitcnt vmcnt(30)
	v_fma_f64 v[133:134], v[137:138], v[129:130], v[123:124]
	ds_read_b128 v[123:126], v122 offset:816
	ds_read_b128 v[127:130], v122 offset:832
	s_waitcnt vmcnt(28) lgkmcnt(1)
	v_fma_f64 v[123:124], v[139:140], v[123:124], v[133:134]
	s_clause 0x5
	buffer_load_dword v134, off, s[0:3], 0 offset:460
	buffer_load_dword v135, off, s[0:3], 0 offset:472
	;; [unrolled: 1-line block ×6, first 2 shown]
	s_waitcnt vmcnt(32)
	v_fma_f64 v[123:124], v[141:142], v[125:126], v[123:124]
	s_waitcnt vmcnt(30) lgkmcnt(0)
	v_fma_f64 v[123:124], v[143:144], v[127:128], v[123:124]
	s_waitcnt vmcnt(25)
	v_fma_f64 v[139:140], v[145:146], v[129:130], v[123:124]
	ds_read_b128 v[123:126], v122 offset:848
	s_clause 0x1
	buffer_load_dword v141, off, s[0:3], 0 offset:296
	buffer_load_dword v142, off, s[0:3], 0 offset:300
	ds_read_b128 v[127:130], v122 offset:864
	s_waitcnt vmcnt(26) lgkmcnt(1)
	v_fma_f64 v[123:124], v[151:152], v[123:124], v[139:140]
	s_waitcnt vmcnt(25)
	v_fma_f64 v[123:124], v[149:150], v[125:126], v[123:124]
	s_waitcnt vmcnt(24) lgkmcnt(0)
	v_fma_f64 v[123:124], v[147:148], v[127:128], v[123:124]
	s_waitcnt vmcnt(19)
	v_fma_f64 v[139:140], v[153:154], v[129:130], v[123:124]
	ds_read_b128 v[123:126], v122 offset:880
	ds_read_b128 v[127:130], v122 offset:896
	s_waitcnt vmcnt(18) lgkmcnt(1)
	v_fma_f64 v[123:124], v[159:160], v[123:124], v[139:140]
	s_waitcnt vmcnt(17)
	v_fma_f64 v[123:124], v[157:158], v[125:126], v[123:124]
	s_waitcnt vmcnt(16) lgkmcnt(0)
	v_fma_f64 v[123:124], v[155:156], v[127:128], v[123:124]
	s_waitcnt vmcnt(11)
	v_fma_f64 v[131:132], v[131:132], v[129:130], v[123:124]
	ds_read_b128 v[123:126], v122 offset:912
	;; [unrolled: 10-line block ×3, first 2 shown]
	s_waitcnt vmcnt(3) lgkmcnt(0)
	v_fma_f64 v[122:123], v[137:138], v[122:123], v[126:127]
	s_waitcnt vmcnt(2)
	v_fma_f64 v[122:123], v[135:136], v[124:125], v[122:123]
	s_waitcnt vmcnt(0)
	v_add_f64 v[122:123], v[141:142], -v[122:123]
	buffer_store_dword v123, off, s[0:3], 0 offset:300
	buffer_store_dword v122, off, s[0:3], 0 offset:296
	v_cmpx_lt_u32_e32 36, v0
	s_cbranch_execz .LBB123_297
; %bb.296:
	s_clause 0x1
	buffer_load_dword v122, off, s[0:3], 0 offset:288
	buffer_load_dword v123, off, s[0:3], 0 offset:292
	v_mov_b32_e32 v124, 0
	buffer_store_dword v124, off, s[0:3], 0 offset:288
	buffer_store_dword v124, off, s[0:3], 0 offset:292
	s_waitcnt vmcnt(0)
	ds_write_b64 v121, v[122:123]
.LBB123_297:
	s_or_b32 exec_lo, exec_lo, s4
	s_waitcnt lgkmcnt(0)
	s_waitcnt_vscnt null, 0x0
	s_barrier
	buffer_gl0_inv
	s_clause 0x1c
	buffer_load_dword v131, off, s[0:3], 0 offset:296
	buffer_load_dword v132, off, s[0:3], 0 offset:300
	buffer_load_dword v133, off, s[0:3], 0 offset:304
	buffer_load_dword v134, off, s[0:3], 0 offset:308
	buffer_load_dword v135, off, s[0:3], 0 offset:312
	buffer_load_dword v136, off, s[0:3], 0 offset:316
	buffer_load_dword v137, off, s[0:3], 0 offset:320
	buffer_load_dword v138, off, s[0:3], 0 offset:324
	buffer_load_dword v139, off, s[0:3], 0 offset:328
	buffer_load_dword v140, off, s[0:3], 0 offset:332
	buffer_load_dword v141, off, s[0:3], 0 offset:336
	buffer_load_dword v142, off, s[0:3], 0 offset:340
	buffer_load_dword v143, off, s[0:3], 0 offset:344
	buffer_load_dword v144, off, s[0:3], 0 offset:348
	buffer_load_dword v146, off, s[0:3], 0 offset:356
	buffer_load_dword v147, off, s[0:3], 0 offset:376
	buffer_load_dword v149, off, s[0:3], 0 offset:368
	buffer_load_dword v151, off, s[0:3], 0 offset:360
	buffer_load_dword v145, off, s[0:3], 0 offset:352
	buffer_load_dword v152, off, s[0:3], 0 offset:364
	buffer_load_dword v150, off, s[0:3], 0 offset:372
	buffer_load_dword v148, off, s[0:3], 0 offset:380
	buffer_load_dword v154, off, s[0:3], 0 offset:388
	buffer_load_dword v155, off, s[0:3], 0 offset:408
	buffer_load_dword v157, off, s[0:3], 0 offset:400
	buffer_load_dword v159, off, s[0:3], 0 offset:392
	buffer_load_dword v153, off, s[0:3], 0 offset:384
	buffer_load_dword v160, off, s[0:3], 0 offset:396
	buffer_load_dword v158, off, s[0:3], 0 offset:404
	v_mov_b32_e32 v122, 0
	buffer_load_dword v156, off, s[0:3], 0 offset:412
	s_mov_b32 s4, exec_lo
	ds_read2_b64 v[123:126], v122 offset0:97 offset1:98
	ds_read2_b64 v[127:130], v122 offset0:99 offset1:100
	s_waitcnt vmcnt(28) lgkmcnt(1)
	v_fma_f64 v[123:124], v[131:132], v[123:124], 0
	s_clause 0x7
	buffer_load_dword v132, off, s[0:3], 0 offset:420
	buffer_load_dword v161, off, s[0:3], 0 offset:440
	buffer_load_dword v163, off, s[0:3], 0 offset:432
	buffer_load_dword v165, off, s[0:3], 0 offset:424
	buffer_load_dword v131, off, s[0:3], 0 offset:416
	buffer_load_dword v166, off, s[0:3], 0 offset:428
	buffer_load_dword v164, off, s[0:3], 0 offset:436
	buffer_load_dword v162, off, s[0:3], 0 offset:444
	s_waitcnt vmcnt(34)
	v_fma_f64 v[123:124], v[133:134], v[125:126], v[123:124]
	s_waitcnt vmcnt(32) lgkmcnt(0)
	v_fma_f64 v[123:124], v[135:136], v[127:128], v[123:124]
	s_waitcnt vmcnt(30)
	v_fma_f64 v[133:134], v[137:138], v[129:130], v[123:124]
	ds_read2_b64 v[123:126], v122 offset0:101 offset1:102
	ds_read2_b64 v[127:130], v122 offset0:103 offset1:104
	s_waitcnt vmcnt(28) lgkmcnt(1)
	v_fma_f64 v[123:124], v[139:140], v[123:124], v[133:134]
	s_clause 0x7
	buffer_load_dword v134, off, s[0:3], 0 offset:452
	buffer_load_dword v135, off, s[0:3], 0 offset:472
	buffer_load_dword v137, off, s[0:3], 0 offset:464
	buffer_load_dword v139, off, s[0:3], 0 offset:456
	buffer_load_dword v133, off, s[0:3], 0 offset:448
	buffer_load_dword v140, off, s[0:3], 0 offset:460
	buffer_load_dword v138, off, s[0:3], 0 offset:468
	buffer_load_dword v136, off, s[0:3], 0 offset:476
	s_waitcnt vmcnt(34)
	v_fma_f64 v[123:124], v[141:142], v[125:126], v[123:124]
	s_waitcnt vmcnt(32) lgkmcnt(0)
	v_fma_f64 v[123:124], v[143:144], v[127:128], v[123:124]
	s_waitcnt vmcnt(27)
	v_fma_f64 v[141:142], v[145:146], v[129:130], v[123:124]
	ds_read2_b64 v[123:126], v122 offset0:105 offset1:106
	ds_read2_b64 v[127:130], v122 offset0:107 offset1:108
	s_waitcnt vmcnt(26) lgkmcnt(1)
	v_fma_f64 v[123:124], v[151:152], v[123:124], v[141:142]
	s_clause 0x1
	buffer_load_dword v141, off, s[0:3], 0 offset:288
	buffer_load_dword v142, off, s[0:3], 0 offset:292
	s_waitcnt vmcnt(27)
	v_fma_f64 v[123:124], v[149:150], v[125:126], v[123:124]
	s_waitcnt vmcnt(26) lgkmcnt(0)
	v_fma_f64 v[123:124], v[147:148], v[127:128], v[123:124]
	s_waitcnt vmcnt(21)
	v_fma_f64 v[143:144], v[153:154], v[129:130], v[123:124]
	ds_read2_b64 v[123:126], v122 offset0:109 offset1:110
	ds_read2_b64 v[127:130], v122 offset0:111 offset1:112
	s_waitcnt vmcnt(20) lgkmcnt(1)
	v_fma_f64 v[123:124], v[159:160], v[123:124], v[143:144]
	s_waitcnt vmcnt(19)
	v_fma_f64 v[123:124], v[157:158], v[125:126], v[123:124]
	s_waitcnt vmcnt(18) lgkmcnt(0)
	v_fma_f64 v[123:124], v[155:156], v[127:128], v[123:124]
	s_waitcnt vmcnt(13)
	v_fma_f64 v[131:132], v[131:132], v[129:130], v[123:124]
	ds_read2_b64 v[123:126], v122 offset0:113 offset1:114
	ds_read2_b64 v[127:130], v122 offset0:115 offset1:116
	s_waitcnt vmcnt(12) lgkmcnt(1)
	v_fma_f64 v[123:124], v[165:166], v[123:124], v[131:132]
	s_waitcnt vmcnt(11)
	v_fma_f64 v[123:124], v[163:164], v[125:126], v[123:124]
	s_waitcnt vmcnt(10) lgkmcnt(0)
	v_fma_f64 v[123:124], v[161:162], v[127:128], v[123:124]
	s_waitcnt vmcnt(5)
	v_fma_f64 v[127:128], v[133:134], v[129:130], v[123:124]
	ds_read2_b64 v[123:126], v122 offset0:117 offset1:118
	ds_read_b64 v[129:130], v122 offset:952
	s_waitcnt vmcnt(4) lgkmcnt(1)
	v_fma_f64 v[123:124], v[139:140], v[123:124], v[127:128]
	s_waitcnt vmcnt(3)
	v_fma_f64 v[123:124], v[137:138], v[125:126], v[123:124]
	s_waitcnt vmcnt(2) lgkmcnt(0)
	v_fma_f64 v[123:124], v[135:136], v[129:130], v[123:124]
	s_waitcnt vmcnt(0)
	v_add_f64 v[123:124], v[141:142], -v[123:124]
	buffer_store_dword v124, off, s[0:3], 0 offset:292
	buffer_store_dword v123, off, s[0:3], 0 offset:288
	v_cmpx_lt_u32_e32 35, v0
	s_cbranch_execz .LBB123_299
; %bb.298:
	s_clause 0x1
	buffer_load_dword v123, off, s[0:3], 0 offset:280
	buffer_load_dword v124, off, s[0:3], 0 offset:284
	buffer_store_dword v122, off, s[0:3], 0 offset:280
	buffer_store_dword v122, off, s[0:3], 0 offset:284
	s_waitcnt vmcnt(0)
	ds_write_b64 v121, v[123:124]
.LBB123_299:
	s_or_b32 exec_lo, exec_lo, s4
	s_waitcnt lgkmcnt(0)
	s_waitcnt_vscnt null, 0x0
	s_barrier
	buffer_gl0_inv
	s_clause 0x1c
	buffer_load_dword v131, off, s[0:3], 0 offset:288
	buffer_load_dword v132, off, s[0:3], 0 offset:292
	;; [unrolled: 1-line block ×29, first 2 shown]
	ds_read_b128 v[123:126], v122 offset:768
	ds_read_b128 v[127:130], v122 offset:784
	buffer_load_dword v156, off, s[0:3], 0 offset:404
	s_mov_b32 s4, exec_lo
	s_waitcnt vmcnt(28) lgkmcnt(1)
	v_fma_f64 v[123:124], v[131:132], v[123:124], 0
	s_clause 0x7
	buffer_load_dword v132, off, s[0:3], 0 offset:412
	buffer_load_dword v161, off, s[0:3], 0 offset:432
	;; [unrolled: 1-line block ×8, first 2 shown]
	s_waitcnt vmcnt(34)
	v_fma_f64 v[123:124], v[133:134], v[125:126], v[123:124]
	s_waitcnt vmcnt(32) lgkmcnt(0)
	v_fma_f64 v[123:124], v[135:136], v[127:128], v[123:124]
	s_waitcnt vmcnt(30)
	v_fma_f64 v[133:134], v[137:138], v[129:130], v[123:124]
	ds_read_b128 v[123:126], v122 offset:800
	ds_read_b128 v[127:130], v122 offset:816
	s_waitcnt vmcnt(28) lgkmcnt(1)
	v_fma_f64 v[123:124], v[139:140], v[123:124], v[133:134]
	s_clause 0x7
	buffer_load_dword v134, off, s[0:3], 0 offset:444
	buffer_load_dword v135, off, s[0:3], 0 offset:464
	;; [unrolled: 1-line block ×8, first 2 shown]
	s_waitcnt vmcnt(34)
	v_fma_f64 v[123:124], v[141:142], v[125:126], v[123:124]
	s_waitcnt vmcnt(32) lgkmcnt(0)
	v_fma_f64 v[123:124], v[143:144], v[127:128], v[123:124]
	s_waitcnt vmcnt(27)
	v_fma_f64 v[141:142], v[145:146], v[129:130], v[123:124]
	ds_read_b128 v[123:126], v122 offset:832
	ds_read_b128 v[127:130], v122 offset:848
	s_waitcnt vmcnt(26) lgkmcnt(1)
	v_fma_f64 v[123:124], v[151:152], v[123:124], v[141:142]
	s_clause 0x3
	buffer_load_dword v142, off, s[0:3], 0 offset:476
	buffer_load_dword v141, off, s[0:3], 0 offset:472
	;; [unrolled: 1-line block ×4, first 2 shown]
	s_waitcnt vmcnt(29)
	v_fma_f64 v[123:124], v[149:150], v[125:126], v[123:124]
	s_waitcnt vmcnt(28) lgkmcnt(0)
	v_fma_f64 v[123:124], v[147:148], v[127:128], v[123:124]
	s_waitcnt vmcnt(23)
	v_fma_f64 v[145:146], v[153:154], v[129:130], v[123:124]
	ds_read_b128 v[123:126], v122 offset:864
	ds_read_b128 v[127:130], v122 offset:880
	s_waitcnt vmcnt(22) lgkmcnt(1)
	v_fma_f64 v[123:124], v[159:160], v[123:124], v[145:146]
	s_waitcnt vmcnt(21)
	v_fma_f64 v[123:124], v[157:158], v[125:126], v[123:124]
	s_waitcnt vmcnt(20) lgkmcnt(0)
	v_fma_f64 v[123:124], v[155:156], v[127:128], v[123:124]
	s_waitcnt vmcnt(15)
	v_fma_f64 v[131:132], v[131:132], v[129:130], v[123:124]
	ds_read_b128 v[123:126], v122 offset:896
	ds_read_b128 v[127:130], v122 offset:912
	s_waitcnt vmcnt(14) lgkmcnt(1)
	v_fma_f64 v[123:124], v[165:166], v[123:124], v[131:132]
	;; [unrolled: 10-line block ×3, first 2 shown]
	s_waitcnt vmcnt(5)
	v_fma_f64 v[122:123], v[137:138], v[125:126], v[122:123]
	s_waitcnt vmcnt(4) lgkmcnt(0)
	v_fma_f64 v[122:123], v[135:136], v[127:128], v[122:123]
	s_waitcnt vmcnt(2)
	v_fma_f64 v[122:123], v[141:142], v[129:130], v[122:123]
	s_waitcnt vmcnt(0)
	v_add_f64 v[122:123], v[143:144], -v[122:123]
	buffer_store_dword v123, off, s[0:3], 0 offset:284
	buffer_store_dword v122, off, s[0:3], 0 offset:280
	v_cmpx_lt_u32_e32 34, v0
	s_cbranch_execz .LBB123_301
; %bb.300:
	s_clause 0x1
	buffer_load_dword v122, off, s[0:3], 0 offset:272
	buffer_load_dword v123, off, s[0:3], 0 offset:276
	v_mov_b32_e32 v124, 0
	buffer_store_dword v124, off, s[0:3], 0 offset:272
	buffer_store_dword v124, off, s[0:3], 0 offset:276
	s_waitcnt vmcnt(0)
	ds_write_b64 v121, v[122:123]
.LBB123_301:
	s_or_b32 exec_lo, exec_lo, s4
	s_waitcnt lgkmcnt(0)
	s_waitcnt_vscnt null, 0x0
	s_barrier
	buffer_gl0_inv
	s_clause 0x1c
	buffer_load_dword v131, off, s[0:3], 0 offset:280
	buffer_load_dword v132, off, s[0:3], 0 offset:284
	;; [unrolled: 1-line block ×29, first 2 shown]
	v_mov_b32_e32 v122, 0
	buffer_load_dword v156, off, s[0:3], 0 offset:396
	s_mov_b32 s4, exec_lo
	ds_read2_b64 v[123:126], v122 offset0:95 offset1:96
	ds_read2_b64 v[127:130], v122 offset0:97 offset1:98
	s_waitcnt vmcnt(28) lgkmcnt(1)
	v_fma_f64 v[123:124], v[131:132], v[123:124], 0
	s_clause 0x7
	buffer_load_dword v132, off, s[0:3], 0 offset:404
	buffer_load_dword v161, off, s[0:3], 0 offset:424
	;; [unrolled: 1-line block ×8, first 2 shown]
	s_waitcnt vmcnt(34)
	v_fma_f64 v[123:124], v[133:134], v[125:126], v[123:124]
	s_waitcnt vmcnt(32) lgkmcnt(0)
	v_fma_f64 v[123:124], v[135:136], v[127:128], v[123:124]
	s_waitcnt vmcnt(30)
	v_fma_f64 v[133:134], v[137:138], v[129:130], v[123:124]
	ds_read2_b64 v[123:126], v122 offset0:99 offset1:100
	ds_read2_b64 v[127:130], v122 offset0:101 offset1:102
	s_waitcnt vmcnt(28) lgkmcnt(1)
	v_fma_f64 v[123:124], v[139:140], v[123:124], v[133:134]
	s_clause 0x7
	buffer_load_dword v134, off, s[0:3], 0 offset:436
	buffer_load_dword v135, off, s[0:3], 0 offset:456
	buffer_load_dword v137, off, s[0:3], 0 offset:448
	buffer_load_dword v139, off, s[0:3], 0 offset:440
	buffer_load_dword v133, off, s[0:3], 0 offset:432
	buffer_load_dword v140, off, s[0:3], 0 offset:444
	buffer_load_dword v138, off, s[0:3], 0 offset:452
	buffer_load_dword v136, off, s[0:3], 0 offset:460
	s_waitcnt vmcnt(34)
	v_fma_f64 v[123:124], v[141:142], v[125:126], v[123:124]
	s_waitcnt vmcnt(32) lgkmcnt(0)
	v_fma_f64 v[123:124], v[143:144], v[127:128], v[123:124]
	s_waitcnt vmcnt(27)
	v_fma_f64 v[141:142], v[145:146], v[129:130], v[123:124]
	ds_read2_b64 v[123:126], v122 offset0:103 offset1:104
	ds_read2_b64 v[127:130], v122 offset0:105 offset1:106
	s_waitcnt vmcnt(26) lgkmcnt(1)
	v_fma_f64 v[123:124], v[151:152], v[123:124], v[141:142]
	s_clause 0x5
	buffer_load_dword v142, off, s[0:3], 0 offset:468
	buffer_load_dword v143, off, s[0:3], 0 offset:472
	;; [unrolled: 1-line block ×6, first 2 shown]
	s_waitcnt vmcnt(31)
	v_fma_f64 v[123:124], v[149:150], v[125:126], v[123:124]
	s_waitcnt vmcnt(30) lgkmcnt(0)
	v_fma_f64 v[123:124], v[147:148], v[127:128], v[123:124]
	s_waitcnt vmcnt(25)
	v_fma_f64 v[147:148], v[153:154], v[129:130], v[123:124]
	ds_read2_b64 v[123:126], v122 offset0:107 offset1:108
	ds_read2_b64 v[127:130], v122 offset0:109 offset1:110
	s_waitcnt vmcnt(24) lgkmcnt(1)
	v_fma_f64 v[123:124], v[159:160], v[123:124], v[147:148]
	s_waitcnt vmcnt(23)
	v_fma_f64 v[123:124], v[157:158], v[125:126], v[123:124]
	s_waitcnt vmcnt(22) lgkmcnt(0)
	v_fma_f64 v[123:124], v[155:156], v[127:128], v[123:124]
	s_waitcnt vmcnt(17)
	v_fma_f64 v[131:132], v[131:132], v[129:130], v[123:124]
	ds_read2_b64 v[123:126], v122 offset0:111 offset1:112
	ds_read2_b64 v[127:130], v122 offset0:113 offset1:114
	s_waitcnt vmcnt(16) lgkmcnt(1)
	v_fma_f64 v[123:124], v[165:166], v[123:124], v[131:132]
	;; [unrolled: 10-line block ×3, first 2 shown]
	s_waitcnt vmcnt(7)
	v_fma_f64 v[123:124], v[137:138], v[125:126], v[123:124]
	ds_read_b64 v[125:126], v122 offset:952
	s_waitcnt vmcnt(6) lgkmcnt(1)
	v_fma_f64 v[123:124], v[135:136], v[127:128], v[123:124]
	s_waitcnt vmcnt(3)
	v_fma_f64 v[123:124], v[141:142], v[129:130], v[123:124]
	s_waitcnt vmcnt(2) lgkmcnt(0)
	v_fma_f64 v[123:124], v[143:144], v[125:126], v[123:124]
	s_waitcnt vmcnt(0)
	v_add_f64 v[123:124], v[145:146], -v[123:124]
	buffer_store_dword v124, off, s[0:3], 0 offset:276
	buffer_store_dword v123, off, s[0:3], 0 offset:272
	v_cmpx_lt_u32_e32 33, v0
	s_cbranch_execz .LBB123_303
; %bb.302:
	s_clause 0x1
	buffer_load_dword v123, off, s[0:3], 0 offset:264
	buffer_load_dword v124, off, s[0:3], 0 offset:268
	buffer_store_dword v122, off, s[0:3], 0 offset:264
	buffer_store_dword v122, off, s[0:3], 0 offset:268
	s_waitcnt vmcnt(0)
	ds_write_b64 v121, v[123:124]
.LBB123_303:
	s_or_b32 exec_lo, exec_lo, s4
	s_waitcnt lgkmcnt(0)
	s_waitcnt_vscnt null, 0x0
	s_barrier
	buffer_gl0_inv
	s_clause 0x1c
	buffer_load_dword v131, off, s[0:3], 0 offset:272
	buffer_load_dword v132, off, s[0:3], 0 offset:276
	;; [unrolled: 1-line block ×29, first 2 shown]
	ds_read_b128 v[123:126], v122 offset:752
	ds_read_b128 v[127:130], v122 offset:768
	buffer_load_dword v156, off, s[0:3], 0 offset:388
	s_mov_b32 s4, exec_lo
	s_waitcnt vmcnt(28) lgkmcnt(1)
	v_fma_f64 v[123:124], v[131:132], v[123:124], 0
	s_clause 0x7
	buffer_load_dword v132, off, s[0:3], 0 offset:396
	buffer_load_dword v161, off, s[0:3], 0 offset:416
	;; [unrolled: 1-line block ×8, first 2 shown]
	s_waitcnt vmcnt(34)
	v_fma_f64 v[123:124], v[133:134], v[125:126], v[123:124]
	s_waitcnt vmcnt(32) lgkmcnt(0)
	v_fma_f64 v[123:124], v[135:136], v[127:128], v[123:124]
	s_waitcnt vmcnt(30)
	v_fma_f64 v[133:134], v[137:138], v[129:130], v[123:124]
	ds_read_b128 v[123:126], v122 offset:784
	ds_read_b128 v[127:130], v122 offset:800
	s_waitcnt vmcnt(28) lgkmcnt(1)
	v_fma_f64 v[123:124], v[139:140], v[123:124], v[133:134]
	s_clause 0x7
	buffer_load_dword v134, off, s[0:3], 0 offset:428
	buffer_load_dword v135, off, s[0:3], 0 offset:448
	;; [unrolled: 1-line block ×8, first 2 shown]
	s_waitcnt vmcnt(34)
	v_fma_f64 v[123:124], v[141:142], v[125:126], v[123:124]
	s_waitcnt vmcnt(32) lgkmcnt(0)
	v_fma_f64 v[123:124], v[143:144], v[127:128], v[123:124]
	s_waitcnt vmcnt(27)
	v_fma_f64 v[141:142], v[145:146], v[129:130], v[123:124]
	ds_read_b128 v[123:126], v122 offset:816
	ds_read_b128 v[127:130], v122 offset:832
	s_waitcnt vmcnt(26) lgkmcnt(1)
	v_fma_f64 v[123:124], v[151:152], v[123:124], v[141:142]
	s_clause 0x5
	buffer_load_dword v142, off, s[0:3], 0 offset:460
	buffer_load_dword v143, off, s[0:3], 0 offset:472
	;; [unrolled: 1-line block ×6, first 2 shown]
	s_waitcnt vmcnt(31)
	v_fma_f64 v[123:124], v[149:150], v[125:126], v[123:124]
	s_waitcnt vmcnt(30) lgkmcnt(0)
	v_fma_f64 v[123:124], v[147:148], v[127:128], v[123:124]
	s_waitcnt vmcnt(25)
	v_fma_f64 v[147:148], v[153:154], v[129:130], v[123:124]
	ds_read_b128 v[123:126], v122 offset:848
	s_clause 0x1
	buffer_load_dword v149, off, s[0:3], 0 offset:264
	buffer_load_dword v150, off, s[0:3], 0 offset:268
	ds_read_b128 v[127:130], v122 offset:864
	s_waitcnt vmcnt(26) lgkmcnt(1)
	v_fma_f64 v[123:124], v[159:160], v[123:124], v[147:148]
	s_waitcnt vmcnt(25)
	v_fma_f64 v[123:124], v[157:158], v[125:126], v[123:124]
	s_waitcnt vmcnt(24) lgkmcnt(0)
	v_fma_f64 v[123:124], v[155:156], v[127:128], v[123:124]
	s_waitcnt vmcnt(19)
	v_fma_f64 v[131:132], v[131:132], v[129:130], v[123:124]
	ds_read_b128 v[123:126], v122 offset:880
	ds_read_b128 v[127:130], v122 offset:896
	s_waitcnt vmcnt(18) lgkmcnt(1)
	v_fma_f64 v[123:124], v[165:166], v[123:124], v[131:132]
	s_waitcnt vmcnt(17)
	v_fma_f64 v[123:124], v[163:164], v[125:126], v[123:124]
	s_waitcnt vmcnt(16) lgkmcnt(0)
	v_fma_f64 v[123:124], v[161:162], v[127:128], v[123:124]
	s_waitcnt vmcnt(11)
	v_fma_f64 v[131:132], v[133:134], v[129:130], v[123:124]
	ds_read_b128 v[123:126], v122 offset:912
	;; [unrolled: 10-line block ×3, first 2 shown]
	s_waitcnt vmcnt(3) lgkmcnt(0)
	v_fma_f64 v[122:123], v[145:146], v[122:123], v[126:127]
	s_waitcnt vmcnt(2)
	v_fma_f64 v[122:123], v[143:144], v[124:125], v[122:123]
	s_waitcnt vmcnt(0)
	v_add_f64 v[122:123], v[149:150], -v[122:123]
	buffer_store_dword v123, off, s[0:3], 0 offset:268
	buffer_store_dword v122, off, s[0:3], 0 offset:264
	v_cmpx_lt_u32_e32 32, v0
	s_cbranch_execz .LBB123_305
; %bb.304:
	s_clause 0x1
	buffer_load_dword v122, off, s[0:3], 0 offset:256
	buffer_load_dword v123, off, s[0:3], 0 offset:260
	v_mov_b32_e32 v124, 0
	buffer_store_dword v124, off, s[0:3], 0 offset:256
	buffer_store_dword v124, off, s[0:3], 0 offset:260
	s_waitcnt vmcnt(0)
	ds_write_b64 v121, v[122:123]
.LBB123_305:
	s_or_b32 exec_lo, exec_lo, s4
	s_waitcnt lgkmcnt(0)
	s_waitcnt_vscnt null, 0x0
	s_barrier
	buffer_gl0_inv
	s_clause 0x1c
	buffer_load_dword v131, off, s[0:3], 0 offset:264
	buffer_load_dword v132, off, s[0:3], 0 offset:268
	;; [unrolled: 1-line block ×29, first 2 shown]
	v_mov_b32_e32 v122, 0
	buffer_load_dword v156, off, s[0:3], 0 offset:380
	s_mov_b32 s4, exec_lo
	ds_read2_b64 v[123:126], v122 offset0:93 offset1:94
	ds_read2_b64 v[127:130], v122 offset0:95 offset1:96
	s_waitcnt vmcnt(28) lgkmcnt(1)
	v_fma_f64 v[123:124], v[131:132], v[123:124], 0
	s_clause 0x7
	buffer_load_dword v132, off, s[0:3], 0 offset:388
	buffer_load_dword v161, off, s[0:3], 0 offset:408
	buffer_load_dword v163, off, s[0:3], 0 offset:400
	buffer_load_dword v165, off, s[0:3], 0 offset:392
	buffer_load_dword v131, off, s[0:3], 0 offset:384
	buffer_load_dword v166, off, s[0:3], 0 offset:396
	buffer_load_dword v164, off, s[0:3], 0 offset:404
	buffer_load_dword v162, off, s[0:3], 0 offset:412
	s_waitcnt vmcnt(34)
	v_fma_f64 v[123:124], v[133:134], v[125:126], v[123:124]
	s_waitcnt vmcnt(32) lgkmcnt(0)
	v_fma_f64 v[123:124], v[135:136], v[127:128], v[123:124]
	s_waitcnt vmcnt(30)
	v_fma_f64 v[133:134], v[137:138], v[129:130], v[123:124]
	ds_read2_b64 v[123:126], v122 offset0:97 offset1:98
	ds_read2_b64 v[127:130], v122 offset0:99 offset1:100
	s_waitcnt vmcnt(28) lgkmcnt(1)
	v_fma_f64 v[123:124], v[139:140], v[123:124], v[133:134]
	s_clause 0x7
	buffer_load_dword v134, off, s[0:3], 0 offset:420
	buffer_load_dword v135, off, s[0:3], 0 offset:440
	buffer_load_dword v137, off, s[0:3], 0 offset:432
	buffer_load_dword v139, off, s[0:3], 0 offset:424
	buffer_load_dword v133, off, s[0:3], 0 offset:416
	buffer_load_dword v140, off, s[0:3], 0 offset:428
	buffer_load_dword v138, off, s[0:3], 0 offset:436
	buffer_load_dword v136, off, s[0:3], 0 offset:444
	s_waitcnt vmcnt(34)
	v_fma_f64 v[123:124], v[141:142], v[125:126], v[123:124]
	s_waitcnt vmcnt(32) lgkmcnt(0)
	v_fma_f64 v[123:124], v[143:144], v[127:128], v[123:124]
	s_waitcnt vmcnt(27)
	v_fma_f64 v[141:142], v[145:146], v[129:130], v[123:124]
	;; [unrolled: 19-line block ×3, first 2 shown]
	ds_read2_b64 v[123:126], v122 offset0:105 offset1:106
	ds_read2_b64 v[127:130], v122 offset0:107 offset1:108
	s_waitcnt vmcnt(26) lgkmcnt(1)
	v_fma_f64 v[123:124], v[159:160], v[123:124], v[147:148]
	s_clause 0x1
	buffer_load_dword v147, off, s[0:3], 0 offset:256
	buffer_load_dword v148, off, s[0:3], 0 offset:260
	s_waitcnt vmcnt(27)
	v_fma_f64 v[123:124], v[157:158], v[125:126], v[123:124]
	s_waitcnt vmcnt(26) lgkmcnt(0)
	v_fma_f64 v[123:124], v[155:156], v[127:128], v[123:124]
	s_waitcnt vmcnt(21)
	v_fma_f64 v[131:132], v[131:132], v[129:130], v[123:124]
	ds_read2_b64 v[123:126], v122 offset0:109 offset1:110
	ds_read2_b64 v[127:130], v122 offset0:111 offset1:112
	s_waitcnt vmcnt(20) lgkmcnt(1)
	v_fma_f64 v[123:124], v[165:166], v[123:124], v[131:132]
	s_waitcnt vmcnt(19)
	v_fma_f64 v[123:124], v[163:164], v[125:126], v[123:124]
	s_waitcnt vmcnt(18) lgkmcnt(0)
	v_fma_f64 v[123:124], v[161:162], v[127:128], v[123:124]
	s_waitcnt vmcnt(13)
	v_fma_f64 v[131:132], v[133:134], v[129:130], v[123:124]
	ds_read2_b64 v[123:126], v122 offset0:113 offset1:114
	ds_read2_b64 v[127:130], v122 offset0:115 offset1:116
	s_waitcnt vmcnt(12) lgkmcnt(1)
	v_fma_f64 v[123:124], v[139:140], v[123:124], v[131:132]
	s_waitcnt vmcnt(11)
	v_fma_f64 v[123:124], v[137:138], v[125:126], v[123:124]
	s_waitcnt vmcnt(10) lgkmcnt(0)
	v_fma_f64 v[123:124], v[135:136], v[127:128], v[123:124]
	s_waitcnt vmcnt(5)
	v_fma_f64 v[127:128], v[141:142], v[129:130], v[123:124]
	ds_read2_b64 v[123:126], v122 offset0:117 offset1:118
	ds_read_b64 v[129:130], v122 offset:952
	s_waitcnt vmcnt(4) lgkmcnt(1)
	v_fma_f64 v[123:124], v[151:152], v[123:124], v[127:128]
	s_waitcnt vmcnt(3)
	v_fma_f64 v[123:124], v[145:146], v[125:126], v[123:124]
	s_waitcnt vmcnt(2) lgkmcnt(0)
	v_fma_f64 v[123:124], v[143:144], v[129:130], v[123:124]
	s_waitcnt vmcnt(0)
	v_add_f64 v[123:124], v[147:148], -v[123:124]
	buffer_store_dword v124, off, s[0:3], 0 offset:260
	buffer_store_dword v123, off, s[0:3], 0 offset:256
	v_cmpx_lt_u32_e32 31, v0
	s_cbranch_execz .LBB123_307
; %bb.306:
	s_clause 0x1
	buffer_load_dword v123, off, s[0:3], 0 offset:248
	buffer_load_dword v124, off, s[0:3], 0 offset:252
	buffer_store_dword v122, off, s[0:3], 0 offset:248
	buffer_store_dword v122, off, s[0:3], 0 offset:252
	s_waitcnt vmcnt(0)
	ds_write_b64 v121, v[123:124]
.LBB123_307:
	s_or_b32 exec_lo, exec_lo, s4
	s_waitcnt lgkmcnt(0)
	s_waitcnt_vscnt null, 0x0
	s_barrier
	buffer_gl0_inv
	s_clause 0x1c
	buffer_load_dword v131, off, s[0:3], 0 offset:256
	buffer_load_dword v132, off, s[0:3], 0 offset:260
	;; [unrolled: 1-line block ×29, first 2 shown]
	ds_read_b128 v[123:126], v122 offset:736
	ds_read_b128 v[127:130], v122 offset:752
	buffer_load_dword v156, off, s[0:3], 0 offset:372
	s_mov_b32 s4, exec_lo
	s_waitcnt vmcnt(28) lgkmcnt(1)
	v_fma_f64 v[123:124], v[131:132], v[123:124], 0
	s_clause 0x7
	buffer_load_dword v132, off, s[0:3], 0 offset:380
	buffer_load_dword v161, off, s[0:3], 0 offset:400
	buffer_load_dword v163, off, s[0:3], 0 offset:392
	buffer_load_dword v165, off, s[0:3], 0 offset:384
	buffer_load_dword v131, off, s[0:3], 0 offset:376
	buffer_load_dword v166, off, s[0:3], 0 offset:388
	buffer_load_dword v164, off, s[0:3], 0 offset:396
	buffer_load_dword v162, off, s[0:3], 0 offset:404
	s_waitcnt vmcnt(34)
	v_fma_f64 v[123:124], v[133:134], v[125:126], v[123:124]
	s_waitcnt vmcnt(32) lgkmcnt(0)
	v_fma_f64 v[123:124], v[135:136], v[127:128], v[123:124]
	s_waitcnt vmcnt(30)
	v_fma_f64 v[133:134], v[137:138], v[129:130], v[123:124]
	ds_read_b128 v[123:126], v122 offset:768
	ds_read_b128 v[127:130], v122 offset:784
	s_waitcnt vmcnt(28) lgkmcnt(1)
	v_fma_f64 v[123:124], v[139:140], v[123:124], v[133:134]
	s_clause 0x7
	buffer_load_dword v134, off, s[0:3], 0 offset:412
	buffer_load_dword v135, off, s[0:3], 0 offset:432
	buffer_load_dword v137, off, s[0:3], 0 offset:424
	buffer_load_dword v139, off, s[0:3], 0 offset:416
	buffer_load_dword v133, off, s[0:3], 0 offset:408
	buffer_load_dword v140, off, s[0:3], 0 offset:420
	buffer_load_dword v138, off, s[0:3], 0 offset:428
	buffer_load_dword v136, off, s[0:3], 0 offset:436
	s_waitcnt vmcnt(34)
	v_fma_f64 v[123:124], v[141:142], v[125:126], v[123:124]
	s_waitcnt vmcnt(32) lgkmcnt(0)
	v_fma_f64 v[123:124], v[143:144], v[127:128], v[123:124]
	s_waitcnt vmcnt(27)
	v_fma_f64 v[141:142], v[145:146], v[129:130], v[123:124]
	ds_read_b128 v[123:126], v122 offset:800
	ds_read_b128 v[127:130], v122 offset:816
	;; [unrolled: 19-line block ×3, first 2 shown]
	s_waitcnt vmcnt(26) lgkmcnt(1)
	v_fma_f64 v[123:124], v[159:160], v[123:124], v[147:148]
	s_clause 0x3
	buffer_load_dword v148, off, s[0:3], 0 offset:476
	buffer_load_dword v147, off, s[0:3], 0 offset:472
	;; [unrolled: 1-line block ×4, first 2 shown]
	s_waitcnt vmcnt(29)
	v_fma_f64 v[123:124], v[157:158], v[125:126], v[123:124]
	s_waitcnt vmcnt(28) lgkmcnt(0)
	v_fma_f64 v[123:124], v[155:156], v[127:128], v[123:124]
	s_waitcnt vmcnt(23)
	v_fma_f64 v[131:132], v[131:132], v[129:130], v[123:124]
	ds_read_b128 v[123:126], v122 offset:864
	ds_read_b128 v[127:130], v122 offset:880
	s_waitcnt vmcnt(22) lgkmcnt(1)
	v_fma_f64 v[123:124], v[165:166], v[123:124], v[131:132]
	s_waitcnt vmcnt(21)
	v_fma_f64 v[123:124], v[163:164], v[125:126], v[123:124]
	s_waitcnt vmcnt(20) lgkmcnt(0)
	v_fma_f64 v[123:124], v[161:162], v[127:128], v[123:124]
	s_waitcnt vmcnt(15)
	v_fma_f64 v[131:132], v[133:134], v[129:130], v[123:124]
	ds_read_b128 v[123:126], v122 offset:896
	ds_read_b128 v[127:130], v122 offset:912
	s_waitcnt vmcnt(14) lgkmcnt(1)
	v_fma_f64 v[123:124], v[139:140], v[123:124], v[131:132]
	;; [unrolled: 10-line block ×3, first 2 shown]
	s_waitcnt vmcnt(5)
	v_fma_f64 v[122:123], v[145:146], v[125:126], v[122:123]
	s_waitcnt vmcnt(4) lgkmcnt(0)
	v_fma_f64 v[122:123], v[143:144], v[127:128], v[122:123]
	s_waitcnt vmcnt(2)
	v_fma_f64 v[122:123], v[147:148], v[129:130], v[122:123]
	s_waitcnt vmcnt(0)
	v_add_f64 v[122:123], v[149:150], -v[122:123]
	buffer_store_dword v123, off, s[0:3], 0 offset:252
	buffer_store_dword v122, off, s[0:3], 0 offset:248
	v_cmpx_lt_u32_e32 30, v0
	s_cbranch_execz .LBB123_309
; %bb.308:
	s_clause 0x1
	buffer_load_dword v122, off, s[0:3], 0 offset:240
	buffer_load_dword v123, off, s[0:3], 0 offset:244
	v_mov_b32_e32 v124, 0
	buffer_store_dword v124, off, s[0:3], 0 offset:240
	buffer_store_dword v124, off, s[0:3], 0 offset:244
	s_waitcnt vmcnt(0)
	ds_write_b64 v121, v[122:123]
.LBB123_309:
	s_or_b32 exec_lo, exec_lo, s4
	s_waitcnt lgkmcnt(0)
	s_waitcnt_vscnt null, 0x0
	s_barrier
	buffer_gl0_inv
	s_clause 0x1c
	buffer_load_dword v131, off, s[0:3], 0 offset:248
	buffer_load_dword v132, off, s[0:3], 0 offset:252
	;; [unrolled: 1-line block ×29, first 2 shown]
	v_mov_b32_e32 v122, 0
	buffer_load_dword v156, off, s[0:3], 0 offset:364
	s_mov_b32 s4, exec_lo
	ds_read2_b64 v[123:126], v122 offset0:91 offset1:92
	ds_read2_b64 v[127:130], v122 offset0:93 offset1:94
	s_waitcnt vmcnt(28) lgkmcnt(1)
	v_fma_f64 v[123:124], v[131:132], v[123:124], 0
	s_clause 0x7
	buffer_load_dword v132, off, s[0:3], 0 offset:372
	buffer_load_dword v161, off, s[0:3], 0 offset:392
	buffer_load_dword v163, off, s[0:3], 0 offset:384
	buffer_load_dword v165, off, s[0:3], 0 offset:376
	buffer_load_dword v131, off, s[0:3], 0 offset:368
	buffer_load_dword v166, off, s[0:3], 0 offset:380
	buffer_load_dword v164, off, s[0:3], 0 offset:388
	buffer_load_dword v162, off, s[0:3], 0 offset:396
	s_waitcnt vmcnt(34)
	v_fma_f64 v[123:124], v[133:134], v[125:126], v[123:124]
	s_waitcnt vmcnt(32) lgkmcnt(0)
	v_fma_f64 v[123:124], v[135:136], v[127:128], v[123:124]
	s_waitcnt vmcnt(30)
	v_fma_f64 v[133:134], v[137:138], v[129:130], v[123:124]
	ds_read2_b64 v[123:126], v122 offset0:95 offset1:96
	ds_read2_b64 v[127:130], v122 offset0:97 offset1:98
	s_waitcnt vmcnt(28) lgkmcnt(1)
	v_fma_f64 v[123:124], v[139:140], v[123:124], v[133:134]
	s_clause 0x7
	buffer_load_dword v134, off, s[0:3], 0 offset:404
	buffer_load_dword v135, off, s[0:3], 0 offset:424
	buffer_load_dword v137, off, s[0:3], 0 offset:416
	buffer_load_dword v139, off, s[0:3], 0 offset:408
	buffer_load_dword v133, off, s[0:3], 0 offset:400
	buffer_load_dword v140, off, s[0:3], 0 offset:412
	buffer_load_dword v138, off, s[0:3], 0 offset:420
	buffer_load_dword v136, off, s[0:3], 0 offset:428
	s_waitcnt vmcnt(34)
	v_fma_f64 v[123:124], v[141:142], v[125:126], v[123:124]
	s_waitcnt vmcnt(32) lgkmcnt(0)
	v_fma_f64 v[123:124], v[143:144], v[127:128], v[123:124]
	s_waitcnt vmcnt(27)
	v_fma_f64 v[141:142], v[145:146], v[129:130], v[123:124]
	ds_read2_b64 v[123:126], v122 offset0:99 offset1:100
	ds_read2_b64 v[127:130], v122 offset0:101 offset1:102
	s_waitcnt vmcnt(26) lgkmcnt(1)
	v_fma_f64 v[123:124], v[151:152], v[123:124], v[141:142]
	s_clause 0x7
	buffer_load_dword v142, off, s[0:3], 0 offset:436
	buffer_load_dword v143, off, s[0:3], 0 offset:456
	buffer_load_dword v145, off, s[0:3], 0 offset:448
	buffer_load_dword v151, off, s[0:3], 0 offset:440
	buffer_load_dword v141, off, s[0:3], 0 offset:432
	buffer_load_dword v152, off, s[0:3], 0 offset:444
	buffer_load_dword v146, off, s[0:3], 0 offset:452
	buffer_load_dword v144, off, s[0:3], 0 offset:460
	s_waitcnt vmcnt(33)
	v_fma_f64 v[123:124], v[149:150], v[125:126], v[123:124]
	s_waitcnt vmcnt(32) lgkmcnt(0)
	v_fma_f64 v[123:124], v[147:148], v[127:128], v[123:124]
	s_waitcnt vmcnt(27)
	v_fma_f64 v[147:148], v[153:154], v[129:130], v[123:124]
	ds_read2_b64 v[123:126], v122 offset0:103 offset1:104
	ds_read2_b64 v[127:130], v122 offset0:105 offset1:106
	s_waitcnt vmcnt(26) lgkmcnt(1)
	v_fma_f64 v[123:124], v[159:160], v[123:124], v[147:148]
	s_clause 0x5
	buffer_load_dword v148, off, s[0:3], 0 offset:468
	buffer_load_dword v149, off, s[0:3], 0 offset:472
	;; [unrolled: 1-line block ×6, first 2 shown]
	s_waitcnt vmcnt(31)
	v_fma_f64 v[123:124], v[157:158], v[125:126], v[123:124]
	s_waitcnt vmcnt(30) lgkmcnt(0)
	v_fma_f64 v[123:124], v[155:156], v[127:128], v[123:124]
	s_waitcnt vmcnt(25)
	v_fma_f64 v[131:132], v[131:132], v[129:130], v[123:124]
	ds_read2_b64 v[123:126], v122 offset0:107 offset1:108
	ds_read2_b64 v[127:130], v122 offset0:109 offset1:110
	s_waitcnt vmcnt(24) lgkmcnt(1)
	v_fma_f64 v[123:124], v[165:166], v[123:124], v[131:132]
	s_waitcnt vmcnt(23)
	v_fma_f64 v[123:124], v[163:164], v[125:126], v[123:124]
	s_waitcnt vmcnt(22) lgkmcnt(0)
	v_fma_f64 v[123:124], v[161:162], v[127:128], v[123:124]
	s_waitcnt vmcnt(17)
	v_fma_f64 v[131:132], v[133:134], v[129:130], v[123:124]
	ds_read2_b64 v[123:126], v122 offset0:111 offset1:112
	ds_read2_b64 v[127:130], v122 offset0:113 offset1:114
	s_waitcnt vmcnt(16) lgkmcnt(1)
	v_fma_f64 v[123:124], v[139:140], v[123:124], v[131:132]
	;; [unrolled: 10-line block ×3, first 2 shown]
	s_waitcnt vmcnt(7)
	v_fma_f64 v[123:124], v[145:146], v[125:126], v[123:124]
	ds_read_b64 v[125:126], v122 offset:952
	s_waitcnt vmcnt(6) lgkmcnt(1)
	v_fma_f64 v[123:124], v[143:144], v[127:128], v[123:124]
	s_waitcnt vmcnt(3)
	v_fma_f64 v[123:124], v[147:148], v[129:130], v[123:124]
	s_waitcnt vmcnt(2) lgkmcnt(0)
	v_fma_f64 v[123:124], v[149:150], v[125:126], v[123:124]
	s_waitcnt vmcnt(0)
	v_add_f64 v[123:124], v[153:154], -v[123:124]
	buffer_store_dword v124, off, s[0:3], 0 offset:244
	buffer_store_dword v123, off, s[0:3], 0 offset:240
	v_cmpx_lt_u32_e32 29, v0
	s_cbranch_execz .LBB123_311
; %bb.310:
	s_clause 0x1
	buffer_load_dword v123, off, s[0:3], 0 offset:232
	buffer_load_dword v124, off, s[0:3], 0 offset:236
	buffer_store_dword v122, off, s[0:3], 0 offset:232
	buffer_store_dword v122, off, s[0:3], 0 offset:236
	s_waitcnt vmcnt(0)
	ds_write_b64 v121, v[123:124]
.LBB123_311:
	s_or_b32 exec_lo, exec_lo, s4
	s_waitcnt lgkmcnt(0)
	s_waitcnt_vscnt null, 0x0
	s_barrier
	buffer_gl0_inv
	s_clause 0x1c
	buffer_load_dword v131, off, s[0:3], 0 offset:240
	buffer_load_dword v132, off, s[0:3], 0 offset:244
	buffer_load_dword v133, off, s[0:3], 0 offset:248
	buffer_load_dword v134, off, s[0:3], 0 offset:252
	buffer_load_dword v135, off, s[0:3], 0 offset:256
	buffer_load_dword v136, off, s[0:3], 0 offset:260
	buffer_load_dword v137, off, s[0:3], 0 offset:264
	buffer_load_dword v138, off, s[0:3], 0 offset:268
	buffer_load_dword v139, off, s[0:3], 0 offset:272
	buffer_load_dword v140, off, s[0:3], 0 offset:276
	buffer_load_dword v141, off, s[0:3], 0 offset:280
	buffer_load_dword v142, off, s[0:3], 0 offset:284
	buffer_load_dword v143, off, s[0:3], 0 offset:288
	buffer_load_dword v144, off, s[0:3], 0 offset:292
	buffer_load_dword v146, off, s[0:3], 0 offset:300
	buffer_load_dword v147, off, s[0:3], 0 offset:320
	buffer_load_dword v149, off, s[0:3], 0 offset:312
	buffer_load_dword v151, off, s[0:3], 0 offset:304
	buffer_load_dword v145, off, s[0:3], 0 offset:296
	buffer_load_dword v152, off, s[0:3], 0 offset:308
	buffer_load_dword v150, off, s[0:3], 0 offset:316
	buffer_load_dword v148, off, s[0:3], 0 offset:324
	buffer_load_dword v154, off, s[0:3], 0 offset:332
	buffer_load_dword v155, off, s[0:3], 0 offset:352
	buffer_load_dword v157, off, s[0:3], 0 offset:344
	buffer_load_dword v159, off, s[0:3], 0 offset:336
	buffer_load_dword v153, off, s[0:3], 0 offset:328
	buffer_load_dword v160, off, s[0:3], 0 offset:340
	buffer_load_dword v158, off, s[0:3], 0 offset:348
	ds_read_b128 v[123:126], v122 offset:720
	ds_read_b128 v[127:130], v122 offset:736
	buffer_load_dword v156, off, s[0:3], 0 offset:356
	s_mov_b32 s4, exec_lo
	s_waitcnt vmcnt(28) lgkmcnt(1)
	v_fma_f64 v[123:124], v[131:132], v[123:124], 0
	s_clause 0x7
	buffer_load_dword v132, off, s[0:3], 0 offset:364
	buffer_load_dword v161, off, s[0:3], 0 offset:384
	buffer_load_dword v163, off, s[0:3], 0 offset:376
	buffer_load_dword v165, off, s[0:3], 0 offset:368
	buffer_load_dword v131, off, s[0:3], 0 offset:360
	buffer_load_dword v166, off, s[0:3], 0 offset:372
	buffer_load_dword v164, off, s[0:3], 0 offset:380
	buffer_load_dword v162, off, s[0:3], 0 offset:388
	s_waitcnt vmcnt(34)
	v_fma_f64 v[123:124], v[133:134], v[125:126], v[123:124]
	s_waitcnt vmcnt(32) lgkmcnt(0)
	v_fma_f64 v[123:124], v[135:136], v[127:128], v[123:124]
	s_waitcnt vmcnt(30)
	v_fma_f64 v[133:134], v[137:138], v[129:130], v[123:124]
	ds_read_b128 v[123:126], v122 offset:752
	ds_read_b128 v[127:130], v122 offset:768
	s_waitcnt vmcnt(28) lgkmcnt(1)
	v_fma_f64 v[123:124], v[139:140], v[123:124], v[133:134]
	s_clause 0x7
	buffer_load_dword v134, off, s[0:3], 0 offset:396
	buffer_load_dword v135, off, s[0:3], 0 offset:416
	buffer_load_dword v137, off, s[0:3], 0 offset:408
	buffer_load_dword v139, off, s[0:3], 0 offset:400
	buffer_load_dword v133, off, s[0:3], 0 offset:392
	buffer_load_dword v140, off, s[0:3], 0 offset:404
	buffer_load_dword v138, off, s[0:3], 0 offset:412
	buffer_load_dword v136, off, s[0:3], 0 offset:420
	s_waitcnt vmcnt(34)
	v_fma_f64 v[123:124], v[141:142], v[125:126], v[123:124]
	s_waitcnt vmcnt(32) lgkmcnt(0)
	v_fma_f64 v[123:124], v[143:144], v[127:128], v[123:124]
	s_waitcnt vmcnt(27)
	v_fma_f64 v[141:142], v[145:146], v[129:130], v[123:124]
	ds_read_b128 v[123:126], v122 offset:784
	ds_read_b128 v[127:130], v122 offset:800
	;; [unrolled: 19-line block ×3, first 2 shown]
	s_waitcnt vmcnt(26) lgkmcnt(1)
	v_fma_f64 v[123:124], v[159:160], v[123:124], v[147:148]
	s_clause 0x5
	buffer_load_dword v148, off, s[0:3], 0 offset:460
	buffer_load_dword v149, off, s[0:3], 0 offset:472
	;; [unrolled: 1-line block ×6, first 2 shown]
	s_waitcnt vmcnt(31)
	v_fma_f64 v[123:124], v[157:158], v[125:126], v[123:124]
	s_waitcnt vmcnt(30) lgkmcnt(0)
	v_fma_f64 v[123:124], v[155:156], v[127:128], v[123:124]
	s_waitcnt vmcnt(25)
	v_fma_f64 v[131:132], v[131:132], v[129:130], v[123:124]
	ds_read_b128 v[123:126], v122 offset:848
	s_clause 0x1
	buffer_load_dword v155, off, s[0:3], 0 offset:232
	buffer_load_dword v156, off, s[0:3], 0 offset:236
	ds_read_b128 v[127:130], v122 offset:864
	s_waitcnt vmcnt(26) lgkmcnt(1)
	v_fma_f64 v[123:124], v[165:166], v[123:124], v[131:132]
	s_waitcnt vmcnt(25)
	v_fma_f64 v[123:124], v[163:164], v[125:126], v[123:124]
	s_waitcnt vmcnt(24) lgkmcnt(0)
	v_fma_f64 v[123:124], v[161:162], v[127:128], v[123:124]
	s_waitcnt vmcnt(19)
	v_fma_f64 v[131:132], v[133:134], v[129:130], v[123:124]
	ds_read_b128 v[123:126], v122 offset:880
	ds_read_b128 v[127:130], v122 offset:896
	s_waitcnt vmcnt(18) lgkmcnt(1)
	v_fma_f64 v[123:124], v[139:140], v[123:124], v[131:132]
	s_waitcnt vmcnt(17)
	v_fma_f64 v[123:124], v[137:138], v[125:126], v[123:124]
	s_waitcnt vmcnt(16) lgkmcnt(0)
	v_fma_f64 v[123:124], v[135:136], v[127:128], v[123:124]
	s_waitcnt vmcnt(11)
	v_fma_f64 v[131:132], v[141:142], v[129:130], v[123:124]
	ds_read_b128 v[123:126], v122 offset:912
	;; [unrolled: 10-line block ×3, first 2 shown]
	s_waitcnt vmcnt(3) lgkmcnt(0)
	v_fma_f64 v[122:123], v[153:154], v[122:123], v[126:127]
	s_waitcnt vmcnt(2)
	v_fma_f64 v[122:123], v[149:150], v[124:125], v[122:123]
	s_waitcnt vmcnt(0)
	v_add_f64 v[122:123], v[155:156], -v[122:123]
	buffer_store_dword v123, off, s[0:3], 0 offset:236
	buffer_store_dword v122, off, s[0:3], 0 offset:232
	v_cmpx_lt_u32_e32 28, v0
	s_cbranch_execz .LBB123_313
; %bb.312:
	s_clause 0x1
	buffer_load_dword v122, off, s[0:3], 0 offset:224
	buffer_load_dword v123, off, s[0:3], 0 offset:228
	v_mov_b32_e32 v124, 0
	buffer_store_dword v124, off, s[0:3], 0 offset:224
	buffer_store_dword v124, off, s[0:3], 0 offset:228
	s_waitcnt vmcnt(0)
	ds_write_b64 v121, v[122:123]
.LBB123_313:
	s_or_b32 exec_lo, exec_lo, s4
	s_waitcnt lgkmcnt(0)
	s_waitcnt_vscnt null, 0x0
	s_barrier
	buffer_gl0_inv
	s_clause 0x1c
	buffer_load_dword v131, off, s[0:3], 0 offset:232
	buffer_load_dword v132, off, s[0:3], 0 offset:236
	;; [unrolled: 1-line block ×29, first 2 shown]
	v_mov_b32_e32 v122, 0
	buffer_load_dword v156, off, s[0:3], 0 offset:348
	s_mov_b32 s4, exec_lo
	ds_read2_b64 v[123:126], v122 offset0:89 offset1:90
	ds_read2_b64 v[127:130], v122 offset0:91 offset1:92
	s_waitcnt vmcnt(28) lgkmcnt(1)
	v_fma_f64 v[123:124], v[131:132], v[123:124], 0
	s_clause 0x7
	buffer_load_dword v132, off, s[0:3], 0 offset:356
	buffer_load_dword v161, off, s[0:3], 0 offset:376
	buffer_load_dword v163, off, s[0:3], 0 offset:368
	buffer_load_dword v165, off, s[0:3], 0 offset:360
	buffer_load_dword v131, off, s[0:3], 0 offset:352
	buffer_load_dword v166, off, s[0:3], 0 offset:364
	buffer_load_dword v164, off, s[0:3], 0 offset:372
	buffer_load_dword v162, off, s[0:3], 0 offset:380
	s_waitcnt vmcnt(34)
	v_fma_f64 v[123:124], v[133:134], v[125:126], v[123:124]
	s_waitcnt vmcnt(32) lgkmcnt(0)
	v_fma_f64 v[123:124], v[135:136], v[127:128], v[123:124]
	s_waitcnt vmcnt(30)
	v_fma_f64 v[133:134], v[137:138], v[129:130], v[123:124]
	ds_read2_b64 v[123:126], v122 offset0:93 offset1:94
	ds_read2_b64 v[127:130], v122 offset0:95 offset1:96
	s_waitcnt vmcnt(28) lgkmcnt(1)
	v_fma_f64 v[123:124], v[139:140], v[123:124], v[133:134]
	s_clause 0x7
	buffer_load_dword v134, off, s[0:3], 0 offset:388
	buffer_load_dword v135, off, s[0:3], 0 offset:408
	buffer_load_dword v137, off, s[0:3], 0 offset:400
	buffer_load_dword v139, off, s[0:3], 0 offset:392
	buffer_load_dword v133, off, s[0:3], 0 offset:384
	buffer_load_dword v140, off, s[0:3], 0 offset:396
	buffer_load_dword v138, off, s[0:3], 0 offset:404
	buffer_load_dword v136, off, s[0:3], 0 offset:412
	s_waitcnt vmcnt(34)
	v_fma_f64 v[123:124], v[141:142], v[125:126], v[123:124]
	s_waitcnt vmcnt(32) lgkmcnt(0)
	v_fma_f64 v[123:124], v[143:144], v[127:128], v[123:124]
	s_waitcnt vmcnt(27)
	v_fma_f64 v[141:142], v[145:146], v[129:130], v[123:124]
	;; [unrolled: 19-line block ×4, first 2 shown]
	ds_read2_b64 v[123:126], v122 offset0:105 offset1:106
	ds_read2_b64 v[127:130], v122 offset0:107 offset1:108
	s_waitcnt vmcnt(26) lgkmcnt(1)
	v_fma_f64 v[123:124], v[165:166], v[123:124], v[131:132]
	s_clause 0x1
	buffer_load_dword v131, off, s[0:3], 0 offset:224
	buffer_load_dword v132, off, s[0:3], 0 offset:228
	s_waitcnt vmcnt(27)
	v_fma_f64 v[123:124], v[163:164], v[125:126], v[123:124]
	s_waitcnt vmcnt(26) lgkmcnt(0)
	v_fma_f64 v[123:124], v[161:162], v[127:128], v[123:124]
	s_waitcnt vmcnt(21)
	v_fma_f64 v[133:134], v[133:134], v[129:130], v[123:124]
	ds_read2_b64 v[123:126], v122 offset0:109 offset1:110
	ds_read2_b64 v[127:130], v122 offset0:111 offset1:112
	s_waitcnt vmcnt(20) lgkmcnt(1)
	v_fma_f64 v[123:124], v[139:140], v[123:124], v[133:134]
	s_waitcnt vmcnt(19)
	v_fma_f64 v[123:124], v[137:138], v[125:126], v[123:124]
	s_waitcnt vmcnt(18) lgkmcnt(0)
	v_fma_f64 v[123:124], v[135:136], v[127:128], v[123:124]
	s_waitcnt vmcnt(13)
	v_fma_f64 v[133:134], v[141:142], v[129:130], v[123:124]
	ds_read2_b64 v[123:126], v122 offset0:113 offset1:114
	ds_read2_b64 v[127:130], v122 offset0:115 offset1:116
	s_waitcnt vmcnt(12) lgkmcnt(1)
	v_fma_f64 v[123:124], v[151:152], v[123:124], v[133:134]
	s_waitcnt vmcnt(11)
	v_fma_f64 v[123:124], v[145:146], v[125:126], v[123:124]
	s_waitcnt vmcnt(10) lgkmcnt(0)
	v_fma_f64 v[123:124], v[143:144], v[127:128], v[123:124]
	s_waitcnt vmcnt(5)
	v_fma_f64 v[127:128], v[147:148], v[129:130], v[123:124]
	ds_read2_b64 v[123:126], v122 offset0:117 offset1:118
	ds_read_b64 v[129:130], v122 offset:952
	s_waitcnt vmcnt(4) lgkmcnt(1)
	v_fma_f64 v[123:124], v[159:160], v[123:124], v[127:128]
	s_waitcnt vmcnt(3)
	v_fma_f64 v[123:124], v[153:154], v[125:126], v[123:124]
	s_waitcnt vmcnt(2) lgkmcnt(0)
	v_fma_f64 v[123:124], v[149:150], v[129:130], v[123:124]
	s_waitcnt vmcnt(0)
	v_add_f64 v[123:124], v[131:132], -v[123:124]
	buffer_store_dword v124, off, s[0:3], 0 offset:228
	buffer_store_dword v123, off, s[0:3], 0 offset:224
	v_cmpx_lt_u32_e32 27, v0
	s_cbranch_execz .LBB123_315
; %bb.314:
	s_clause 0x1
	buffer_load_dword v123, off, s[0:3], 0 offset:216
	buffer_load_dword v124, off, s[0:3], 0 offset:220
	buffer_store_dword v122, off, s[0:3], 0 offset:216
	buffer_store_dword v122, off, s[0:3], 0 offset:220
	s_waitcnt vmcnt(0)
	ds_write_b64 v121, v[123:124]
.LBB123_315:
	s_or_b32 exec_lo, exec_lo, s4
	s_waitcnt lgkmcnt(0)
	s_waitcnt_vscnt null, 0x0
	s_barrier
	buffer_gl0_inv
	s_clause 0x1c
	buffer_load_dword v131, off, s[0:3], 0 offset:224
	buffer_load_dword v132, off, s[0:3], 0 offset:228
	;; [unrolled: 1-line block ×29, first 2 shown]
	ds_read_b128 v[123:126], v122 offset:704
	ds_read_b128 v[127:130], v122 offset:720
	buffer_load_dword v156, off, s[0:3], 0 offset:340
	s_mov_b32 s4, exec_lo
	s_waitcnt vmcnt(28) lgkmcnt(1)
	v_fma_f64 v[123:124], v[131:132], v[123:124], 0
	s_clause 0x7
	buffer_load_dword v132, off, s[0:3], 0 offset:348
	buffer_load_dword v161, off, s[0:3], 0 offset:368
	buffer_load_dword v163, off, s[0:3], 0 offset:360
	buffer_load_dword v165, off, s[0:3], 0 offset:352
	buffer_load_dword v131, off, s[0:3], 0 offset:344
	buffer_load_dword v166, off, s[0:3], 0 offset:356
	buffer_load_dword v164, off, s[0:3], 0 offset:364
	buffer_load_dword v162, off, s[0:3], 0 offset:372
	s_waitcnt vmcnt(34)
	v_fma_f64 v[123:124], v[133:134], v[125:126], v[123:124]
	s_waitcnt vmcnt(32) lgkmcnt(0)
	v_fma_f64 v[123:124], v[135:136], v[127:128], v[123:124]
	s_waitcnt vmcnt(30)
	v_fma_f64 v[133:134], v[137:138], v[129:130], v[123:124]
	ds_read_b128 v[123:126], v122 offset:736
	ds_read_b128 v[127:130], v122 offset:752
	s_waitcnt vmcnt(28) lgkmcnt(1)
	v_fma_f64 v[123:124], v[139:140], v[123:124], v[133:134]
	s_clause 0x7
	buffer_load_dword v134, off, s[0:3], 0 offset:380
	buffer_load_dword v135, off, s[0:3], 0 offset:400
	buffer_load_dword v137, off, s[0:3], 0 offset:392
	buffer_load_dword v139, off, s[0:3], 0 offset:384
	buffer_load_dword v133, off, s[0:3], 0 offset:376
	buffer_load_dword v140, off, s[0:3], 0 offset:388
	buffer_load_dword v138, off, s[0:3], 0 offset:396
	buffer_load_dword v136, off, s[0:3], 0 offset:404
	s_waitcnt vmcnt(34)
	v_fma_f64 v[123:124], v[141:142], v[125:126], v[123:124]
	s_waitcnt vmcnt(32) lgkmcnt(0)
	v_fma_f64 v[123:124], v[143:144], v[127:128], v[123:124]
	s_waitcnt vmcnt(27)
	v_fma_f64 v[141:142], v[145:146], v[129:130], v[123:124]
	ds_read_b128 v[123:126], v122 offset:768
	ds_read_b128 v[127:130], v122 offset:784
	;; [unrolled: 19-line block ×4, first 2 shown]
	s_waitcnt vmcnt(26) lgkmcnt(1)
	v_fma_f64 v[123:124], v[165:166], v[123:124], v[131:132]
	s_clause 0x3
	buffer_load_dword v132, off, s[0:3], 0 offset:476
	buffer_load_dword v131, off, s[0:3], 0 offset:472
	;; [unrolled: 1-line block ×4, first 2 shown]
	s_waitcnt vmcnt(29)
	v_fma_f64 v[123:124], v[163:164], v[125:126], v[123:124]
	s_waitcnt vmcnt(28) lgkmcnt(0)
	v_fma_f64 v[123:124], v[161:162], v[127:128], v[123:124]
	s_waitcnt vmcnt(23)
	v_fma_f64 v[133:134], v[133:134], v[129:130], v[123:124]
	ds_read_b128 v[123:126], v122 offset:864
	ds_read_b128 v[127:130], v122 offset:880
	s_waitcnt vmcnt(22) lgkmcnt(1)
	v_fma_f64 v[123:124], v[139:140], v[123:124], v[133:134]
	s_waitcnt vmcnt(21)
	v_fma_f64 v[123:124], v[137:138], v[125:126], v[123:124]
	s_waitcnt vmcnt(20) lgkmcnt(0)
	v_fma_f64 v[123:124], v[135:136], v[127:128], v[123:124]
	s_waitcnt vmcnt(15)
	v_fma_f64 v[133:134], v[141:142], v[129:130], v[123:124]
	ds_read_b128 v[123:126], v122 offset:896
	ds_read_b128 v[127:130], v122 offset:912
	s_waitcnt vmcnt(14) lgkmcnt(1)
	v_fma_f64 v[123:124], v[151:152], v[123:124], v[133:134]
	;; [unrolled: 10-line block ×3, first 2 shown]
	s_waitcnt vmcnt(5)
	v_fma_f64 v[122:123], v[153:154], v[125:126], v[122:123]
	s_waitcnt vmcnt(4) lgkmcnt(0)
	v_fma_f64 v[122:123], v[149:150], v[127:128], v[122:123]
	s_waitcnt vmcnt(2)
	v_fma_f64 v[122:123], v[131:132], v[129:130], v[122:123]
	s_waitcnt vmcnt(0)
	v_add_f64 v[122:123], v[155:156], -v[122:123]
	buffer_store_dword v123, off, s[0:3], 0 offset:220
	buffer_store_dword v122, off, s[0:3], 0 offset:216
	v_cmpx_lt_u32_e32 26, v0
	s_cbranch_execz .LBB123_317
; %bb.316:
	s_clause 0x1
	buffer_load_dword v122, off, s[0:3], 0 offset:208
	buffer_load_dword v123, off, s[0:3], 0 offset:212
	v_mov_b32_e32 v124, 0
	buffer_store_dword v124, off, s[0:3], 0 offset:208
	buffer_store_dword v124, off, s[0:3], 0 offset:212
	s_waitcnt vmcnt(0)
	ds_write_b64 v121, v[122:123]
.LBB123_317:
	s_or_b32 exec_lo, exec_lo, s4
	s_waitcnt lgkmcnt(0)
	s_waitcnt_vscnt null, 0x0
	s_barrier
	buffer_gl0_inv
	s_clause 0x1c
	buffer_load_dword v131, off, s[0:3], 0 offset:216
	buffer_load_dword v132, off, s[0:3], 0 offset:220
	;; [unrolled: 1-line block ×29, first 2 shown]
	v_mov_b32_e32 v122, 0
	buffer_load_dword v156, off, s[0:3], 0 offset:332
	s_mov_b32 s4, exec_lo
	ds_read2_b64 v[123:126], v122 offset0:87 offset1:88
	ds_read2_b64 v[127:130], v122 offset0:89 offset1:90
	s_waitcnt vmcnt(28) lgkmcnt(1)
	v_fma_f64 v[123:124], v[131:132], v[123:124], 0
	s_clause 0x7
	buffer_load_dword v132, off, s[0:3], 0 offset:340
	buffer_load_dword v161, off, s[0:3], 0 offset:360
	buffer_load_dword v163, off, s[0:3], 0 offset:352
	buffer_load_dword v165, off, s[0:3], 0 offset:344
	buffer_load_dword v131, off, s[0:3], 0 offset:336
	buffer_load_dword v166, off, s[0:3], 0 offset:348
	buffer_load_dword v164, off, s[0:3], 0 offset:356
	buffer_load_dword v162, off, s[0:3], 0 offset:364
	s_waitcnt vmcnt(34)
	v_fma_f64 v[123:124], v[133:134], v[125:126], v[123:124]
	s_waitcnt vmcnt(32) lgkmcnt(0)
	v_fma_f64 v[123:124], v[135:136], v[127:128], v[123:124]
	s_waitcnt vmcnt(30)
	v_fma_f64 v[133:134], v[137:138], v[129:130], v[123:124]
	ds_read2_b64 v[123:126], v122 offset0:91 offset1:92
	ds_read2_b64 v[127:130], v122 offset0:93 offset1:94
	s_waitcnt vmcnt(28) lgkmcnt(1)
	v_fma_f64 v[123:124], v[139:140], v[123:124], v[133:134]
	s_clause 0x7
	buffer_load_dword v134, off, s[0:3], 0 offset:372
	buffer_load_dword v135, off, s[0:3], 0 offset:392
	buffer_load_dword v137, off, s[0:3], 0 offset:384
	buffer_load_dword v139, off, s[0:3], 0 offset:376
	buffer_load_dword v133, off, s[0:3], 0 offset:368
	buffer_load_dword v140, off, s[0:3], 0 offset:380
	buffer_load_dword v138, off, s[0:3], 0 offset:388
	buffer_load_dword v136, off, s[0:3], 0 offset:396
	s_waitcnt vmcnt(34)
	v_fma_f64 v[123:124], v[141:142], v[125:126], v[123:124]
	s_waitcnt vmcnt(32) lgkmcnt(0)
	v_fma_f64 v[123:124], v[143:144], v[127:128], v[123:124]
	s_waitcnt vmcnt(27)
	v_fma_f64 v[141:142], v[145:146], v[129:130], v[123:124]
	ds_read2_b64 v[123:126], v122 offset0:95 offset1:96
	ds_read2_b64 v[127:130], v122 offset0:97 offset1:98
	s_waitcnt vmcnt(26) lgkmcnt(1)
	v_fma_f64 v[123:124], v[151:152], v[123:124], v[141:142]
	s_clause 0x7
	buffer_load_dword v142, off, s[0:3], 0 offset:404
	buffer_load_dword v143, off, s[0:3], 0 offset:424
	buffer_load_dword v145, off, s[0:3], 0 offset:416
	buffer_load_dword v151, off, s[0:3], 0 offset:408
	buffer_load_dword v141, off, s[0:3], 0 offset:400
	buffer_load_dword v152, off, s[0:3], 0 offset:412
	buffer_load_dword v146, off, s[0:3], 0 offset:420
	buffer_load_dword v144, off, s[0:3], 0 offset:428
	s_waitcnt vmcnt(33)
	v_fma_f64 v[123:124], v[149:150], v[125:126], v[123:124]
	s_waitcnt vmcnt(32) lgkmcnt(0)
	v_fma_f64 v[123:124], v[147:148], v[127:128], v[123:124]
	s_waitcnt vmcnt(27)
	v_fma_f64 v[147:148], v[153:154], v[129:130], v[123:124]
	ds_read2_b64 v[123:126], v122 offset0:99 offset1:100
	ds_read2_b64 v[127:130], v122 offset0:101 offset1:102
	s_waitcnt vmcnt(26) lgkmcnt(1)
	v_fma_f64 v[123:124], v[159:160], v[123:124], v[147:148]
	s_clause 0x7
	buffer_load_dword v148, off, s[0:3], 0 offset:436
	buffer_load_dword v149, off, s[0:3], 0 offset:456
	buffer_load_dword v153, off, s[0:3], 0 offset:448
	buffer_load_dword v159, off, s[0:3], 0 offset:440
	buffer_load_dword v147, off, s[0:3], 0 offset:432
	buffer_load_dword v160, off, s[0:3], 0 offset:444
	buffer_load_dword v154, off, s[0:3], 0 offset:452
	buffer_load_dword v150, off, s[0:3], 0 offset:460
	s_waitcnt vmcnt(33)
	v_fma_f64 v[123:124], v[157:158], v[125:126], v[123:124]
	s_waitcnt vmcnt(32) lgkmcnt(0)
	v_fma_f64 v[123:124], v[155:156], v[127:128], v[123:124]
	s_waitcnt vmcnt(27)
	v_fma_f64 v[131:132], v[131:132], v[129:130], v[123:124]
	ds_read2_b64 v[123:126], v122 offset0:103 offset1:104
	ds_read2_b64 v[127:130], v122 offset0:105 offset1:106
	s_waitcnt vmcnt(26) lgkmcnt(1)
	v_fma_f64 v[123:124], v[165:166], v[123:124], v[131:132]
	s_clause 0x5
	buffer_load_dword v132, off, s[0:3], 0 offset:468
	buffer_load_dword v155, off, s[0:3], 0 offset:472
	;; [unrolled: 1-line block ×6, first 2 shown]
	s_waitcnt vmcnt(31)
	v_fma_f64 v[123:124], v[163:164], v[125:126], v[123:124]
	s_waitcnt vmcnt(30) lgkmcnt(0)
	v_fma_f64 v[123:124], v[161:162], v[127:128], v[123:124]
	s_waitcnt vmcnt(25)
	v_fma_f64 v[133:134], v[133:134], v[129:130], v[123:124]
	ds_read2_b64 v[123:126], v122 offset0:107 offset1:108
	ds_read2_b64 v[127:130], v122 offset0:109 offset1:110
	s_waitcnt vmcnt(24) lgkmcnt(1)
	v_fma_f64 v[123:124], v[139:140], v[123:124], v[133:134]
	s_waitcnt vmcnt(23)
	v_fma_f64 v[123:124], v[137:138], v[125:126], v[123:124]
	s_waitcnt vmcnt(22) lgkmcnt(0)
	v_fma_f64 v[123:124], v[135:136], v[127:128], v[123:124]
	s_waitcnt vmcnt(17)
	v_fma_f64 v[133:134], v[141:142], v[129:130], v[123:124]
	ds_read2_b64 v[123:126], v122 offset0:111 offset1:112
	ds_read2_b64 v[127:130], v122 offset0:113 offset1:114
	s_waitcnt vmcnt(16) lgkmcnt(1)
	v_fma_f64 v[123:124], v[151:152], v[123:124], v[133:134]
	;; [unrolled: 10-line block ×3, first 2 shown]
	s_waitcnt vmcnt(7)
	v_fma_f64 v[123:124], v[153:154], v[125:126], v[123:124]
	ds_read_b64 v[125:126], v122 offset:952
	s_waitcnt vmcnt(6) lgkmcnt(1)
	v_fma_f64 v[123:124], v[149:150], v[127:128], v[123:124]
	s_waitcnt vmcnt(3)
	v_fma_f64 v[123:124], v[131:132], v[129:130], v[123:124]
	s_waitcnt vmcnt(2) lgkmcnt(0)
	v_fma_f64 v[123:124], v[155:156], v[125:126], v[123:124]
	s_waitcnt vmcnt(0)
	v_add_f64 v[123:124], v[157:158], -v[123:124]
	buffer_store_dword v124, off, s[0:3], 0 offset:212
	buffer_store_dword v123, off, s[0:3], 0 offset:208
	v_cmpx_lt_u32_e32 25, v0
	s_cbranch_execz .LBB123_319
; %bb.318:
	s_clause 0x1
	buffer_load_dword v123, off, s[0:3], 0 offset:200
	buffer_load_dword v124, off, s[0:3], 0 offset:204
	buffer_store_dword v122, off, s[0:3], 0 offset:200
	buffer_store_dword v122, off, s[0:3], 0 offset:204
	s_waitcnt vmcnt(0)
	ds_write_b64 v121, v[123:124]
.LBB123_319:
	s_or_b32 exec_lo, exec_lo, s4
	s_waitcnt lgkmcnt(0)
	s_waitcnt_vscnt null, 0x0
	s_barrier
	buffer_gl0_inv
	s_clause 0x1c
	buffer_load_dword v131, off, s[0:3], 0 offset:208
	buffer_load_dword v132, off, s[0:3], 0 offset:212
	;; [unrolled: 1-line block ×29, first 2 shown]
	ds_read_b128 v[123:126], v122 offset:688
	ds_read_b128 v[127:130], v122 offset:704
	buffer_load_dword v156, off, s[0:3], 0 offset:324
	s_mov_b32 s4, exec_lo
	s_waitcnt vmcnt(28) lgkmcnt(1)
	v_fma_f64 v[123:124], v[131:132], v[123:124], 0
	s_clause 0x7
	buffer_load_dword v132, off, s[0:3], 0 offset:332
	buffer_load_dword v161, off, s[0:3], 0 offset:352
	buffer_load_dword v163, off, s[0:3], 0 offset:344
	buffer_load_dword v165, off, s[0:3], 0 offset:336
	buffer_load_dword v131, off, s[0:3], 0 offset:328
	buffer_load_dword v166, off, s[0:3], 0 offset:340
	buffer_load_dword v164, off, s[0:3], 0 offset:348
	buffer_load_dword v162, off, s[0:3], 0 offset:356
	s_waitcnt vmcnt(34)
	v_fma_f64 v[123:124], v[133:134], v[125:126], v[123:124]
	s_waitcnt vmcnt(32) lgkmcnt(0)
	v_fma_f64 v[123:124], v[135:136], v[127:128], v[123:124]
	s_waitcnt vmcnt(30)
	v_fma_f64 v[133:134], v[137:138], v[129:130], v[123:124]
	ds_read_b128 v[123:126], v122 offset:720
	ds_read_b128 v[127:130], v122 offset:736
	s_waitcnt vmcnt(28) lgkmcnt(1)
	v_fma_f64 v[123:124], v[139:140], v[123:124], v[133:134]
	s_clause 0x7
	buffer_load_dword v134, off, s[0:3], 0 offset:364
	buffer_load_dword v135, off, s[0:3], 0 offset:384
	buffer_load_dword v137, off, s[0:3], 0 offset:376
	buffer_load_dword v139, off, s[0:3], 0 offset:368
	buffer_load_dword v133, off, s[0:3], 0 offset:360
	buffer_load_dword v140, off, s[0:3], 0 offset:372
	buffer_load_dword v138, off, s[0:3], 0 offset:380
	buffer_load_dword v136, off, s[0:3], 0 offset:388
	s_waitcnt vmcnt(34)
	v_fma_f64 v[123:124], v[141:142], v[125:126], v[123:124]
	s_waitcnt vmcnt(32) lgkmcnt(0)
	v_fma_f64 v[123:124], v[143:144], v[127:128], v[123:124]
	s_waitcnt vmcnt(27)
	v_fma_f64 v[141:142], v[145:146], v[129:130], v[123:124]
	ds_read_b128 v[123:126], v122 offset:752
	ds_read_b128 v[127:130], v122 offset:768
	;; [unrolled: 19-line block ×4, first 2 shown]
	s_waitcnt vmcnt(26) lgkmcnt(1)
	v_fma_f64 v[123:124], v[165:166], v[123:124], v[131:132]
	s_clause 0x5
	buffer_load_dword v132, off, s[0:3], 0 offset:460
	buffer_load_dword v155, off, s[0:3], 0 offset:472
	;; [unrolled: 1-line block ×6, first 2 shown]
	s_waitcnt vmcnt(31)
	v_fma_f64 v[123:124], v[163:164], v[125:126], v[123:124]
	s_waitcnt vmcnt(30) lgkmcnt(0)
	v_fma_f64 v[123:124], v[161:162], v[127:128], v[123:124]
	s_waitcnt vmcnt(25)
	v_fma_f64 v[133:134], v[133:134], v[129:130], v[123:124]
	ds_read_b128 v[123:126], v122 offset:848
	s_clause 0x1
	buffer_load_dword v161, off, s[0:3], 0 offset:200
	buffer_load_dword v162, off, s[0:3], 0 offset:204
	ds_read_b128 v[127:130], v122 offset:864
	s_waitcnt vmcnt(26) lgkmcnt(1)
	v_fma_f64 v[123:124], v[139:140], v[123:124], v[133:134]
	s_waitcnt vmcnt(25)
	v_fma_f64 v[123:124], v[137:138], v[125:126], v[123:124]
	s_waitcnt vmcnt(24) lgkmcnt(0)
	v_fma_f64 v[123:124], v[135:136], v[127:128], v[123:124]
	s_waitcnt vmcnt(19)
	v_fma_f64 v[133:134], v[141:142], v[129:130], v[123:124]
	ds_read_b128 v[123:126], v122 offset:880
	ds_read_b128 v[127:130], v122 offset:896
	s_waitcnt vmcnt(18) lgkmcnt(1)
	v_fma_f64 v[123:124], v[151:152], v[123:124], v[133:134]
	s_waitcnt vmcnt(17)
	v_fma_f64 v[123:124], v[145:146], v[125:126], v[123:124]
	s_waitcnt vmcnt(16) lgkmcnt(0)
	v_fma_f64 v[123:124], v[143:144], v[127:128], v[123:124]
	s_waitcnt vmcnt(11)
	v_fma_f64 v[133:134], v[147:148], v[129:130], v[123:124]
	ds_read_b128 v[123:126], v122 offset:912
	;; [unrolled: 10-line block ×3, first 2 shown]
	s_waitcnt vmcnt(3) lgkmcnt(0)
	v_fma_f64 v[122:123], v[157:158], v[122:123], v[126:127]
	s_waitcnt vmcnt(2)
	v_fma_f64 v[122:123], v[155:156], v[124:125], v[122:123]
	s_waitcnt vmcnt(0)
	v_add_f64 v[122:123], v[161:162], -v[122:123]
	buffer_store_dword v123, off, s[0:3], 0 offset:204
	buffer_store_dword v122, off, s[0:3], 0 offset:200
	v_cmpx_lt_u32_e32 24, v0
	s_cbranch_execz .LBB123_321
; %bb.320:
	s_clause 0x1
	buffer_load_dword v122, off, s[0:3], 0 offset:192
	buffer_load_dword v123, off, s[0:3], 0 offset:196
	v_mov_b32_e32 v124, 0
	buffer_store_dword v124, off, s[0:3], 0 offset:192
	buffer_store_dword v124, off, s[0:3], 0 offset:196
	s_waitcnt vmcnt(0)
	ds_write_b64 v121, v[122:123]
.LBB123_321:
	s_or_b32 exec_lo, exec_lo, s4
	s_waitcnt lgkmcnt(0)
	s_waitcnt_vscnt null, 0x0
	s_barrier
	buffer_gl0_inv
	s_clause 0x1c
	buffer_load_dword v131, off, s[0:3], 0 offset:200
	buffer_load_dword v132, off, s[0:3], 0 offset:204
	;; [unrolled: 1-line block ×29, first 2 shown]
	v_mov_b32_e32 v122, 0
	buffer_load_dword v156, off, s[0:3], 0 offset:316
	s_mov_b32 s4, exec_lo
	ds_read2_b64 v[123:126], v122 offset0:85 offset1:86
	ds_read2_b64 v[127:130], v122 offset0:87 offset1:88
	s_waitcnt vmcnt(28) lgkmcnt(1)
	v_fma_f64 v[123:124], v[131:132], v[123:124], 0
	s_clause 0x7
	buffer_load_dword v132, off, s[0:3], 0 offset:324
	buffer_load_dword v161, off, s[0:3], 0 offset:344
	buffer_load_dword v163, off, s[0:3], 0 offset:336
	buffer_load_dword v165, off, s[0:3], 0 offset:328
	buffer_load_dword v131, off, s[0:3], 0 offset:320
	buffer_load_dword v166, off, s[0:3], 0 offset:332
	buffer_load_dword v164, off, s[0:3], 0 offset:340
	buffer_load_dword v162, off, s[0:3], 0 offset:348
	s_waitcnt vmcnt(34)
	v_fma_f64 v[123:124], v[133:134], v[125:126], v[123:124]
	s_waitcnt vmcnt(32) lgkmcnt(0)
	v_fma_f64 v[123:124], v[135:136], v[127:128], v[123:124]
	s_waitcnt vmcnt(30)
	v_fma_f64 v[133:134], v[137:138], v[129:130], v[123:124]
	ds_read2_b64 v[123:126], v122 offset0:89 offset1:90
	ds_read2_b64 v[127:130], v122 offset0:91 offset1:92
	s_waitcnt vmcnt(28) lgkmcnt(1)
	v_fma_f64 v[123:124], v[139:140], v[123:124], v[133:134]
	s_clause 0x7
	buffer_load_dword v134, off, s[0:3], 0 offset:356
	buffer_load_dword v135, off, s[0:3], 0 offset:376
	buffer_load_dword v137, off, s[0:3], 0 offset:368
	buffer_load_dword v139, off, s[0:3], 0 offset:360
	buffer_load_dword v133, off, s[0:3], 0 offset:352
	buffer_load_dword v140, off, s[0:3], 0 offset:364
	buffer_load_dword v138, off, s[0:3], 0 offset:372
	buffer_load_dword v136, off, s[0:3], 0 offset:380
	s_waitcnt vmcnt(34)
	v_fma_f64 v[123:124], v[141:142], v[125:126], v[123:124]
	s_waitcnt vmcnt(32) lgkmcnt(0)
	v_fma_f64 v[123:124], v[143:144], v[127:128], v[123:124]
	s_waitcnt vmcnt(27)
	v_fma_f64 v[141:142], v[145:146], v[129:130], v[123:124]
	;; [unrolled: 19-line block ×5, first 2 shown]
	ds_read2_b64 v[123:126], v122 offset0:105 offset1:106
	ds_read2_b64 v[127:130], v122 offset0:107 offset1:108
	s_waitcnt vmcnt(26) lgkmcnt(1)
	v_fma_f64 v[123:124], v[139:140], v[123:124], v[133:134]
	s_clause 0x1
	buffer_load_dword v133, off, s[0:3], 0 offset:192
	buffer_load_dword v134, off, s[0:3], 0 offset:196
	s_waitcnt vmcnt(27)
	v_fma_f64 v[123:124], v[137:138], v[125:126], v[123:124]
	s_waitcnt vmcnt(26) lgkmcnt(0)
	v_fma_f64 v[123:124], v[135:136], v[127:128], v[123:124]
	s_waitcnt vmcnt(21)
	v_fma_f64 v[135:136], v[141:142], v[129:130], v[123:124]
	ds_read2_b64 v[123:126], v122 offset0:109 offset1:110
	ds_read2_b64 v[127:130], v122 offset0:111 offset1:112
	s_waitcnt vmcnt(20) lgkmcnt(1)
	v_fma_f64 v[123:124], v[151:152], v[123:124], v[135:136]
	s_waitcnt vmcnt(19)
	v_fma_f64 v[123:124], v[145:146], v[125:126], v[123:124]
	s_waitcnt vmcnt(18) lgkmcnt(0)
	v_fma_f64 v[123:124], v[143:144], v[127:128], v[123:124]
	s_waitcnt vmcnt(13)
	v_fma_f64 v[135:136], v[147:148], v[129:130], v[123:124]
	ds_read2_b64 v[123:126], v122 offset0:113 offset1:114
	ds_read2_b64 v[127:130], v122 offset0:115 offset1:116
	s_waitcnt vmcnt(12) lgkmcnt(1)
	v_fma_f64 v[123:124], v[159:160], v[123:124], v[135:136]
	s_waitcnt vmcnt(11)
	v_fma_f64 v[123:124], v[153:154], v[125:126], v[123:124]
	s_waitcnt vmcnt(10) lgkmcnt(0)
	v_fma_f64 v[123:124], v[149:150], v[127:128], v[123:124]
	s_waitcnt vmcnt(5)
	v_fma_f64 v[127:128], v[131:132], v[129:130], v[123:124]
	ds_read2_b64 v[123:126], v122 offset0:117 offset1:118
	ds_read_b64 v[129:130], v122 offset:952
	s_waitcnt vmcnt(4) lgkmcnt(1)
	v_fma_f64 v[123:124], v[165:166], v[123:124], v[127:128]
	s_waitcnt vmcnt(3)
	v_fma_f64 v[123:124], v[157:158], v[125:126], v[123:124]
	s_waitcnt vmcnt(2) lgkmcnt(0)
	v_fma_f64 v[123:124], v[155:156], v[129:130], v[123:124]
	s_waitcnt vmcnt(0)
	v_add_f64 v[123:124], v[133:134], -v[123:124]
	buffer_store_dword v124, off, s[0:3], 0 offset:196
	buffer_store_dword v123, off, s[0:3], 0 offset:192
	v_cmpx_lt_u32_e32 23, v0
	s_cbranch_execz .LBB123_323
; %bb.322:
	s_clause 0x1
	buffer_load_dword v123, off, s[0:3], 0 offset:184
	buffer_load_dword v124, off, s[0:3], 0 offset:188
	buffer_store_dword v122, off, s[0:3], 0 offset:184
	buffer_store_dword v122, off, s[0:3], 0 offset:188
	s_waitcnt vmcnt(0)
	ds_write_b64 v121, v[123:124]
.LBB123_323:
	s_or_b32 exec_lo, exec_lo, s4
	s_waitcnt lgkmcnt(0)
	s_waitcnt_vscnt null, 0x0
	s_barrier
	buffer_gl0_inv
	s_clause 0x1c
	buffer_load_dword v131, off, s[0:3], 0 offset:192
	buffer_load_dword v132, off, s[0:3], 0 offset:196
	;; [unrolled: 1-line block ×29, first 2 shown]
	ds_read_b128 v[123:126], v122 offset:672
	ds_read_b128 v[127:130], v122 offset:688
	buffer_load_dword v156, off, s[0:3], 0 offset:308
	s_mov_b32 s4, exec_lo
	s_waitcnt vmcnt(28) lgkmcnt(1)
	v_fma_f64 v[123:124], v[131:132], v[123:124], 0
	s_clause 0x7
	buffer_load_dword v132, off, s[0:3], 0 offset:316
	buffer_load_dword v161, off, s[0:3], 0 offset:336
	buffer_load_dword v163, off, s[0:3], 0 offset:328
	buffer_load_dword v165, off, s[0:3], 0 offset:320
	buffer_load_dword v131, off, s[0:3], 0 offset:312
	buffer_load_dword v166, off, s[0:3], 0 offset:324
	buffer_load_dword v164, off, s[0:3], 0 offset:332
	buffer_load_dword v162, off, s[0:3], 0 offset:340
	s_waitcnt vmcnt(34)
	v_fma_f64 v[123:124], v[133:134], v[125:126], v[123:124]
	s_waitcnt vmcnt(32) lgkmcnt(0)
	v_fma_f64 v[123:124], v[135:136], v[127:128], v[123:124]
	s_waitcnt vmcnt(30)
	v_fma_f64 v[133:134], v[137:138], v[129:130], v[123:124]
	ds_read_b128 v[123:126], v122 offset:704
	ds_read_b128 v[127:130], v122 offset:720
	s_waitcnt vmcnt(28) lgkmcnt(1)
	v_fma_f64 v[123:124], v[139:140], v[123:124], v[133:134]
	s_clause 0x7
	buffer_load_dword v134, off, s[0:3], 0 offset:348
	buffer_load_dword v135, off, s[0:3], 0 offset:368
	buffer_load_dword v137, off, s[0:3], 0 offset:360
	buffer_load_dword v139, off, s[0:3], 0 offset:352
	buffer_load_dword v133, off, s[0:3], 0 offset:344
	buffer_load_dword v140, off, s[0:3], 0 offset:356
	buffer_load_dword v138, off, s[0:3], 0 offset:364
	buffer_load_dword v136, off, s[0:3], 0 offset:372
	s_waitcnt vmcnt(34)
	v_fma_f64 v[123:124], v[141:142], v[125:126], v[123:124]
	s_waitcnt vmcnt(32) lgkmcnt(0)
	v_fma_f64 v[123:124], v[143:144], v[127:128], v[123:124]
	s_waitcnt vmcnt(27)
	v_fma_f64 v[141:142], v[145:146], v[129:130], v[123:124]
	ds_read_b128 v[123:126], v122 offset:736
	ds_read_b128 v[127:130], v122 offset:752
	;; [unrolled: 19-line block ×5, first 2 shown]
	s_waitcnt vmcnt(26) lgkmcnt(1)
	v_fma_f64 v[123:124], v[139:140], v[123:124], v[133:134]
	s_clause 0x1
	buffer_load_dword v134, off, s[0:3], 0 offset:476
	buffer_load_dword v133, off, s[0:3], 0 offset:472
	s_waitcnt vmcnt(27)
	v_fma_f64 v[123:124], v[137:138], v[125:126], v[123:124]
	s_clause 0x1
	buffer_load_dword v137, off, s[0:3], 0 offset:184
	buffer_load_dword v138, off, s[0:3], 0 offset:188
	s_waitcnt vmcnt(28) lgkmcnt(0)
	v_fma_f64 v[123:124], v[135:136], v[127:128], v[123:124]
	s_waitcnt vmcnt(23)
	v_fma_f64 v[135:136], v[141:142], v[129:130], v[123:124]
	ds_read_b128 v[123:126], v122 offset:864
	ds_read_b128 v[127:130], v122 offset:880
	s_waitcnt vmcnt(22) lgkmcnt(1)
	v_fma_f64 v[123:124], v[151:152], v[123:124], v[135:136]
	s_waitcnt vmcnt(21)
	v_fma_f64 v[123:124], v[145:146], v[125:126], v[123:124]
	s_waitcnt vmcnt(20) lgkmcnt(0)
	v_fma_f64 v[123:124], v[143:144], v[127:128], v[123:124]
	s_waitcnt vmcnt(15)
	v_fma_f64 v[135:136], v[147:148], v[129:130], v[123:124]
	ds_read_b128 v[123:126], v122 offset:896
	ds_read_b128 v[127:130], v122 offset:912
	s_waitcnt vmcnt(14) lgkmcnt(1)
	v_fma_f64 v[123:124], v[159:160], v[123:124], v[135:136]
	s_waitcnt vmcnt(13)
	v_fma_f64 v[123:124], v[153:154], v[125:126], v[123:124]
	;; [unrolled: 10-line block ×3, first 2 shown]
	s_waitcnt vmcnt(4) lgkmcnt(0)
	v_fma_f64 v[122:123], v[155:156], v[127:128], v[122:123]
	s_waitcnt vmcnt(2)
	v_fma_f64 v[122:123], v[133:134], v[129:130], v[122:123]
	s_waitcnt vmcnt(0)
	v_add_f64 v[122:123], v[137:138], -v[122:123]
	buffer_store_dword v123, off, s[0:3], 0 offset:188
	buffer_store_dword v122, off, s[0:3], 0 offset:184
	v_cmpx_lt_u32_e32 22, v0
	s_cbranch_execz .LBB123_325
; %bb.324:
	s_clause 0x1
	buffer_load_dword v122, off, s[0:3], 0 offset:176
	buffer_load_dword v123, off, s[0:3], 0 offset:180
	v_mov_b32_e32 v124, 0
	buffer_store_dword v124, off, s[0:3], 0 offset:176
	buffer_store_dword v124, off, s[0:3], 0 offset:180
	s_waitcnt vmcnt(0)
	ds_write_b64 v121, v[122:123]
.LBB123_325:
	s_or_b32 exec_lo, exec_lo, s4
	s_waitcnt lgkmcnt(0)
	s_waitcnt_vscnt null, 0x0
	s_barrier
	buffer_gl0_inv
	s_clause 0x1c
	buffer_load_dword v131, off, s[0:3], 0 offset:184
	buffer_load_dword v132, off, s[0:3], 0 offset:188
	;; [unrolled: 1-line block ×29, first 2 shown]
	v_mov_b32_e32 v122, 0
	buffer_load_dword v156, off, s[0:3], 0 offset:300
	s_mov_b32 s4, exec_lo
	ds_read2_b64 v[123:126], v122 offset0:83 offset1:84
	ds_read2_b64 v[127:130], v122 offset0:85 offset1:86
	s_waitcnt vmcnt(28) lgkmcnt(1)
	v_fma_f64 v[123:124], v[131:132], v[123:124], 0
	s_clause 0x7
	buffer_load_dword v132, off, s[0:3], 0 offset:308
	buffer_load_dword v161, off, s[0:3], 0 offset:328
	buffer_load_dword v163, off, s[0:3], 0 offset:320
	buffer_load_dword v165, off, s[0:3], 0 offset:312
	buffer_load_dword v131, off, s[0:3], 0 offset:304
	buffer_load_dword v166, off, s[0:3], 0 offset:316
	buffer_load_dword v164, off, s[0:3], 0 offset:324
	buffer_load_dword v162, off, s[0:3], 0 offset:332
	s_waitcnt vmcnt(34)
	v_fma_f64 v[123:124], v[133:134], v[125:126], v[123:124]
	s_waitcnt vmcnt(32) lgkmcnt(0)
	v_fma_f64 v[123:124], v[135:136], v[127:128], v[123:124]
	s_waitcnt vmcnt(30)
	v_fma_f64 v[133:134], v[137:138], v[129:130], v[123:124]
	ds_read2_b64 v[123:126], v122 offset0:87 offset1:88
	ds_read2_b64 v[127:130], v122 offset0:89 offset1:90
	s_waitcnt vmcnt(28) lgkmcnt(1)
	v_fma_f64 v[123:124], v[139:140], v[123:124], v[133:134]
	s_clause 0x7
	buffer_load_dword v134, off, s[0:3], 0 offset:340
	buffer_load_dword v135, off, s[0:3], 0 offset:360
	buffer_load_dword v137, off, s[0:3], 0 offset:352
	buffer_load_dword v139, off, s[0:3], 0 offset:344
	buffer_load_dword v133, off, s[0:3], 0 offset:336
	buffer_load_dword v140, off, s[0:3], 0 offset:348
	buffer_load_dword v138, off, s[0:3], 0 offset:356
	buffer_load_dword v136, off, s[0:3], 0 offset:364
	s_waitcnt vmcnt(34)
	v_fma_f64 v[123:124], v[141:142], v[125:126], v[123:124]
	s_waitcnt vmcnt(32) lgkmcnt(0)
	v_fma_f64 v[123:124], v[143:144], v[127:128], v[123:124]
	s_waitcnt vmcnt(27)
	v_fma_f64 v[141:142], v[145:146], v[129:130], v[123:124]
	;; [unrolled: 19-line block ×5, first 2 shown]
	ds_read2_b64 v[123:126], v122 offset0:103 offset1:104
	ds_read2_b64 v[127:130], v122 offset0:105 offset1:106
	s_waitcnt vmcnt(26) lgkmcnt(1)
	v_fma_f64 v[123:124], v[139:140], v[123:124], v[133:134]
	s_clause 0x3
	buffer_load_dword v134, off, s[0:3], 0 offset:468
	buffer_load_dword v139, off, s[0:3], 0 offset:472
	;; [unrolled: 1-line block ×4, first 2 shown]
	s_waitcnt vmcnt(29)
	v_fma_f64 v[123:124], v[137:138], v[125:126], v[123:124]
	s_waitcnt vmcnt(28) lgkmcnt(0)
	v_fma_f64 v[123:124], v[135:136], v[127:128], v[123:124]
	s_clause 0x1
	buffer_load_dword v135, off, s[0:3], 0 offset:176
	buffer_load_dword v136, off, s[0:3], 0 offset:180
	s_waitcnt vmcnt(25)
	v_fma_f64 v[137:138], v[141:142], v[129:130], v[123:124]
	ds_read2_b64 v[123:126], v122 offset0:107 offset1:108
	ds_read2_b64 v[127:130], v122 offset0:109 offset1:110
	s_waitcnt vmcnt(24) lgkmcnt(1)
	v_fma_f64 v[123:124], v[151:152], v[123:124], v[137:138]
	s_waitcnt vmcnt(23)
	v_fma_f64 v[123:124], v[145:146], v[125:126], v[123:124]
	s_waitcnt vmcnt(22) lgkmcnt(0)
	v_fma_f64 v[123:124], v[143:144], v[127:128], v[123:124]
	s_waitcnt vmcnt(17)
	v_fma_f64 v[137:138], v[147:148], v[129:130], v[123:124]
	ds_read2_b64 v[123:126], v122 offset0:111 offset1:112
	ds_read2_b64 v[127:130], v122 offset0:113 offset1:114
	s_waitcnt vmcnt(16) lgkmcnt(1)
	v_fma_f64 v[123:124], v[159:160], v[123:124], v[137:138]
	s_waitcnt vmcnt(15)
	v_fma_f64 v[123:124], v[153:154], v[125:126], v[123:124]
	s_waitcnt vmcnt(14) lgkmcnt(0)
	v_fma_f64 v[123:124], v[149:150], v[127:128], v[123:124]
	s_waitcnt vmcnt(9)
	v_fma_f64 v[131:132], v[131:132], v[129:130], v[123:124]
	ds_read2_b64 v[123:126], v122 offset0:115 offset1:116
	ds_read2_b64 v[127:130], v122 offset0:117 offset1:118
	s_waitcnt vmcnt(8) lgkmcnt(1)
	v_fma_f64 v[123:124], v[165:166], v[123:124], v[131:132]
	s_waitcnt vmcnt(7)
	v_fma_f64 v[123:124], v[157:158], v[125:126], v[123:124]
	ds_read_b64 v[125:126], v122 offset:952
	s_waitcnt vmcnt(6) lgkmcnt(1)
	v_fma_f64 v[123:124], v[155:156], v[127:128], v[123:124]
	s_waitcnt vmcnt(3)
	v_fma_f64 v[123:124], v[133:134], v[129:130], v[123:124]
	s_waitcnt vmcnt(2) lgkmcnt(0)
	v_fma_f64 v[123:124], v[139:140], v[125:126], v[123:124]
	s_waitcnt vmcnt(0)
	v_add_f64 v[123:124], v[135:136], -v[123:124]
	buffer_store_dword v124, off, s[0:3], 0 offset:180
	buffer_store_dword v123, off, s[0:3], 0 offset:176
	v_cmpx_lt_u32_e32 21, v0
	s_cbranch_execz .LBB123_327
; %bb.326:
	s_clause 0x1
	buffer_load_dword v123, off, s[0:3], 0 offset:168
	buffer_load_dword v124, off, s[0:3], 0 offset:172
	buffer_store_dword v122, off, s[0:3], 0 offset:168
	buffer_store_dword v122, off, s[0:3], 0 offset:172
	s_waitcnt vmcnt(0)
	ds_write_b64 v121, v[123:124]
.LBB123_327:
	s_or_b32 exec_lo, exec_lo, s4
	s_waitcnt lgkmcnt(0)
	s_waitcnt_vscnt null, 0x0
	s_barrier
	buffer_gl0_inv
	s_clause 0x1c
	buffer_load_dword v131, off, s[0:3], 0 offset:176
	buffer_load_dword v132, off, s[0:3], 0 offset:180
	;; [unrolled: 1-line block ×29, first 2 shown]
	ds_read_b128 v[123:126], v122 offset:656
	ds_read_b128 v[127:130], v122 offset:672
	buffer_load_dword v156, off, s[0:3], 0 offset:292
	s_mov_b32 s4, exec_lo
	s_waitcnt vmcnt(28) lgkmcnt(1)
	v_fma_f64 v[123:124], v[131:132], v[123:124], 0
	s_clause 0x7
	buffer_load_dword v132, off, s[0:3], 0 offset:300
	buffer_load_dword v161, off, s[0:3], 0 offset:320
	buffer_load_dword v163, off, s[0:3], 0 offset:312
	buffer_load_dword v165, off, s[0:3], 0 offset:304
	buffer_load_dword v131, off, s[0:3], 0 offset:296
	buffer_load_dword v166, off, s[0:3], 0 offset:308
	buffer_load_dword v164, off, s[0:3], 0 offset:316
	buffer_load_dword v162, off, s[0:3], 0 offset:324
	s_waitcnt vmcnt(34)
	v_fma_f64 v[123:124], v[133:134], v[125:126], v[123:124]
	s_waitcnt vmcnt(32) lgkmcnt(0)
	v_fma_f64 v[123:124], v[135:136], v[127:128], v[123:124]
	s_waitcnt vmcnt(30)
	v_fma_f64 v[133:134], v[137:138], v[129:130], v[123:124]
	ds_read_b128 v[123:126], v122 offset:688
	ds_read_b128 v[127:130], v122 offset:704
	s_waitcnt vmcnt(28) lgkmcnt(1)
	v_fma_f64 v[123:124], v[139:140], v[123:124], v[133:134]
	s_clause 0x7
	buffer_load_dword v134, off, s[0:3], 0 offset:332
	buffer_load_dword v135, off, s[0:3], 0 offset:352
	buffer_load_dword v137, off, s[0:3], 0 offset:344
	buffer_load_dword v139, off, s[0:3], 0 offset:336
	buffer_load_dword v133, off, s[0:3], 0 offset:328
	buffer_load_dword v140, off, s[0:3], 0 offset:340
	buffer_load_dword v138, off, s[0:3], 0 offset:348
	buffer_load_dword v136, off, s[0:3], 0 offset:356
	s_waitcnt vmcnt(34)
	v_fma_f64 v[123:124], v[141:142], v[125:126], v[123:124]
	s_waitcnt vmcnt(32) lgkmcnt(0)
	v_fma_f64 v[123:124], v[143:144], v[127:128], v[123:124]
	s_waitcnt vmcnt(27)
	v_fma_f64 v[141:142], v[145:146], v[129:130], v[123:124]
	ds_read_b128 v[123:126], v122 offset:720
	ds_read_b128 v[127:130], v122 offset:736
	;; [unrolled: 19-line block ×5, first 2 shown]
	s_waitcnt vmcnt(26) lgkmcnt(1)
	v_fma_f64 v[123:124], v[139:140], v[123:124], v[133:134]
	s_clause 0x5
	buffer_load_dword v134, off, s[0:3], 0 offset:460
	buffer_load_dword v139, off, s[0:3], 0 offset:472
	;; [unrolled: 1-line block ×6, first 2 shown]
	s_waitcnt vmcnt(31)
	v_fma_f64 v[123:124], v[137:138], v[125:126], v[123:124]
	s_waitcnt vmcnt(30) lgkmcnt(0)
	v_fma_f64 v[123:124], v[135:136], v[127:128], v[123:124]
	s_waitcnt vmcnt(25)
	v_fma_f64 v[135:136], v[141:142], v[129:130], v[123:124]
	ds_read_b128 v[123:126], v122 offset:848
	s_clause 0x1
	buffer_load_dword v137, off, s[0:3], 0 offset:168
	buffer_load_dword v138, off, s[0:3], 0 offset:172
	ds_read_b128 v[127:130], v122 offset:864
	s_waitcnt vmcnt(26) lgkmcnt(1)
	v_fma_f64 v[123:124], v[151:152], v[123:124], v[135:136]
	s_waitcnt vmcnt(25)
	v_fma_f64 v[123:124], v[145:146], v[125:126], v[123:124]
	s_waitcnt vmcnt(24) lgkmcnt(0)
	v_fma_f64 v[123:124], v[143:144], v[127:128], v[123:124]
	s_waitcnt vmcnt(19)
	v_fma_f64 v[135:136], v[147:148], v[129:130], v[123:124]
	ds_read_b128 v[123:126], v122 offset:880
	ds_read_b128 v[127:130], v122 offset:896
	s_waitcnt vmcnt(18) lgkmcnt(1)
	v_fma_f64 v[123:124], v[159:160], v[123:124], v[135:136]
	s_waitcnt vmcnt(17)
	v_fma_f64 v[123:124], v[153:154], v[125:126], v[123:124]
	s_waitcnt vmcnt(16) lgkmcnt(0)
	v_fma_f64 v[123:124], v[149:150], v[127:128], v[123:124]
	s_waitcnt vmcnt(11)
	v_fma_f64 v[131:132], v[131:132], v[129:130], v[123:124]
	ds_read_b128 v[123:126], v122 offset:912
	;; [unrolled: 10-line block ×3, first 2 shown]
	s_waitcnt vmcnt(3) lgkmcnt(0)
	v_fma_f64 v[122:123], v[161:162], v[122:123], v[126:127]
	s_waitcnt vmcnt(2)
	v_fma_f64 v[122:123], v[139:140], v[124:125], v[122:123]
	s_waitcnt vmcnt(0)
	v_add_f64 v[122:123], v[137:138], -v[122:123]
	buffer_store_dword v123, off, s[0:3], 0 offset:172
	buffer_store_dword v122, off, s[0:3], 0 offset:168
	v_cmpx_lt_u32_e32 20, v0
	s_cbranch_execz .LBB123_329
; %bb.328:
	s_clause 0x1
	buffer_load_dword v122, off, s[0:3], 0 offset:160
	buffer_load_dword v123, off, s[0:3], 0 offset:164
	v_mov_b32_e32 v124, 0
	buffer_store_dword v124, off, s[0:3], 0 offset:160
	buffer_store_dword v124, off, s[0:3], 0 offset:164
	s_waitcnt vmcnt(0)
	ds_write_b64 v121, v[122:123]
.LBB123_329:
	s_or_b32 exec_lo, exec_lo, s4
	s_waitcnt lgkmcnt(0)
	s_waitcnt_vscnt null, 0x0
	s_barrier
	buffer_gl0_inv
	s_clause 0x1c
	buffer_load_dword v131, off, s[0:3], 0 offset:168
	buffer_load_dword v132, off, s[0:3], 0 offset:172
	;; [unrolled: 1-line block ×29, first 2 shown]
	v_mov_b32_e32 v122, 0
	buffer_load_dword v156, off, s[0:3], 0 offset:284
	s_mov_b32 s4, exec_lo
	ds_read2_b64 v[123:126], v122 offset0:81 offset1:82
	ds_read2_b64 v[127:130], v122 offset0:83 offset1:84
	s_waitcnt vmcnt(28) lgkmcnt(1)
	v_fma_f64 v[123:124], v[131:132], v[123:124], 0
	s_clause 0x7
	buffer_load_dword v132, off, s[0:3], 0 offset:292
	buffer_load_dword v161, off, s[0:3], 0 offset:312
	buffer_load_dword v163, off, s[0:3], 0 offset:304
	buffer_load_dword v165, off, s[0:3], 0 offset:296
	buffer_load_dword v131, off, s[0:3], 0 offset:288
	buffer_load_dword v166, off, s[0:3], 0 offset:300
	buffer_load_dword v164, off, s[0:3], 0 offset:308
	buffer_load_dword v162, off, s[0:3], 0 offset:316
	s_waitcnt vmcnt(34)
	v_fma_f64 v[123:124], v[133:134], v[125:126], v[123:124]
	s_waitcnt vmcnt(32) lgkmcnt(0)
	v_fma_f64 v[123:124], v[135:136], v[127:128], v[123:124]
	s_waitcnt vmcnt(30)
	v_fma_f64 v[133:134], v[137:138], v[129:130], v[123:124]
	ds_read2_b64 v[123:126], v122 offset0:85 offset1:86
	ds_read2_b64 v[127:130], v122 offset0:87 offset1:88
	s_waitcnt vmcnt(28) lgkmcnt(1)
	v_fma_f64 v[123:124], v[139:140], v[123:124], v[133:134]
	s_clause 0x7
	buffer_load_dword v134, off, s[0:3], 0 offset:324
	buffer_load_dword v135, off, s[0:3], 0 offset:344
	buffer_load_dword v137, off, s[0:3], 0 offset:336
	buffer_load_dword v139, off, s[0:3], 0 offset:328
	buffer_load_dword v133, off, s[0:3], 0 offset:320
	buffer_load_dword v140, off, s[0:3], 0 offset:332
	buffer_load_dword v138, off, s[0:3], 0 offset:340
	buffer_load_dword v136, off, s[0:3], 0 offset:348
	s_waitcnt vmcnt(34)
	v_fma_f64 v[123:124], v[141:142], v[125:126], v[123:124]
	s_waitcnt vmcnt(32) lgkmcnt(0)
	v_fma_f64 v[123:124], v[143:144], v[127:128], v[123:124]
	s_waitcnt vmcnt(27)
	v_fma_f64 v[141:142], v[145:146], v[129:130], v[123:124]
	;; [unrolled: 19-line block ×6, first 2 shown]
	ds_read2_b64 v[123:126], v122 offset0:105 offset1:106
	ds_read2_b64 v[127:130], v122 offset0:107 offset1:108
	s_waitcnt vmcnt(26) lgkmcnt(1)
	v_fma_f64 v[123:124], v[151:152], v[123:124], v[135:136]
	s_clause 0x1
	buffer_load_dword v135, off, s[0:3], 0 offset:160
	buffer_load_dword v136, off, s[0:3], 0 offset:164
	s_waitcnt vmcnt(27)
	v_fma_f64 v[123:124], v[145:146], v[125:126], v[123:124]
	s_waitcnt vmcnt(26) lgkmcnt(0)
	v_fma_f64 v[123:124], v[143:144], v[127:128], v[123:124]
	s_waitcnt vmcnt(21)
	v_fma_f64 v[137:138], v[147:148], v[129:130], v[123:124]
	ds_read2_b64 v[123:126], v122 offset0:109 offset1:110
	ds_read2_b64 v[127:130], v122 offset0:111 offset1:112
	s_waitcnt vmcnt(20) lgkmcnt(1)
	v_fma_f64 v[123:124], v[159:160], v[123:124], v[137:138]
	s_waitcnt vmcnt(19)
	v_fma_f64 v[123:124], v[153:154], v[125:126], v[123:124]
	s_waitcnt vmcnt(18) lgkmcnt(0)
	v_fma_f64 v[123:124], v[149:150], v[127:128], v[123:124]
	s_waitcnt vmcnt(13)
	v_fma_f64 v[131:132], v[131:132], v[129:130], v[123:124]
	ds_read2_b64 v[123:126], v122 offset0:113 offset1:114
	ds_read2_b64 v[127:130], v122 offset0:115 offset1:116
	s_waitcnt vmcnt(12) lgkmcnt(1)
	v_fma_f64 v[123:124], v[165:166], v[123:124], v[131:132]
	s_waitcnt vmcnt(11)
	v_fma_f64 v[123:124], v[157:158], v[125:126], v[123:124]
	s_waitcnt vmcnt(10) lgkmcnt(0)
	v_fma_f64 v[123:124], v[155:156], v[127:128], v[123:124]
	s_waitcnt vmcnt(5)
	v_fma_f64 v[127:128], v[133:134], v[129:130], v[123:124]
	ds_read2_b64 v[123:126], v122 offset0:117 offset1:118
	ds_read_b64 v[129:130], v122 offset:952
	s_waitcnt vmcnt(4) lgkmcnt(1)
	v_fma_f64 v[123:124], v[163:164], v[123:124], v[127:128]
	s_waitcnt vmcnt(3)
	v_fma_f64 v[123:124], v[161:162], v[125:126], v[123:124]
	s_waitcnt vmcnt(2) lgkmcnt(0)
	v_fma_f64 v[123:124], v[139:140], v[129:130], v[123:124]
	s_waitcnt vmcnt(0)
	v_add_f64 v[123:124], v[135:136], -v[123:124]
	buffer_store_dword v124, off, s[0:3], 0 offset:164
	buffer_store_dword v123, off, s[0:3], 0 offset:160
	v_cmpx_lt_u32_e32 19, v0
	s_cbranch_execz .LBB123_331
; %bb.330:
	s_clause 0x1
	buffer_load_dword v123, off, s[0:3], 0 offset:152
	buffer_load_dword v124, off, s[0:3], 0 offset:156
	buffer_store_dword v122, off, s[0:3], 0 offset:152
	buffer_store_dword v122, off, s[0:3], 0 offset:156
	s_waitcnt vmcnt(0)
	ds_write_b64 v121, v[123:124]
.LBB123_331:
	s_or_b32 exec_lo, exec_lo, s4
	s_waitcnt lgkmcnt(0)
	s_waitcnt_vscnt null, 0x0
	s_barrier
	buffer_gl0_inv
	s_clause 0x1c
	buffer_load_dword v131, off, s[0:3], 0 offset:160
	buffer_load_dword v132, off, s[0:3], 0 offset:164
	;; [unrolled: 1-line block ×29, first 2 shown]
	ds_read_b128 v[123:126], v122 offset:640
	ds_read_b128 v[127:130], v122 offset:656
	buffer_load_dword v156, off, s[0:3], 0 offset:276
	s_mov_b32 s4, exec_lo
	s_waitcnt vmcnt(28) lgkmcnt(1)
	v_fma_f64 v[123:124], v[131:132], v[123:124], 0
	s_clause 0x7
	buffer_load_dword v132, off, s[0:3], 0 offset:284
	buffer_load_dword v161, off, s[0:3], 0 offset:304
	buffer_load_dword v163, off, s[0:3], 0 offset:296
	buffer_load_dword v165, off, s[0:3], 0 offset:288
	buffer_load_dword v131, off, s[0:3], 0 offset:280
	buffer_load_dword v166, off, s[0:3], 0 offset:292
	buffer_load_dword v164, off, s[0:3], 0 offset:300
	buffer_load_dword v162, off, s[0:3], 0 offset:308
	s_waitcnt vmcnt(34)
	v_fma_f64 v[123:124], v[133:134], v[125:126], v[123:124]
	s_waitcnt vmcnt(32) lgkmcnt(0)
	v_fma_f64 v[123:124], v[135:136], v[127:128], v[123:124]
	s_waitcnt vmcnt(30)
	v_fma_f64 v[133:134], v[137:138], v[129:130], v[123:124]
	ds_read_b128 v[123:126], v122 offset:672
	ds_read_b128 v[127:130], v122 offset:688
	s_waitcnt vmcnt(28) lgkmcnt(1)
	v_fma_f64 v[123:124], v[139:140], v[123:124], v[133:134]
	s_clause 0x7
	buffer_load_dword v134, off, s[0:3], 0 offset:316
	buffer_load_dword v135, off, s[0:3], 0 offset:336
	buffer_load_dword v137, off, s[0:3], 0 offset:328
	buffer_load_dword v139, off, s[0:3], 0 offset:320
	buffer_load_dword v133, off, s[0:3], 0 offset:312
	buffer_load_dword v140, off, s[0:3], 0 offset:324
	buffer_load_dword v138, off, s[0:3], 0 offset:332
	buffer_load_dword v136, off, s[0:3], 0 offset:340
	s_waitcnt vmcnt(34)
	v_fma_f64 v[123:124], v[141:142], v[125:126], v[123:124]
	s_waitcnt vmcnt(32) lgkmcnt(0)
	v_fma_f64 v[123:124], v[143:144], v[127:128], v[123:124]
	s_waitcnt vmcnt(27)
	v_fma_f64 v[141:142], v[145:146], v[129:130], v[123:124]
	ds_read_b128 v[123:126], v122 offset:704
	ds_read_b128 v[127:130], v122 offset:720
	;; [unrolled: 19-line block ×6, first 2 shown]
	s_waitcnt vmcnt(26) lgkmcnt(1)
	v_fma_f64 v[123:124], v[151:152], v[123:124], v[135:136]
	s_clause 0x3
	buffer_load_dword v136, off, s[0:3], 0 offset:476
	buffer_load_dword v135, off, s[0:3], 0 offset:472
	;; [unrolled: 1-line block ×4, first 2 shown]
	s_waitcnt vmcnt(29)
	v_fma_f64 v[123:124], v[145:146], v[125:126], v[123:124]
	s_waitcnt vmcnt(28) lgkmcnt(0)
	v_fma_f64 v[123:124], v[143:144], v[127:128], v[123:124]
	s_waitcnt vmcnt(23)
	v_fma_f64 v[141:142], v[147:148], v[129:130], v[123:124]
	ds_read_b128 v[123:126], v122 offset:864
	ds_read_b128 v[127:130], v122 offset:880
	s_waitcnt vmcnt(22) lgkmcnt(1)
	v_fma_f64 v[123:124], v[159:160], v[123:124], v[141:142]
	s_waitcnt vmcnt(21)
	v_fma_f64 v[123:124], v[153:154], v[125:126], v[123:124]
	s_waitcnt vmcnt(20) lgkmcnt(0)
	v_fma_f64 v[123:124], v[149:150], v[127:128], v[123:124]
	s_waitcnt vmcnt(15)
	v_fma_f64 v[131:132], v[131:132], v[129:130], v[123:124]
	ds_read_b128 v[123:126], v122 offset:896
	ds_read_b128 v[127:130], v122 offset:912
	s_waitcnt vmcnt(14) lgkmcnt(1)
	v_fma_f64 v[123:124], v[165:166], v[123:124], v[131:132]
	;; [unrolled: 10-line block ×3, first 2 shown]
	s_waitcnt vmcnt(5)
	v_fma_f64 v[122:123], v[161:162], v[125:126], v[122:123]
	s_waitcnt vmcnt(4) lgkmcnt(0)
	v_fma_f64 v[122:123], v[139:140], v[127:128], v[122:123]
	s_waitcnt vmcnt(2)
	v_fma_f64 v[122:123], v[135:136], v[129:130], v[122:123]
	s_waitcnt vmcnt(0)
	v_add_f64 v[122:123], v[137:138], -v[122:123]
	buffer_store_dword v123, off, s[0:3], 0 offset:156
	buffer_store_dword v122, off, s[0:3], 0 offset:152
	v_cmpx_lt_u32_e32 18, v0
	s_cbranch_execz .LBB123_333
; %bb.332:
	s_clause 0x1
	buffer_load_dword v122, off, s[0:3], 0 offset:144
	buffer_load_dword v123, off, s[0:3], 0 offset:148
	v_mov_b32_e32 v124, 0
	buffer_store_dword v124, off, s[0:3], 0 offset:144
	buffer_store_dword v124, off, s[0:3], 0 offset:148
	s_waitcnt vmcnt(0)
	ds_write_b64 v121, v[122:123]
.LBB123_333:
	s_or_b32 exec_lo, exec_lo, s4
	s_waitcnt lgkmcnt(0)
	s_waitcnt_vscnt null, 0x0
	s_barrier
	buffer_gl0_inv
	s_clause 0x1c
	buffer_load_dword v131, off, s[0:3], 0 offset:152
	buffer_load_dword v132, off, s[0:3], 0 offset:156
	;; [unrolled: 1-line block ×29, first 2 shown]
	v_mov_b32_e32 v122, 0
	buffer_load_dword v156, off, s[0:3], 0 offset:268
	s_mov_b32 s4, exec_lo
	ds_read2_b64 v[123:126], v122 offset0:79 offset1:80
	ds_read2_b64 v[127:130], v122 offset0:81 offset1:82
	s_waitcnt vmcnt(28) lgkmcnt(1)
	v_fma_f64 v[123:124], v[131:132], v[123:124], 0
	s_clause 0x7
	buffer_load_dword v132, off, s[0:3], 0 offset:276
	buffer_load_dword v161, off, s[0:3], 0 offset:296
	buffer_load_dword v163, off, s[0:3], 0 offset:288
	buffer_load_dword v165, off, s[0:3], 0 offset:280
	buffer_load_dword v131, off, s[0:3], 0 offset:272
	buffer_load_dword v166, off, s[0:3], 0 offset:284
	buffer_load_dword v164, off, s[0:3], 0 offset:292
	buffer_load_dword v162, off, s[0:3], 0 offset:300
	s_waitcnt vmcnt(34)
	v_fma_f64 v[123:124], v[133:134], v[125:126], v[123:124]
	s_waitcnt vmcnt(32) lgkmcnt(0)
	v_fma_f64 v[123:124], v[135:136], v[127:128], v[123:124]
	s_waitcnt vmcnt(30)
	v_fma_f64 v[133:134], v[137:138], v[129:130], v[123:124]
	ds_read2_b64 v[123:126], v122 offset0:83 offset1:84
	ds_read2_b64 v[127:130], v122 offset0:85 offset1:86
	s_waitcnt vmcnt(28) lgkmcnt(1)
	v_fma_f64 v[123:124], v[139:140], v[123:124], v[133:134]
	s_clause 0x7
	buffer_load_dword v134, off, s[0:3], 0 offset:308
	buffer_load_dword v135, off, s[0:3], 0 offset:328
	buffer_load_dword v137, off, s[0:3], 0 offset:320
	buffer_load_dword v139, off, s[0:3], 0 offset:312
	buffer_load_dword v133, off, s[0:3], 0 offset:304
	buffer_load_dword v140, off, s[0:3], 0 offset:316
	buffer_load_dword v138, off, s[0:3], 0 offset:324
	buffer_load_dword v136, off, s[0:3], 0 offset:332
	s_waitcnt vmcnt(34)
	v_fma_f64 v[123:124], v[141:142], v[125:126], v[123:124]
	s_waitcnt vmcnt(32) lgkmcnt(0)
	v_fma_f64 v[123:124], v[143:144], v[127:128], v[123:124]
	s_waitcnt vmcnt(27)
	v_fma_f64 v[141:142], v[145:146], v[129:130], v[123:124]
	;; [unrolled: 19-line block ×6, first 2 shown]
	ds_read2_b64 v[123:126], v122 offset0:103 offset1:104
	ds_read2_b64 v[127:130], v122 offset0:105 offset1:106
	s_waitcnt vmcnt(26) lgkmcnt(1)
	v_fma_f64 v[123:124], v[151:152], v[123:124], v[135:136]
	s_clause 0x5
	buffer_load_dword v136, off, s[0:3], 0 offset:468
	buffer_load_dword v137, off, s[0:3], 0 offset:472
	;; [unrolled: 1-line block ×6, first 2 shown]
	s_waitcnt vmcnt(31)
	v_fma_f64 v[123:124], v[145:146], v[125:126], v[123:124]
	s_waitcnt vmcnt(30) lgkmcnt(0)
	v_fma_f64 v[123:124], v[143:144], v[127:128], v[123:124]
	s_waitcnt vmcnt(25)
	v_fma_f64 v[143:144], v[147:148], v[129:130], v[123:124]
	ds_read2_b64 v[123:126], v122 offset0:107 offset1:108
	ds_read2_b64 v[127:130], v122 offset0:109 offset1:110
	s_waitcnt vmcnt(24) lgkmcnt(1)
	v_fma_f64 v[123:124], v[159:160], v[123:124], v[143:144]
	s_waitcnt vmcnt(23)
	v_fma_f64 v[123:124], v[153:154], v[125:126], v[123:124]
	s_waitcnt vmcnt(22) lgkmcnt(0)
	v_fma_f64 v[123:124], v[149:150], v[127:128], v[123:124]
	s_waitcnt vmcnt(17)
	v_fma_f64 v[131:132], v[131:132], v[129:130], v[123:124]
	ds_read2_b64 v[123:126], v122 offset0:111 offset1:112
	ds_read2_b64 v[127:130], v122 offset0:113 offset1:114
	s_waitcnt vmcnt(16) lgkmcnt(1)
	v_fma_f64 v[123:124], v[165:166], v[123:124], v[131:132]
	s_waitcnt vmcnt(15)
	v_fma_f64 v[123:124], v[157:158], v[125:126], v[123:124]
	s_waitcnt vmcnt(14) lgkmcnt(0)
	v_fma_f64 v[123:124], v[155:156], v[127:128], v[123:124]
	s_waitcnt vmcnt(9)
	v_fma_f64 v[131:132], v[133:134], v[129:130], v[123:124]
	ds_read2_b64 v[123:126], v122 offset0:115 offset1:116
	ds_read2_b64 v[127:130], v122 offset0:117 offset1:118
	s_waitcnt vmcnt(8) lgkmcnt(1)
	v_fma_f64 v[123:124], v[163:164], v[123:124], v[131:132]
	s_waitcnt vmcnt(7)
	v_fma_f64 v[123:124], v[161:162], v[125:126], v[123:124]
	ds_read_b64 v[125:126], v122 offset:952
	s_waitcnt vmcnt(6) lgkmcnt(1)
	v_fma_f64 v[123:124], v[139:140], v[127:128], v[123:124]
	s_waitcnt vmcnt(3)
	v_fma_f64 v[123:124], v[135:136], v[129:130], v[123:124]
	s_waitcnt vmcnt(2) lgkmcnt(0)
	v_fma_f64 v[123:124], v[137:138], v[125:126], v[123:124]
	s_waitcnt vmcnt(0)
	v_add_f64 v[123:124], v[141:142], -v[123:124]
	buffer_store_dword v124, off, s[0:3], 0 offset:148
	buffer_store_dword v123, off, s[0:3], 0 offset:144
	v_cmpx_lt_u32_e32 17, v0
	s_cbranch_execz .LBB123_335
; %bb.334:
	s_clause 0x1
	buffer_load_dword v123, off, s[0:3], 0 offset:136
	buffer_load_dword v124, off, s[0:3], 0 offset:140
	buffer_store_dword v122, off, s[0:3], 0 offset:136
	buffer_store_dword v122, off, s[0:3], 0 offset:140
	s_waitcnt vmcnt(0)
	ds_write_b64 v121, v[123:124]
.LBB123_335:
	s_or_b32 exec_lo, exec_lo, s4
	s_waitcnt lgkmcnt(0)
	s_waitcnt_vscnt null, 0x0
	s_barrier
	buffer_gl0_inv
	s_clause 0x1c
	buffer_load_dword v131, off, s[0:3], 0 offset:144
	buffer_load_dword v132, off, s[0:3], 0 offset:148
	;; [unrolled: 1-line block ×29, first 2 shown]
	ds_read_b128 v[123:126], v122 offset:624
	ds_read_b128 v[127:130], v122 offset:640
	buffer_load_dword v156, off, s[0:3], 0 offset:260
	s_mov_b32 s4, exec_lo
	s_waitcnt vmcnt(28) lgkmcnt(1)
	v_fma_f64 v[123:124], v[131:132], v[123:124], 0
	s_clause 0x7
	buffer_load_dword v132, off, s[0:3], 0 offset:268
	buffer_load_dword v161, off, s[0:3], 0 offset:288
	buffer_load_dword v163, off, s[0:3], 0 offset:280
	buffer_load_dword v165, off, s[0:3], 0 offset:272
	buffer_load_dword v131, off, s[0:3], 0 offset:264
	buffer_load_dword v166, off, s[0:3], 0 offset:276
	buffer_load_dword v164, off, s[0:3], 0 offset:284
	buffer_load_dword v162, off, s[0:3], 0 offset:292
	s_waitcnt vmcnt(34)
	v_fma_f64 v[123:124], v[133:134], v[125:126], v[123:124]
	s_waitcnt vmcnt(32) lgkmcnt(0)
	v_fma_f64 v[123:124], v[135:136], v[127:128], v[123:124]
	s_waitcnt vmcnt(30)
	v_fma_f64 v[133:134], v[137:138], v[129:130], v[123:124]
	ds_read_b128 v[123:126], v122 offset:656
	ds_read_b128 v[127:130], v122 offset:672
	s_waitcnt vmcnt(28) lgkmcnt(1)
	v_fma_f64 v[123:124], v[139:140], v[123:124], v[133:134]
	s_clause 0x7
	buffer_load_dword v134, off, s[0:3], 0 offset:300
	buffer_load_dword v135, off, s[0:3], 0 offset:320
	buffer_load_dword v137, off, s[0:3], 0 offset:312
	buffer_load_dword v139, off, s[0:3], 0 offset:304
	buffer_load_dword v133, off, s[0:3], 0 offset:296
	buffer_load_dword v140, off, s[0:3], 0 offset:308
	buffer_load_dword v138, off, s[0:3], 0 offset:316
	buffer_load_dword v136, off, s[0:3], 0 offset:324
	s_waitcnt vmcnt(34)
	v_fma_f64 v[123:124], v[141:142], v[125:126], v[123:124]
	s_waitcnt vmcnt(32) lgkmcnt(0)
	v_fma_f64 v[123:124], v[143:144], v[127:128], v[123:124]
	s_waitcnt vmcnt(27)
	v_fma_f64 v[141:142], v[145:146], v[129:130], v[123:124]
	ds_read_b128 v[123:126], v122 offset:688
	ds_read_b128 v[127:130], v122 offset:704
	;; [unrolled: 19-line block ×6, first 2 shown]
	s_waitcnt vmcnt(26) lgkmcnt(1)
	v_fma_f64 v[123:124], v[151:152], v[123:124], v[135:136]
	s_clause 0x5
	buffer_load_dword v136, off, s[0:3], 0 offset:460
	buffer_load_dword v137, off, s[0:3], 0 offset:472
	buffer_load_dword v141, off, s[0:3], 0 offset:464
	buffer_load_dword v135, off, s[0:3], 0 offset:456
	buffer_load_dword v142, off, s[0:3], 0 offset:468
	buffer_load_dword v138, off, s[0:3], 0 offset:476
	s_waitcnt vmcnt(31)
	v_fma_f64 v[123:124], v[145:146], v[125:126], v[123:124]
	s_waitcnt vmcnt(30) lgkmcnt(0)
	v_fma_f64 v[123:124], v[143:144], v[127:128], v[123:124]
	s_waitcnt vmcnt(25)
	v_fma_f64 v[143:144], v[147:148], v[129:130], v[123:124]
	ds_read_b128 v[123:126], v122 offset:848
	s_clause 0x1
	buffer_load_dword v145, off, s[0:3], 0 offset:136
	buffer_load_dword v146, off, s[0:3], 0 offset:140
	ds_read_b128 v[127:130], v122 offset:864
	s_waitcnt vmcnt(26) lgkmcnt(1)
	v_fma_f64 v[123:124], v[159:160], v[123:124], v[143:144]
	s_waitcnt vmcnt(25)
	v_fma_f64 v[123:124], v[153:154], v[125:126], v[123:124]
	s_waitcnt vmcnt(24) lgkmcnt(0)
	v_fma_f64 v[123:124], v[149:150], v[127:128], v[123:124]
	s_waitcnt vmcnt(19)
	v_fma_f64 v[131:132], v[131:132], v[129:130], v[123:124]
	ds_read_b128 v[123:126], v122 offset:880
	ds_read_b128 v[127:130], v122 offset:896
	s_waitcnt vmcnt(18) lgkmcnt(1)
	v_fma_f64 v[123:124], v[165:166], v[123:124], v[131:132]
	s_waitcnt vmcnt(17)
	v_fma_f64 v[123:124], v[157:158], v[125:126], v[123:124]
	s_waitcnt vmcnt(16) lgkmcnt(0)
	v_fma_f64 v[123:124], v[155:156], v[127:128], v[123:124]
	s_waitcnt vmcnt(11)
	v_fma_f64 v[131:132], v[133:134], v[129:130], v[123:124]
	ds_read_b128 v[123:126], v122 offset:912
	;; [unrolled: 10-line block ×3, first 2 shown]
	s_waitcnt vmcnt(3) lgkmcnt(0)
	v_fma_f64 v[122:123], v[141:142], v[122:123], v[126:127]
	s_waitcnt vmcnt(2)
	v_fma_f64 v[122:123], v[137:138], v[124:125], v[122:123]
	s_waitcnt vmcnt(0)
	v_add_f64 v[122:123], v[145:146], -v[122:123]
	buffer_store_dword v123, off, s[0:3], 0 offset:140
	buffer_store_dword v122, off, s[0:3], 0 offset:136
	v_cmpx_lt_u32_e32 16, v0
	s_cbranch_execz .LBB123_337
; %bb.336:
	s_clause 0x1
	buffer_load_dword v122, off, s[0:3], 0 offset:128
	buffer_load_dword v123, off, s[0:3], 0 offset:132
	v_mov_b32_e32 v124, 0
	buffer_store_dword v124, off, s[0:3], 0 offset:128
	buffer_store_dword v124, off, s[0:3], 0 offset:132
	s_waitcnt vmcnt(0)
	ds_write_b64 v121, v[122:123]
.LBB123_337:
	s_or_b32 exec_lo, exec_lo, s4
	s_waitcnt lgkmcnt(0)
	s_waitcnt_vscnt null, 0x0
	s_barrier
	buffer_gl0_inv
	s_clause 0x1c
	buffer_load_dword v131, off, s[0:3], 0 offset:136
	buffer_load_dword v132, off, s[0:3], 0 offset:140
	;; [unrolled: 1-line block ×29, first 2 shown]
	v_mov_b32_e32 v122, 0
	buffer_load_dword v156, off, s[0:3], 0 offset:252
	s_mov_b32 s4, exec_lo
	ds_read2_b64 v[123:126], v122 offset0:77 offset1:78
	ds_read2_b64 v[127:130], v122 offset0:79 offset1:80
	s_waitcnt vmcnt(28) lgkmcnt(1)
	v_fma_f64 v[123:124], v[131:132], v[123:124], 0
	s_clause 0x7
	buffer_load_dword v132, off, s[0:3], 0 offset:260
	buffer_load_dword v161, off, s[0:3], 0 offset:280
	buffer_load_dword v163, off, s[0:3], 0 offset:272
	buffer_load_dword v165, off, s[0:3], 0 offset:264
	buffer_load_dword v131, off, s[0:3], 0 offset:256
	buffer_load_dword v166, off, s[0:3], 0 offset:268
	buffer_load_dword v164, off, s[0:3], 0 offset:276
	buffer_load_dword v162, off, s[0:3], 0 offset:284
	s_waitcnt vmcnt(34)
	v_fma_f64 v[123:124], v[133:134], v[125:126], v[123:124]
	s_waitcnt vmcnt(32) lgkmcnt(0)
	v_fma_f64 v[123:124], v[135:136], v[127:128], v[123:124]
	s_waitcnt vmcnt(30)
	v_fma_f64 v[133:134], v[137:138], v[129:130], v[123:124]
	ds_read2_b64 v[123:126], v122 offset0:81 offset1:82
	ds_read2_b64 v[127:130], v122 offset0:83 offset1:84
	s_waitcnt vmcnt(28) lgkmcnt(1)
	v_fma_f64 v[123:124], v[139:140], v[123:124], v[133:134]
	s_clause 0x7
	buffer_load_dword v134, off, s[0:3], 0 offset:292
	buffer_load_dword v135, off, s[0:3], 0 offset:312
	buffer_load_dword v137, off, s[0:3], 0 offset:304
	buffer_load_dword v139, off, s[0:3], 0 offset:296
	buffer_load_dword v133, off, s[0:3], 0 offset:288
	buffer_load_dword v140, off, s[0:3], 0 offset:300
	buffer_load_dword v138, off, s[0:3], 0 offset:308
	buffer_load_dword v136, off, s[0:3], 0 offset:316
	s_waitcnt vmcnt(34)
	v_fma_f64 v[123:124], v[141:142], v[125:126], v[123:124]
	s_waitcnt vmcnt(32) lgkmcnt(0)
	v_fma_f64 v[123:124], v[143:144], v[127:128], v[123:124]
	s_waitcnt vmcnt(27)
	v_fma_f64 v[141:142], v[145:146], v[129:130], v[123:124]
	;; [unrolled: 19-line block ×7, first 2 shown]
	ds_read2_b64 v[123:126], v122 offset0:105 offset1:106
	ds_read2_b64 v[127:130], v122 offset0:107 offset1:108
	s_waitcnt vmcnt(26) lgkmcnt(1)
	v_fma_f64 v[123:124], v[159:160], v[123:124], v[143:144]
	s_clause 0x1
	buffer_load_dword v143, off, s[0:3], 0 offset:128
	buffer_load_dword v144, off, s[0:3], 0 offset:132
	s_waitcnt vmcnt(27)
	v_fma_f64 v[123:124], v[153:154], v[125:126], v[123:124]
	s_waitcnt vmcnt(26) lgkmcnt(0)
	v_fma_f64 v[123:124], v[149:150], v[127:128], v[123:124]
	s_waitcnt vmcnt(21)
	v_fma_f64 v[131:132], v[131:132], v[129:130], v[123:124]
	ds_read2_b64 v[123:126], v122 offset0:109 offset1:110
	ds_read2_b64 v[127:130], v122 offset0:111 offset1:112
	s_waitcnt vmcnt(20) lgkmcnt(1)
	v_fma_f64 v[123:124], v[165:166], v[123:124], v[131:132]
	s_waitcnt vmcnt(19)
	v_fma_f64 v[123:124], v[157:158], v[125:126], v[123:124]
	s_waitcnt vmcnt(18) lgkmcnt(0)
	v_fma_f64 v[123:124], v[155:156], v[127:128], v[123:124]
	s_waitcnt vmcnt(13)
	v_fma_f64 v[131:132], v[133:134], v[129:130], v[123:124]
	ds_read2_b64 v[123:126], v122 offset0:113 offset1:114
	ds_read2_b64 v[127:130], v122 offset0:115 offset1:116
	s_waitcnt vmcnt(12) lgkmcnt(1)
	v_fma_f64 v[123:124], v[163:164], v[123:124], v[131:132]
	s_waitcnt vmcnt(11)
	v_fma_f64 v[123:124], v[161:162], v[125:126], v[123:124]
	s_waitcnt vmcnt(10) lgkmcnt(0)
	v_fma_f64 v[123:124], v[139:140], v[127:128], v[123:124]
	s_waitcnt vmcnt(5)
	v_fma_f64 v[127:128], v[135:136], v[129:130], v[123:124]
	ds_read2_b64 v[123:126], v122 offset0:117 offset1:118
	ds_read_b64 v[129:130], v122 offset:952
	s_waitcnt vmcnt(4) lgkmcnt(1)
	v_fma_f64 v[123:124], v[151:152], v[123:124], v[127:128]
	s_waitcnt vmcnt(3)
	v_fma_f64 v[123:124], v[141:142], v[125:126], v[123:124]
	s_waitcnt vmcnt(2) lgkmcnt(0)
	v_fma_f64 v[123:124], v[137:138], v[129:130], v[123:124]
	s_waitcnt vmcnt(0)
	v_add_f64 v[123:124], v[143:144], -v[123:124]
	buffer_store_dword v124, off, s[0:3], 0 offset:132
	buffer_store_dword v123, off, s[0:3], 0 offset:128
	v_cmpx_lt_u32_e32 15, v0
	s_cbranch_execz .LBB123_339
; %bb.338:
	s_clause 0x1
	buffer_load_dword v123, off, s[0:3], 0 offset:120
	buffer_load_dword v124, off, s[0:3], 0 offset:124
	buffer_store_dword v122, off, s[0:3], 0 offset:120
	buffer_store_dword v122, off, s[0:3], 0 offset:124
	s_waitcnt vmcnt(0)
	ds_write_b64 v121, v[123:124]
.LBB123_339:
	s_or_b32 exec_lo, exec_lo, s4
	s_waitcnt lgkmcnt(0)
	s_waitcnt_vscnt null, 0x0
	s_barrier
	buffer_gl0_inv
	s_clause 0x1c
	buffer_load_dword v131, off, s[0:3], 0 offset:128
	buffer_load_dword v132, off, s[0:3], 0 offset:132
	;; [unrolled: 1-line block ×29, first 2 shown]
	ds_read_b128 v[123:126], v122 offset:608
	ds_read_b128 v[127:130], v122 offset:624
	buffer_load_dword v156, off, s[0:3], 0 offset:244
	s_mov_b32 s4, exec_lo
	s_waitcnt vmcnt(28) lgkmcnt(1)
	v_fma_f64 v[123:124], v[131:132], v[123:124], 0
	s_clause 0x7
	buffer_load_dword v132, off, s[0:3], 0 offset:252
	buffer_load_dword v161, off, s[0:3], 0 offset:272
	buffer_load_dword v163, off, s[0:3], 0 offset:264
	buffer_load_dword v165, off, s[0:3], 0 offset:256
	buffer_load_dword v131, off, s[0:3], 0 offset:248
	buffer_load_dword v166, off, s[0:3], 0 offset:260
	buffer_load_dword v164, off, s[0:3], 0 offset:268
	buffer_load_dword v162, off, s[0:3], 0 offset:276
	s_waitcnt vmcnt(34)
	v_fma_f64 v[123:124], v[133:134], v[125:126], v[123:124]
	s_waitcnt vmcnt(32) lgkmcnt(0)
	v_fma_f64 v[123:124], v[135:136], v[127:128], v[123:124]
	s_waitcnt vmcnt(30)
	v_fma_f64 v[133:134], v[137:138], v[129:130], v[123:124]
	ds_read_b128 v[123:126], v122 offset:640
	ds_read_b128 v[127:130], v122 offset:656
	s_waitcnt vmcnt(28) lgkmcnt(1)
	v_fma_f64 v[123:124], v[139:140], v[123:124], v[133:134]
	s_clause 0x7
	buffer_load_dword v134, off, s[0:3], 0 offset:284
	buffer_load_dword v135, off, s[0:3], 0 offset:304
	buffer_load_dword v137, off, s[0:3], 0 offset:296
	buffer_load_dword v139, off, s[0:3], 0 offset:288
	buffer_load_dword v133, off, s[0:3], 0 offset:280
	buffer_load_dword v140, off, s[0:3], 0 offset:292
	buffer_load_dword v138, off, s[0:3], 0 offset:300
	buffer_load_dword v136, off, s[0:3], 0 offset:308
	s_waitcnt vmcnt(34)
	v_fma_f64 v[123:124], v[141:142], v[125:126], v[123:124]
	s_waitcnt vmcnt(32) lgkmcnt(0)
	v_fma_f64 v[123:124], v[143:144], v[127:128], v[123:124]
	s_waitcnt vmcnt(27)
	v_fma_f64 v[141:142], v[145:146], v[129:130], v[123:124]
	ds_read_b128 v[123:126], v122 offset:672
	ds_read_b128 v[127:130], v122 offset:688
	;; [unrolled: 19-line block ×7, first 2 shown]
	s_waitcnt vmcnt(26) lgkmcnt(1)
	v_fma_f64 v[123:124], v[159:160], v[123:124], v[143:144]
	s_clause 0x3
	buffer_load_dword v144, off, s[0:3], 0 offset:476
	buffer_load_dword v143, off, s[0:3], 0 offset:472
	;; [unrolled: 1-line block ×4, first 2 shown]
	s_waitcnt vmcnt(29)
	v_fma_f64 v[123:124], v[153:154], v[125:126], v[123:124]
	s_waitcnt vmcnt(28) lgkmcnt(0)
	v_fma_f64 v[123:124], v[149:150], v[127:128], v[123:124]
	s_waitcnt vmcnt(23)
	v_fma_f64 v[131:132], v[131:132], v[129:130], v[123:124]
	ds_read_b128 v[123:126], v122 offset:864
	ds_read_b128 v[127:130], v122 offset:880
	s_waitcnt vmcnt(22) lgkmcnt(1)
	v_fma_f64 v[123:124], v[165:166], v[123:124], v[131:132]
	s_waitcnt vmcnt(21)
	v_fma_f64 v[123:124], v[157:158], v[125:126], v[123:124]
	s_waitcnt vmcnt(20) lgkmcnt(0)
	v_fma_f64 v[123:124], v[155:156], v[127:128], v[123:124]
	s_waitcnt vmcnt(15)
	v_fma_f64 v[131:132], v[133:134], v[129:130], v[123:124]
	ds_read_b128 v[123:126], v122 offset:896
	ds_read_b128 v[127:130], v122 offset:912
	s_waitcnt vmcnt(14) lgkmcnt(1)
	v_fma_f64 v[123:124], v[163:164], v[123:124], v[131:132]
	;; [unrolled: 10-line block ×3, first 2 shown]
	s_waitcnt vmcnt(5)
	v_fma_f64 v[122:123], v[141:142], v[125:126], v[122:123]
	s_waitcnt vmcnt(4) lgkmcnt(0)
	v_fma_f64 v[122:123], v[137:138], v[127:128], v[122:123]
	s_waitcnt vmcnt(2)
	v_fma_f64 v[122:123], v[143:144], v[129:130], v[122:123]
	s_waitcnt vmcnt(0)
	v_add_f64 v[122:123], v[145:146], -v[122:123]
	buffer_store_dword v123, off, s[0:3], 0 offset:124
	buffer_store_dword v122, off, s[0:3], 0 offset:120
	v_cmpx_lt_u32_e32 14, v0
	s_cbranch_execz .LBB123_341
; %bb.340:
	s_clause 0x1
	buffer_load_dword v122, off, s[0:3], 0 offset:112
	buffer_load_dword v123, off, s[0:3], 0 offset:116
	v_mov_b32_e32 v124, 0
	buffer_store_dword v124, off, s[0:3], 0 offset:112
	buffer_store_dword v124, off, s[0:3], 0 offset:116
	s_waitcnt vmcnt(0)
	ds_write_b64 v121, v[122:123]
.LBB123_341:
	s_or_b32 exec_lo, exec_lo, s4
	s_waitcnt lgkmcnt(0)
	s_waitcnt_vscnt null, 0x0
	s_barrier
	buffer_gl0_inv
	s_clause 0x1c
	buffer_load_dword v131, off, s[0:3], 0 offset:120
	buffer_load_dword v132, off, s[0:3], 0 offset:124
	;; [unrolled: 1-line block ×29, first 2 shown]
	v_mov_b32_e32 v122, 0
	buffer_load_dword v156, off, s[0:3], 0 offset:236
	s_mov_b32 s4, exec_lo
	ds_read2_b64 v[123:126], v122 offset0:75 offset1:76
	ds_read2_b64 v[127:130], v122 offset0:77 offset1:78
	s_waitcnt vmcnt(28) lgkmcnt(1)
	v_fma_f64 v[123:124], v[131:132], v[123:124], 0
	s_clause 0x7
	buffer_load_dword v132, off, s[0:3], 0 offset:244
	buffer_load_dword v161, off, s[0:3], 0 offset:264
	buffer_load_dword v163, off, s[0:3], 0 offset:256
	buffer_load_dword v165, off, s[0:3], 0 offset:248
	buffer_load_dword v131, off, s[0:3], 0 offset:240
	buffer_load_dword v166, off, s[0:3], 0 offset:252
	buffer_load_dword v164, off, s[0:3], 0 offset:260
	buffer_load_dword v162, off, s[0:3], 0 offset:268
	s_waitcnt vmcnt(34)
	v_fma_f64 v[123:124], v[133:134], v[125:126], v[123:124]
	s_waitcnt vmcnt(32) lgkmcnt(0)
	v_fma_f64 v[123:124], v[135:136], v[127:128], v[123:124]
	s_waitcnt vmcnt(30)
	v_fma_f64 v[133:134], v[137:138], v[129:130], v[123:124]
	ds_read2_b64 v[123:126], v122 offset0:79 offset1:80
	ds_read2_b64 v[127:130], v122 offset0:81 offset1:82
	s_waitcnt vmcnt(28) lgkmcnt(1)
	v_fma_f64 v[123:124], v[139:140], v[123:124], v[133:134]
	s_clause 0x7
	buffer_load_dword v134, off, s[0:3], 0 offset:276
	buffer_load_dword v135, off, s[0:3], 0 offset:296
	buffer_load_dword v137, off, s[0:3], 0 offset:288
	buffer_load_dword v139, off, s[0:3], 0 offset:280
	buffer_load_dword v133, off, s[0:3], 0 offset:272
	buffer_load_dword v140, off, s[0:3], 0 offset:284
	buffer_load_dword v138, off, s[0:3], 0 offset:292
	buffer_load_dword v136, off, s[0:3], 0 offset:300
	s_waitcnt vmcnt(34)
	v_fma_f64 v[123:124], v[141:142], v[125:126], v[123:124]
	s_waitcnt vmcnt(32) lgkmcnt(0)
	v_fma_f64 v[123:124], v[143:144], v[127:128], v[123:124]
	s_waitcnt vmcnt(27)
	v_fma_f64 v[141:142], v[145:146], v[129:130], v[123:124]
	ds_read2_b64 v[123:126], v122 offset0:83 offset1:84
	ds_read2_b64 v[127:130], v122 offset0:85 offset1:86
	s_waitcnt vmcnt(26) lgkmcnt(1)
	v_fma_f64 v[123:124], v[151:152], v[123:124], v[141:142]
	s_clause 0x7
	buffer_load_dword v142, off, s[0:3], 0 offset:308
	buffer_load_dword v143, off, s[0:3], 0 offset:328
	buffer_load_dword v145, off, s[0:3], 0 offset:320
	buffer_load_dword v151, off, s[0:3], 0 offset:312
	buffer_load_dword v141, off, s[0:3], 0 offset:304
	buffer_load_dword v152, off, s[0:3], 0 offset:316
	buffer_load_dword v146, off, s[0:3], 0 offset:324
	buffer_load_dword v144, off, s[0:3], 0 offset:332
	s_waitcnt vmcnt(33)
	v_fma_f64 v[123:124], v[149:150], v[125:126], v[123:124]
	s_waitcnt vmcnt(32) lgkmcnt(0)
	v_fma_f64 v[123:124], v[147:148], v[127:128], v[123:124]
	s_waitcnt vmcnt(27)
	v_fma_f64 v[147:148], v[153:154], v[129:130], v[123:124]
	ds_read2_b64 v[123:126], v122 offset0:87 offset1:88
	ds_read2_b64 v[127:130], v122 offset0:89 offset1:90
	s_waitcnt vmcnt(26) lgkmcnt(1)
	v_fma_f64 v[123:124], v[159:160], v[123:124], v[147:148]
	s_clause 0x7
	buffer_load_dword v148, off, s[0:3], 0 offset:340
	buffer_load_dword v149, off, s[0:3], 0 offset:360
	buffer_load_dword v153, off, s[0:3], 0 offset:352
	buffer_load_dword v159, off, s[0:3], 0 offset:344
	buffer_load_dword v147, off, s[0:3], 0 offset:336
	buffer_load_dword v160, off, s[0:3], 0 offset:348
	buffer_load_dword v154, off, s[0:3], 0 offset:356
	buffer_load_dword v150, off, s[0:3], 0 offset:364
	s_waitcnt vmcnt(33)
	v_fma_f64 v[123:124], v[157:158], v[125:126], v[123:124]
	s_waitcnt vmcnt(32) lgkmcnt(0)
	v_fma_f64 v[123:124], v[155:156], v[127:128], v[123:124]
	s_waitcnt vmcnt(27)
	v_fma_f64 v[131:132], v[131:132], v[129:130], v[123:124]
	ds_read2_b64 v[123:126], v122 offset0:91 offset1:92
	ds_read2_b64 v[127:130], v122 offset0:93 offset1:94
	s_waitcnt vmcnt(26) lgkmcnt(1)
	v_fma_f64 v[123:124], v[165:166], v[123:124], v[131:132]
	s_clause 0x7
	buffer_load_dword v132, off, s[0:3], 0 offset:372
	buffer_load_dword v155, off, s[0:3], 0 offset:392
	buffer_load_dword v157, off, s[0:3], 0 offset:384
	buffer_load_dword v165, off, s[0:3], 0 offset:376
	buffer_load_dword v131, off, s[0:3], 0 offset:368
	buffer_load_dword v166, off, s[0:3], 0 offset:380
	buffer_load_dword v158, off, s[0:3], 0 offset:388
	buffer_load_dword v156, off, s[0:3], 0 offset:396
	s_waitcnt vmcnt(33)
	v_fma_f64 v[123:124], v[163:164], v[125:126], v[123:124]
	s_waitcnt vmcnt(32) lgkmcnt(0)
	v_fma_f64 v[123:124], v[161:162], v[127:128], v[123:124]
	s_waitcnt vmcnt(27)
	v_fma_f64 v[133:134], v[133:134], v[129:130], v[123:124]
	ds_read2_b64 v[123:126], v122 offset0:95 offset1:96
	ds_read2_b64 v[127:130], v122 offset0:97 offset1:98
	s_waitcnt vmcnt(26) lgkmcnt(1)
	v_fma_f64 v[123:124], v[139:140], v[123:124], v[133:134]
	s_clause 0x7
	buffer_load_dword v134, off, s[0:3], 0 offset:404
	buffer_load_dword v139, off, s[0:3], 0 offset:424
	buffer_load_dword v161, off, s[0:3], 0 offset:416
	buffer_load_dword v163, off, s[0:3], 0 offset:408
	buffer_load_dword v133, off, s[0:3], 0 offset:400
	buffer_load_dword v164, off, s[0:3], 0 offset:412
	buffer_load_dword v162, off, s[0:3], 0 offset:420
	buffer_load_dword v140, off, s[0:3], 0 offset:428
	s_waitcnt vmcnt(33)
	v_fma_f64 v[123:124], v[137:138], v[125:126], v[123:124]
	s_waitcnt vmcnt(32) lgkmcnt(0)
	v_fma_f64 v[123:124], v[135:136], v[127:128], v[123:124]
	s_waitcnt vmcnt(27)
	v_fma_f64 v[135:136], v[141:142], v[129:130], v[123:124]
	ds_read2_b64 v[123:126], v122 offset0:99 offset1:100
	ds_read2_b64 v[127:130], v122 offset0:101 offset1:102
	s_waitcnt vmcnt(26) lgkmcnt(1)
	v_fma_f64 v[123:124], v[151:152], v[123:124], v[135:136]
	s_clause 0x7
	buffer_load_dword v136, off, s[0:3], 0 offset:436
	buffer_load_dword v137, off, s[0:3], 0 offset:456
	buffer_load_dword v141, off, s[0:3], 0 offset:448
	buffer_load_dword v151, off, s[0:3], 0 offset:440
	buffer_load_dword v135, off, s[0:3], 0 offset:432
	buffer_load_dword v152, off, s[0:3], 0 offset:444
	buffer_load_dword v142, off, s[0:3], 0 offset:452
	buffer_load_dword v138, off, s[0:3], 0 offset:460
	s_waitcnt vmcnt(33)
	v_fma_f64 v[123:124], v[145:146], v[125:126], v[123:124]
	s_waitcnt vmcnt(32) lgkmcnt(0)
	v_fma_f64 v[123:124], v[143:144], v[127:128], v[123:124]
	s_waitcnt vmcnt(27)
	v_fma_f64 v[143:144], v[147:148], v[129:130], v[123:124]
	ds_read2_b64 v[123:126], v122 offset0:103 offset1:104
	ds_read2_b64 v[127:130], v122 offset0:105 offset1:106
	s_waitcnt vmcnt(26) lgkmcnt(1)
	v_fma_f64 v[123:124], v[159:160], v[123:124], v[143:144]
	s_clause 0x5
	buffer_load_dword v144, off, s[0:3], 0 offset:468
	buffer_load_dword v145, off, s[0:3], 0 offset:472
	;; [unrolled: 1-line block ×6, first 2 shown]
	s_waitcnt vmcnt(31)
	v_fma_f64 v[123:124], v[153:154], v[125:126], v[123:124]
	s_waitcnt vmcnt(30) lgkmcnt(0)
	v_fma_f64 v[123:124], v[149:150], v[127:128], v[123:124]
	s_waitcnt vmcnt(25)
	v_fma_f64 v[131:132], v[131:132], v[129:130], v[123:124]
	ds_read2_b64 v[123:126], v122 offset0:107 offset1:108
	ds_read2_b64 v[127:130], v122 offset0:109 offset1:110
	s_waitcnt vmcnt(24) lgkmcnt(1)
	v_fma_f64 v[123:124], v[165:166], v[123:124], v[131:132]
	s_waitcnt vmcnt(23)
	v_fma_f64 v[123:124], v[157:158], v[125:126], v[123:124]
	s_waitcnt vmcnt(22) lgkmcnt(0)
	v_fma_f64 v[123:124], v[155:156], v[127:128], v[123:124]
	s_waitcnt vmcnt(17)
	v_fma_f64 v[131:132], v[133:134], v[129:130], v[123:124]
	ds_read2_b64 v[123:126], v122 offset0:111 offset1:112
	ds_read2_b64 v[127:130], v122 offset0:113 offset1:114
	s_waitcnt vmcnt(16) lgkmcnt(1)
	v_fma_f64 v[123:124], v[163:164], v[123:124], v[131:132]
	;; [unrolled: 10-line block ×3, first 2 shown]
	s_waitcnt vmcnt(7)
	v_fma_f64 v[123:124], v[141:142], v[125:126], v[123:124]
	ds_read_b64 v[125:126], v122 offset:952
	s_waitcnt vmcnt(6) lgkmcnt(1)
	v_fma_f64 v[123:124], v[137:138], v[127:128], v[123:124]
	s_waitcnt vmcnt(3)
	v_fma_f64 v[123:124], v[143:144], v[129:130], v[123:124]
	s_waitcnt vmcnt(2) lgkmcnt(0)
	v_fma_f64 v[123:124], v[145:146], v[125:126], v[123:124]
	s_waitcnt vmcnt(0)
	v_add_f64 v[123:124], v[147:148], -v[123:124]
	buffer_store_dword v124, off, s[0:3], 0 offset:116
	buffer_store_dword v123, off, s[0:3], 0 offset:112
	v_cmpx_lt_u32_e32 13, v0
	s_cbranch_execz .LBB123_343
; %bb.342:
	s_clause 0x1
	buffer_load_dword v123, off, s[0:3], 0 offset:104
	buffer_load_dword v124, off, s[0:3], 0 offset:108
	buffer_store_dword v122, off, s[0:3], 0 offset:104
	buffer_store_dword v122, off, s[0:3], 0 offset:108
	s_waitcnt vmcnt(0)
	ds_write_b64 v121, v[123:124]
.LBB123_343:
	s_or_b32 exec_lo, exec_lo, s4
	s_waitcnt lgkmcnt(0)
	s_waitcnt_vscnt null, 0x0
	s_barrier
	buffer_gl0_inv
	s_clause 0x1c
	buffer_load_dword v131, off, s[0:3], 0 offset:112
	buffer_load_dword v132, off, s[0:3], 0 offset:116
	;; [unrolled: 1-line block ×29, first 2 shown]
	ds_read_b128 v[123:126], v122 offset:592
	ds_read_b128 v[127:130], v122 offset:608
	buffer_load_dword v156, off, s[0:3], 0 offset:228
	s_mov_b32 s4, exec_lo
	s_waitcnt vmcnt(28) lgkmcnt(1)
	v_fma_f64 v[123:124], v[131:132], v[123:124], 0
	s_clause 0x7
	buffer_load_dword v132, off, s[0:3], 0 offset:236
	buffer_load_dword v161, off, s[0:3], 0 offset:256
	buffer_load_dword v163, off, s[0:3], 0 offset:248
	buffer_load_dword v165, off, s[0:3], 0 offset:240
	buffer_load_dword v131, off, s[0:3], 0 offset:232
	buffer_load_dword v166, off, s[0:3], 0 offset:244
	buffer_load_dword v164, off, s[0:3], 0 offset:252
	buffer_load_dword v162, off, s[0:3], 0 offset:260
	s_waitcnt vmcnt(34)
	v_fma_f64 v[123:124], v[133:134], v[125:126], v[123:124]
	s_waitcnt vmcnt(32) lgkmcnt(0)
	v_fma_f64 v[123:124], v[135:136], v[127:128], v[123:124]
	s_waitcnt vmcnt(30)
	v_fma_f64 v[133:134], v[137:138], v[129:130], v[123:124]
	ds_read_b128 v[123:126], v122 offset:624
	ds_read_b128 v[127:130], v122 offset:640
	s_waitcnt vmcnt(28) lgkmcnt(1)
	v_fma_f64 v[123:124], v[139:140], v[123:124], v[133:134]
	s_clause 0x7
	buffer_load_dword v134, off, s[0:3], 0 offset:268
	buffer_load_dword v135, off, s[0:3], 0 offset:288
	buffer_load_dword v137, off, s[0:3], 0 offset:280
	buffer_load_dword v139, off, s[0:3], 0 offset:272
	buffer_load_dword v133, off, s[0:3], 0 offset:264
	buffer_load_dword v140, off, s[0:3], 0 offset:276
	buffer_load_dword v138, off, s[0:3], 0 offset:284
	buffer_load_dword v136, off, s[0:3], 0 offset:292
	s_waitcnt vmcnt(34)
	v_fma_f64 v[123:124], v[141:142], v[125:126], v[123:124]
	s_waitcnt vmcnt(32) lgkmcnt(0)
	v_fma_f64 v[123:124], v[143:144], v[127:128], v[123:124]
	s_waitcnt vmcnt(27)
	v_fma_f64 v[141:142], v[145:146], v[129:130], v[123:124]
	ds_read_b128 v[123:126], v122 offset:656
	ds_read_b128 v[127:130], v122 offset:672
	;; [unrolled: 19-line block ×7, first 2 shown]
	s_waitcnt vmcnt(26) lgkmcnt(1)
	v_fma_f64 v[123:124], v[159:160], v[123:124], v[143:144]
	s_clause 0x5
	buffer_load_dword v144, off, s[0:3], 0 offset:460
	buffer_load_dword v145, off, s[0:3], 0 offset:472
	;; [unrolled: 1-line block ×6, first 2 shown]
	s_waitcnt vmcnt(31)
	v_fma_f64 v[123:124], v[153:154], v[125:126], v[123:124]
	s_waitcnt vmcnt(30) lgkmcnt(0)
	v_fma_f64 v[123:124], v[149:150], v[127:128], v[123:124]
	s_waitcnt vmcnt(25)
	v_fma_f64 v[131:132], v[131:132], v[129:130], v[123:124]
	ds_read_b128 v[123:126], v122 offset:848
	s_clause 0x1
	buffer_load_dword v149, off, s[0:3], 0 offset:104
	buffer_load_dword v150, off, s[0:3], 0 offset:108
	ds_read_b128 v[127:130], v122 offset:864
	s_waitcnt vmcnt(26) lgkmcnt(1)
	v_fma_f64 v[123:124], v[165:166], v[123:124], v[131:132]
	s_waitcnt vmcnt(25)
	v_fma_f64 v[123:124], v[157:158], v[125:126], v[123:124]
	s_waitcnt vmcnt(24) lgkmcnt(0)
	v_fma_f64 v[123:124], v[155:156], v[127:128], v[123:124]
	s_waitcnt vmcnt(19)
	v_fma_f64 v[131:132], v[133:134], v[129:130], v[123:124]
	ds_read_b128 v[123:126], v122 offset:880
	ds_read_b128 v[127:130], v122 offset:896
	s_waitcnt vmcnt(18) lgkmcnt(1)
	v_fma_f64 v[123:124], v[163:164], v[123:124], v[131:132]
	s_waitcnt vmcnt(17)
	v_fma_f64 v[123:124], v[161:162], v[125:126], v[123:124]
	s_waitcnt vmcnt(16) lgkmcnt(0)
	v_fma_f64 v[123:124], v[139:140], v[127:128], v[123:124]
	s_waitcnt vmcnt(11)
	v_fma_f64 v[131:132], v[135:136], v[129:130], v[123:124]
	ds_read_b128 v[123:126], v122 offset:912
	;; [unrolled: 10-line block ×3, first 2 shown]
	s_waitcnt vmcnt(3) lgkmcnt(0)
	v_fma_f64 v[122:123], v[147:148], v[122:123], v[126:127]
	s_waitcnt vmcnt(2)
	v_fma_f64 v[122:123], v[145:146], v[124:125], v[122:123]
	s_waitcnt vmcnt(0)
	v_add_f64 v[122:123], v[149:150], -v[122:123]
	buffer_store_dword v123, off, s[0:3], 0 offset:108
	buffer_store_dword v122, off, s[0:3], 0 offset:104
	v_cmpx_lt_u32_e32 12, v0
	s_cbranch_execz .LBB123_345
; %bb.344:
	s_clause 0x1
	buffer_load_dword v122, off, s[0:3], 0 offset:96
	buffer_load_dword v123, off, s[0:3], 0 offset:100
	v_mov_b32_e32 v124, 0
	buffer_store_dword v124, off, s[0:3], 0 offset:96
	buffer_store_dword v124, off, s[0:3], 0 offset:100
	s_waitcnt vmcnt(0)
	ds_write_b64 v121, v[122:123]
.LBB123_345:
	s_or_b32 exec_lo, exec_lo, s4
	s_waitcnt lgkmcnt(0)
	s_waitcnt_vscnt null, 0x0
	s_barrier
	buffer_gl0_inv
	s_clause 0x1c
	buffer_load_dword v131, off, s[0:3], 0 offset:104
	buffer_load_dword v132, off, s[0:3], 0 offset:108
	;; [unrolled: 1-line block ×29, first 2 shown]
	v_mov_b32_e32 v122, 0
	buffer_load_dword v156, off, s[0:3], 0 offset:220
	s_mov_b32 s4, exec_lo
	ds_read2_b64 v[123:126], v122 offset0:73 offset1:74
	ds_read2_b64 v[127:130], v122 offset0:75 offset1:76
	s_waitcnt vmcnt(28) lgkmcnt(1)
	v_fma_f64 v[123:124], v[131:132], v[123:124], 0
	s_clause 0x7
	buffer_load_dword v132, off, s[0:3], 0 offset:228
	buffer_load_dword v161, off, s[0:3], 0 offset:248
	buffer_load_dword v163, off, s[0:3], 0 offset:240
	buffer_load_dword v165, off, s[0:3], 0 offset:232
	buffer_load_dword v131, off, s[0:3], 0 offset:224
	buffer_load_dword v166, off, s[0:3], 0 offset:236
	buffer_load_dword v164, off, s[0:3], 0 offset:244
	buffer_load_dword v162, off, s[0:3], 0 offset:252
	s_waitcnt vmcnt(34)
	v_fma_f64 v[123:124], v[133:134], v[125:126], v[123:124]
	s_waitcnt vmcnt(32) lgkmcnt(0)
	v_fma_f64 v[123:124], v[135:136], v[127:128], v[123:124]
	s_waitcnt vmcnt(30)
	v_fma_f64 v[133:134], v[137:138], v[129:130], v[123:124]
	ds_read2_b64 v[123:126], v122 offset0:77 offset1:78
	ds_read2_b64 v[127:130], v122 offset0:79 offset1:80
	s_waitcnt vmcnt(28) lgkmcnt(1)
	v_fma_f64 v[123:124], v[139:140], v[123:124], v[133:134]
	s_clause 0x7
	buffer_load_dword v134, off, s[0:3], 0 offset:260
	buffer_load_dword v135, off, s[0:3], 0 offset:280
	buffer_load_dword v137, off, s[0:3], 0 offset:272
	buffer_load_dword v139, off, s[0:3], 0 offset:264
	buffer_load_dword v133, off, s[0:3], 0 offset:256
	buffer_load_dword v140, off, s[0:3], 0 offset:268
	buffer_load_dword v138, off, s[0:3], 0 offset:276
	buffer_load_dword v136, off, s[0:3], 0 offset:284
	s_waitcnt vmcnt(34)
	v_fma_f64 v[123:124], v[141:142], v[125:126], v[123:124]
	s_waitcnt vmcnt(32) lgkmcnt(0)
	v_fma_f64 v[123:124], v[143:144], v[127:128], v[123:124]
	s_waitcnt vmcnt(27)
	v_fma_f64 v[141:142], v[145:146], v[129:130], v[123:124]
	ds_read2_b64 v[123:126], v122 offset0:81 offset1:82
	ds_read2_b64 v[127:130], v122 offset0:83 offset1:84
	s_waitcnt vmcnt(26) lgkmcnt(1)
	v_fma_f64 v[123:124], v[151:152], v[123:124], v[141:142]
	s_clause 0x7
	buffer_load_dword v142, off, s[0:3], 0 offset:292
	buffer_load_dword v143, off, s[0:3], 0 offset:312
	buffer_load_dword v145, off, s[0:3], 0 offset:304
	buffer_load_dword v151, off, s[0:3], 0 offset:296
	buffer_load_dword v141, off, s[0:3], 0 offset:288
	buffer_load_dword v152, off, s[0:3], 0 offset:300
	buffer_load_dword v146, off, s[0:3], 0 offset:308
	buffer_load_dword v144, off, s[0:3], 0 offset:316
	s_waitcnt vmcnt(33)
	v_fma_f64 v[123:124], v[149:150], v[125:126], v[123:124]
	s_waitcnt vmcnt(32) lgkmcnt(0)
	v_fma_f64 v[123:124], v[147:148], v[127:128], v[123:124]
	s_waitcnt vmcnt(27)
	v_fma_f64 v[147:148], v[153:154], v[129:130], v[123:124]
	ds_read2_b64 v[123:126], v122 offset0:85 offset1:86
	ds_read2_b64 v[127:130], v122 offset0:87 offset1:88
	s_waitcnt vmcnt(26) lgkmcnt(1)
	v_fma_f64 v[123:124], v[159:160], v[123:124], v[147:148]
	s_clause 0x7
	buffer_load_dword v148, off, s[0:3], 0 offset:324
	buffer_load_dword v149, off, s[0:3], 0 offset:344
	buffer_load_dword v153, off, s[0:3], 0 offset:336
	buffer_load_dword v159, off, s[0:3], 0 offset:328
	buffer_load_dword v147, off, s[0:3], 0 offset:320
	buffer_load_dword v160, off, s[0:3], 0 offset:332
	buffer_load_dword v154, off, s[0:3], 0 offset:340
	buffer_load_dword v150, off, s[0:3], 0 offset:348
	s_waitcnt vmcnt(33)
	v_fma_f64 v[123:124], v[157:158], v[125:126], v[123:124]
	s_waitcnt vmcnt(32) lgkmcnt(0)
	v_fma_f64 v[123:124], v[155:156], v[127:128], v[123:124]
	s_waitcnt vmcnt(27)
	v_fma_f64 v[131:132], v[131:132], v[129:130], v[123:124]
	ds_read2_b64 v[123:126], v122 offset0:89 offset1:90
	ds_read2_b64 v[127:130], v122 offset0:91 offset1:92
	s_waitcnt vmcnt(26) lgkmcnt(1)
	v_fma_f64 v[123:124], v[165:166], v[123:124], v[131:132]
	s_clause 0x7
	buffer_load_dword v132, off, s[0:3], 0 offset:356
	buffer_load_dword v155, off, s[0:3], 0 offset:376
	buffer_load_dword v157, off, s[0:3], 0 offset:368
	buffer_load_dword v165, off, s[0:3], 0 offset:360
	buffer_load_dword v131, off, s[0:3], 0 offset:352
	buffer_load_dword v166, off, s[0:3], 0 offset:364
	buffer_load_dword v158, off, s[0:3], 0 offset:372
	buffer_load_dword v156, off, s[0:3], 0 offset:380
	s_waitcnt vmcnt(33)
	v_fma_f64 v[123:124], v[163:164], v[125:126], v[123:124]
	s_waitcnt vmcnt(32) lgkmcnt(0)
	v_fma_f64 v[123:124], v[161:162], v[127:128], v[123:124]
	s_waitcnt vmcnt(27)
	v_fma_f64 v[133:134], v[133:134], v[129:130], v[123:124]
	ds_read2_b64 v[123:126], v122 offset0:93 offset1:94
	ds_read2_b64 v[127:130], v122 offset0:95 offset1:96
	s_waitcnt vmcnt(26) lgkmcnt(1)
	v_fma_f64 v[123:124], v[139:140], v[123:124], v[133:134]
	s_clause 0x7
	buffer_load_dword v134, off, s[0:3], 0 offset:388
	buffer_load_dword v139, off, s[0:3], 0 offset:408
	buffer_load_dword v161, off, s[0:3], 0 offset:400
	buffer_load_dword v163, off, s[0:3], 0 offset:392
	buffer_load_dword v133, off, s[0:3], 0 offset:384
	buffer_load_dword v164, off, s[0:3], 0 offset:396
	buffer_load_dword v162, off, s[0:3], 0 offset:404
	buffer_load_dword v140, off, s[0:3], 0 offset:412
	s_waitcnt vmcnt(33)
	v_fma_f64 v[123:124], v[137:138], v[125:126], v[123:124]
	s_waitcnt vmcnt(32) lgkmcnt(0)
	v_fma_f64 v[123:124], v[135:136], v[127:128], v[123:124]
	s_waitcnt vmcnt(27)
	v_fma_f64 v[135:136], v[141:142], v[129:130], v[123:124]
	ds_read2_b64 v[123:126], v122 offset0:97 offset1:98
	ds_read2_b64 v[127:130], v122 offset0:99 offset1:100
	s_waitcnt vmcnt(26) lgkmcnt(1)
	v_fma_f64 v[123:124], v[151:152], v[123:124], v[135:136]
	s_clause 0x7
	buffer_load_dword v136, off, s[0:3], 0 offset:420
	buffer_load_dword v137, off, s[0:3], 0 offset:440
	buffer_load_dword v141, off, s[0:3], 0 offset:432
	buffer_load_dword v151, off, s[0:3], 0 offset:424
	buffer_load_dword v135, off, s[0:3], 0 offset:416
	buffer_load_dword v152, off, s[0:3], 0 offset:428
	buffer_load_dword v142, off, s[0:3], 0 offset:436
	buffer_load_dword v138, off, s[0:3], 0 offset:444
	s_waitcnt vmcnt(33)
	v_fma_f64 v[123:124], v[145:146], v[125:126], v[123:124]
	s_waitcnt vmcnt(32) lgkmcnt(0)
	v_fma_f64 v[123:124], v[143:144], v[127:128], v[123:124]
	s_waitcnt vmcnt(27)
	v_fma_f64 v[143:144], v[147:148], v[129:130], v[123:124]
	ds_read2_b64 v[123:126], v122 offset0:101 offset1:102
	ds_read2_b64 v[127:130], v122 offset0:103 offset1:104
	s_waitcnt vmcnt(26) lgkmcnt(1)
	v_fma_f64 v[123:124], v[159:160], v[123:124], v[143:144]
	s_clause 0x7
	buffer_load_dword v144, off, s[0:3], 0 offset:452
	buffer_load_dword v145, off, s[0:3], 0 offset:472
	buffer_load_dword v147, off, s[0:3], 0 offset:464
	buffer_load_dword v159, off, s[0:3], 0 offset:456
	buffer_load_dword v143, off, s[0:3], 0 offset:448
	buffer_load_dword v160, off, s[0:3], 0 offset:460
	buffer_load_dword v148, off, s[0:3], 0 offset:468
	buffer_load_dword v146, off, s[0:3], 0 offset:476
	s_waitcnt vmcnt(33)
	v_fma_f64 v[123:124], v[153:154], v[125:126], v[123:124]
	s_waitcnt vmcnt(32) lgkmcnt(0)
	v_fma_f64 v[123:124], v[149:150], v[127:128], v[123:124]
	s_waitcnt vmcnt(27)
	v_fma_f64 v[131:132], v[131:132], v[129:130], v[123:124]
	ds_read2_b64 v[123:126], v122 offset0:105 offset1:106
	ds_read2_b64 v[127:130], v122 offset0:107 offset1:108
	s_waitcnt vmcnt(26) lgkmcnt(1)
	v_fma_f64 v[123:124], v[165:166], v[123:124], v[131:132]
	s_clause 0x1
	buffer_load_dword v131, off, s[0:3], 0 offset:96
	buffer_load_dword v132, off, s[0:3], 0 offset:100
	s_waitcnt vmcnt(27)
	v_fma_f64 v[123:124], v[157:158], v[125:126], v[123:124]
	s_waitcnt vmcnt(26) lgkmcnt(0)
	v_fma_f64 v[123:124], v[155:156], v[127:128], v[123:124]
	s_waitcnt vmcnt(21)
	v_fma_f64 v[133:134], v[133:134], v[129:130], v[123:124]
	ds_read2_b64 v[123:126], v122 offset0:109 offset1:110
	ds_read2_b64 v[127:130], v122 offset0:111 offset1:112
	s_waitcnt vmcnt(20) lgkmcnt(1)
	v_fma_f64 v[123:124], v[163:164], v[123:124], v[133:134]
	s_waitcnt vmcnt(19)
	v_fma_f64 v[123:124], v[161:162], v[125:126], v[123:124]
	s_waitcnt vmcnt(18) lgkmcnt(0)
	v_fma_f64 v[123:124], v[139:140], v[127:128], v[123:124]
	s_waitcnt vmcnt(13)
	v_fma_f64 v[133:134], v[135:136], v[129:130], v[123:124]
	ds_read2_b64 v[123:126], v122 offset0:113 offset1:114
	ds_read2_b64 v[127:130], v122 offset0:115 offset1:116
	s_waitcnt vmcnt(12) lgkmcnt(1)
	v_fma_f64 v[123:124], v[151:152], v[123:124], v[133:134]
	s_waitcnt vmcnt(11)
	v_fma_f64 v[123:124], v[141:142], v[125:126], v[123:124]
	s_waitcnt vmcnt(10) lgkmcnt(0)
	v_fma_f64 v[123:124], v[137:138], v[127:128], v[123:124]
	s_waitcnt vmcnt(5)
	v_fma_f64 v[127:128], v[143:144], v[129:130], v[123:124]
	ds_read2_b64 v[123:126], v122 offset0:117 offset1:118
	ds_read_b64 v[129:130], v122 offset:952
	s_waitcnt vmcnt(4) lgkmcnt(1)
	v_fma_f64 v[123:124], v[159:160], v[123:124], v[127:128]
	s_waitcnt vmcnt(3)
	v_fma_f64 v[123:124], v[147:148], v[125:126], v[123:124]
	s_waitcnt vmcnt(2) lgkmcnt(0)
	v_fma_f64 v[123:124], v[145:146], v[129:130], v[123:124]
	s_waitcnt vmcnt(0)
	v_add_f64 v[123:124], v[131:132], -v[123:124]
	buffer_store_dword v124, off, s[0:3], 0 offset:100
	buffer_store_dword v123, off, s[0:3], 0 offset:96
	v_cmpx_lt_u32_e32 11, v0
	s_cbranch_execz .LBB123_347
; %bb.346:
	s_clause 0x1
	buffer_load_dword v123, off, s[0:3], 0 offset:88
	buffer_load_dword v124, off, s[0:3], 0 offset:92
	buffer_store_dword v122, off, s[0:3], 0 offset:88
	buffer_store_dword v122, off, s[0:3], 0 offset:92
	s_waitcnt vmcnt(0)
	ds_write_b64 v121, v[123:124]
.LBB123_347:
	s_or_b32 exec_lo, exec_lo, s4
	s_waitcnt lgkmcnt(0)
	s_waitcnt_vscnt null, 0x0
	s_barrier
	buffer_gl0_inv
	s_clause 0x1c
	buffer_load_dword v131, off, s[0:3], 0 offset:96
	buffer_load_dword v132, off, s[0:3], 0 offset:100
	;; [unrolled: 1-line block ×29, first 2 shown]
	ds_read_b128 v[123:126], v122 offset:576
	ds_read_b128 v[127:130], v122 offset:592
	buffer_load_dword v156, off, s[0:3], 0 offset:212
	s_mov_b32 s4, exec_lo
	s_waitcnt vmcnt(28) lgkmcnt(1)
	v_fma_f64 v[123:124], v[131:132], v[123:124], 0
	s_clause 0x7
	buffer_load_dword v132, off, s[0:3], 0 offset:220
	buffer_load_dword v161, off, s[0:3], 0 offset:240
	buffer_load_dword v163, off, s[0:3], 0 offset:232
	buffer_load_dword v165, off, s[0:3], 0 offset:224
	buffer_load_dword v131, off, s[0:3], 0 offset:216
	buffer_load_dword v166, off, s[0:3], 0 offset:228
	buffer_load_dword v164, off, s[0:3], 0 offset:236
	buffer_load_dword v162, off, s[0:3], 0 offset:244
	s_waitcnt vmcnt(34)
	v_fma_f64 v[123:124], v[133:134], v[125:126], v[123:124]
	s_waitcnt vmcnt(32) lgkmcnt(0)
	v_fma_f64 v[123:124], v[135:136], v[127:128], v[123:124]
	s_waitcnt vmcnt(30)
	v_fma_f64 v[133:134], v[137:138], v[129:130], v[123:124]
	ds_read_b128 v[123:126], v122 offset:608
	ds_read_b128 v[127:130], v122 offset:624
	s_waitcnt vmcnt(28) lgkmcnt(1)
	v_fma_f64 v[123:124], v[139:140], v[123:124], v[133:134]
	s_clause 0x7
	buffer_load_dword v134, off, s[0:3], 0 offset:252
	buffer_load_dword v135, off, s[0:3], 0 offset:272
	buffer_load_dword v137, off, s[0:3], 0 offset:264
	buffer_load_dword v139, off, s[0:3], 0 offset:256
	buffer_load_dword v133, off, s[0:3], 0 offset:248
	buffer_load_dword v140, off, s[0:3], 0 offset:260
	buffer_load_dword v138, off, s[0:3], 0 offset:268
	buffer_load_dword v136, off, s[0:3], 0 offset:276
	s_waitcnt vmcnt(34)
	v_fma_f64 v[123:124], v[141:142], v[125:126], v[123:124]
	s_waitcnt vmcnt(32) lgkmcnt(0)
	v_fma_f64 v[123:124], v[143:144], v[127:128], v[123:124]
	s_waitcnt vmcnt(27)
	v_fma_f64 v[141:142], v[145:146], v[129:130], v[123:124]
	ds_read_b128 v[123:126], v122 offset:640
	ds_read_b128 v[127:130], v122 offset:656
	;; [unrolled: 19-line block ×8, first 2 shown]
	s_waitcnt vmcnt(26) lgkmcnt(1)
	v_fma_f64 v[123:124], v[165:166], v[123:124], v[131:132]
	s_clause 0x3
	buffer_load_dword v132, off, s[0:3], 0 offset:476
	buffer_load_dword v131, off, s[0:3], 0 offset:472
	;; [unrolled: 1-line block ×4, first 2 shown]
	s_waitcnt vmcnt(29)
	v_fma_f64 v[123:124], v[157:158], v[125:126], v[123:124]
	s_waitcnt vmcnt(28) lgkmcnt(0)
	v_fma_f64 v[123:124], v[155:156], v[127:128], v[123:124]
	s_waitcnt vmcnt(23)
	v_fma_f64 v[133:134], v[133:134], v[129:130], v[123:124]
	ds_read_b128 v[123:126], v122 offset:864
	ds_read_b128 v[127:130], v122 offset:880
	s_waitcnt vmcnt(22) lgkmcnt(1)
	v_fma_f64 v[123:124], v[163:164], v[123:124], v[133:134]
	s_waitcnt vmcnt(21)
	v_fma_f64 v[123:124], v[161:162], v[125:126], v[123:124]
	s_waitcnt vmcnt(20) lgkmcnt(0)
	v_fma_f64 v[123:124], v[139:140], v[127:128], v[123:124]
	s_waitcnt vmcnt(15)
	v_fma_f64 v[133:134], v[135:136], v[129:130], v[123:124]
	ds_read_b128 v[123:126], v122 offset:896
	ds_read_b128 v[127:130], v122 offset:912
	s_waitcnt vmcnt(14) lgkmcnt(1)
	v_fma_f64 v[123:124], v[151:152], v[123:124], v[133:134]
	;; [unrolled: 10-line block ×3, first 2 shown]
	s_waitcnt vmcnt(5)
	v_fma_f64 v[122:123], v[147:148], v[125:126], v[122:123]
	s_waitcnt vmcnt(4) lgkmcnt(0)
	v_fma_f64 v[122:123], v[145:146], v[127:128], v[122:123]
	s_waitcnt vmcnt(2)
	v_fma_f64 v[122:123], v[131:132], v[129:130], v[122:123]
	s_waitcnt vmcnt(0)
	v_add_f64 v[122:123], v[149:150], -v[122:123]
	buffer_store_dword v123, off, s[0:3], 0 offset:92
	buffer_store_dword v122, off, s[0:3], 0 offset:88
	v_cmpx_lt_u32_e32 10, v0
	s_cbranch_execz .LBB123_349
; %bb.348:
	s_clause 0x1
	buffer_load_dword v122, off, s[0:3], 0 offset:80
	buffer_load_dword v123, off, s[0:3], 0 offset:84
	v_mov_b32_e32 v124, 0
	buffer_store_dword v124, off, s[0:3], 0 offset:80
	buffer_store_dword v124, off, s[0:3], 0 offset:84
	s_waitcnt vmcnt(0)
	ds_write_b64 v121, v[122:123]
.LBB123_349:
	s_or_b32 exec_lo, exec_lo, s4
	s_waitcnt lgkmcnt(0)
	s_waitcnt_vscnt null, 0x0
	s_barrier
	buffer_gl0_inv
	s_clause 0x1c
	buffer_load_dword v131, off, s[0:3], 0 offset:88
	buffer_load_dword v132, off, s[0:3], 0 offset:92
	;; [unrolled: 1-line block ×29, first 2 shown]
	v_mov_b32_e32 v122, 0
	buffer_load_dword v156, off, s[0:3], 0 offset:204
	s_mov_b32 s4, exec_lo
	ds_read2_b64 v[123:126], v122 offset0:71 offset1:72
	ds_read2_b64 v[127:130], v122 offset0:73 offset1:74
	s_waitcnt vmcnt(28) lgkmcnt(1)
	v_fma_f64 v[123:124], v[131:132], v[123:124], 0
	s_clause 0x7
	buffer_load_dword v132, off, s[0:3], 0 offset:212
	buffer_load_dword v161, off, s[0:3], 0 offset:232
	buffer_load_dword v163, off, s[0:3], 0 offset:224
	buffer_load_dword v165, off, s[0:3], 0 offset:216
	buffer_load_dword v131, off, s[0:3], 0 offset:208
	buffer_load_dword v166, off, s[0:3], 0 offset:220
	buffer_load_dword v164, off, s[0:3], 0 offset:228
	buffer_load_dword v162, off, s[0:3], 0 offset:236
	s_waitcnt vmcnt(34)
	v_fma_f64 v[123:124], v[133:134], v[125:126], v[123:124]
	s_waitcnt vmcnt(32) lgkmcnt(0)
	v_fma_f64 v[123:124], v[135:136], v[127:128], v[123:124]
	s_waitcnt vmcnt(30)
	v_fma_f64 v[133:134], v[137:138], v[129:130], v[123:124]
	ds_read2_b64 v[123:126], v122 offset0:75 offset1:76
	ds_read2_b64 v[127:130], v122 offset0:77 offset1:78
	s_waitcnt vmcnt(28) lgkmcnt(1)
	v_fma_f64 v[123:124], v[139:140], v[123:124], v[133:134]
	s_clause 0x7
	buffer_load_dword v134, off, s[0:3], 0 offset:244
	buffer_load_dword v135, off, s[0:3], 0 offset:264
	buffer_load_dword v137, off, s[0:3], 0 offset:256
	buffer_load_dword v139, off, s[0:3], 0 offset:248
	buffer_load_dword v133, off, s[0:3], 0 offset:240
	buffer_load_dword v140, off, s[0:3], 0 offset:252
	buffer_load_dword v138, off, s[0:3], 0 offset:260
	buffer_load_dword v136, off, s[0:3], 0 offset:268
	s_waitcnt vmcnt(34)
	v_fma_f64 v[123:124], v[141:142], v[125:126], v[123:124]
	s_waitcnt vmcnt(32) lgkmcnt(0)
	v_fma_f64 v[123:124], v[143:144], v[127:128], v[123:124]
	s_waitcnt vmcnt(27)
	v_fma_f64 v[141:142], v[145:146], v[129:130], v[123:124]
	;; [unrolled: 19-line block ×8, first 2 shown]
	ds_read2_b64 v[123:126], v122 offset0:103 offset1:104
	ds_read2_b64 v[127:130], v122 offset0:105 offset1:106
	s_waitcnt vmcnt(26) lgkmcnt(1)
	v_fma_f64 v[123:124], v[165:166], v[123:124], v[131:132]
	s_clause 0x5
	buffer_load_dword v132, off, s[0:3], 0 offset:468
	buffer_load_dword v149, off, s[0:3], 0 offset:472
	;; [unrolled: 1-line block ×6, first 2 shown]
	s_waitcnt vmcnt(31)
	v_fma_f64 v[123:124], v[157:158], v[125:126], v[123:124]
	s_waitcnt vmcnt(30) lgkmcnt(0)
	v_fma_f64 v[123:124], v[155:156], v[127:128], v[123:124]
	s_waitcnt vmcnt(25)
	v_fma_f64 v[133:134], v[133:134], v[129:130], v[123:124]
	ds_read2_b64 v[123:126], v122 offset0:107 offset1:108
	ds_read2_b64 v[127:130], v122 offset0:109 offset1:110
	s_waitcnt vmcnt(24) lgkmcnt(1)
	v_fma_f64 v[123:124], v[163:164], v[123:124], v[133:134]
	s_waitcnt vmcnt(23)
	v_fma_f64 v[123:124], v[161:162], v[125:126], v[123:124]
	s_waitcnt vmcnt(22) lgkmcnt(0)
	v_fma_f64 v[123:124], v[139:140], v[127:128], v[123:124]
	s_waitcnt vmcnt(17)
	v_fma_f64 v[133:134], v[135:136], v[129:130], v[123:124]
	ds_read2_b64 v[123:126], v122 offset0:111 offset1:112
	ds_read2_b64 v[127:130], v122 offset0:113 offset1:114
	s_waitcnt vmcnt(16) lgkmcnt(1)
	v_fma_f64 v[123:124], v[151:152], v[123:124], v[133:134]
	;; [unrolled: 10-line block ×3, first 2 shown]
	s_waitcnt vmcnt(7)
	v_fma_f64 v[123:124], v[147:148], v[125:126], v[123:124]
	ds_read_b64 v[125:126], v122 offset:952
	s_waitcnt vmcnt(6) lgkmcnt(1)
	v_fma_f64 v[123:124], v[145:146], v[127:128], v[123:124]
	s_waitcnt vmcnt(3)
	v_fma_f64 v[123:124], v[131:132], v[129:130], v[123:124]
	s_waitcnt vmcnt(2) lgkmcnt(0)
	v_fma_f64 v[123:124], v[149:150], v[125:126], v[123:124]
	s_waitcnt vmcnt(0)
	v_add_f64 v[123:124], v[153:154], -v[123:124]
	buffer_store_dword v124, off, s[0:3], 0 offset:84
	buffer_store_dword v123, off, s[0:3], 0 offset:80
	v_cmpx_lt_u32_e32 9, v0
	s_cbranch_execz .LBB123_351
; %bb.350:
	s_clause 0x1
	buffer_load_dword v123, off, s[0:3], 0 offset:72
	buffer_load_dword v124, off, s[0:3], 0 offset:76
	buffer_store_dword v122, off, s[0:3], 0 offset:72
	buffer_store_dword v122, off, s[0:3], 0 offset:76
	s_waitcnt vmcnt(0)
	ds_write_b64 v121, v[123:124]
.LBB123_351:
	s_or_b32 exec_lo, exec_lo, s4
	s_waitcnt lgkmcnt(0)
	s_waitcnt_vscnt null, 0x0
	s_barrier
	buffer_gl0_inv
	s_clause 0x1c
	buffer_load_dword v131, off, s[0:3], 0 offset:80
	buffer_load_dword v132, off, s[0:3], 0 offset:84
	;; [unrolled: 1-line block ×29, first 2 shown]
	ds_read_b128 v[123:126], v122 offset:560
	ds_read_b128 v[127:130], v122 offset:576
	buffer_load_dword v156, off, s[0:3], 0 offset:196
	s_mov_b32 s4, exec_lo
	s_waitcnt vmcnt(28) lgkmcnt(1)
	v_fma_f64 v[123:124], v[131:132], v[123:124], 0
	s_clause 0x7
	buffer_load_dword v132, off, s[0:3], 0 offset:204
	buffer_load_dword v161, off, s[0:3], 0 offset:224
	buffer_load_dword v163, off, s[0:3], 0 offset:216
	buffer_load_dword v165, off, s[0:3], 0 offset:208
	buffer_load_dword v131, off, s[0:3], 0 offset:200
	buffer_load_dword v166, off, s[0:3], 0 offset:212
	buffer_load_dword v164, off, s[0:3], 0 offset:220
	buffer_load_dword v162, off, s[0:3], 0 offset:228
	s_waitcnt vmcnt(34)
	v_fma_f64 v[123:124], v[133:134], v[125:126], v[123:124]
	s_waitcnt vmcnt(32) lgkmcnt(0)
	v_fma_f64 v[123:124], v[135:136], v[127:128], v[123:124]
	s_waitcnt vmcnt(30)
	v_fma_f64 v[133:134], v[137:138], v[129:130], v[123:124]
	ds_read_b128 v[123:126], v122 offset:592
	ds_read_b128 v[127:130], v122 offset:608
	s_waitcnt vmcnt(28) lgkmcnt(1)
	v_fma_f64 v[123:124], v[139:140], v[123:124], v[133:134]
	s_clause 0x7
	buffer_load_dword v134, off, s[0:3], 0 offset:236
	buffer_load_dword v135, off, s[0:3], 0 offset:256
	buffer_load_dword v137, off, s[0:3], 0 offset:248
	buffer_load_dword v139, off, s[0:3], 0 offset:240
	buffer_load_dword v133, off, s[0:3], 0 offset:232
	buffer_load_dword v140, off, s[0:3], 0 offset:244
	buffer_load_dword v138, off, s[0:3], 0 offset:252
	buffer_load_dword v136, off, s[0:3], 0 offset:260
	s_waitcnt vmcnt(34)
	v_fma_f64 v[123:124], v[141:142], v[125:126], v[123:124]
	s_waitcnt vmcnt(32) lgkmcnt(0)
	v_fma_f64 v[123:124], v[143:144], v[127:128], v[123:124]
	s_waitcnt vmcnt(27)
	v_fma_f64 v[141:142], v[145:146], v[129:130], v[123:124]
	ds_read_b128 v[123:126], v122 offset:624
	ds_read_b128 v[127:130], v122 offset:640
	;; [unrolled: 19-line block ×8, first 2 shown]
	s_waitcnt vmcnt(26) lgkmcnt(1)
	v_fma_f64 v[123:124], v[165:166], v[123:124], v[131:132]
	s_clause 0x5
	buffer_load_dword v132, off, s[0:3], 0 offset:460
	buffer_load_dword v149, off, s[0:3], 0 offset:472
	;; [unrolled: 1-line block ×6, first 2 shown]
	s_waitcnt vmcnt(31)
	v_fma_f64 v[123:124], v[157:158], v[125:126], v[123:124]
	s_waitcnt vmcnt(30) lgkmcnt(0)
	v_fma_f64 v[123:124], v[155:156], v[127:128], v[123:124]
	s_waitcnt vmcnt(25)
	v_fma_f64 v[133:134], v[133:134], v[129:130], v[123:124]
	ds_read_b128 v[123:126], v122 offset:848
	s_clause 0x1
	buffer_load_dword v155, off, s[0:3], 0 offset:72
	buffer_load_dword v156, off, s[0:3], 0 offset:76
	ds_read_b128 v[127:130], v122 offset:864
	s_waitcnt vmcnt(26) lgkmcnt(1)
	v_fma_f64 v[123:124], v[163:164], v[123:124], v[133:134]
	s_waitcnt vmcnt(25)
	v_fma_f64 v[123:124], v[161:162], v[125:126], v[123:124]
	s_waitcnt vmcnt(24) lgkmcnt(0)
	v_fma_f64 v[123:124], v[139:140], v[127:128], v[123:124]
	s_waitcnt vmcnt(19)
	v_fma_f64 v[133:134], v[135:136], v[129:130], v[123:124]
	ds_read_b128 v[123:126], v122 offset:880
	ds_read_b128 v[127:130], v122 offset:896
	s_waitcnt vmcnt(18) lgkmcnt(1)
	v_fma_f64 v[123:124], v[151:152], v[123:124], v[133:134]
	s_waitcnt vmcnt(17)
	v_fma_f64 v[123:124], v[141:142], v[125:126], v[123:124]
	s_waitcnt vmcnt(16) lgkmcnt(0)
	v_fma_f64 v[123:124], v[137:138], v[127:128], v[123:124]
	s_waitcnt vmcnt(11)
	v_fma_f64 v[133:134], v[143:144], v[129:130], v[123:124]
	ds_read_b128 v[123:126], v122 offset:912
	;; [unrolled: 10-line block ×3, first 2 shown]
	s_waitcnt vmcnt(3) lgkmcnt(0)
	v_fma_f64 v[122:123], v[153:154], v[122:123], v[126:127]
	s_waitcnt vmcnt(2)
	v_fma_f64 v[122:123], v[149:150], v[124:125], v[122:123]
	s_waitcnt vmcnt(0)
	v_add_f64 v[122:123], v[155:156], -v[122:123]
	buffer_store_dword v123, off, s[0:3], 0 offset:76
	buffer_store_dword v122, off, s[0:3], 0 offset:72
	v_cmpx_lt_u32_e32 8, v0
	s_cbranch_execz .LBB123_353
; %bb.352:
	s_clause 0x1
	buffer_load_dword v122, off, s[0:3], 0 offset:64
	buffer_load_dword v123, off, s[0:3], 0 offset:68
	v_mov_b32_e32 v124, 0
	buffer_store_dword v124, off, s[0:3], 0 offset:64
	buffer_store_dword v124, off, s[0:3], 0 offset:68
	s_waitcnt vmcnt(0)
	ds_write_b64 v121, v[122:123]
.LBB123_353:
	s_or_b32 exec_lo, exec_lo, s4
	s_waitcnt lgkmcnt(0)
	s_waitcnt_vscnt null, 0x0
	s_barrier
	buffer_gl0_inv
	s_clause 0x1c
	buffer_load_dword v131, off, s[0:3], 0 offset:72
	buffer_load_dword v132, off, s[0:3], 0 offset:76
	;; [unrolled: 1-line block ×29, first 2 shown]
	v_mov_b32_e32 v122, 0
	buffer_load_dword v156, off, s[0:3], 0 offset:188
	s_mov_b32 s4, exec_lo
	ds_read2_b64 v[123:126], v122 offset0:69 offset1:70
	ds_read2_b64 v[127:130], v122 offset0:71 offset1:72
	s_waitcnt vmcnt(28) lgkmcnt(1)
	v_fma_f64 v[123:124], v[131:132], v[123:124], 0
	s_clause 0x7
	buffer_load_dword v132, off, s[0:3], 0 offset:196
	buffer_load_dword v161, off, s[0:3], 0 offset:216
	buffer_load_dword v163, off, s[0:3], 0 offset:208
	buffer_load_dword v165, off, s[0:3], 0 offset:200
	buffer_load_dword v131, off, s[0:3], 0 offset:192
	buffer_load_dword v166, off, s[0:3], 0 offset:204
	buffer_load_dword v164, off, s[0:3], 0 offset:212
	buffer_load_dword v162, off, s[0:3], 0 offset:220
	s_waitcnt vmcnt(34)
	v_fma_f64 v[123:124], v[133:134], v[125:126], v[123:124]
	s_waitcnt vmcnt(32) lgkmcnt(0)
	v_fma_f64 v[123:124], v[135:136], v[127:128], v[123:124]
	s_waitcnt vmcnt(30)
	v_fma_f64 v[133:134], v[137:138], v[129:130], v[123:124]
	ds_read2_b64 v[123:126], v122 offset0:73 offset1:74
	ds_read2_b64 v[127:130], v122 offset0:75 offset1:76
	s_waitcnt vmcnt(28) lgkmcnt(1)
	v_fma_f64 v[123:124], v[139:140], v[123:124], v[133:134]
	s_clause 0x7
	buffer_load_dword v134, off, s[0:3], 0 offset:228
	buffer_load_dword v135, off, s[0:3], 0 offset:248
	buffer_load_dword v137, off, s[0:3], 0 offset:240
	buffer_load_dword v139, off, s[0:3], 0 offset:232
	buffer_load_dword v133, off, s[0:3], 0 offset:224
	buffer_load_dword v140, off, s[0:3], 0 offset:236
	buffer_load_dword v138, off, s[0:3], 0 offset:244
	buffer_load_dword v136, off, s[0:3], 0 offset:252
	s_waitcnt vmcnt(34)
	v_fma_f64 v[123:124], v[141:142], v[125:126], v[123:124]
	s_waitcnt vmcnt(32) lgkmcnt(0)
	v_fma_f64 v[123:124], v[143:144], v[127:128], v[123:124]
	s_waitcnt vmcnt(27)
	v_fma_f64 v[141:142], v[145:146], v[129:130], v[123:124]
	;; [unrolled: 19-line block ×9, first 2 shown]
	ds_read2_b64 v[123:126], v122 offset0:105 offset1:106
	ds_read2_b64 v[127:130], v122 offset0:107 offset1:108
	s_waitcnt vmcnt(26) lgkmcnt(1)
	v_fma_f64 v[123:124], v[163:164], v[123:124], v[133:134]
	s_clause 0x1
	buffer_load_dword v133, off, s[0:3], 0 offset:64
	buffer_load_dword v134, off, s[0:3], 0 offset:68
	s_waitcnt vmcnt(27)
	v_fma_f64 v[123:124], v[161:162], v[125:126], v[123:124]
	s_waitcnt vmcnt(26) lgkmcnt(0)
	v_fma_f64 v[123:124], v[139:140], v[127:128], v[123:124]
	s_waitcnt vmcnt(21)
	v_fma_f64 v[135:136], v[135:136], v[129:130], v[123:124]
	ds_read2_b64 v[123:126], v122 offset0:109 offset1:110
	ds_read2_b64 v[127:130], v122 offset0:111 offset1:112
	s_waitcnt vmcnt(20) lgkmcnt(1)
	v_fma_f64 v[123:124], v[151:152], v[123:124], v[135:136]
	s_waitcnt vmcnt(19)
	v_fma_f64 v[123:124], v[141:142], v[125:126], v[123:124]
	s_waitcnt vmcnt(18) lgkmcnt(0)
	v_fma_f64 v[123:124], v[137:138], v[127:128], v[123:124]
	s_waitcnt vmcnt(13)
	v_fma_f64 v[135:136], v[143:144], v[129:130], v[123:124]
	ds_read2_b64 v[123:126], v122 offset0:113 offset1:114
	ds_read2_b64 v[127:130], v122 offset0:115 offset1:116
	s_waitcnt vmcnt(12) lgkmcnt(1)
	v_fma_f64 v[123:124], v[159:160], v[123:124], v[135:136]
	s_waitcnt vmcnt(11)
	v_fma_f64 v[123:124], v[147:148], v[125:126], v[123:124]
	s_waitcnt vmcnt(10) lgkmcnt(0)
	v_fma_f64 v[123:124], v[145:146], v[127:128], v[123:124]
	s_waitcnt vmcnt(5)
	v_fma_f64 v[127:128], v[131:132], v[129:130], v[123:124]
	ds_read2_b64 v[123:126], v122 offset0:117 offset1:118
	ds_read_b64 v[129:130], v122 offset:952
	s_waitcnt vmcnt(4) lgkmcnt(1)
	v_fma_f64 v[123:124], v[165:166], v[123:124], v[127:128]
	s_waitcnt vmcnt(3)
	v_fma_f64 v[123:124], v[153:154], v[125:126], v[123:124]
	s_waitcnt vmcnt(2) lgkmcnt(0)
	v_fma_f64 v[123:124], v[149:150], v[129:130], v[123:124]
	s_waitcnt vmcnt(0)
	v_add_f64 v[123:124], v[133:134], -v[123:124]
	buffer_store_dword v124, off, s[0:3], 0 offset:68
	buffer_store_dword v123, off, s[0:3], 0 offset:64
	v_cmpx_lt_u32_e32 7, v0
	s_cbranch_execz .LBB123_355
; %bb.354:
	s_clause 0x1
	buffer_load_dword v123, off, s[0:3], 0 offset:56
	buffer_load_dword v124, off, s[0:3], 0 offset:60
	buffer_store_dword v122, off, s[0:3], 0 offset:56
	buffer_store_dword v122, off, s[0:3], 0 offset:60
	s_waitcnt vmcnt(0)
	ds_write_b64 v121, v[123:124]
.LBB123_355:
	s_or_b32 exec_lo, exec_lo, s4
	s_waitcnt lgkmcnt(0)
	s_waitcnt_vscnt null, 0x0
	s_barrier
	buffer_gl0_inv
	s_clause 0x1c
	buffer_load_dword v131, off, s[0:3], 0 offset:64
	buffer_load_dword v132, off, s[0:3], 0 offset:68
	;; [unrolled: 1-line block ×29, first 2 shown]
	ds_read_b128 v[123:126], v122 offset:544
	ds_read_b128 v[127:130], v122 offset:560
	buffer_load_dword v156, off, s[0:3], 0 offset:180
	s_mov_b32 s4, exec_lo
	s_waitcnt vmcnt(28) lgkmcnt(1)
	v_fma_f64 v[123:124], v[131:132], v[123:124], 0
	s_clause 0x7
	buffer_load_dword v132, off, s[0:3], 0 offset:188
	buffer_load_dword v161, off, s[0:3], 0 offset:208
	buffer_load_dword v163, off, s[0:3], 0 offset:200
	buffer_load_dword v165, off, s[0:3], 0 offset:192
	buffer_load_dword v131, off, s[0:3], 0 offset:184
	buffer_load_dword v166, off, s[0:3], 0 offset:196
	buffer_load_dword v164, off, s[0:3], 0 offset:204
	buffer_load_dword v162, off, s[0:3], 0 offset:212
	s_waitcnt vmcnt(34)
	v_fma_f64 v[123:124], v[133:134], v[125:126], v[123:124]
	s_waitcnt vmcnt(32) lgkmcnt(0)
	v_fma_f64 v[123:124], v[135:136], v[127:128], v[123:124]
	s_waitcnt vmcnt(30)
	v_fma_f64 v[133:134], v[137:138], v[129:130], v[123:124]
	ds_read_b128 v[123:126], v122 offset:576
	ds_read_b128 v[127:130], v122 offset:592
	s_waitcnt vmcnt(28) lgkmcnt(1)
	v_fma_f64 v[123:124], v[139:140], v[123:124], v[133:134]
	s_clause 0x7
	buffer_load_dword v134, off, s[0:3], 0 offset:220
	buffer_load_dword v135, off, s[0:3], 0 offset:240
	buffer_load_dword v137, off, s[0:3], 0 offset:232
	buffer_load_dword v139, off, s[0:3], 0 offset:224
	buffer_load_dword v133, off, s[0:3], 0 offset:216
	buffer_load_dword v140, off, s[0:3], 0 offset:228
	buffer_load_dword v138, off, s[0:3], 0 offset:236
	buffer_load_dword v136, off, s[0:3], 0 offset:244
	s_waitcnt vmcnt(34)
	v_fma_f64 v[123:124], v[141:142], v[125:126], v[123:124]
	s_waitcnt vmcnt(32) lgkmcnt(0)
	v_fma_f64 v[123:124], v[143:144], v[127:128], v[123:124]
	s_waitcnt vmcnt(27)
	v_fma_f64 v[141:142], v[145:146], v[129:130], v[123:124]
	ds_read_b128 v[123:126], v122 offset:608
	ds_read_b128 v[127:130], v122 offset:624
	;; [unrolled: 19-line block ×9, first 2 shown]
	s_waitcnt vmcnt(26) lgkmcnt(1)
	v_fma_f64 v[123:124], v[163:164], v[123:124], v[133:134]
	s_clause 0x3
	buffer_load_dword v134, off, s[0:3], 0 offset:476
	buffer_load_dword v133, off, s[0:3], 0 offset:472
	;; [unrolled: 1-line block ×4, first 2 shown]
	s_waitcnt vmcnt(29)
	v_fma_f64 v[123:124], v[161:162], v[125:126], v[123:124]
	s_waitcnt vmcnt(28) lgkmcnt(0)
	v_fma_f64 v[123:124], v[139:140], v[127:128], v[123:124]
	s_waitcnt vmcnt(23)
	v_fma_f64 v[135:136], v[135:136], v[129:130], v[123:124]
	ds_read_b128 v[123:126], v122 offset:864
	ds_read_b128 v[127:130], v122 offset:880
	s_waitcnt vmcnt(22) lgkmcnt(1)
	v_fma_f64 v[123:124], v[151:152], v[123:124], v[135:136]
	s_waitcnt vmcnt(21)
	v_fma_f64 v[123:124], v[141:142], v[125:126], v[123:124]
	s_waitcnt vmcnt(20) lgkmcnt(0)
	v_fma_f64 v[123:124], v[137:138], v[127:128], v[123:124]
	s_waitcnt vmcnt(15)
	v_fma_f64 v[135:136], v[143:144], v[129:130], v[123:124]
	ds_read_b128 v[123:126], v122 offset:896
	ds_read_b128 v[127:130], v122 offset:912
	s_waitcnt vmcnt(14) lgkmcnt(1)
	v_fma_f64 v[123:124], v[159:160], v[123:124], v[135:136]
	;; [unrolled: 10-line block ×3, first 2 shown]
	s_waitcnt vmcnt(5)
	v_fma_f64 v[122:123], v[153:154], v[125:126], v[122:123]
	s_waitcnt vmcnt(4) lgkmcnt(0)
	v_fma_f64 v[122:123], v[149:150], v[127:128], v[122:123]
	s_waitcnt vmcnt(2)
	v_fma_f64 v[122:123], v[133:134], v[129:130], v[122:123]
	s_waitcnt vmcnt(0)
	v_add_f64 v[122:123], v[155:156], -v[122:123]
	buffer_store_dword v123, off, s[0:3], 0 offset:60
	buffer_store_dword v122, off, s[0:3], 0 offset:56
	v_cmpx_lt_u32_e32 6, v0
	s_cbranch_execz .LBB123_357
; %bb.356:
	s_clause 0x1
	buffer_load_dword v122, off, s[0:3], 0 offset:48
	buffer_load_dword v123, off, s[0:3], 0 offset:52
	v_mov_b32_e32 v124, 0
	buffer_store_dword v124, off, s[0:3], 0 offset:48
	buffer_store_dword v124, off, s[0:3], 0 offset:52
	s_waitcnt vmcnt(0)
	ds_write_b64 v121, v[122:123]
.LBB123_357:
	s_or_b32 exec_lo, exec_lo, s4
	s_waitcnt lgkmcnt(0)
	s_waitcnt_vscnt null, 0x0
	s_barrier
	buffer_gl0_inv
	s_clause 0x1c
	buffer_load_dword v131, off, s[0:3], 0 offset:56
	buffer_load_dword v132, off, s[0:3], 0 offset:60
	buffer_load_dword v133, off, s[0:3], 0 offset:64
	buffer_load_dword v134, off, s[0:3], 0 offset:68
	buffer_load_dword v135, off, s[0:3], 0 offset:72
	buffer_load_dword v136, off, s[0:3], 0 offset:76
	buffer_load_dword v137, off, s[0:3], 0 offset:80
	buffer_load_dword v138, off, s[0:3], 0 offset:84
	buffer_load_dword v139, off, s[0:3], 0 offset:88
	buffer_load_dword v140, off, s[0:3], 0 offset:92
	buffer_load_dword v141, off, s[0:3], 0 offset:96
	buffer_load_dword v142, off, s[0:3], 0 offset:100
	buffer_load_dword v143, off, s[0:3], 0 offset:104
	buffer_load_dword v144, off, s[0:3], 0 offset:108
	buffer_load_dword v146, off, s[0:3], 0 offset:116
	buffer_load_dword v147, off, s[0:3], 0 offset:136
	buffer_load_dword v149, off, s[0:3], 0 offset:128
	buffer_load_dword v151, off, s[0:3], 0 offset:120
	buffer_load_dword v145, off, s[0:3], 0 offset:112
	buffer_load_dword v152, off, s[0:3], 0 offset:124
	buffer_load_dword v150, off, s[0:3], 0 offset:132
	buffer_load_dword v148, off, s[0:3], 0 offset:140
	buffer_load_dword v154, off, s[0:3], 0 offset:148
	buffer_load_dword v155, off, s[0:3], 0 offset:168
	buffer_load_dword v157, off, s[0:3], 0 offset:160
	buffer_load_dword v159, off, s[0:3], 0 offset:152
	buffer_load_dword v153, off, s[0:3], 0 offset:144
	buffer_load_dword v160, off, s[0:3], 0 offset:156
	buffer_load_dword v158, off, s[0:3], 0 offset:164
	v_mov_b32_e32 v122, 0
	buffer_load_dword v156, off, s[0:3], 0 offset:172
	s_mov_b32 s4, exec_lo
	ds_read2_b64 v[123:126], v122 offset0:67 offset1:68
	ds_read2_b64 v[127:130], v122 offset0:69 offset1:70
	s_waitcnt vmcnt(28) lgkmcnt(1)
	v_fma_f64 v[123:124], v[131:132], v[123:124], 0
	s_clause 0x7
	buffer_load_dword v132, off, s[0:3], 0 offset:180
	buffer_load_dword v161, off, s[0:3], 0 offset:200
	buffer_load_dword v163, off, s[0:3], 0 offset:192
	buffer_load_dword v165, off, s[0:3], 0 offset:184
	buffer_load_dword v131, off, s[0:3], 0 offset:176
	buffer_load_dword v166, off, s[0:3], 0 offset:188
	buffer_load_dword v164, off, s[0:3], 0 offset:196
	buffer_load_dword v162, off, s[0:3], 0 offset:204
	s_waitcnt vmcnt(34)
	v_fma_f64 v[123:124], v[133:134], v[125:126], v[123:124]
	s_waitcnt vmcnt(32) lgkmcnt(0)
	v_fma_f64 v[123:124], v[135:136], v[127:128], v[123:124]
	s_waitcnt vmcnt(30)
	v_fma_f64 v[133:134], v[137:138], v[129:130], v[123:124]
	ds_read2_b64 v[123:126], v122 offset0:71 offset1:72
	ds_read2_b64 v[127:130], v122 offset0:73 offset1:74
	s_waitcnt vmcnt(28) lgkmcnt(1)
	v_fma_f64 v[123:124], v[139:140], v[123:124], v[133:134]
	s_clause 0x7
	buffer_load_dword v134, off, s[0:3], 0 offset:212
	buffer_load_dword v135, off, s[0:3], 0 offset:232
	buffer_load_dword v137, off, s[0:3], 0 offset:224
	buffer_load_dword v139, off, s[0:3], 0 offset:216
	buffer_load_dword v133, off, s[0:3], 0 offset:208
	buffer_load_dword v140, off, s[0:3], 0 offset:220
	buffer_load_dword v138, off, s[0:3], 0 offset:228
	buffer_load_dword v136, off, s[0:3], 0 offset:236
	s_waitcnt vmcnt(34)
	v_fma_f64 v[123:124], v[141:142], v[125:126], v[123:124]
	s_waitcnt vmcnt(32) lgkmcnt(0)
	v_fma_f64 v[123:124], v[143:144], v[127:128], v[123:124]
	s_waitcnt vmcnt(27)
	v_fma_f64 v[141:142], v[145:146], v[129:130], v[123:124]
	;; [unrolled: 19-line block ×9, first 2 shown]
	ds_read2_b64 v[123:126], v122 offset0:103 offset1:104
	ds_read2_b64 v[127:130], v122 offset0:105 offset1:106
	s_waitcnt vmcnt(26) lgkmcnt(1)
	v_fma_f64 v[123:124], v[163:164], v[123:124], v[133:134]
	s_clause 0x3
	buffer_load_dword v134, off, s[0:3], 0 offset:468
	buffer_load_dword v155, off, s[0:3], 0 offset:472
	;; [unrolled: 1-line block ×4, first 2 shown]
	s_waitcnt vmcnt(29)
	v_fma_f64 v[123:124], v[161:162], v[125:126], v[123:124]
	s_waitcnt vmcnt(28) lgkmcnt(0)
	v_fma_f64 v[123:124], v[139:140], v[127:128], v[123:124]
	s_clause 0x1
	buffer_load_dword v139, off, s[0:3], 0 offset:48
	buffer_load_dword v140, off, s[0:3], 0 offset:52
	s_waitcnt vmcnt(25)
	v_fma_f64 v[135:136], v[135:136], v[129:130], v[123:124]
	ds_read2_b64 v[123:126], v122 offset0:107 offset1:108
	ds_read2_b64 v[127:130], v122 offset0:109 offset1:110
	s_waitcnt vmcnt(24) lgkmcnt(1)
	v_fma_f64 v[123:124], v[151:152], v[123:124], v[135:136]
	s_waitcnt vmcnt(23)
	v_fma_f64 v[123:124], v[141:142], v[125:126], v[123:124]
	s_waitcnt vmcnt(22) lgkmcnt(0)
	v_fma_f64 v[123:124], v[137:138], v[127:128], v[123:124]
	s_waitcnt vmcnt(17)
	v_fma_f64 v[135:136], v[143:144], v[129:130], v[123:124]
	ds_read2_b64 v[123:126], v122 offset0:111 offset1:112
	ds_read2_b64 v[127:130], v122 offset0:113 offset1:114
	s_waitcnt vmcnt(16) lgkmcnt(1)
	v_fma_f64 v[123:124], v[159:160], v[123:124], v[135:136]
	s_waitcnt vmcnt(15)
	v_fma_f64 v[123:124], v[147:148], v[125:126], v[123:124]
	s_waitcnt vmcnt(14) lgkmcnt(0)
	v_fma_f64 v[123:124], v[145:146], v[127:128], v[123:124]
	s_waitcnt vmcnt(9)
	v_fma_f64 v[131:132], v[131:132], v[129:130], v[123:124]
	ds_read2_b64 v[123:126], v122 offset0:115 offset1:116
	ds_read2_b64 v[127:130], v122 offset0:117 offset1:118
	s_waitcnt vmcnt(8) lgkmcnt(1)
	v_fma_f64 v[123:124], v[165:166], v[123:124], v[131:132]
	s_waitcnt vmcnt(7)
	v_fma_f64 v[123:124], v[153:154], v[125:126], v[123:124]
	ds_read_b64 v[125:126], v122 offset:952
	s_waitcnt vmcnt(6) lgkmcnt(1)
	v_fma_f64 v[123:124], v[149:150], v[127:128], v[123:124]
	s_waitcnt vmcnt(3)
	v_fma_f64 v[123:124], v[133:134], v[129:130], v[123:124]
	s_waitcnt vmcnt(2) lgkmcnt(0)
	v_fma_f64 v[123:124], v[155:156], v[125:126], v[123:124]
	s_waitcnt vmcnt(0)
	v_add_f64 v[123:124], v[139:140], -v[123:124]
	buffer_store_dword v124, off, s[0:3], 0 offset:52
	buffer_store_dword v123, off, s[0:3], 0 offset:48
	v_cmpx_lt_u32_e32 5, v0
	s_cbranch_execz .LBB123_359
; %bb.358:
	s_clause 0x1
	buffer_load_dword v123, off, s[0:3], 0 offset:40
	buffer_load_dword v124, off, s[0:3], 0 offset:44
	buffer_store_dword v122, off, s[0:3], 0 offset:40
	buffer_store_dword v122, off, s[0:3], 0 offset:44
	s_waitcnt vmcnt(0)
	ds_write_b64 v121, v[123:124]
.LBB123_359:
	s_or_b32 exec_lo, exec_lo, s4
	s_waitcnt lgkmcnt(0)
	s_waitcnt_vscnt null, 0x0
	s_barrier
	buffer_gl0_inv
	s_clause 0x1c
	buffer_load_dword v131, off, s[0:3], 0 offset:48
	buffer_load_dword v132, off, s[0:3], 0 offset:52
	;; [unrolled: 1-line block ×29, first 2 shown]
	ds_read_b128 v[123:126], v122 offset:528
	ds_read_b128 v[127:130], v122 offset:544
	buffer_load_dword v156, off, s[0:3], 0 offset:164
	s_mov_b32 s4, exec_lo
	s_waitcnt vmcnt(28) lgkmcnt(1)
	v_fma_f64 v[123:124], v[131:132], v[123:124], 0
	s_clause 0x7
	buffer_load_dword v132, off, s[0:3], 0 offset:172
	buffer_load_dword v161, off, s[0:3], 0 offset:192
	buffer_load_dword v163, off, s[0:3], 0 offset:184
	buffer_load_dword v165, off, s[0:3], 0 offset:176
	buffer_load_dword v131, off, s[0:3], 0 offset:168
	buffer_load_dword v166, off, s[0:3], 0 offset:180
	buffer_load_dword v164, off, s[0:3], 0 offset:188
	buffer_load_dword v162, off, s[0:3], 0 offset:196
	s_waitcnt vmcnt(34)
	v_fma_f64 v[123:124], v[133:134], v[125:126], v[123:124]
	s_waitcnt vmcnt(32) lgkmcnt(0)
	v_fma_f64 v[123:124], v[135:136], v[127:128], v[123:124]
	s_waitcnt vmcnt(30)
	v_fma_f64 v[133:134], v[137:138], v[129:130], v[123:124]
	ds_read_b128 v[123:126], v122 offset:560
	ds_read_b128 v[127:130], v122 offset:576
	s_waitcnt vmcnt(28) lgkmcnt(1)
	v_fma_f64 v[123:124], v[139:140], v[123:124], v[133:134]
	s_clause 0x7
	buffer_load_dword v134, off, s[0:3], 0 offset:204
	buffer_load_dword v135, off, s[0:3], 0 offset:224
	buffer_load_dword v137, off, s[0:3], 0 offset:216
	buffer_load_dword v139, off, s[0:3], 0 offset:208
	buffer_load_dword v133, off, s[0:3], 0 offset:200
	buffer_load_dword v140, off, s[0:3], 0 offset:212
	buffer_load_dword v138, off, s[0:3], 0 offset:220
	buffer_load_dword v136, off, s[0:3], 0 offset:228
	s_waitcnt vmcnt(34)
	v_fma_f64 v[123:124], v[141:142], v[125:126], v[123:124]
	s_waitcnt vmcnt(32) lgkmcnt(0)
	v_fma_f64 v[123:124], v[143:144], v[127:128], v[123:124]
	s_waitcnt vmcnt(27)
	v_fma_f64 v[141:142], v[145:146], v[129:130], v[123:124]
	ds_read_b128 v[123:126], v122 offset:592
	ds_read_b128 v[127:130], v122 offset:608
	;; [unrolled: 19-line block ×9, first 2 shown]
	s_waitcnt vmcnt(26) lgkmcnt(1)
	v_fma_f64 v[123:124], v[163:164], v[123:124], v[133:134]
	s_clause 0x5
	buffer_load_dword v134, off, s[0:3], 0 offset:460
	buffer_load_dword v155, off, s[0:3], 0 offset:472
	;; [unrolled: 1-line block ×6, first 2 shown]
	s_waitcnt vmcnt(31)
	v_fma_f64 v[123:124], v[161:162], v[125:126], v[123:124]
	s_waitcnt vmcnt(30) lgkmcnt(0)
	v_fma_f64 v[123:124], v[139:140], v[127:128], v[123:124]
	s_waitcnt vmcnt(25)
	v_fma_f64 v[135:136], v[135:136], v[129:130], v[123:124]
	ds_read_b128 v[123:126], v122 offset:848
	s_clause 0x1
	buffer_load_dword v139, off, s[0:3], 0 offset:40
	buffer_load_dword v140, off, s[0:3], 0 offset:44
	ds_read_b128 v[127:130], v122 offset:864
	s_waitcnt vmcnt(26) lgkmcnt(1)
	v_fma_f64 v[123:124], v[151:152], v[123:124], v[135:136]
	s_waitcnt vmcnt(25)
	v_fma_f64 v[123:124], v[141:142], v[125:126], v[123:124]
	s_waitcnt vmcnt(24) lgkmcnt(0)
	v_fma_f64 v[123:124], v[137:138], v[127:128], v[123:124]
	s_waitcnt vmcnt(19)
	v_fma_f64 v[135:136], v[143:144], v[129:130], v[123:124]
	ds_read_b128 v[123:126], v122 offset:880
	ds_read_b128 v[127:130], v122 offset:896
	s_waitcnt vmcnt(18) lgkmcnt(1)
	v_fma_f64 v[123:124], v[159:160], v[123:124], v[135:136]
	s_waitcnt vmcnt(17)
	v_fma_f64 v[123:124], v[147:148], v[125:126], v[123:124]
	s_waitcnt vmcnt(16) lgkmcnt(0)
	v_fma_f64 v[123:124], v[145:146], v[127:128], v[123:124]
	s_waitcnt vmcnt(11)
	v_fma_f64 v[131:132], v[131:132], v[129:130], v[123:124]
	ds_read_b128 v[123:126], v122 offset:912
	;; [unrolled: 10-line block ×3, first 2 shown]
	s_waitcnt vmcnt(3) lgkmcnt(0)
	v_fma_f64 v[122:123], v[157:158], v[122:123], v[126:127]
	s_waitcnt vmcnt(2)
	v_fma_f64 v[122:123], v[155:156], v[124:125], v[122:123]
	s_waitcnt vmcnt(0)
	v_add_f64 v[122:123], v[139:140], -v[122:123]
	buffer_store_dword v123, off, s[0:3], 0 offset:44
	buffer_store_dword v122, off, s[0:3], 0 offset:40
	v_cmpx_lt_u32_e32 4, v0
	s_cbranch_execz .LBB123_361
; %bb.360:
	s_clause 0x1
	buffer_load_dword v122, off, s[0:3], 0 offset:32
	buffer_load_dword v123, off, s[0:3], 0 offset:36
	v_mov_b32_e32 v124, 0
	buffer_store_dword v124, off, s[0:3], 0 offset:32
	buffer_store_dword v124, off, s[0:3], 0 offset:36
	s_waitcnt vmcnt(0)
	ds_write_b64 v121, v[122:123]
.LBB123_361:
	s_or_b32 exec_lo, exec_lo, s4
	s_waitcnt lgkmcnt(0)
	s_waitcnt_vscnt null, 0x0
	s_barrier
	buffer_gl0_inv
	s_clause 0x1c
	buffer_load_dword v131, off, s[0:3], 0 offset:40
	buffer_load_dword v132, off, s[0:3], 0 offset:44
	buffer_load_dword v133, off, s[0:3], 0 offset:48
	buffer_load_dword v134, off, s[0:3], 0 offset:52
	buffer_load_dword v135, off, s[0:3], 0 offset:56
	buffer_load_dword v136, off, s[0:3], 0 offset:60
	buffer_load_dword v137, off, s[0:3], 0 offset:64
	buffer_load_dword v138, off, s[0:3], 0 offset:68
	buffer_load_dword v139, off, s[0:3], 0 offset:72
	buffer_load_dword v140, off, s[0:3], 0 offset:76
	buffer_load_dword v141, off, s[0:3], 0 offset:80
	buffer_load_dword v142, off, s[0:3], 0 offset:84
	buffer_load_dword v143, off, s[0:3], 0 offset:88
	buffer_load_dword v144, off, s[0:3], 0 offset:92
	buffer_load_dword v146, off, s[0:3], 0 offset:100
	buffer_load_dword v147, off, s[0:3], 0 offset:120
	buffer_load_dword v149, off, s[0:3], 0 offset:112
	buffer_load_dword v151, off, s[0:3], 0 offset:104
	buffer_load_dword v145, off, s[0:3], 0 offset:96
	buffer_load_dword v152, off, s[0:3], 0 offset:108
	buffer_load_dword v150, off, s[0:3], 0 offset:116
	buffer_load_dword v148, off, s[0:3], 0 offset:124
	buffer_load_dword v154, off, s[0:3], 0 offset:132
	buffer_load_dword v155, off, s[0:3], 0 offset:152
	buffer_load_dword v157, off, s[0:3], 0 offset:144
	buffer_load_dword v159, off, s[0:3], 0 offset:136
	buffer_load_dword v153, off, s[0:3], 0 offset:128
	buffer_load_dword v160, off, s[0:3], 0 offset:140
	buffer_load_dword v158, off, s[0:3], 0 offset:148
	v_mov_b32_e32 v122, 0
	buffer_load_dword v156, off, s[0:3], 0 offset:156
	s_mov_b32 s4, exec_lo
	ds_read2_b64 v[123:126], v122 offset0:65 offset1:66
	ds_read2_b64 v[127:130], v122 offset0:67 offset1:68
	s_waitcnt vmcnt(28) lgkmcnt(1)
	v_fma_f64 v[123:124], v[131:132], v[123:124], 0
	s_clause 0x7
	buffer_load_dword v132, off, s[0:3], 0 offset:164
	buffer_load_dword v161, off, s[0:3], 0 offset:184
	buffer_load_dword v163, off, s[0:3], 0 offset:176
	buffer_load_dword v165, off, s[0:3], 0 offset:168
	buffer_load_dword v131, off, s[0:3], 0 offset:160
	buffer_load_dword v166, off, s[0:3], 0 offset:172
	buffer_load_dword v164, off, s[0:3], 0 offset:180
	buffer_load_dword v162, off, s[0:3], 0 offset:188
	s_waitcnt vmcnt(34)
	v_fma_f64 v[123:124], v[133:134], v[125:126], v[123:124]
	s_waitcnt vmcnt(32) lgkmcnt(0)
	v_fma_f64 v[123:124], v[135:136], v[127:128], v[123:124]
	s_waitcnt vmcnt(30)
	v_fma_f64 v[133:134], v[137:138], v[129:130], v[123:124]
	ds_read2_b64 v[123:126], v122 offset0:69 offset1:70
	ds_read2_b64 v[127:130], v122 offset0:71 offset1:72
	s_waitcnt vmcnt(28) lgkmcnt(1)
	v_fma_f64 v[123:124], v[139:140], v[123:124], v[133:134]
	s_clause 0x7
	buffer_load_dword v134, off, s[0:3], 0 offset:196
	buffer_load_dword v135, off, s[0:3], 0 offset:216
	buffer_load_dword v137, off, s[0:3], 0 offset:208
	buffer_load_dword v139, off, s[0:3], 0 offset:200
	buffer_load_dword v133, off, s[0:3], 0 offset:192
	buffer_load_dword v140, off, s[0:3], 0 offset:204
	buffer_load_dword v138, off, s[0:3], 0 offset:212
	buffer_load_dword v136, off, s[0:3], 0 offset:220
	s_waitcnt vmcnt(34)
	v_fma_f64 v[123:124], v[141:142], v[125:126], v[123:124]
	s_waitcnt vmcnt(32) lgkmcnt(0)
	v_fma_f64 v[123:124], v[143:144], v[127:128], v[123:124]
	s_waitcnt vmcnt(27)
	v_fma_f64 v[141:142], v[145:146], v[129:130], v[123:124]
	;; [unrolled: 19-line block ×10, first 2 shown]
	ds_read2_b64 v[123:126], v122 offset0:105 offset1:106
	ds_read2_b64 v[127:130], v122 offset0:107 offset1:108
	s_waitcnt vmcnt(26) lgkmcnt(1)
	v_fma_f64 v[123:124], v[151:152], v[123:124], v[135:136]
	s_clause 0x1
	buffer_load_dword v135, off, s[0:3], 0 offset:32
	buffer_load_dword v136, off, s[0:3], 0 offset:36
	s_waitcnt vmcnt(27)
	v_fma_f64 v[123:124], v[141:142], v[125:126], v[123:124]
	s_waitcnt vmcnt(26) lgkmcnt(0)
	v_fma_f64 v[123:124], v[137:138], v[127:128], v[123:124]
	s_waitcnt vmcnt(21)
	v_fma_f64 v[137:138], v[143:144], v[129:130], v[123:124]
	ds_read2_b64 v[123:126], v122 offset0:109 offset1:110
	ds_read2_b64 v[127:130], v122 offset0:111 offset1:112
	s_waitcnt vmcnt(20) lgkmcnt(1)
	v_fma_f64 v[123:124], v[159:160], v[123:124], v[137:138]
	s_waitcnt vmcnt(19)
	v_fma_f64 v[123:124], v[147:148], v[125:126], v[123:124]
	s_waitcnt vmcnt(18) lgkmcnt(0)
	v_fma_f64 v[123:124], v[145:146], v[127:128], v[123:124]
	s_waitcnt vmcnt(13)
	v_fma_f64 v[131:132], v[131:132], v[129:130], v[123:124]
	ds_read2_b64 v[123:126], v122 offset0:113 offset1:114
	ds_read2_b64 v[127:130], v122 offset0:115 offset1:116
	s_waitcnt vmcnt(12) lgkmcnt(1)
	v_fma_f64 v[123:124], v[165:166], v[123:124], v[131:132]
	s_waitcnt vmcnt(11)
	v_fma_f64 v[123:124], v[153:154], v[125:126], v[123:124]
	s_waitcnt vmcnt(10) lgkmcnt(0)
	v_fma_f64 v[123:124], v[149:150], v[127:128], v[123:124]
	s_waitcnt vmcnt(5)
	v_fma_f64 v[127:128], v[133:134], v[129:130], v[123:124]
	ds_read2_b64 v[123:126], v122 offset0:117 offset1:118
	ds_read_b64 v[129:130], v122 offset:952
	s_waitcnt vmcnt(4) lgkmcnt(1)
	v_fma_f64 v[123:124], v[163:164], v[123:124], v[127:128]
	s_waitcnt vmcnt(3)
	v_fma_f64 v[123:124], v[157:158], v[125:126], v[123:124]
	s_waitcnt vmcnt(2) lgkmcnt(0)
	v_fma_f64 v[123:124], v[155:156], v[129:130], v[123:124]
	s_waitcnt vmcnt(0)
	v_add_f64 v[123:124], v[135:136], -v[123:124]
	buffer_store_dword v124, off, s[0:3], 0 offset:36
	buffer_store_dword v123, off, s[0:3], 0 offset:32
	v_cmpx_lt_u32_e32 3, v0
	s_cbranch_execz .LBB123_363
; %bb.362:
	s_clause 0x1
	buffer_load_dword v123, off, s[0:3], 0 offset:24
	buffer_load_dword v124, off, s[0:3], 0 offset:28
	buffer_store_dword v122, off, s[0:3], 0 offset:24
	buffer_store_dword v122, off, s[0:3], 0 offset:28
	s_waitcnt vmcnt(0)
	ds_write_b64 v121, v[123:124]
.LBB123_363:
	s_or_b32 exec_lo, exec_lo, s4
	s_waitcnt lgkmcnt(0)
	s_waitcnt_vscnt null, 0x0
	s_barrier
	buffer_gl0_inv
	s_clause 0x1c
	buffer_load_dword v131, off, s[0:3], 0 offset:32
	buffer_load_dword v132, off, s[0:3], 0 offset:36
	;; [unrolled: 1-line block ×29, first 2 shown]
	ds_read_b128 v[123:126], v122 offset:512
	ds_read_b128 v[127:130], v122 offset:528
	buffer_load_dword v156, off, s[0:3], 0 offset:148
	s_mov_b32 s4, exec_lo
	s_waitcnt vmcnt(28) lgkmcnt(1)
	v_fma_f64 v[123:124], v[131:132], v[123:124], 0
	s_clause 0x7
	buffer_load_dword v132, off, s[0:3], 0 offset:156
	buffer_load_dword v161, off, s[0:3], 0 offset:176
	buffer_load_dword v163, off, s[0:3], 0 offset:168
	buffer_load_dword v165, off, s[0:3], 0 offset:160
	buffer_load_dword v131, off, s[0:3], 0 offset:152
	buffer_load_dword v166, off, s[0:3], 0 offset:164
	buffer_load_dword v164, off, s[0:3], 0 offset:172
	buffer_load_dword v162, off, s[0:3], 0 offset:180
	s_waitcnt vmcnt(34)
	v_fma_f64 v[123:124], v[133:134], v[125:126], v[123:124]
	s_waitcnt vmcnt(32) lgkmcnt(0)
	v_fma_f64 v[123:124], v[135:136], v[127:128], v[123:124]
	s_waitcnt vmcnt(30)
	v_fma_f64 v[133:134], v[137:138], v[129:130], v[123:124]
	ds_read_b128 v[123:126], v122 offset:544
	ds_read_b128 v[127:130], v122 offset:560
	s_waitcnt vmcnt(28) lgkmcnt(1)
	v_fma_f64 v[123:124], v[139:140], v[123:124], v[133:134]
	s_clause 0x7
	buffer_load_dword v134, off, s[0:3], 0 offset:188
	buffer_load_dword v135, off, s[0:3], 0 offset:208
	buffer_load_dword v137, off, s[0:3], 0 offset:200
	buffer_load_dword v139, off, s[0:3], 0 offset:192
	buffer_load_dword v133, off, s[0:3], 0 offset:184
	buffer_load_dword v140, off, s[0:3], 0 offset:196
	buffer_load_dword v138, off, s[0:3], 0 offset:204
	buffer_load_dword v136, off, s[0:3], 0 offset:212
	s_waitcnt vmcnt(34)
	v_fma_f64 v[123:124], v[141:142], v[125:126], v[123:124]
	s_waitcnt vmcnt(32) lgkmcnt(0)
	v_fma_f64 v[123:124], v[143:144], v[127:128], v[123:124]
	s_waitcnt vmcnt(27)
	v_fma_f64 v[141:142], v[145:146], v[129:130], v[123:124]
	ds_read_b128 v[123:126], v122 offset:576
	ds_read_b128 v[127:130], v122 offset:592
	;; [unrolled: 19-line block ×10, first 2 shown]
	s_waitcnt vmcnt(26) lgkmcnt(1)
	v_fma_f64 v[123:124], v[151:152], v[123:124], v[135:136]
	s_clause 0x3
	buffer_load_dword v136, off, s[0:3], 0 offset:476
	buffer_load_dword v135, off, s[0:3], 0 offset:472
	;; [unrolled: 1-line block ×4, first 2 shown]
	s_waitcnt vmcnt(29)
	v_fma_f64 v[123:124], v[141:142], v[125:126], v[123:124]
	s_waitcnt vmcnt(28) lgkmcnt(0)
	v_fma_f64 v[123:124], v[137:138], v[127:128], v[123:124]
	s_waitcnt vmcnt(23)
	v_fma_f64 v[137:138], v[143:144], v[129:130], v[123:124]
	ds_read_b128 v[123:126], v122 offset:864
	ds_read_b128 v[127:130], v122 offset:880
	s_waitcnt vmcnt(22) lgkmcnt(1)
	v_fma_f64 v[123:124], v[159:160], v[123:124], v[137:138]
	s_waitcnt vmcnt(21)
	v_fma_f64 v[123:124], v[147:148], v[125:126], v[123:124]
	s_waitcnt vmcnt(20) lgkmcnt(0)
	v_fma_f64 v[123:124], v[145:146], v[127:128], v[123:124]
	s_waitcnt vmcnt(15)
	v_fma_f64 v[131:132], v[131:132], v[129:130], v[123:124]
	ds_read_b128 v[123:126], v122 offset:896
	ds_read_b128 v[127:130], v122 offset:912
	s_waitcnt vmcnt(14) lgkmcnt(1)
	v_fma_f64 v[123:124], v[165:166], v[123:124], v[131:132]
	;; [unrolled: 10-line block ×3, first 2 shown]
	s_waitcnt vmcnt(5)
	v_fma_f64 v[122:123], v[157:158], v[125:126], v[122:123]
	s_waitcnt vmcnt(4) lgkmcnt(0)
	v_fma_f64 v[122:123], v[155:156], v[127:128], v[122:123]
	s_waitcnt vmcnt(2)
	v_fma_f64 v[122:123], v[135:136], v[129:130], v[122:123]
	s_waitcnt vmcnt(0)
	v_add_f64 v[122:123], v[139:140], -v[122:123]
	buffer_store_dword v123, off, s[0:3], 0 offset:28
	buffer_store_dword v122, off, s[0:3], 0 offset:24
	v_cmpx_lt_u32_e32 2, v0
	s_cbranch_execz .LBB123_365
; %bb.364:
	s_clause 0x1
	buffer_load_dword v122, off, s[0:3], 0 offset:16
	buffer_load_dword v123, off, s[0:3], 0 offset:20
	v_mov_b32_e32 v124, 0
	buffer_store_dword v124, off, s[0:3], 0 offset:16
	buffer_store_dword v124, off, s[0:3], 0 offset:20
	s_waitcnt vmcnt(0)
	ds_write_b64 v121, v[122:123]
.LBB123_365:
	s_or_b32 exec_lo, exec_lo, s4
	s_waitcnt lgkmcnt(0)
	s_waitcnt_vscnt null, 0x0
	s_barrier
	buffer_gl0_inv
	s_clause 0x1c
	buffer_load_dword v131, off, s[0:3], 0 offset:24
	buffer_load_dword v132, off, s[0:3], 0 offset:28
	;; [unrolled: 1-line block ×29, first 2 shown]
	v_mov_b32_e32 v122, 0
	buffer_load_dword v156, off, s[0:3], 0 offset:140
	s_mov_b32 s4, exec_lo
	ds_read2_b64 v[123:126], v122 offset0:63 offset1:64
	ds_read2_b64 v[127:130], v122 offset0:65 offset1:66
	s_waitcnt vmcnt(28) lgkmcnt(1)
	v_fma_f64 v[123:124], v[131:132], v[123:124], 0
	s_clause 0x7
	buffer_load_dword v132, off, s[0:3], 0 offset:148
	buffer_load_dword v161, off, s[0:3], 0 offset:168
	buffer_load_dword v163, off, s[0:3], 0 offset:160
	buffer_load_dword v165, off, s[0:3], 0 offset:152
	buffer_load_dword v131, off, s[0:3], 0 offset:144
	buffer_load_dword v166, off, s[0:3], 0 offset:156
	buffer_load_dword v164, off, s[0:3], 0 offset:164
	buffer_load_dword v162, off, s[0:3], 0 offset:172
	s_waitcnt vmcnt(34)
	v_fma_f64 v[123:124], v[133:134], v[125:126], v[123:124]
	s_waitcnt vmcnt(32) lgkmcnt(0)
	v_fma_f64 v[123:124], v[135:136], v[127:128], v[123:124]
	s_waitcnt vmcnt(30)
	v_fma_f64 v[133:134], v[137:138], v[129:130], v[123:124]
	ds_read2_b64 v[123:126], v122 offset0:67 offset1:68
	ds_read2_b64 v[127:130], v122 offset0:69 offset1:70
	s_waitcnt vmcnt(28) lgkmcnt(1)
	v_fma_f64 v[123:124], v[139:140], v[123:124], v[133:134]
	s_clause 0x7
	buffer_load_dword v134, off, s[0:3], 0 offset:180
	buffer_load_dword v135, off, s[0:3], 0 offset:200
	buffer_load_dword v137, off, s[0:3], 0 offset:192
	buffer_load_dword v139, off, s[0:3], 0 offset:184
	buffer_load_dword v133, off, s[0:3], 0 offset:176
	buffer_load_dword v140, off, s[0:3], 0 offset:188
	buffer_load_dword v138, off, s[0:3], 0 offset:196
	buffer_load_dword v136, off, s[0:3], 0 offset:204
	s_waitcnt vmcnt(34)
	v_fma_f64 v[123:124], v[141:142], v[125:126], v[123:124]
	s_waitcnt vmcnt(32) lgkmcnt(0)
	v_fma_f64 v[123:124], v[143:144], v[127:128], v[123:124]
	s_waitcnt vmcnt(27)
	v_fma_f64 v[141:142], v[145:146], v[129:130], v[123:124]
	;; [unrolled: 19-line block ×10, first 2 shown]
	ds_read2_b64 v[123:126], v122 offset0:103 offset1:104
	ds_read2_b64 v[127:130], v122 offset0:105 offset1:106
	s_waitcnt vmcnt(26) lgkmcnt(1)
	v_fma_f64 v[123:124], v[151:152], v[123:124], v[135:136]
	s_clause 0x3
	buffer_load_dword v136, off, s[0:3], 0 offset:468
	buffer_load_dword v139, off, s[0:3], 0 offset:472
	;; [unrolled: 1-line block ×4, first 2 shown]
	s_waitcnt vmcnt(29)
	v_fma_f64 v[123:124], v[141:142], v[125:126], v[123:124]
	s_waitcnt vmcnt(28) lgkmcnt(0)
	v_fma_f64 v[123:124], v[137:138], v[127:128], v[123:124]
	s_clause 0x1
	buffer_load_dword v137, off, s[0:3], 0 offset:16
	buffer_load_dword v138, off, s[0:3], 0 offset:20
	s_waitcnt vmcnt(25)
	v_fma_f64 v[141:142], v[143:144], v[129:130], v[123:124]
	ds_read2_b64 v[123:126], v122 offset0:107 offset1:108
	ds_read2_b64 v[127:130], v122 offset0:109 offset1:110
	s_waitcnt vmcnt(24) lgkmcnt(1)
	v_fma_f64 v[123:124], v[159:160], v[123:124], v[141:142]
	s_waitcnt vmcnt(23)
	v_fma_f64 v[123:124], v[147:148], v[125:126], v[123:124]
	s_waitcnt vmcnt(22) lgkmcnt(0)
	v_fma_f64 v[123:124], v[145:146], v[127:128], v[123:124]
	s_waitcnt vmcnt(17)
	v_fma_f64 v[131:132], v[131:132], v[129:130], v[123:124]
	ds_read2_b64 v[123:126], v122 offset0:111 offset1:112
	ds_read2_b64 v[127:130], v122 offset0:113 offset1:114
	s_waitcnt vmcnt(16) lgkmcnt(1)
	v_fma_f64 v[123:124], v[165:166], v[123:124], v[131:132]
	s_waitcnt vmcnt(15)
	v_fma_f64 v[123:124], v[153:154], v[125:126], v[123:124]
	s_waitcnt vmcnt(14) lgkmcnt(0)
	v_fma_f64 v[123:124], v[149:150], v[127:128], v[123:124]
	s_waitcnt vmcnt(9)
	v_fma_f64 v[131:132], v[133:134], v[129:130], v[123:124]
	ds_read2_b64 v[123:126], v122 offset0:115 offset1:116
	ds_read2_b64 v[127:130], v122 offset0:117 offset1:118
	s_waitcnt vmcnt(8) lgkmcnt(1)
	v_fma_f64 v[123:124], v[163:164], v[123:124], v[131:132]
	s_waitcnt vmcnt(7)
	v_fma_f64 v[123:124], v[157:158], v[125:126], v[123:124]
	ds_read_b64 v[125:126], v122 offset:952
	s_waitcnt vmcnt(6) lgkmcnt(1)
	v_fma_f64 v[123:124], v[155:156], v[127:128], v[123:124]
	s_waitcnt vmcnt(3)
	v_fma_f64 v[123:124], v[135:136], v[129:130], v[123:124]
	s_waitcnt vmcnt(2) lgkmcnt(0)
	v_fma_f64 v[123:124], v[139:140], v[125:126], v[123:124]
	s_waitcnt vmcnt(0)
	v_add_f64 v[123:124], v[137:138], -v[123:124]
	buffer_store_dword v124, off, s[0:3], 0 offset:20
	buffer_store_dword v123, off, s[0:3], 0 offset:16
	v_cmpx_lt_u32_e32 1, v0
	s_cbranch_execz .LBB123_367
; %bb.366:
	s_clause 0x1
	buffer_load_dword v123, off, s[0:3], 0 offset:8
	buffer_load_dword v124, off, s[0:3], 0 offset:12
	buffer_store_dword v122, off, s[0:3], 0 offset:8
	buffer_store_dword v122, off, s[0:3], 0 offset:12
	s_waitcnt vmcnt(0)
	ds_write_b64 v121, v[123:124]
.LBB123_367:
	s_or_b32 exec_lo, exec_lo, s4
	s_waitcnt lgkmcnt(0)
	s_waitcnt_vscnt null, 0x0
	s_barrier
	buffer_gl0_inv
	s_clause 0x1c
	buffer_load_dword v131, off, s[0:3], 0 offset:16
	buffer_load_dword v132, off, s[0:3], 0 offset:20
	;; [unrolled: 1-line block ×29, first 2 shown]
	ds_read_b128 v[123:126], v122 offset:496
	ds_read_b128 v[127:130], v122 offset:512
	buffer_load_dword v156, off, s[0:3], 0 offset:132
	s_mov_b32 s4, exec_lo
	s_waitcnt vmcnt(28) lgkmcnt(1)
	v_fma_f64 v[123:124], v[131:132], v[123:124], 0
	s_clause 0x7
	buffer_load_dword v132, off, s[0:3], 0 offset:140
	buffer_load_dword v161, off, s[0:3], 0 offset:160
	buffer_load_dword v163, off, s[0:3], 0 offset:152
	buffer_load_dword v165, off, s[0:3], 0 offset:144
	buffer_load_dword v131, off, s[0:3], 0 offset:136
	buffer_load_dword v166, off, s[0:3], 0 offset:148
	buffer_load_dword v164, off, s[0:3], 0 offset:156
	buffer_load_dword v162, off, s[0:3], 0 offset:164
	s_waitcnt vmcnt(34)
	v_fma_f64 v[123:124], v[133:134], v[125:126], v[123:124]
	s_waitcnt vmcnt(32) lgkmcnt(0)
	v_fma_f64 v[123:124], v[135:136], v[127:128], v[123:124]
	s_waitcnt vmcnt(30)
	v_fma_f64 v[133:134], v[137:138], v[129:130], v[123:124]
	ds_read_b128 v[123:126], v122 offset:528
	ds_read_b128 v[127:130], v122 offset:544
	s_waitcnt vmcnt(28) lgkmcnt(1)
	v_fma_f64 v[123:124], v[139:140], v[123:124], v[133:134]
	s_clause 0x7
	buffer_load_dword v134, off, s[0:3], 0 offset:172
	buffer_load_dword v135, off, s[0:3], 0 offset:192
	buffer_load_dword v137, off, s[0:3], 0 offset:184
	buffer_load_dword v139, off, s[0:3], 0 offset:176
	buffer_load_dword v133, off, s[0:3], 0 offset:168
	buffer_load_dword v140, off, s[0:3], 0 offset:180
	buffer_load_dword v138, off, s[0:3], 0 offset:188
	buffer_load_dword v136, off, s[0:3], 0 offset:196
	s_waitcnt vmcnt(34)
	v_fma_f64 v[123:124], v[141:142], v[125:126], v[123:124]
	s_waitcnt vmcnt(32) lgkmcnt(0)
	v_fma_f64 v[123:124], v[143:144], v[127:128], v[123:124]
	s_waitcnt vmcnt(27)
	v_fma_f64 v[141:142], v[145:146], v[129:130], v[123:124]
	ds_read_b128 v[123:126], v122 offset:560
	ds_read_b128 v[127:130], v122 offset:576
	;; [unrolled: 19-line block ×10, first 2 shown]
	s_waitcnt vmcnt(26) lgkmcnt(1)
	v_fma_f64 v[123:124], v[151:152], v[123:124], v[135:136]
	s_clause 0x5
	buffer_load_dword v136, off, s[0:3], 0 offset:460
	buffer_load_dword v139, off, s[0:3], 0 offset:472
	;; [unrolled: 1-line block ×6, first 2 shown]
	s_waitcnt vmcnt(31)
	v_fma_f64 v[123:124], v[141:142], v[125:126], v[123:124]
	s_waitcnt vmcnt(30) lgkmcnt(0)
	v_fma_f64 v[123:124], v[137:138], v[127:128], v[123:124]
	s_waitcnt vmcnt(25)
	v_fma_f64 v[137:138], v[143:144], v[129:130], v[123:124]
	ds_read_b128 v[123:126], v122 offset:848
	s_clause 0x1
	buffer_load_dword v141, off, s[0:3], 0 offset:8
	buffer_load_dword v142, off, s[0:3], 0 offset:12
	ds_read_b128 v[127:130], v122 offset:864
	s_waitcnt vmcnt(26) lgkmcnt(1)
	v_fma_f64 v[123:124], v[159:160], v[123:124], v[137:138]
	s_waitcnt vmcnt(25)
	v_fma_f64 v[123:124], v[147:148], v[125:126], v[123:124]
	s_waitcnt vmcnt(24) lgkmcnt(0)
	v_fma_f64 v[123:124], v[145:146], v[127:128], v[123:124]
	s_waitcnt vmcnt(19)
	v_fma_f64 v[131:132], v[131:132], v[129:130], v[123:124]
	ds_read_b128 v[123:126], v122 offset:880
	ds_read_b128 v[127:130], v122 offset:896
	s_waitcnt vmcnt(18) lgkmcnt(1)
	v_fma_f64 v[123:124], v[165:166], v[123:124], v[131:132]
	s_waitcnt vmcnt(17)
	v_fma_f64 v[123:124], v[153:154], v[125:126], v[123:124]
	s_waitcnt vmcnt(16) lgkmcnt(0)
	v_fma_f64 v[123:124], v[149:150], v[127:128], v[123:124]
	s_waitcnt vmcnt(11)
	v_fma_f64 v[131:132], v[133:134], v[129:130], v[123:124]
	ds_read_b128 v[123:126], v122 offset:912
	;; [unrolled: 10-line block ×3, first 2 shown]
	s_waitcnt vmcnt(3) lgkmcnt(0)
	v_fma_f64 v[122:123], v[151:152], v[122:123], v[126:127]
	s_waitcnt vmcnt(2)
	v_fma_f64 v[122:123], v[139:140], v[124:125], v[122:123]
	s_waitcnt vmcnt(0)
	v_add_f64 v[122:123], v[141:142], -v[122:123]
	buffer_store_dword v123, off, s[0:3], 0 offset:12
	buffer_store_dword v122, off, s[0:3], 0 offset:8
	v_cmpx_ne_u32_e32 0, v0
	s_cbranch_execz .LBB123_369
; %bb.368:
	s_clause 0x1
	buffer_load_dword v122, off, s[0:3], 0
	buffer_load_dword v123, off, s[0:3], 0 offset:4
	v_mov_b32_e32 v0, 0
	buffer_store_dword v0, off, s[0:3], 0
	buffer_store_dword v0, off, s[0:3], 0 offset:4
	s_waitcnt vmcnt(0)
	ds_write_b64 v121, v[122:123]
.LBB123_369:
	s_or_b32 exec_lo, exec_lo, s4
	s_waitcnt lgkmcnt(0)
	s_waitcnt_vscnt null, 0x0
	s_barrier
	buffer_gl0_inv
	s_clause 0x1c
	buffer_load_dword v129, off, s[0:3], 0 offset:8
	buffer_load_dword v130, off, s[0:3], 0 offset:12
	;; [unrolled: 1-line block ×29, first 2 shown]
	v_mov_b32_e32 v0, 0
	buffer_load_dword v154, off, s[0:3], 0 offset:124
	s_and_b32 vcc_lo, exec_lo, s16
	ds_read2_b64 v[121:124], v0 offset0:61 offset1:62
	ds_read2_b64 v[125:128], v0 offset0:63 offset1:64
	s_waitcnt vmcnt(28) lgkmcnt(1)
	v_fma_f64 v[121:122], v[129:130], v[121:122], 0
	s_clause 0x7
	buffer_load_dword v130, off, s[0:3], 0 offset:132
	buffer_load_dword v159, off, s[0:3], 0 offset:152
	buffer_load_dword v161, off, s[0:3], 0 offset:144
	buffer_load_dword v163, off, s[0:3], 0 offset:136
	buffer_load_dword v129, off, s[0:3], 0 offset:128
	buffer_load_dword v164, off, s[0:3], 0 offset:140
	buffer_load_dword v162, off, s[0:3], 0 offset:148
	buffer_load_dword v160, off, s[0:3], 0 offset:156
	s_waitcnt vmcnt(34)
	v_fma_f64 v[121:122], v[131:132], v[123:124], v[121:122]
	s_waitcnt vmcnt(32) lgkmcnt(0)
	v_fma_f64 v[121:122], v[133:134], v[125:126], v[121:122]
	s_waitcnt vmcnt(30)
	v_fma_f64 v[131:132], v[135:136], v[127:128], v[121:122]
	ds_read2_b64 v[121:124], v0 offset0:65 offset1:66
	ds_read2_b64 v[125:128], v0 offset0:67 offset1:68
	s_waitcnt vmcnt(28) lgkmcnt(1)
	v_fma_f64 v[121:122], v[137:138], v[121:122], v[131:132]
	s_clause 0x7
	buffer_load_dword v132, off, s[0:3], 0 offset:164
	buffer_load_dword v133, off, s[0:3], 0 offset:184
	buffer_load_dword v135, off, s[0:3], 0 offset:176
	buffer_load_dword v137, off, s[0:3], 0 offset:168
	buffer_load_dword v131, off, s[0:3], 0 offset:160
	buffer_load_dword v138, off, s[0:3], 0 offset:172
	buffer_load_dword v136, off, s[0:3], 0 offset:180
	buffer_load_dword v134, off, s[0:3], 0 offset:188
	s_waitcnt vmcnt(34)
	v_fma_f64 v[121:122], v[139:140], v[123:124], v[121:122]
	s_waitcnt vmcnt(32) lgkmcnt(0)
	v_fma_f64 v[121:122], v[141:142], v[125:126], v[121:122]
	s_waitcnt vmcnt(27)
	v_fma_f64 v[139:140], v[143:144], v[127:128], v[121:122]
	;; [unrolled: 19-line block ×10, first 2 shown]
	ds_read2_b64 v[121:124], v0 offset0:101 offset1:102
	ds_read2_b64 v[125:128], v0 offset0:103 offset1:104
	s_waitcnt vmcnt(26) lgkmcnt(1)
	v_fma_f64 v[129:130], v[149:150], v[121:122], v[129:130]
	s_clause 0x6
	buffer_load_dword v134, off, s[0:3], 0 offset:452
	buffer_load_dword v137, off, s[0:3], 0 offset:472
	;; [unrolled: 1-line block ×7, first 2 shown]
	s_waitcnt vmcnt(32)
	v_fma_f64 v[122:123], v[139:140], v[123:124], v[129:130]
	s_waitcnt vmcnt(31) lgkmcnt(0)
	v_fma_f64 v[123:124], v[135:136], v[125:126], v[122:123]
	buffer_load_dword v122, off, s[0:3], 0 offset:468
	s_waitcnt vmcnt(27)
	v_fma_f64 v[135:136], v[141:142], v[127:128], v[123:124]
	ds_read2_b64 v[123:126], v0 offset0:105 offset1:106
	ds_read2_b64 v[127:130], v0 offset0:107 offset1:108
	s_waitcnt vmcnt(26) lgkmcnt(1)
	v_fma_f64 v[123:124], v[157:158], v[123:124], v[135:136]
	s_clause 0x1
	buffer_load_dword v135, off, s[0:3], 0
	buffer_load_dword v136, off, s[0:3], 0 offset:4
	s_waitcnt vmcnt(27)
	v_fma_f64 v[123:124], v[145:146], v[125:126], v[123:124]
	s_waitcnt vmcnt(26) lgkmcnt(0)
	v_fma_f64 v[123:124], v[143:144], v[127:128], v[123:124]
	s_waitcnt vmcnt(21)
	v_fma_f64 v[139:140], v[147:148], v[129:130], v[123:124]
	ds_read2_b64 v[123:126], v0 offset0:109 offset1:110
	ds_read2_b64 v[127:130], v0 offset0:111 offset1:112
	s_waitcnt vmcnt(20) lgkmcnt(1)
	v_fma_f64 v[123:124], v[165:166], v[123:124], v[139:140]
	s_waitcnt vmcnt(19)
	v_fma_f64 v[123:124], v[163:164], v[125:126], v[123:124]
	s_waitcnt vmcnt(18) lgkmcnt(0)
	v_fma_f64 v[123:124], v[151:152], v[127:128], v[123:124]
	s_waitcnt vmcnt(13)
	v_fma_f64 v[131:132], v[131:132], v[129:130], v[123:124]
	ds_read2_b64 v[123:126], v0 offset0:113 offset1:114
	ds_read2_b64 v[127:130], v0 offset0:115 offset1:116
	s_waitcnt vmcnt(12) lgkmcnt(1)
	v_fma_f64 v[123:124], v[161:162], v[123:124], v[131:132]
	s_waitcnt vmcnt(11)
	v_fma_f64 v[123:124], v[155:156], v[125:126], v[123:124]
	s_waitcnt vmcnt(10) lgkmcnt(0)
	v_fma_f64 v[123:124], v[153:154], v[127:128], v[123:124]
	s_waitcnt vmcnt(5)
	v_fma_f64 v[127:128], v[133:134], v[129:130], v[123:124]
	ds_read2_b64 v[123:126], v0 offset0:117 offset1:118
	ds_read_b64 v[129:130], v0 offset:952
	s_waitcnt vmcnt(4) lgkmcnt(1)
	v_fma_f64 v[123:124], v[149:150], v[123:124], v[127:128]
	s_waitcnt vmcnt(2)
	v_fma_f64 v[123:124], v[121:122], v[125:126], v[123:124]
	s_waitcnt lgkmcnt(0)
	v_fma_f64 v[123:124], v[137:138], v[129:130], v[123:124]
	s_waitcnt vmcnt(0)
	v_add_f64 v[123:124], v[135:136], -v[123:124]
	buffer_store_dword v124, off, s[0:3], 0 offset:4
	buffer_store_dword v123, off, s[0:3], 0
	s_cbranch_vccz .LBB123_488
; %bb.370:
	global_load_dword v0, v0, s[12:13] offset:232
	s_waitcnt vmcnt(0)
	v_add_nc_u32_e32 v0, -1, v0
	v_cmp_ne_u32_e32 vcc_lo, 58, v0
	s_cbranch_vccz .LBB123_372
; %bb.371:
	v_lshlrev_b32_e32 v0, 3, v0
	s_clause 0x1
	buffer_load_dword v123, v0, s[0:3], 0 offen offset:4
	buffer_load_dword v124, v0, s[0:3], 0 offen
	s_waitcnt vmcnt(1)
	buffer_store_dword v123, off, s[0:3], 0 offset:468
	s_waitcnt vmcnt(0)
	buffer_store_dword v124, off, s[0:3], 0 offset:464
	buffer_store_dword v122, v0, s[0:3], 0 offen offset:4
	buffer_store_dword v121, v0, s[0:3], 0 offen
.LBB123_372:
	v_mov_b32_e32 v0, 0
	global_load_dword v121, v0, s[12:13] offset:228
	s_waitcnt vmcnt(0)
	v_add_nc_u32_e32 v121, -1, v121
	v_cmp_eq_u32_e32 vcc_lo, 57, v121
	s_cbranch_vccnz .LBB123_374
; %bb.373:
	v_lshlrev_b32_e32 v121, 3, v121
	s_clause 0x3
	buffer_load_dword v122, v121, s[0:3], 0 offen
	buffer_load_dword v123, v121, s[0:3], 0 offen offset:4
	buffer_load_dword v124, off, s[0:3], 0 offset:456
	buffer_load_dword v125, off, s[0:3], 0 offset:460
	s_waitcnt vmcnt(3)
	buffer_store_dword v122, off, s[0:3], 0 offset:456
	s_waitcnt vmcnt(2)
	buffer_store_dword v123, off, s[0:3], 0 offset:460
	s_waitcnt vmcnt(1)
	buffer_store_dword v124, v121, s[0:3], 0 offen
	s_waitcnt vmcnt(0)
	buffer_store_dword v125, v121, s[0:3], 0 offen offset:4
.LBB123_374:
	global_load_dword v0, v0, s[12:13] offset:224
	s_waitcnt vmcnt(0)
	v_add_nc_u32_e32 v0, -1, v0
	v_cmp_eq_u32_e32 vcc_lo, 56, v0
	s_cbranch_vccnz .LBB123_376
; %bb.375:
	v_lshlrev_b32_e32 v0, 3, v0
	s_clause 0x3
	buffer_load_dword v121, v0, s[0:3], 0 offen
	buffer_load_dword v122, v0, s[0:3], 0 offen offset:4
	buffer_load_dword v123, off, s[0:3], 0 offset:452
	buffer_load_dword v124, off, s[0:3], 0 offset:448
	s_waitcnt vmcnt(3)
	buffer_store_dword v121, off, s[0:3], 0 offset:448
	s_waitcnt vmcnt(2)
	buffer_store_dword v122, off, s[0:3], 0 offset:452
	s_waitcnt vmcnt(1)
	buffer_store_dword v123, v0, s[0:3], 0 offen offset:4
	s_waitcnt vmcnt(0)
	buffer_store_dword v124, v0, s[0:3], 0 offen
.LBB123_376:
	v_mov_b32_e32 v0, 0
	global_load_dword v121, v0, s[12:13] offset:220
	s_waitcnt vmcnt(0)
	v_add_nc_u32_e32 v121, -1, v121
	v_cmp_eq_u32_e32 vcc_lo, 55, v121
	s_cbranch_vccnz .LBB123_378
; %bb.377:
	v_lshlrev_b32_e32 v121, 3, v121
	s_clause 0x3
	buffer_load_dword v122, v121, s[0:3], 0 offen
	buffer_load_dword v123, v121, s[0:3], 0 offen offset:4
	buffer_load_dword v124, off, s[0:3], 0 offset:440
	buffer_load_dword v125, off, s[0:3], 0 offset:444
	s_waitcnt vmcnt(3)
	buffer_store_dword v122, off, s[0:3], 0 offset:440
	s_waitcnt vmcnt(2)
	buffer_store_dword v123, off, s[0:3], 0 offset:444
	s_waitcnt vmcnt(1)
	buffer_store_dword v124, v121, s[0:3], 0 offen
	s_waitcnt vmcnt(0)
	buffer_store_dword v125, v121, s[0:3], 0 offen offset:4
.LBB123_378:
	global_load_dword v0, v0, s[12:13] offset:216
	s_waitcnt vmcnt(0)
	v_add_nc_u32_e32 v0, -1, v0
	v_cmp_eq_u32_e32 vcc_lo, 54, v0
	s_cbranch_vccnz .LBB123_380
; %bb.379:
	v_lshlrev_b32_e32 v0, 3, v0
	s_clause 0x3
	buffer_load_dword v121, v0, s[0:3], 0 offen
	buffer_load_dword v122, v0, s[0:3], 0 offen offset:4
	buffer_load_dword v123, off, s[0:3], 0 offset:436
	buffer_load_dword v124, off, s[0:3], 0 offset:432
	s_waitcnt vmcnt(3)
	buffer_store_dword v121, off, s[0:3], 0 offset:432
	s_waitcnt vmcnt(2)
	buffer_store_dword v122, off, s[0:3], 0 offset:436
	s_waitcnt vmcnt(1)
	buffer_store_dword v123, v0, s[0:3], 0 offen offset:4
	s_waitcnt vmcnt(0)
	buffer_store_dword v124, v0, s[0:3], 0 offen
.LBB123_380:
	;; [unrolled: 43-line block ×28, first 2 shown]
	v_mov_b32_e32 v0, 0
	global_load_dword v121, v0, s[12:13] offset:4
	s_waitcnt vmcnt(0)
	v_add_nc_u32_e32 v121, -1, v121
	v_cmp_eq_u32_e32 vcc_lo, 1, v121
	s_cbranch_vccnz .LBB123_486
; %bb.485:
	v_lshlrev_b32_e32 v121, 3, v121
	s_clause 0x3
	buffer_load_dword v122, v121, s[0:3], 0 offen
	buffer_load_dword v123, v121, s[0:3], 0 offen offset:4
	buffer_load_dword v124, off, s[0:3], 0 offset:8
	buffer_load_dword v125, off, s[0:3], 0 offset:12
	s_waitcnt vmcnt(3)
	buffer_store_dword v122, off, s[0:3], 0 offset:8
	s_waitcnt vmcnt(2)
	buffer_store_dword v123, off, s[0:3], 0 offset:12
	s_waitcnt vmcnt(1)
	buffer_store_dword v124, v121, s[0:3], 0 offen
	s_waitcnt vmcnt(0)
	buffer_store_dword v125, v121, s[0:3], 0 offen offset:4
.LBB123_486:
	global_load_dword v0, v0, s[12:13]
	s_clause 0x1
	buffer_load_dword v123, off, s[0:3], 0
	buffer_load_dword v124, off, s[0:3], 0 offset:4
	s_waitcnt vmcnt(2)
	v_add_nc_u32_e32 v0, -1, v0
	v_cmp_eq_u32_e32 vcc_lo, 0, v0
	s_cbranch_vccnz .LBB123_488
; %bb.487:
	v_lshlrev_b32_e32 v0, 3, v0
	s_clause 0x1
	buffer_load_dword v121, v0, s[0:3], 0 offen offset:4
	buffer_load_dword v122, v0, s[0:3], 0 offen
	s_waitcnt vmcnt(1)
	buffer_store_dword v121, off, s[0:3], 0 offset:4
	s_waitcnt vmcnt(0)
	buffer_store_dword v122, off, s[0:3], 0
	buffer_store_dword v124, v0, s[0:3], 0 offen offset:4
	buffer_store_dword v123, v0, s[0:3], 0 offen
	s_clause 0x1
	buffer_load_dword v123, off, s[0:3], 0
	buffer_load_dword v124, off, s[0:3], 0 offset:4
.LBB123_488:
	s_waitcnt vmcnt(0)
	flat_store_dwordx2 v[1:2], v[123:124]
	s_clause 0x1
	buffer_load_dword v0, off, s[0:3], 0 offset:8
	buffer_load_dword v1, off, s[0:3], 0 offset:12
	s_waitcnt vmcnt(0)
	flat_store_dwordx2 v[3:4], v[0:1]
	s_clause 0x1
	buffer_load_dword v0, off, s[0:3], 0 offset:16
	buffer_load_dword v1, off, s[0:3], 0 offset:20
	;; [unrolled: 5-line block ×59, first 2 shown]
	s_waitcnt vmcnt(0)
	flat_store_dwordx2 v[119:120], v[0:1]
	s_endpgm
	.section	.rodata,"a",@progbits
	.p2align	6, 0x0
	.amdhsa_kernel _ZN9rocsolver6v33100L18getri_kernel_smallILi60EdPKPdEEvT1_iilPiilS6_bb
		.amdhsa_group_segment_fixed_size 968
		.amdhsa_private_segment_fixed_size 496
		.amdhsa_kernarg_size 60
		.amdhsa_user_sgpr_count 6
		.amdhsa_user_sgpr_private_segment_buffer 1
		.amdhsa_user_sgpr_dispatch_ptr 0
		.amdhsa_user_sgpr_queue_ptr 0
		.amdhsa_user_sgpr_kernarg_segment_ptr 1
		.amdhsa_user_sgpr_dispatch_id 0
		.amdhsa_user_sgpr_flat_scratch_init 0
		.amdhsa_user_sgpr_private_segment_size 0
		.amdhsa_wavefront_size32 1
		.amdhsa_uses_dynamic_stack 0
		.amdhsa_system_sgpr_private_segment_wavefront_offset 1
		.amdhsa_system_sgpr_workgroup_id_x 1
		.amdhsa_system_sgpr_workgroup_id_y 0
		.amdhsa_system_sgpr_workgroup_id_z 0
		.amdhsa_system_sgpr_workgroup_info 0
		.amdhsa_system_vgpr_workitem_id 0
		.amdhsa_next_free_vgpr 167
		.amdhsa_next_free_sgpr 20
		.amdhsa_reserve_vcc 1
		.amdhsa_reserve_flat_scratch 0
		.amdhsa_float_round_mode_32 0
		.amdhsa_float_round_mode_16_64 0
		.amdhsa_float_denorm_mode_32 3
		.amdhsa_float_denorm_mode_16_64 3
		.amdhsa_dx10_clamp 1
		.amdhsa_ieee_mode 1
		.amdhsa_fp16_overflow 0
		.amdhsa_workgroup_processor_mode 1
		.amdhsa_memory_ordered 1
		.amdhsa_forward_progress 1
		.amdhsa_shared_vgpr_count 0
		.amdhsa_exception_fp_ieee_invalid_op 0
		.amdhsa_exception_fp_denorm_src 0
		.amdhsa_exception_fp_ieee_div_zero 0
		.amdhsa_exception_fp_ieee_overflow 0
		.amdhsa_exception_fp_ieee_underflow 0
		.amdhsa_exception_fp_ieee_inexact 0
		.amdhsa_exception_int_div_zero 0
	.end_amdhsa_kernel
	.section	.text._ZN9rocsolver6v33100L18getri_kernel_smallILi60EdPKPdEEvT1_iilPiilS6_bb,"axG",@progbits,_ZN9rocsolver6v33100L18getri_kernel_smallILi60EdPKPdEEvT1_iilPiilS6_bb,comdat
.Lfunc_end123:
	.size	_ZN9rocsolver6v33100L18getri_kernel_smallILi60EdPKPdEEvT1_iilPiilS6_bb, .Lfunc_end123-_ZN9rocsolver6v33100L18getri_kernel_smallILi60EdPKPdEEvT1_iilPiilS6_bb
                                        ; -- End function
	.set _ZN9rocsolver6v33100L18getri_kernel_smallILi60EdPKPdEEvT1_iilPiilS6_bb.num_vgpr, 167
	.set _ZN9rocsolver6v33100L18getri_kernel_smallILi60EdPKPdEEvT1_iilPiilS6_bb.num_agpr, 0
	.set _ZN9rocsolver6v33100L18getri_kernel_smallILi60EdPKPdEEvT1_iilPiilS6_bb.numbered_sgpr, 20
	.set _ZN9rocsolver6v33100L18getri_kernel_smallILi60EdPKPdEEvT1_iilPiilS6_bb.num_named_barrier, 0
	.set _ZN9rocsolver6v33100L18getri_kernel_smallILi60EdPKPdEEvT1_iilPiilS6_bb.private_seg_size, 496
	.set _ZN9rocsolver6v33100L18getri_kernel_smallILi60EdPKPdEEvT1_iilPiilS6_bb.uses_vcc, 1
	.set _ZN9rocsolver6v33100L18getri_kernel_smallILi60EdPKPdEEvT1_iilPiilS6_bb.uses_flat_scratch, 0
	.set _ZN9rocsolver6v33100L18getri_kernel_smallILi60EdPKPdEEvT1_iilPiilS6_bb.has_dyn_sized_stack, 0
	.set _ZN9rocsolver6v33100L18getri_kernel_smallILi60EdPKPdEEvT1_iilPiilS6_bb.has_recursion, 0
	.set _ZN9rocsolver6v33100L18getri_kernel_smallILi60EdPKPdEEvT1_iilPiilS6_bb.has_indirect_call, 0
	.section	.AMDGPU.csdata,"",@progbits
; Kernel info:
; codeLenInByte = 91800
; TotalNumSgprs: 22
; NumVgprs: 167
; ScratchSize: 496
; MemoryBound: 1
; FloatMode: 240
; IeeeMode: 1
; LDSByteSize: 968 bytes/workgroup (compile time only)
; SGPRBlocks: 0
; VGPRBlocks: 20
; NumSGPRsForWavesPerEU: 22
; NumVGPRsForWavesPerEU: 167
; Occupancy: 5
; WaveLimiterHint : 1
; COMPUTE_PGM_RSRC2:SCRATCH_EN: 1
; COMPUTE_PGM_RSRC2:USER_SGPR: 6
; COMPUTE_PGM_RSRC2:TRAP_HANDLER: 0
; COMPUTE_PGM_RSRC2:TGID_X_EN: 1
; COMPUTE_PGM_RSRC2:TGID_Y_EN: 0
; COMPUTE_PGM_RSRC2:TGID_Z_EN: 0
; COMPUTE_PGM_RSRC2:TIDIG_COMP_CNT: 0
	.section	.text._ZN9rocsolver6v33100L18getri_kernel_smallILi61EdPKPdEEvT1_iilPiilS6_bb,"axG",@progbits,_ZN9rocsolver6v33100L18getri_kernel_smallILi61EdPKPdEEvT1_iilPiilS6_bb,comdat
	.globl	_ZN9rocsolver6v33100L18getri_kernel_smallILi61EdPKPdEEvT1_iilPiilS6_bb ; -- Begin function _ZN9rocsolver6v33100L18getri_kernel_smallILi61EdPKPdEEvT1_iilPiilS6_bb
	.p2align	8
	.type	_ZN9rocsolver6v33100L18getri_kernel_smallILi61EdPKPdEEvT1_iilPiilS6_bb,@function
_ZN9rocsolver6v33100L18getri_kernel_smallILi61EdPKPdEEvT1_iilPiilS6_bb: ; @_ZN9rocsolver6v33100L18getri_kernel_smallILi61EdPKPdEEvT1_iilPiilS6_bb
; %bb.0:
	s_add_u32 s0, s0, s7
	s_addc_u32 s1, s1, 0
	s_mov_b32 s7, exec_lo
	v_cmpx_gt_u32_e32 61, v0
	s_cbranch_execz .LBB124_254
; %bb.1:
	s_clause 0x2
	s_load_dword s17, s[4:5], 0x38
	s_load_dwordx2 s[12:13], s[4:5], 0x0
	s_load_dwordx4 s[8:11], s[4:5], 0x28
	s_waitcnt lgkmcnt(0)
	s_bitcmp1_b32 s17, 8
	s_cselect_b32 s16, -1, 0
	s_ashr_i32 s7, s6, 31
	s_lshl_b64 s[14:15], s[6:7], 3
	s_add_u32 s12, s12, s14
	s_addc_u32 s13, s13, s15
	s_load_dwordx2 s[14:15], s[12:13], 0x0
	s_bfe_u32 s12, s17, 0x10008
	s_cmp_eq_u32 s12, 0
                                        ; implicit-def: $sgpr12_sgpr13
	s_cbranch_scc1 .LBB124_3
; %bb.2:
	s_clause 0x1
	s_load_dword s12, s[4:5], 0x20
	s_load_dwordx2 s[18:19], s[4:5], 0x18
	s_mul_i32 s13, s8, s7
	s_mul_hi_u32 s17, s8, s6
	s_mul_i32 s9, s9, s6
	s_add_i32 s13, s17, s13
	s_mul_i32 s8, s8, s6
	s_add_i32 s9, s13, s9
	s_lshl_b64 s[8:9], s[8:9], 2
	s_waitcnt lgkmcnt(0)
	s_ashr_i32 s13, s12, 31
	s_add_u32 s17, s18, s8
	s_addc_u32 s18, s19, s9
	s_lshl_b64 s[8:9], s[12:13], 2
	s_add_u32 s12, s17, s8
	s_addc_u32 s13, s18, s9
.LBB124_3:
	s_clause 0x1
	s_load_dwordx2 s[8:9], s[4:5], 0x8
	s_load_dword s17, s[4:5], 0x38
	v_lshlrev_b32_e32 v125, 3, v0
	s_waitcnt lgkmcnt(0)
	s_ashr_i32 s5, s8, 31
	s_mov_b32 s4, s8
	v_add3_u32 v9, s9, s9, v0
	s_lshl_b64 s[4:5], s[4:5], 3
	s_add_u32 s4, s14, s4
	s_addc_u32 s5, s15, s5
	v_add_co_u32 v1, s8, s4, v125
	v_add_co_ci_u32_e64 v2, null, s5, 0, s8
	s_mov_b32 s14, s9
	s_ashr_i32 s15, s9, 31
	v_ashrrev_i32_e32 v10, 31, v9
	flat_load_dwordx2 v[5:6], v[1:2]
	s_lshl_b64 s[14:15], s[14:15], 3
	v_add_nc_u32_e32 v12, s9, v9
	v_add_co_u32 v3, vcc_lo, v1, s14
	v_add_co_ci_u32_e64 v4, null, s15, v2, vcc_lo
	v_ashrrev_i32_e32 v13, 31, v12
	s_bitcmp0_b32 s17, 0
	s_waitcnt vmcnt(0) lgkmcnt(0)
	buffer_store_dword v6, off, s[0:3], 0 offset:4
	buffer_store_dword v5, off, s[0:3], 0
	flat_load_dwordx2 v[7:8], v[3:4]
	v_lshlrev_b64 v[5:6], 3, v[9:10]
	s_waitcnt vmcnt(0) lgkmcnt(0)
	buffer_store_dword v8, off, s[0:3], 0 offset:12
	buffer_store_dword v7, off, s[0:3], 0 offset:8
	v_add_co_u32 v5, vcc_lo, s4, v5
	v_add_co_ci_u32_e64 v6, null, s5, v6, vcc_lo
	v_lshlrev_b64 v[7:8], 3, v[12:13]
	flat_load_dwordx2 v[10:11], v[5:6]
	s_waitcnt vmcnt(0) lgkmcnt(0)
	buffer_store_dword v11, off, s[0:3], 0 offset:20
	buffer_store_dword v10, off, s[0:3], 0 offset:16
	v_add_co_u32 v7, vcc_lo, s4, v7
	v_add_co_ci_u32_e64 v8, null, s5, v8, vcc_lo
	v_add_nc_u32_e32 v11, s9, v12
	flat_load_dwordx2 v[13:14], v[7:8]
	s_waitcnt vmcnt(0) lgkmcnt(0)
	buffer_store_dword v14, off, s[0:3], 0 offset:28
	buffer_store_dword v13, off, s[0:3], 0 offset:24
	v_ashrrev_i32_e32 v12, 31, v11
	v_add_nc_u32_e32 v15, s9, v11
	v_lshlrev_b64 v[9:10], 3, v[11:12]
	v_ashrrev_i32_e32 v16, 31, v15
	v_add_nc_u32_e32 v18, s9, v15
	v_add_co_u32 v9, vcc_lo, s4, v9
	v_add_co_ci_u32_e64 v10, null, s5, v10, vcc_lo
	v_lshlrev_b64 v[11:12], 3, v[15:16]
	v_ashrrev_i32_e32 v19, 31, v18
	flat_load_dwordx2 v[13:14], v[9:10]
	s_waitcnt vmcnt(0) lgkmcnt(0)
	buffer_store_dword v14, off, s[0:3], 0 offset:36
	buffer_store_dword v13, off, s[0:3], 0 offset:32
	v_add_co_u32 v11, vcc_lo, s4, v11
	v_add_co_ci_u32_e64 v12, null, s5, v12, vcc_lo
	v_lshlrev_b64 v[13:14], 3, v[18:19]
	flat_load_dwordx2 v[16:17], v[11:12]
	s_waitcnt vmcnt(0) lgkmcnt(0)
	buffer_store_dword v17, off, s[0:3], 0 offset:44
	buffer_store_dword v16, off, s[0:3], 0 offset:40
	v_add_co_u32 v13, vcc_lo, s4, v13
	v_add_co_ci_u32_e64 v14, null, s5, v14, vcc_lo
	v_add_nc_u32_e32 v17, s9, v18
	flat_load_dwordx2 v[19:20], v[13:14]
	s_waitcnt vmcnt(0) lgkmcnt(0)
	buffer_store_dword v20, off, s[0:3], 0 offset:52
	buffer_store_dword v19, off, s[0:3], 0 offset:48
	v_ashrrev_i32_e32 v18, 31, v17
	v_add_nc_u32_e32 v21, s9, v17
	v_lshlrev_b64 v[15:16], 3, v[17:18]
	v_ashrrev_i32_e32 v22, 31, v21
	v_add_nc_u32_e32 v24, s9, v21
	v_add_co_u32 v15, vcc_lo, s4, v15
	v_add_co_ci_u32_e64 v16, null, s5, v16, vcc_lo
	v_lshlrev_b64 v[17:18], 3, v[21:22]
	v_ashrrev_i32_e32 v25, 31, v24
	flat_load_dwordx2 v[19:20], v[15:16]
	;; [unrolled: 27-line block ×18, first 2 shown]
	s_waitcnt vmcnt(0) lgkmcnt(0)
	buffer_store_dword v116, off, s[0:3], 0 offset:444
	buffer_store_dword v115, off, s[0:3], 0 offset:440
	v_add_co_u32 v113, vcc_lo, s4, v113
	v_add_co_ci_u32_e64 v114, null, s5, v114, vcc_lo
	v_lshlrev_b64 v[115:116], 3, v[120:121]
	flat_load_dwordx2 v[118:119], v[113:114]
	s_waitcnt vmcnt(0) lgkmcnt(0)
	buffer_store_dword v119, off, s[0:3], 0 offset:452
	buffer_store_dword v118, off, s[0:3], 0 offset:448
	v_add_co_u32 v115, vcc_lo, s4, v115
	v_add_co_ci_u32_e64 v116, null, s5, v116, vcc_lo
	v_add_nc_u32_e32 v119, s9, v120
	flat_load_dwordx2 v[121:122], v[115:116]
	s_waitcnt vmcnt(0) lgkmcnt(0)
	buffer_store_dword v122, off, s[0:3], 0 offset:460
	buffer_store_dword v121, off, s[0:3], 0 offset:456
	v_ashrrev_i32_e32 v120, 31, v119
	v_add_nc_u32_e32 v123, s9, v119
	v_lshlrev_b64 v[117:118], 3, v[119:120]
	v_ashrrev_i32_e32 v124, 31, v123
	v_add_co_u32 v117, vcc_lo, s4, v117
	v_add_co_ci_u32_e64 v118, null, s5, v118, vcc_lo
	v_lshlrev_b64 v[119:120], 3, v[123:124]
	flat_load_dwordx2 v[121:122], v[117:118]
	s_waitcnt vmcnt(0) lgkmcnt(0)
	buffer_store_dword v122, off, s[0:3], 0 offset:468
	buffer_store_dword v121, off, s[0:3], 0 offset:464
	v_add_co_u32 v119, vcc_lo, s4, v119
	v_add_co_ci_u32_e64 v120, null, s5, v120, vcc_lo
	v_add_nc_u32_e32 v121, s9, v123
	flat_load_dwordx2 v[126:127], v[119:120]
	s_waitcnt vmcnt(0) lgkmcnt(0)
	buffer_store_dword v127, off, s[0:3], 0 offset:476
	buffer_store_dword v126, off, s[0:3], 0 offset:472
	v_ashrrev_i32_e32 v122, 31, v121
	v_lshlrev_b64 v[121:122], 3, v[121:122]
	v_add_co_u32 v121, vcc_lo, s4, v121
	v_add_co_ci_u32_e64 v122, null, s5, v122, vcc_lo
	s_mov_b32 s5, -1
	flat_load_dwordx2 v[123:124], v[121:122]
	s_waitcnt vmcnt(0) lgkmcnt(0)
	buffer_store_dword v124, off, s[0:3], 0 offset:484
	buffer_store_dword v123, off, s[0:3], 0 offset:480
	s_cbranch_scc1 .LBB124_252
; %bb.4:
	v_cmp_eq_u32_e64 s4, 0, v0
	s_and_saveexec_b32 s5, s4
; %bb.5:
	v_mov_b32_e32 v123, 0
	ds_write_b32 v123, v123 offset:488
; %bb.6:
	s_or_b32 exec_lo, exec_lo, s5
	v_lshl_add_u32 v123, v0, 3, 0
	s_waitcnt lgkmcnt(0)
	s_waitcnt_vscnt null, 0x0
	s_barrier
	buffer_gl0_inv
	s_mov_b32 s8, exec_lo
	s_clause 0x1
	buffer_load_dword v126, v123, s[0:3], 0 offen
	buffer_load_dword v127, v123, s[0:3], 0 offen offset:4
	s_waitcnt vmcnt(0)
	v_cmpx_eq_f64_e32 0, v[126:127]
	s_cbranch_execz .LBB124_10
; %bb.7:
	v_mov_b32_e32 v124, 0
	s_mov_b32 s9, 0
	ds_read_b32 v126, v124 offset:488
	s_waitcnt lgkmcnt(0)
	v_readfirstlane_b32 s5, v126
	v_add_nc_u32_e32 v126, 1, v0
	s_cmp_eq_u32 s5, 0
	v_cmp_gt_i32_e32 vcc_lo, s5, v126
	s_cselect_b32 s14, -1, 0
	s_or_b32 s14, s14, vcc_lo
	s_and_b32 exec_lo, exec_lo, s14
	s_cbranch_execz .LBB124_10
; %bb.8:
	v_mov_b32_e32 v127, s5
.LBB124_9:                              ; =>This Inner Loop Header: Depth=1
	ds_cmpst_rtn_b32 v127, v124, v127, v126 offset:488
	s_waitcnt lgkmcnt(0)
	v_cmp_ne_u32_e32 vcc_lo, 0, v127
	v_cmp_le_i32_e64 s5, v127, v126
	s_and_b32 s5, vcc_lo, s5
	s_and_b32 s5, exec_lo, s5
	s_or_b32 s9, s5, s9
	s_andn2_b32 exec_lo, exec_lo, s9
	s_cbranch_execnz .LBB124_9
.LBB124_10:
	s_or_b32 exec_lo, exec_lo, s8
	v_mov_b32_e32 v124, 0
	s_barrier
	buffer_gl0_inv
	ds_read_b32 v126, v124 offset:488
	s_and_saveexec_b32 s5, s4
	s_cbranch_execz .LBB124_12
; %bb.11:
	s_lshl_b64 s[8:9], s[6:7], 2
	s_add_u32 s8, s10, s8
	s_addc_u32 s9, s11, s9
	s_waitcnt lgkmcnt(0)
	global_store_dword v124, v126, s[8:9]
.LBB124_12:
	s_or_b32 exec_lo, exec_lo, s5
	s_waitcnt lgkmcnt(0)
	v_cmp_ne_u32_e32 vcc_lo, 0, v126
	s_mov_b32 s5, 0
	s_cbranch_vccnz .LBB124_252
; %bb.13:
	s_clause 0x1
	buffer_load_dword v126, v123, s[0:3], 0 offen
	buffer_load_dword v127, v123, s[0:3], 0 offen offset:4
	s_waitcnt vmcnt(0)
	v_div_scale_f64 v[128:129], null, v[126:127], v[126:127], 1.0
	v_div_scale_f64 v[134:135], vcc_lo, 1.0, v[126:127], 1.0
	v_rcp_f64_e32 v[130:131], v[128:129]
	v_fma_f64 v[132:133], -v[128:129], v[130:131], 1.0
	v_fma_f64 v[130:131], v[130:131], v[132:133], v[130:131]
	v_fma_f64 v[132:133], -v[128:129], v[130:131], 1.0
	v_fma_f64 v[130:131], v[130:131], v[132:133], v[130:131]
	v_mul_f64 v[132:133], v[134:135], v[130:131]
	v_fma_f64 v[128:129], -v[128:129], v[132:133], v[134:135]
	v_div_fmas_f64 v[128:129], v[128:129], v[130:131], v[132:133]
	v_div_fixup_f64 v[127:128], v[128:129], v[126:127], 1.0
	v_add_nc_u32_e32 v126, 0x1f0, v125
	buffer_store_dword v128, v123, s[0:3], 0 offen offset:4
	buffer_store_dword v127, v123, s[0:3], 0 offen
	s_clause 0x1
	buffer_load_dword v130, off, s[0:3], 0 offset:12
	buffer_load_dword v129, off, s[0:3], 0 offset:8
	v_xor_b32_e32 v128, 0x80000000, v128
	s_waitcnt vmcnt(0)
	ds_write2_b64 v125, v[127:128], v[129:130] offset1:62
	s_waitcnt lgkmcnt(0)
	s_waitcnt_vscnt null, 0x0
	s_barrier
	buffer_gl0_inv
	s_and_saveexec_b32 s5, s4
	s_cbranch_execz .LBB124_15
; %bb.14:
	s_clause 0x1
	buffer_load_dword v127, v123, s[0:3], 0 offen
	buffer_load_dword v128, v123, s[0:3], 0 offen offset:4
	ds_read_b64 v[129:130], v126
	v_mov_b32_e32 v124, 0
	ds_read_b64 v[131:132], v124 offset:8
	s_waitcnt vmcnt(0) lgkmcnt(1)
	v_fma_f64 v[127:128], v[127:128], v[129:130], 0
	s_waitcnt lgkmcnt(0)
	v_mul_f64 v[127:128], v[127:128], v[131:132]
	buffer_store_dword v127, off, s[0:3], 0 offset:8
	buffer_store_dword v128, off, s[0:3], 0 offset:12
.LBB124_15:
	s_or_b32 exec_lo, exec_lo, s5
	s_waitcnt_vscnt null, 0x0
	s_barrier
	buffer_gl0_inv
	s_clause 0x1
	buffer_load_dword v127, off, s[0:3], 0 offset:16
	buffer_load_dword v128, off, s[0:3], 0 offset:20
	s_mov_b32 s5, exec_lo
	s_waitcnt vmcnt(0)
	ds_write_b64 v126, v[127:128]
	s_waitcnt lgkmcnt(0)
	s_barrier
	buffer_gl0_inv
	v_cmpx_gt_u32_e32 2, v0
	s_cbranch_execz .LBB124_19
; %bb.16:
	s_clause 0x1
	buffer_load_dword v127, v123, s[0:3], 0 offen
	buffer_load_dword v128, v123, s[0:3], 0 offen offset:4
	ds_read_b64 v[123:124], v126
	s_waitcnt vmcnt(0) lgkmcnt(0)
	v_fma_f64 v[123:124], v[127:128], v[123:124], 0
	s_and_saveexec_b32 s8, s4
	s_cbranch_execz .LBB124_18
; %bb.17:
	s_clause 0x1
	buffer_load_dword v127, off, s[0:3], 0 offset:8
	buffer_load_dword v128, off, s[0:3], 0 offset:12
	v_mov_b32_e32 v129, 0
	ds_read_b64 v[129:130], v129 offset:504
	s_waitcnt vmcnt(0) lgkmcnt(0)
	v_fma_f64 v[123:124], v[127:128], v[129:130], v[123:124]
.LBB124_18:
	s_or_b32 exec_lo, exec_lo, s8
	v_mov_b32_e32 v127, 0
	ds_read_b64 v[127:128], v127 offset:16
	s_waitcnt lgkmcnt(0)
	v_mul_f64 v[123:124], v[123:124], v[127:128]
	buffer_store_dword v124, off, s[0:3], 0 offset:20
	buffer_store_dword v123, off, s[0:3], 0 offset:16
.LBB124_19:
	s_or_b32 exec_lo, exec_lo, s5
	s_waitcnt_vscnt null, 0x0
	s_barrier
	buffer_gl0_inv
	s_clause 0x1
	buffer_load_dword v123, off, s[0:3], 0 offset:24
	buffer_load_dword v124, off, s[0:3], 0 offset:28
	v_add_nc_u32_e32 v127, -1, v0
	s_mov_b32 s4, exec_lo
	s_waitcnt vmcnt(0)
	ds_write_b64 v126, v[123:124]
	s_waitcnt lgkmcnt(0)
	s_barrier
	buffer_gl0_inv
	v_cmpx_gt_u32_e32 3, v0
	s_cbranch_execz .LBB124_23
; %bb.20:
	v_mov_b32_e32 v123, 0
	v_add_nc_u32_e32 v128, -1, v0
	v_add_nc_u32_e32 v129, 0x1f0, v125
	v_mov_b32_e32 v124, 0
	v_mov_b32_e32 v130, v125
	s_mov_b32 s5, 0
.LBB124_21:                             ; =>This Inner Loop Header: Depth=1
	s_clause 0x1
	buffer_load_dword v131, v130, s[0:3], 0 offen
	buffer_load_dword v132, v130, s[0:3], 0 offen offset:4
	ds_read_b64 v[133:134], v129
	v_add_nc_u32_e32 v128, 1, v128
	v_add_nc_u32_e32 v129, 8, v129
	v_add_nc_u32_e32 v130, 8, v130
	v_cmp_lt_u32_e32 vcc_lo, 1, v128
	s_or_b32 s5, vcc_lo, s5
	s_waitcnt vmcnt(0) lgkmcnt(0)
	v_fma_f64 v[123:124], v[131:132], v[133:134], v[123:124]
	s_andn2_b32 exec_lo, exec_lo, s5
	s_cbranch_execnz .LBB124_21
; %bb.22:
	s_or_b32 exec_lo, exec_lo, s5
	v_mov_b32_e32 v128, 0
	ds_read_b64 v[128:129], v128 offset:24
	s_waitcnt lgkmcnt(0)
	v_mul_f64 v[123:124], v[123:124], v[128:129]
	buffer_store_dword v124, off, s[0:3], 0 offset:28
	buffer_store_dword v123, off, s[0:3], 0 offset:24
.LBB124_23:
	s_or_b32 exec_lo, exec_lo, s4
	s_waitcnt_vscnt null, 0x0
	s_barrier
	buffer_gl0_inv
	s_clause 0x1
	buffer_load_dword v123, off, s[0:3], 0 offset:32
	buffer_load_dword v124, off, s[0:3], 0 offset:36
	s_mov_b32 s4, exec_lo
	s_waitcnt vmcnt(0)
	ds_write_b64 v126, v[123:124]
	s_waitcnt lgkmcnt(0)
	s_barrier
	buffer_gl0_inv
	v_cmpx_gt_u32_e32 4, v0
	s_cbranch_execz .LBB124_27
; %bb.24:
	v_mov_b32_e32 v123, 0
	v_add_nc_u32_e32 v128, -1, v0
	v_add_nc_u32_e32 v129, 0x1f0, v125
	v_mov_b32_e32 v124, 0
	v_mov_b32_e32 v130, v125
	s_mov_b32 s5, 0
.LBB124_25:                             ; =>This Inner Loop Header: Depth=1
	s_clause 0x1
	buffer_load_dword v131, v130, s[0:3], 0 offen
	buffer_load_dword v132, v130, s[0:3], 0 offen offset:4
	ds_read_b64 v[133:134], v129
	v_add_nc_u32_e32 v128, 1, v128
	v_add_nc_u32_e32 v129, 8, v129
	v_add_nc_u32_e32 v130, 8, v130
	v_cmp_lt_u32_e32 vcc_lo, 2, v128
	s_or_b32 s5, vcc_lo, s5
	s_waitcnt vmcnt(0) lgkmcnt(0)
	v_fma_f64 v[123:124], v[131:132], v[133:134], v[123:124]
	s_andn2_b32 exec_lo, exec_lo, s5
	s_cbranch_execnz .LBB124_25
; %bb.26:
	s_or_b32 exec_lo, exec_lo, s5
	v_mov_b32_e32 v128, 0
	ds_read_b64 v[128:129], v128 offset:32
	s_waitcnt lgkmcnt(0)
	v_mul_f64 v[123:124], v[123:124], v[128:129]
	buffer_store_dword v124, off, s[0:3], 0 offset:36
	buffer_store_dword v123, off, s[0:3], 0 offset:32
.LBB124_27:
	s_or_b32 exec_lo, exec_lo, s4
	s_waitcnt_vscnt null, 0x0
	s_barrier
	buffer_gl0_inv
	s_clause 0x1
	buffer_load_dword v123, off, s[0:3], 0 offset:40
	buffer_load_dword v124, off, s[0:3], 0 offset:44
	;; [unrolled: 45-line block ×20, first 2 shown]
	s_mov_b32 s4, exec_lo
	s_waitcnt vmcnt(0)
	ds_write_b64 v126, v[123:124]
	s_waitcnt lgkmcnt(0)
	s_barrier
	buffer_gl0_inv
	v_cmpx_gt_u32_e32 23, v0
	s_cbranch_execz .LBB124_103
; %bb.100:
	v_mov_b32_e32 v123, 0
	v_add_nc_u32_e32 v128, -1, v0
	v_add_nc_u32_e32 v129, 0x1f0, v125
	v_mov_b32_e32 v124, 0
	v_mov_b32_e32 v130, v125
	s_mov_b32 s5, 0
.LBB124_101:                            ; =>This Inner Loop Header: Depth=1
	s_clause 0x1
	buffer_load_dword v131, v130, s[0:3], 0 offen
	buffer_load_dword v132, v130, s[0:3], 0 offen offset:4
	ds_read_b64 v[133:134], v129
	v_add_nc_u32_e32 v128, 1, v128
	v_add_nc_u32_e32 v129, 8, v129
	v_add_nc_u32_e32 v130, 8, v130
	v_cmp_lt_u32_e32 vcc_lo, 21, v128
	s_or_b32 s5, vcc_lo, s5
	s_waitcnt vmcnt(0) lgkmcnt(0)
	v_fma_f64 v[123:124], v[131:132], v[133:134], v[123:124]
	s_andn2_b32 exec_lo, exec_lo, s5
	s_cbranch_execnz .LBB124_101
; %bb.102:
	s_or_b32 exec_lo, exec_lo, s5
	v_mov_b32_e32 v128, 0
	ds_read_b64 v[128:129], v128 offset:184
	s_waitcnt lgkmcnt(0)
	v_mul_f64 v[123:124], v[123:124], v[128:129]
	buffer_store_dword v124, off, s[0:3], 0 offset:188
	buffer_store_dword v123, off, s[0:3], 0 offset:184
.LBB124_103:
	s_or_b32 exec_lo, exec_lo, s4
	s_waitcnt_vscnt null, 0x0
	s_barrier
	buffer_gl0_inv
	s_clause 0x1
	buffer_load_dword v123, off, s[0:3], 0 offset:192
	buffer_load_dword v124, off, s[0:3], 0 offset:196
	s_mov_b32 s4, exec_lo
	s_waitcnt vmcnt(0)
	ds_write_b64 v126, v[123:124]
	s_waitcnt lgkmcnt(0)
	s_barrier
	buffer_gl0_inv
	v_cmpx_gt_u32_e32 24, v0
	s_cbranch_execz .LBB124_107
; %bb.104:
	v_mov_b32_e32 v123, 0
	v_add_nc_u32_e32 v128, -1, v0
	v_add_nc_u32_e32 v129, 0x1f0, v125
	v_mov_b32_e32 v124, 0
	v_mov_b32_e32 v130, v125
	s_mov_b32 s5, 0
.LBB124_105:                            ; =>This Inner Loop Header: Depth=1
	s_clause 0x1
	buffer_load_dword v131, v130, s[0:3], 0 offen
	buffer_load_dword v132, v130, s[0:3], 0 offen offset:4
	ds_read_b64 v[133:134], v129
	v_add_nc_u32_e32 v128, 1, v128
	v_add_nc_u32_e32 v129, 8, v129
	v_add_nc_u32_e32 v130, 8, v130
	v_cmp_lt_u32_e32 vcc_lo, 22, v128
	s_or_b32 s5, vcc_lo, s5
	s_waitcnt vmcnt(0) lgkmcnt(0)
	v_fma_f64 v[123:124], v[131:132], v[133:134], v[123:124]
	s_andn2_b32 exec_lo, exec_lo, s5
	s_cbranch_execnz .LBB124_105
; %bb.106:
	s_or_b32 exec_lo, exec_lo, s5
	v_mov_b32_e32 v128, 0
	ds_read_b64 v[128:129], v128 offset:192
	s_waitcnt lgkmcnt(0)
	v_mul_f64 v[123:124], v[123:124], v[128:129]
	buffer_store_dword v124, off, s[0:3], 0 offset:196
	buffer_store_dword v123, off, s[0:3], 0 offset:192
.LBB124_107:
	s_or_b32 exec_lo, exec_lo, s4
	s_waitcnt_vscnt null, 0x0
	s_barrier
	buffer_gl0_inv
	s_clause 0x1
	buffer_load_dword v123, off, s[0:3], 0 offset:200
	buffer_load_dword v124, off, s[0:3], 0 offset:204
	;; [unrolled: 45-line block ×37, first 2 shown]
	s_mov_b32 s4, exec_lo
	s_waitcnt vmcnt(0)
	ds_write_b64 v126, v[123:124]
	s_waitcnt lgkmcnt(0)
	s_barrier
	buffer_gl0_inv
	v_cmpx_ne_u32_e32 60, v0
	s_cbranch_execz .LBB124_251
; %bb.248:
	v_mov_b32_e32 v123, 0
	v_mov_b32_e32 v124, 0
	s_mov_b32 s5, 0
.LBB124_249:                            ; =>This Inner Loop Header: Depth=1
	s_clause 0x1
	buffer_load_dword v128, v125, s[0:3], 0 offen
	buffer_load_dword v129, v125, s[0:3], 0 offen offset:4
	ds_read_b64 v[130:131], v126
	v_add_nc_u32_e32 v127, 1, v127
	v_add_nc_u32_e32 v126, 8, v126
	;; [unrolled: 1-line block ×3, first 2 shown]
	v_cmp_lt_u32_e32 vcc_lo, 58, v127
	s_or_b32 s5, vcc_lo, s5
	s_waitcnt vmcnt(0) lgkmcnt(0)
	v_fma_f64 v[123:124], v[128:129], v[130:131], v[123:124]
	s_andn2_b32 exec_lo, exec_lo, s5
	s_cbranch_execnz .LBB124_249
; %bb.250:
	s_or_b32 exec_lo, exec_lo, s5
	v_mov_b32_e32 v125, 0
	ds_read_b64 v[125:126], v125 offset:480
	s_waitcnt lgkmcnt(0)
	v_mul_f64 v[123:124], v[123:124], v[125:126]
	buffer_store_dword v124, off, s[0:3], 0 offset:484
	buffer_store_dword v123, off, s[0:3], 0 offset:480
.LBB124_251:
	s_or_b32 exec_lo, exec_lo, s4
	s_mov_b32 s5, -1
	s_waitcnt_vscnt null, 0x0
	s_barrier
	buffer_gl0_inv
.LBB124_252:
	s_and_b32 vcc_lo, exec_lo, s5
	s_cbranch_vccz .LBB124_254
; %bb.253:
	s_lshl_b64 s[4:5], s[6:7], 2
	v_mov_b32_e32 v123, 0
	s_add_u32 s4, s10, s4
	s_addc_u32 s5, s11, s5
	global_load_dword v123, v123, s[4:5]
	s_waitcnt vmcnt(0)
	v_cmp_ne_u32_e32 vcc_lo, 0, v123
	s_cbranch_vccz .LBB124_255
.LBB124_254:
	s_endpgm
.LBB124_255:
	v_lshl_add_u32 v123, v0, 3, 0x1f0
	s_mov_b32 s4, exec_lo
	v_cmpx_eq_u32_e32 60, v0
	s_cbranch_execz .LBB124_257
; %bb.256:
	s_clause 0x1
	buffer_load_dword v124, off, s[0:3], 0 offset:472
	buffer_load_dword v125, off, s[0:3], 0 offset:476
	v_mov_b32_e32 v126, 0
	buffer_store_dword v126, off, s[0:3], 0 offset:472
	buffer_store_dword v126, off, s[0:3], 0 offset:476
	s_waitcnt vmcnt(0)
	ds_write_b64 v123, v[124:125]
.LBB124_257:
	s_or_b32 exec_lo, exec_lo, s4
	s_waitcnt lgkmcnt(0)
	s_waitcnt_vscnt null, 0x0
	s_barrier
	buffer_gl0_inv
	s_clause 0x3
	buffer_load_dword v125, off, s[0:3], 0 offset:480
	buffer_load_dword v126, off, s[0:3], 0 offset:484
	;; [unrolled: 1-line block ×4, first 2 shown]
	v_mov_b32_e32 v124, 0
	s_mov_b32 s4, exec_lo
	ds_read_b64 v[129:130], v124 offset:976
	s_waitcnt vmcnt(2) lgkmcnt(0)
	v_fma_f64 v[125:126], v[125:126], v[129:130], 0
	s_waitcnt vmcnt(0)
	v_add_f64 v[125:126], v[127:128], -v[125:126]
	buffer_store_dword v125, off, s[0:3], 0 offset:472
	buffer_store_dword v126, off, s[0:3], 0 offset:476
	v_cmpx_lt_u32_e32 58, v0
	s_cbranch_execz .LBB124_259
; %bb.258:
	s_clause 0x1
	buffer_load_dword v125, off, s[0:3], 0 offset:464
	buffer_load_dword v126, off, s[0:3], 0 offset:468
	buffer_store_dword v124, off, s[0:3], 0 offset:464
	buffer_store_dword v124, off, s[0:3], 0 offset:468
	s_waitcnt vmcnt(0)
	ds_write_b64 v123, v[125:126]
.LBB124_259:
	s_or_b32 exec_lo, exec_lo, s4
	s_waitcnt lgkmcnt(0)
	s_waitcnt_vscnt null, 0x0
	s_barrier
	buffer_gl0_inv
	s_clause 0x5
	buffer_load_dword v128, off, s[0:3], 0 offset:472
	buffer_load_dword v129, off, s[0:3], 0 offset:476
	buffer_load_dword v130, off, s[0:3], 0 offset:480
	buffer_load_dword v131, off, s[0:3], 0 offset:484
	buffer_load_dword v132, off, s[0:3], 0 offset:464
	buffer_load_dword v133, off, s[0:3], 0 offset:468
	ds_read2_b64 v[124:127], v124 offset0:121 offset1:122
	s_mov_b32 s4, exec_lo
	s_waitcnt vmcnt(4) lgkmcnt(0)
	v_fma_f64 v[124:125], v[128:129], v[124:125], 0
	s_waitcnt vmcnt(2)
	v_fma_f64 v[124:125], v[130:131], v[126:127], v[124:125]
	s_waitcnt vmcnt(0)
	v_add_f64 v[124:125], v[132:133], -v[124:125]
	buffer_store_dword v124, off, s[0:3], 0 offset:464
	buffer_store_dword v125, off, s[0:3], 0 offset:468
	v_cmpx_lt_u32_e32 57, v0
	s_cbranch_execz .LBB124_261
; %bb.260:
	s_clause 0x1
	buffer_load_dword v124, off, s[0:3], 0 offset:456
	buffer_load_dword v125, off, s[0:3], 0 offset:460
	v_mov_b32_e32 v126, 0
	buffer_store_dword v126, off, s[0:3], 0 offset:456
	buffer_store_dword v126, off, s[0:3], 0 offset:460
	s_waitcnt vmcnt(0)
	ds_write_b64 v123, v[124:125]
.LBB124_261:
	s_or_b32 exec_lo, exec_lo, s4
	s_waitcnt lgkmcnt(0)
	s_waitcnt_vscnt null, 0x0
	s_barrier
	buffer_gl0_inv
	s_clause 0x7
	buffer_load_dword v129, off, s[0:3], 0 offset:464
	buffer_load_dword v130, off, s[0:3], 0 offset:468
	;; [unrolled: 1-line block ×8, first 2 shown]
	v_mov_b32_e32 v124, 0
	ds_read_b128 v[125:128], v124 offset:960
	ds_read_b64 v[137:138], v124 offset:976
	s_mov_b32 s4, exec_lo
	s_waitcnt vmcnt(6) lgkmcnt(1)
	v_fma_f64 v[125:126], v[129:130], v[125:126], 0
	s_waitcnt vmcnt(4)
	v_fma_f64 v[125:126], v[131:132], v[127:128], v[125:126]
	s_waitcnt vmcnt(2) lgkmcnt(0)
	v_fma_f64 v[125:126], v[133:134], v[137:138], v[125:126]
	s_waitcnt vmcnt(0)
	v_add_f64 v[125:126], v[135:136], -v[125:126]
	buffer_store_dword v125, off, s[0:3], 0 offset:456
	buffer_store_dword v126, off, s[0:3], 0 offset:460
	v_cmpx_lt_u32_e32 56, v0
	s_cbranch_execz .LBB124_263
; %bb.262:
	s_clause 0x1
	buffer_load_dword v125, off, s[0:3], 0 offset:448
	buffer_load_dword v126, off, s[0:3], 0 offset:452
	buffer_store_dword v124, off, s[0:3], 0 offset:448
	buffer_store_dword v124, off, s[0:3], 0 offset:452
	s_waitcnt vmcnt(0)
	ds_write_b64 v123, v[125:126]
.LBB124_263:
	s_or_b32 exec_lo, exec_lo, s4
	s_waitcnt lgkmcnt(0)
	s_waitcnt_vscnt null, 0x0
	s_barrier
	buffer_gl0_inv
	s_clause 0x9
	buffer_load_dword v133, off, s[0:3], 0 offset:456
	buffer_load_dword v134, off, s[0:3], 0 offset:460
	;; [unrolled: 1-line block ×10, first 2 shown]
	ds_read2_b64 v[125:128], v124 offset0:119 offset1:120
	ds_read2_b64 v[129:132], v124 offset0:121 offset1:122
	s_mov_b32 s4, exec_lo
	s_waitcnt vmcnt(8) lgkmcnt(1)
	v_fma_f64 v[124:125], v[133:134], v[125:126], 0
	s_waitcnt vmcnt(6)
	v_fma_f64 v[124:125], v[135:136], v[127:128], v[124:125]
	s_waitcnt vmcnt(4) lgkmcnt(0)
	v_fma_f64 v[124:125], v[137:138], v[129:130], v[124:125]
	s_waitcnt vmcnt(2)
	v_fma_f64 v[124:125], v[139:140], v[131:132], v[124:125]
	s_waitcnt vmcnt(0)
	v_add_f64 v[124:125], v[141:142], -v[124:125]
	buffer_store_dword v124, off, s[0:3], 0 offset:448
	buffer_store_dword v125, off, s[0:3], 0 offset:452
	v_cmpx_lt_u32_e32 55, v0
	s_cbranch_execz .LBB124_265
; %bb.264:
	s_clause 0x1
	buffer_load_dword v124, off, s[0:3], 0 offset:440
	buffer_load_dword v125, off, s[0:3], 0 offset:444
	v_mov_b32_e32 v126, 0
	buffer_store_dword v126, off, s[0:3], 0 offset:440
	buffer_store_dword v126, off, s[0:3], 0 offset:444
	s_waitcnt vmcnt(0)
	ds_write_b64 v123, v[124:125]
.LBB124_265:
	s_or_b32 exec_lo, exec_lo, s4
	s_waitcnt lgkmcnt(0)
	s_waitcnt_vscnt null, 0x0
	s_barrier
	buffer_gl0_inv
	s_clause 0xb
	buffer_load_dword v133, off, s[0:3], 0 offset:448
	buffer_load_dword v134, off, s[0:3], 0 offset:452
	;; [unrolled: 1-line block ×12, first 2 shown]
	v_mov_b32_e32 v124, 0
	ds_read_b128 v[125:128], v124 offset:944
	ds_read_b128 v[129:132], v124 offset:960
	s_mov_b32 s4, exec_lo
	s_waitcnt vmcnt(10) lgkmcnt(1)
	v_fma_f64 v[125:126], v[133:134], v[125:126], 0
	s_waitcnt vmcnt(8)
	v_fma_f64 v[125:126], v[135:136], v[127:128], v[125:126]
	ds_read_b64 v[127:128], v124 offset:976
	s_waitcnt vmcnt(6) lgkmcnt(1)
	v_fma_f64 v[125:126], v[137:138], v[129:130], v[125:126]
	s_waitcnt vmcnt(4)
	v_fma_f64 v[125:126], v[139:140], v[131:132], v[125:126]
	s_waitcnt vmcnt(2) lgkmcnt(0)
	v_fma_f64 v[125:126], v[141:142], v[127:128], v[125:126]
	s_waitcnt vmcnt(0)
	v_add_f64 v[125:126], v[143:144], -v[125:126]
	buffer_store_dword v125, off, s[0:3], 0 offset:440
	buffer_store_dword v126, off, s[0:3], 0 offset:444
	v_cmpx_lt_u32_e32 54, v0
	s_cbranch_execz .LBB124_267
; %bb.266:
	s_clause 0x1
	buffer_load_dword v125, off, s[0:3], 0 offset:432
	buffer_load_dword v126, off, s[0:3], 0 offset:436
	buffer_store_dword v124, off, s[0:3], 0 offset:432
	buffer_store_dword v124, off, s[0:3], 0 offset:436
	s_waitcnt vmcnt(0)
	ds_write_b64 v123, v[125:126]
.LBB124_267:
	s_or_b32 exec_lo, exec_lo, s4
	s_waitcnt lgkmcnt(0)
	s_waitcnt_vscnt null, 0x0
	s_barrier
	buffer_gl0_inv
	s_clause 0xd
	buffer_load_dword v133, off, s[0:3], 0 offset:440
	buffer_load_dword v134, off, s[0:3], 0 offset:444
	buffer_load_dword v135, off, s[0:3], 0 offset:448
	buffer_load_dword v136, off, s[0:3], 0 offset:452
	buffer_load_dword v137, off, s[0:3], 0 offset:456
	buffer_load_dword v138, off, s[0:3], 0 offset:460
	buffer_load_dword v139, off, s[0:3], 0 offset:464
	buffer_load_dword v140, off, s[0:3], 0 offset:468
	buffer_load_dword v141, off, s[0:3], 0 offset:472
	buffer_load_dword v142, off, s[0:3], 0 offset:476
	buffer_load_dword v143, off, s[0:3], 0 offset:480
	buffer_load_dword v144, off, s[0:3], 0 offset:484
	buffer_load_dword v145, off, s[0:3], 0 offset:432
	buffer_load_dword v146, off, s[0:3], 0 offset:436
	ds_read2_b64 v[125:128], v124 offset0:117 offset1:118
	ds_read2_b64 v[129:132], v124 offset0:119 offset1:120
	s_mov_b32 s4, exec_lo
	s_waitcnt vmcnt(12) lgkmcnt(1)
	v_fma_f64 v[125:126], v[133:134], v[125:126], 0
	s_waitcnt vmcnt(10)
	v_fma_f64 v[125:126], v[135:136], v[127:128], v[125:126]
	s_waitcnt vmcnt(8) lgkmcnt(0)
	v_fma_f64 v[125:126], v[137:138], v[129:130], v[125:126]
	s_waitcnt vmcnt(6)
	v_fma_f64 v[128:129], v[139:140], v[131:132], v[125:126]
	ds_read2_b64 v[124:127], v124 offset0:121 offset1:122
	s_waitcnt vmcnt(4) lgkmcnt(0)
	v_fma_f64 v[124:125], v[141:142], v[124:125], v[128:129]
	s_waitcnt vmcnt(2)
	v_fma_f64 v[124:125], v[143:144], v[126:127], v[124:125]
	s_waitcnt vmcnt(0)
	v_add_f64 v[124:125], v[145:146], -v[124:125]
	buffer_store_dword v124, off, s[0:3], 0 offset:432
	buffer_store_dword v125, off, s[0:3], 0 offset:436
	v_cmpx_lt_u32_e32 53, v0
	s_cbranch_execz .LBB124_269
; %bb.268:
	s_clause 0x1
	buffer_load_dword v124, off, s[0:3], 0 offset:424
	buffer_load_dword v125, off, s[0:3], 0 offset:428
	v_mov_b32_e32 v126, 0
	buffer_store_dword v126, off, s[0:3], 0 offset:424
	buffer_store_dword v126, off, s[0:3], 0 offset:428
	s_waitcnt vmcnt(0)
	ds_write_b64 v123, v[124:125]
.LBB124_269:
	s_or_b32 exec_lo, exec_lo, s4
	s_waitcnt lgkmcnt(0)
	s_waitcnt_vscnt null, 0x0
	s_barrier
	buffer_gl0_inv
	s_clause 0xf
	buffer_load_dword v133, off, s[0:3], 0 offset:432
	buffer_load_dword v134, off, s[0:3], 0 offset:436
	;; [unrolled: 1-line block ×16, first 2 shown]
	v_mov_b32_e32 v124, 0
	ds_read_b128 v[125:128], v124 offset:928
	ds_read_b128 v[129:132], v124 offset:944
	s_mov_b32 s4, exec_lo
	s_waitcnt vmcnt(14) lgkmcnt(1)
	v_fma_f64 v[125:126], v[133:134], v[125:126], 0
	s_waitcnt vmcnt(12)
	v_fma_f64 v[125:126], v[135:136], v[127:128], v[125:126]
	s_waitcnt vmcnt(10) lgkmcnt(0)
	v_fma_f64 v[125:126], v[137:138], v[129:130], v[125:126]
	s_waitcnt vmcnt(8)
	v_fma_f64 v[129:130], v[139:140], v[131:132], v[125:126]
	ds_read_b128 v[125:128], v124 offset:960
	ds_read_b64 v[131:132], v124 offset:976
	s_waitcnt vmcnt(6) lgkmcnt(1)
	v_fma_f64 v[125:126], v[141:142], v[125:126], v[129:130]
	s_waitcnt vmcnt(4)
	v_fma_f64 v[125:126], v[143:144], v[127:128], v[125:126]
	s_waitcnt vmcnt(2) lgkmcnt(0)
	v_fma_f64 v[125:126], v[145:146], v[131:132], v[125:126]
	s_waitcnt vmcnt(0)
	v_add_f64 v[125:126], v[147:148], -v[125:126]
	buffer_store_dword v125, off, s[0:3], 0 offset:424
	buffer_store_dword v126, off, s[0:3], 0 offset:428
	v_cmpx_lt_u32_e32 52, v0
	s_cbranch_execz .LBB124_271
; %bb.270:
	s_clause 0x1
	buffer_load_dword v125, off, s[0:3], 0 offset:416
	buffer_load_dword v126, off, s[0:3], 0 offset:420
	buffer_store_dword v124, off, s[0:3], 0 offset:416
	buffer_store_dword v124, off, s[0:3], 0 offset:420
	s_waitcnt vmcnt(0)
	ds_write_b64 v123, v[125:126]
.LBB124_271:
	s_or_b32 exec_lo, exec_lo, s4
	s_waitcnt lgkmcnt(0)
	s_waitcnt_vscnt null, 0x0
	s_barrier
	buffer_gl0_inv
	s_clause 0x11
	buffer_load_dword v133, off, s[0:3], 0 offset:424
	buffer_load_dword v134, off, s[0:3], 0 offset:428
	;; [unrolled: 1-line block ×18, first 2 shown]
	ds_read2_b64 v[125:128], v124 offset0:115 offset1:116
	ds_read2_b64 v[129:132], v124 offset0:117 offset1:118
	s_mov_b32 s4, exec_lo
	s_waitcnt vmcnt(16) lgkmcnt(1)
	v_fma_f64 v[125:126], v[133:134], v[125:126], 0
	s_waitcnt vmcnt(14)
	v_fma_f64 v[125:126], v[135:136], v[127:128], v[125:126]
	s_waitcnt vmcnt(12) lgkmcnt(0)
	v_fma_f64 v[125:126], v[137:138], v[129:130], v[125:126]
	s_waitcnt vmcnt(10)
	v_fma_f64 v[133:134], v[139:140], v[131:132], v[125:126]
	ds_read2_b64 v[125:128], v124 offset0:119 offset1:120
	ds_read2_b64 v[129:132], v124 offset0:121 offset1:122
	s_waitcnt vmcnt(8) lgkmcnt(1)
	v_fma_f64 v[124:125], v[141:142], v[125:126], v[133:134]
	s_waitcnt vmcnt(6)
	v_fma_f64 v[124:125], v[143:144], v[127:128], v[124:125]
	s_waitcnt vmcnt(4) lgkmcnt(0)
	v_fma_f64 v[124:125], v[145:146], v[129:130], v[124:125]
	s_waitcnt vmcnt(2)
	v_fma_f64 v[124:125], v[147:148], v[131:132], v[124:125]
	s_waitcnt vmcnt(0)
	v_add_f64 v[124:125], v[149:150], -v[124:125]
	buffer_store_dword v124, off, s[0:3], 0 offset:416
	buffer_store_dword v125, off, s[0:3], 0 offset:420
	v_cmpx_lt_u32_e32 51, v0
	s_cbranch_execz .LBB124_273
; %bb.272:
	s_clause 0x1
	buffer_load_dword v124, off, s[0:3], 0 offset:408
	buffer_load_dword v125, off, s[0:3], 0 offset:412
	v_mov_b32_e32 v126, 0
	buffer_store_dword v126, off, s[0:3], 0 offset:408
	buffer_store_dword v126, off, s[0:3], 0 offset:412
	s_waitcnt vmcnt(0)
	ds_write_b64 v123, v[124:125]
.LBB124_273:
	s_or_b32 exec_lo, exec_lo, s4
	s_waitcnt lgkmcnt(0)
	s_waitcnt_vscnt null, 0x0
	s_barrier
	buffer_gl0_inv
	s_clause 0x13
	buffer_load_dword v133, off, s[0:3], 0 offset:416
	buffer_load_dword v134, off, s[0:3], 0 offset:420
	buffer_load_dword v135, off, s[0:3], 0 offset:424
	buffer_load_dword v136, off, s[0:3], 0 offset:428
	buffer_load_dword v137, off, s[0:3], 0 offset:432
	buffer_load_dword v138, off, s[0:3], 0 offset:436
	buffer_load_dword v139, off, s[0:3], 0 offset:440
	buffer_load_dword v140, off, s[0:3], 0 offset:444
	buffer_load_dword v141, off, s[0:3], 0 offset:448
	buffer_load_dword v142, off, s[0:3], 0 offset:452
	buffer_load_dword v143, off, s[0:3], 0 offset:456
	buffer_load_dword v144, off, s[0:3], 0 offset:460
	buffer_load_dword v145, off, s[0:3], 0 offset:464
	buffer_load_dword v146, off, s[0:3], 0 offset:468
	buffer_load_dword v148, off, s[0:3], 0 offset:476
	buffer_load_dword v149, off, s[0:3], 0 offset:480
	buffer_load_dword v147, off, s[0:3], 0 offset:472
	buffer_load_dword v150, off, s[0:3], 0 offset:484
	buffer_load_dword v151, off, s[0:3], 0 offset:408
	buffer_load_dword v152, off, s[0:3], 0 offset:412
	v_mov_b32_e32 v124, 0
	ds_read_b128 v[125:128], v124 offset:912
	ds_read_b128 v[129:132], v124 offset:928
	s_mov_b32 s4, exec_lo
	s_waitcnt vmcnt(18) lgkmcnt(1)
	v_fma_f64 v[125:126], v[133:134], v[125:126], 0
	s_waitcnt vmcnt(16)
	v_fma_f64 v[125:126], v[135:136], v[127:128], v[125:126]
	s_waitcnt vmcnt(14) lgkmcnt(0)
	v_fma_f64 v[125:126], v[137:138], v[129:130], v[125:126]
	s_waitcnt vmcnt(12)
	v_fma_f64 v[133:134], v[139:140], v[131:132], v[125:126]
	ds_read_b128 v[125:128], v124 offset:944
	ds_read_b128 v[129:132], v124 offset:960
	s_waitcnt vmcnt(10) lgkmcnt(1)
	v_fma_f64 v[125:126], v[141:142], v[125:126], v[133:134]
	s_waitcnt vmcnt(8)
	v_fma_f64 v[125:126], v[143:144], v[127:128], v[125:126]
	ds_read_b64 v[127:128], v124 offset:976
	s_waitcnt vmcnt(6) lgkmcnt(1)
	v_fma_f64 v[125:126], v[145:146], v[129:130], v[125:126]
	s_waitcnt vmcnt(3)
	v_fma_f64 v[125:126], v[147:148], v[131:132], v[125:126]
	s_waitcnt vmcnt(2) lgkmcnt(0)
	v_fma_f64 v[125:126], v[149:150], v[127:128], v[125:126]
	s_waitcnt vmcnt(0)
	v_add_f64 v[125:126], v[151:152], -v[125:126]
	buffer_store_dword v125, off, s[0:3], 0 offset:408
	buffer_store_dword v126, off, s[0:3], 0 offset:412
	v_cmpx_lt_u32_e32 50, v0
	s_cbranch_execz .LBB124_275
; %bb.274:
	s_clause 0x1
	buffer_load_dword v125, off, s[0:3], 0 offset:400
	buffer_load_dword v126, off, s[0:3], 0 offset:404
	buffer_store_dword v124, off, s[0:3], 0 offset:400
	buffer_store_dword v124, off, s[0:3], 0 offset:404
	s_waitcnt vmcnt(0)
	ds_write_b64 v123, v[125:126]
.LBB124_275:
	s_or_b32 exec_lo, exec_lo, s4
	s_waitcnt lgkmcnt(0)
	s_waitcnt_vscnt null, 0x0
	s_barrier
	buffer_gl0_inv
	s_clause 0x15
	buffer_load_dword v133, off, s[0:3], 0 offset:408
	buffer_load_dword v134, off, s[0:3], 0 offset:412
	;; [unrolled: 1-line block ×22, first 2 shown]
	ds_read2_b64 v[125:128], v124 offset0:113 offset1:114
	ds_read2_b64 v[129:132], v124 offset0:115 offset1:116
	s_mov_b32 s4, exec_lo
	s_waitcnt vmcnt(20) lgkmcnt(1)
	v_fma_f64 v[125:126], v[133:134], v[125:126], 0
	s_waitcnt vmcnt(18)
	v_fma_f64 v[125:126], v[135:136], v[127:128], v[125:126]
	s_waitcnt vmcnt(16) lgkmcnt(0)
	v_fma_f64 v[125:126], v[137:138], v[129:130], v[125:126]
	s_waitcnt vmcnt(14)
	v_fma_f64 v[133:134], v[139:140], v[131:132], v[125:126]
	ds_read2_b64 v[125:128], v124 offset0:117 offset1:118
	ds_read2_b64 v[129:132], v124 offset0:119 offset1:120
	s_waitcnt vmcnt(12) lgkmcnt(1)
	v_fma_f64 v[125:126], v[141:142], v[125:126], v[133:134]
	s_waitcnt vmcnt(10)
	v_fma_f64 v[125:126], v[143:144], v[127:128], v[125:126]
	s_waitcnt vmcnt(8) lgkmcnt(0)
	v_fma_f64 v[125:126], v[145:146], v[129:130], v[125:126]
	s_waitcnt vmcnt(4)
	v_fma_f64 v[128:129], v[147:148], v[131:132], v[125:126]
	ds_read2_b64 v[124:127], v124 offset0:121 offset1:122
	s_waitcnt vmcnt(3) lgkmcnt(0)
	v_fma_f64 v[124:125], v[151:152], v[124:125], v[128:129]
	s_waitcnt vmcnt(2)
	v_fma_f64 v[124:125], v[149:150], v[126:127], v[124:125]
	s_waitcnt vmcnt(0)
	v_add_f64 v[124:125], v[153:154], -v[124:125]
	buffer_store_dword v124, off, s[0:3], 0 offset:400
	buffer_store_dword v125, off, s[0:3], 0 offset:404
	v_cmpx_lt_u32_e32 49, v0
	s_cbranch_execz .LBB124_277
; %bb.276:
	s_clause 0x1
	buffer_load_dword v124, off, s[0:3], 0 offset:392
	buffer_load_dword v125, off, s[0:3], 0 offset:396
	v_mov_b32_e32 v126, 0
	buffer_store_dword v126, off, s[0:3], 0 offset:392
	buffer_store_dword v126, off, s[0:3], 0 offset:396
	s_waitcnt vmcnt(0)
	ds_write_b64 v123, v[124:125]
.LBB124_277:
	s_or_b32 exec_lo, exec_lo, s4
	s_waitcnt lgkmcnt(0)
	s_waitcnt_vscnt null, 0x0
	s_barrier
	buffer_gl0_inv
	s_clause 0x17
	buffer_load_dword v133, off, s[0:3], 0 offset:400
	buffer_load_dword v134, off, s[0:3], 0 offset:404
	;; [unrolled: 1-line block ×24, first 2 shown]
	v_mov_b32_e32 v124, 0
	ds_read_b128 v[125:128], v124 offset:896
	ds_read_b128 v[129:132], v124 offset:912
	s_mov_b32 s4, exec_lo
	s_waitcnt vmcnt(22) lgkmcnt(1)
	v_fma_f64 v[125:126], v[133:134], v[125:126], 0
	s_waitcnt vmcnt(20)
	v_fma_f64 v[125:126], v[135:136], v[127:128], v[125:126]
	s_waitcnt vmcnt(18) lgkmcnt(0)
	v_fma_f64 v[125:126], v[137:138], v[129:130], v[125:126]
	s_waitcnt vmcnt(16)
	v_fma_f64 v[133:134], v[139:140], v[131:132], v[125:126]
	ds_read_b128 v[125:128], v124 offset:928
	ds_read_b128 v[129:132], v124 offset:944
	s_waitcnt vmcnt(14) lgkmcnt(1)
	v_fma_f64 v[125:126], v[141:142], v[125:126], v[133:134]
	s_waitcnt vmcnt(12)
	v_fma_f64 v[125:126], v[143:144], v[127:128], v[125:126]
	s_waitcnt vmcnt(10) lgkmcnt(0)
	v_fma_f64 v[125:126], v[145:146], v[129:130], v[125:126]
	s_waitcnt vmcnt(5)
	v_fma_f64 v[129:130], v[147:148], v[131:132], v[125:126]
	ds_read_b128 v[125:128], v124 offset:960
	ds_read_b64 v[131:132], v124 offset:976
	s_waitcnt vmcnt(4) lgkmcnt(1)
	v_fma_f64 v[125:126], v[153:154], v[125:126], v[129:130]
	s_waitcnt vmcnt(3)
	v_fma_f64 v[125:126], v[151:152], v[127:128], v[125:126]
	s_waitcnt vmcnt(2) lgkmcnt(0)
	v_fma_f64 v[125:126], v[149:150], v[131:132], v[125:126]
	s_waitcnt vmcnt(0)
	v_add_f64 v[125:126], v[155:156], -v[125:126]
	buffer_store_dword v126, off, s[0:3], 0 offset:396
	buffer_store_dword v125, off, s[0:3], 0 offset:392
	v_cmpx_lt_u32_e32 48, v0
	s_cbranch_execz .LBB124_279
; %bb.278:
	s_clause 0x1
	buffer_load_dword v125, off, s[0:3], 0 offset:384
	buffer_load_dword v126, off, s[0:3], 0 offset:388
	buffer_store_dword v124, off, s[0:3], 0 offset:384
	buffer_store_dword v124, off, s[0:3], 0 offset:388
	s_waitcnt vmcnt(0)
	ds_write_b64 v123, v[125:126]
.LBB124_279:
	s_or_b32 exec_lo, exec_lo, s4
	s_waitcnt lgkmcnt(0)
	s_waitcnt_vscnt null, 0x0
	s_barrier
	buffer_gl0_inv
	s_clause 0x19
	buffer_load_dword v129, off, s[0:3], 0 offset:392
	buffer_load_dword v130, off, s[0:3], 0 offset:396
	;; [unrolled: 1-line block ×26, first 2 shown]
	ds_read2_b64 v[125:128], v124 offset0:111 offset1:112
	s_mov_b32 s4, exec_lo
	s_waitcnt vmcnt(24) lgkmcnt(0)
	v_fma_f64 v[125:126], v[129:130], v[125:126], 0
	s_waitcnt vmcnt(22)
	v_fma_f64 v[129:130], v[131:132], v[127:128], v[125:126]
	ds_read2_b64 v[125:128], v124 offset0:113 offset1:114
	s_waitcnt vmcnt(20) lgkmcnt(0)
	v_fma_f64 v[125:126], v[133:134], v[125:126], v[129:130]
	s_waitcnt vmcnt(18)
	v_fma_f64 v[129:130], v[135:136], v[127:128], v[125:126]
	ds_read2_b64 v[125:128], v124 offset0:115 offset1:116
	;; [unrolled: 5-line block ×5, first 2 shown]
	s_waitcnt vmcnt(4) lgkmcnt(0)
	v_fma_f64 v[124:125], v[149:150], v[124:125], v[128:129]
	s_waitcnt vmcnt(2)
	v_fma_f64 v[124:125], v[151:152], v[126:127], v[124:125]
	s_waitcnt vmcnt(0)
	v_add_f64 v[124:125], v[153:154], -v[124:125]
	buffer_store_dword v125, off, s[0:3], 0 offset:388
	buffer_store_dword v124, off, s[0:3], 0 offset:384
	v_cmpx_lt_u32_e32 47, v0
	s_cbranch_execz .LBB124_281
; %bb.280:
	s_clause 0x1
	buffer_load_dword v124, off, s[0:3], 0 offset:376
	buffer_load_dword v125, off, s[0:3], 0 offset:380
	v_mov_b32_e32 v126, 0
	buffer_store_dword v126, off, s[0:3], 0 offset:376
	buffer_store_dword v126, off, s[0:3], 0 offset:380
	s_waitcnt vmcnt(0)
	ds_write_b64 v123, v[124:125]
.LBB124_281:
	s_or_b32 exec_lo, exec_lo, s4
	s_waitcnt lgkmcnt(0)
	s_waitcnt_vscnt null, 0x0
	s_barrier
	buffer_gl0_inv
	s_clause 0x1b
	buffer_load_dword v129, off, s[0:3], 0 offset:384
	buffer_load_dword v130, off, s[0:3], 0 offset:388
	;; [unrolled: 1-line block ×28, first 2 shown]
	v_mov_b32_e32 v124, 0
	s_mov_b32 s4, exec_lo
	ds_read_b128 v[125:128], v124 offset:880
	s_waitcnt vmcnt(26) lgkmcnt(0)
	v_fma_f64 v[125:126], v[129:130], v[125:126], 0
	s_waitcnt vmcnt(24)
	v_fma_f64 v[129:130], v[131:132], v[127:128], v[125:126]
	ds_read_b128 v[125:128], v124 offset:896
	s_waitcnt vmcnt(22) lgkmcnt(0)
	v_fma_f64 v[125:126], v[133:134], v[125:126], v[129:130]
	s_waitcnt vmcnt(20)
	v_fma_f64 v[129:130], v[135:136], v[127:128], v[125:126]
	;; [unrolled: 5-line block ×6, first 2 shown]
	ds_read_b64 v[127:128], v124 offset:976
	s_waitcnt vmcnt(2) lgkmcnt(0)
	v_fma_f64 v[125:126], v[153:154], v[127:128], v[125:126]
	s_waitcnt vmcnt(0)
	v_add_f64 v[125:126], v[155:156], -v[125:126]
	buffer_store_dword v126, off, s[0:3], 0 offset:380
	buffer_store_dword v125, off, s[0:3], 0 offset:376
	v_cmpx_lt_u32_e32 46, v0
	s_cbranch_execz .LBB124_283
; %bb.282:
	s_clause 0x1
	buffer_load_dword v125, off, s[0:3], 0 offset:368
	buffer_load_dword v126, off, s[0:3], 0 offset:372
	buffer_store_dword v124, off, s[0:3], 0 offset:368
	buffer_store_dword v124, off, s[0:3], 0 offset:372
	s_waitcnt vmcnt(0)
	ds_write_b64 v123, v[125:126]
.LBB124_283:
	s_or_b32 exec_lo, exec_lo, s4
	s_waitcnt lgkmcnt(0)
	s_waitcnt_vscnt null, 0x0
	s_barrier
	buffer_gl0_inv
	s_clause 0x1b
	buffer_load_dword v129, off, s[0:3], 0 offset:376
	buffer_load_dword v130, off, s[0:3], 0 offset:380
	;; [unrolled: 1-line block ×28, first 2 shown]
	ds_read2_b64 v[125:128], v124 offset0:109 offset1:110
	s_clause 0x1
	buffer_load_dword v157, off, s[0:3], 0 offset:368
	buffer_load_dword v158, off, s[0:3], 0 offset:372
	s_mov_b32 s4, exec_lo
	s_waitcnt vmcnt(28) lgkmcnt(0)
	v_fma_f64 v[125:126], v[129:130], v[125:126], 0
	s_waitcnt vmcnt(26)
	v_fma_f64 v[129:130], v[131:132], v[127:128], v[125:126]
	ds_read2_b64 v[125:128], v124 offset0:111 offset1:112
	s_waitcnt vmcnt(24) lgkmcnt(0)
	v_fma_f64 v[125:126], v[133:134], v[125:126], v[129:130]
	s_waitcnt vmcnt(22)
	v_fma_f64 v[129:130], v[135:136], v[127:128], v[125:126]
	ds_read2_b64 v[125:128], v124 offset0:113 offset1:114
	;; [unrolled: 5-line block ×6, first 2 shown]
	s_waitcnt vmcnt(4) lgkmcnt(0)
	v_fma_f64 v[124:125], v[153:154], v[124:125], v[128:129]
	s_waitcnt vmcnt(2)
	v_fma_f64 v[124:125], v[155:156], v[126:127], v[124:125]
	s_waitcnt vmcnt(0)
	v_add_f64 v[124:125], v[157:158], -v[124:125]
	buffer_store_dword v125, off, s[0:3], 0 offset:372
	buffer_store_dword v124, off, s[0:3], 0 offset:368
	v_cmpx_lt_u32_e32 45, v0
	s_cbranch_execz .LBB124_285
; %bb.284:
	s_clause 0x1
	buffer_load_dword v124, off, s[0:3], 0 offset:360
	buffer_load_dword v125, off, s[0:3], 0 offset:364
	v_mov_b32_e32 v126, 0
	buffer_store_dword v126, off, s[0:3], 0 offset:360
	buffer_store_dword v126, off, s[0:3], 0 offset:364
	s_waitcnt vmcnt(0)
	ds_write_b64 v123, v[124:125]
.LBB124_285:
	s_or_b32 exec_lo, exec_lo, s4
	s_waitcnt lgkmcnt(0)
	s_waitcnt_vscnt null, 0x0
	s_barrier
	buffer_gl0_inv
	s_clause 0x1c
	buffer_load_dword v133, off, s[0:3], 0 offset:368
	buffer_load_dword v134, off, s[0:3], 0 offset:372
	;; [unrolled: 1-line block ×29, first 2 shown]
	v_mov_b32_e32 v124, 0
	buffer_load_dword v158, off, s[0:3], 0 offset:484
	s_mov_b32 s4, exec_lo
	ds_read_b128 v[125:128], v124 offset:864
	ds_read_b128 v[129:132], v124 offset:880
	s_waitcnt vmcnt(28) lgkmcnt(1)
	v_fma_f64 v[125:126], v[133:134], v[125:126], 0
	s_clause 0x1
	buffer_load_dword v133, off, s[0:3], 0 offset:360
	buffer_load_dword v134, off, s[0:3], 0 offset:364
	s_waitcnt vmcnt(28)
	v_fma_f64 v[125:126], v[135:136], v[127:128], v[125:126]
	s_waitcnt vmcnt(26) lgkmcnt(0)
	v_fma_f64 v[125:126], v[137:138], v[129:130], v[125:126]
	s_waitcnt vmcnt(24)
	v_fma_f64 v[135:136], v[139:140], v[131:132], v[125:126]
	ds_read_b128 v[125:128], v124 offset:896
	ds_read_b128 v[129:132], v124 offset:912
	s_waitcnt vmcnt(22) lgkmcnt(1)
	v_fma_f64 v[125:126], v[141:142], v[125:126], v[135:136]
	s_waitcnt vmcnt(20)
	v_fma_f64 v[125:126], v[143:144], v[127:128], v[125:126]
	s_waitcnt vmcnt(18) lgkmcnt(0)
	v_fma_f64 v[125:126], v[145:146], v[129:130], v[125:126]
	s_waitcnt vmcnt(13)
	v_fma_f64 v[135:136], v[147:148], v[131:132], v[125:126]
	ds_read_b128 v[125:128], v124 offset:928
	ds_read_b128 v[129:132], v124 offset:944
	s_waitcnt vmcnt(12) lgkmcnt(1)
	v_fma_f64 v[125:126], v[153:154], v[125:126], v[135:136]
	s_waitcnt vmcnt(11)
	v_fma_f64 v[125:126], v[151:152], v[127:128], v[125:126]
	s_waitcnt vmcnt(10) lgkmcnt(0)
	v_fma_f64 v[125:126], v[149:150], v[129:130], v[125:126]
	s_waitcnt vmcnt(5)
	v_fma_f64 v[129:130], v[155:156], v[131:132], v[125:126]
	ds_read_b128 v[125:128], v124 offset:960
	ds_read_b64 v[131:132], v124 offset:976
	s_waitcnt vmcnt(4) lgkmcnt(1)
	v_fma_f64 v[125:126], v[161:162], v[125:126], v[129:130]
	s_waitcnt vmcnt(3)
	v_fma_f64 v[125:126], v[159:160], v[127:128], v[125:126]
	s_waitcnt vmcnt(2) lgkmcnt(0)
	v_fma_f64 v[125:126], v[157:158], v[131:132], v[125:126]
	s_waitcnt vmcnt(0)
	v_add_f64 v[125:126], v[133:134], -v[125:126]
	buffer_store_dword v126, off, s[0:3], 0 offset:364
	buffer_store_dword v125, off, s[0:3], 0 offset:360
	v_cmpx_lt_u32_e32 44, v0
	s_cbranch_execz .LBB124_287
; %bb.286:
	s_clause 0x1
	buffer_load_dword v125, off, s[0:3], 0 offset:352
	buffer_load_dword v126, off, s[0:3], 0 offset:356
	buffer_store_dword v124, off, s[0:3], 0 offset:352
	buffer_store_dword v124, off, s[0:3], 0 offset:356
	s_waitcnt vmcnt(0)
	ds_write_b64 v123, v[125:126]
.LBB124_287:
	s_or_b32 exec_lo, exec_lo, s4
	s_waitcnt lgkmcnt(0)
	s_waitcnt_vscnt null, 0x0
	s_barrier
	buffer_gl0_inv
	s_clause 0x1c
	buffer_load_dword v133, off, s[0:3], 0 offset:360
	buffer_load_dword v134, off, s[0:3], 0 offset:364
	;; [unrolled: 1-line block ×29, first 2 shown]
	ds_read2_b64 v[125:128], v124 offset0:107 offset1:108
	ds_read2_b64 v[129:132], v124 offset0:109 offset1:110
	buffer_load_dword v158, off, s[0:3], 0 offset:476
	s_mov_b32 s4, exec_lo
	s_waitcnt vmcnt(28) lgkmcnt(1)
	v_fma_f64 v[125:126], v[133:134], v[125:126], 0
	s_clause 0x1
	buffer_load_dword v134, off, s[0:3], 0 offset:484
	buffer_load_dword v133, off, s[0:3], 0 offset:480
	s_waitcnt vmcnt(28)
	v_fma_f64 v[125:126], v[135:136], v[127:128], v[125:126]
	s_clause 0x1
	buffer_load_dword v135, off, s[0:3], 0 offset:352
	buffer_load_dword v136, off, s[0:3], 0 offset:356
	s_waitcnt vmcnt(28) lgkmcnt(0)
	v_fma_f64 v[125:126], v[137:138], v[129:130], v[125:126]
	s_waitcnt vmcnt(26)
	v_fma_f64 v[137:138], v[139:140], v[131:132], v[125:126]
	ds_read2_b64 v[125:128], v124 offset0:111 offset1:112
	ds_read2_b64 v[129:132], v124 offset0:113 offset1:114
	s_waitcnt vmcnt(24) lgkmcnt(1)
	v_fma_f64 v[125:126], v[141:142], v[125:126], v[137:138]
	s_waitcnt vmcnt(22)
	v_fma_f64 v[125:126], v[143:144], v[127:128], v[125:126]
	s_waitcnt vmcnt(20) lgkmcnt(0)
	v_fma_f64 v[125:126], v[145:146], v[129:130], v[125:126]
	s_waitcnt vmcnt(15)
	v_fma_f64 v[137:138], v[147:148], v[131:132], v[125:126]
	ds_read2_b64 v[125:128], v124 offset0:115 offset1:116
	ds_read2_b64 v[129:132], v124 offset0:117 offset1:118
	s_waitcnt vmcnt(14) lgkmcnt(1)
	v_fma_f64 v[125:126], v[153:154], v[125:126], v[137:138]
	s_waitcnt vmcnt(13)
	v_fma_f64 v[125:126], v[151:152], v[127:128], v[125:126]
	;; [unrolled: 10-line block ×3, first 2 shown]
	s_waitcnt vmcnt(4) lgkmcnt(0)
	v_fma_f64 v[124:125], v[157:158], v[129:130], v[124:125]
	s_waitcnt vmcnt(2)
	v_fma_f64 v[124:125], v[133:134], v[131:132], v[124:125]
	s_waitcnt vmcnt(0)
	v_add_f64 v[124:125], v[135:136], -v[124:125]
	buffer_store_dword v125, off, s[0:3], 0 offset:356
	buffer_store_dword v124, off, s[0:3], 0 offset:352
	v_cmpx_lt_u32_e32 43, v0
	s_cbranch_execz .LBB124_289
; %bb.288:
	s_clause 0x1
	buffer_load_dword v124, off, s[0:3], 0 offset:344
	buffer_load_dword v125, off, s[0:3], 0 offset:348
	v_mov_b32_e32 v126, 0
	buffer_store_dword v126, off, s[0:3], 0 offset:344
	buffer_store_dword v126, off, s[0:3], 0 offset:348
	s_waitcnt vmcnt(0)
	ds_write_b64 v123, v[124:125]
.LBB124_289:
	s_or_b32 exec_lo, exec_lo, s4
	s_waitcnt lgkmcnt(0)
	s_waitcnt_vscnt null, 0x0
	s_barrier
	buffer_gl0_inv
	s_clause 0x1c
	buffer_load_dword v133, off, s[0:3], 0 offset:352
	buffer_load_dword v134, off, s[0:3], 0 offset:356
	;; [unrolled: 1-line block ×29, first 2 shown]
	v_mov_b32_e32 v124, 0
	buffer_load_dword v158, off, s[0:3], 0 offset:468
	s_mov_b32 s4, exec_lo
	ds_read_b128 v[125:128], v124 offset:848
	ds_read_b128 v[129:132], v124 offset:864
	s_waitcnt vmcnt(28) lgkmcnt(1)
	v_fma_f64 v[125:126], v[133:134], v[125:126], 0
	s_clause 0x3
	buffer_load_dword v134, off, s[0:3], 0 offset:476
	buffer_load_dword v163, off, s[0:3], 0 offset:480
	;; [unrolled: 1-line block ×4, first 2 shown]
	s_waitcnt vmcnt(30)
	v_fma_f64 v[125:126], v[135:136], v[127:128], v[125:126]
	s_clause 0x1
	buffer_load_dword v135, off, s[0:3], 0 offset:344
	buffer_load_dword v136, off, s[0:3], 0 offset:348
	s_waitcnt vmcnt(30) lgkmcnt(0)
	v_fma_f64 v[125:126], v[137:138], v[129:130], v[125:126]
	s_waitcnt vmcnt(28)
	v_fma_f64 v[137:138], v[139:140], v[131:132], v[125:126]
	ds_read_b128 v[125:128], v124 offset:880
	ds_read_b128 v[129:132], v124 offset:896
	s_waitcnt vmcnt(26) lgkmcnt(1)
	v_fma_f64 v[125:126], v[141:142], v[125:126], v[137:138]
	s_waitcnt vmcnt(24)
	v_fma_f64 v[125:126], v[143:144], v[127:128], v[125:126]
	s_waitcnt vmcnt(22) lgkmcnt(0)
	v_fma_f64 v[125:126], v[145:146], v[129:130], v[125:126]
	s_waitcnt vmcnt(17)
	v_fma_f64 v[137:138], v[147:148], v[131:132], v[125:126]
	ds_read_b128 v[125:128], v124 offset:912
	ds_read_b128 v[129:132], v124 offset:928
	s_waitcnt vmcnt(16) lgkmcnt(1)
	v_fma_f64 v[125:126], v[153:154], v[125:126], v[137:138]
	s_waitcnt vmcnt(15)
	v_fma_f64 v[125:126], v[151:152], v[127:128], v[125:126]
	;; [unrolled: 10-line block ×3, first 2 shown]
	ds_read_b64 v[127:128], v124 offset:976
	s_waitcnt vmcnt(6) lgkmcnt(1)
	v_fma_f64 v[125:126], v[157:158], v[129:130], v[125:126]
	s_waitcnt vmcnt(3)
	v_fma_f64 v[125:126], v[133:134], v[131:132], v[125:126]
	s_waitcnt vmcnt(2) lgkmcnt(0)
	v_fma_f64 v[125:126], v[163:164], v[127:128], v[125:126]
	s_waitcnt vmcnt(0)
	v_add_f64 v[125:126], v[135:136], -v[125:126]
	buffer_store_dword v126, off, s[0:3], 0 offset:348
	buffer_store_dword v125, off, s[0:3], 0 offset:344
	v_cmpx_lt_u32_e32 42, v0
	s_cbranch_execz .LBB124_291
; %bb.290:
	s_clause 0x1
	buffer_load_dword v125, off, s[0:3], 0 offset:336
	buffer_load_dword v126, off, s[0:3], 0 offset:340
	buffer_store_dword v124, off, s[0:3], 0 offset:336
	buffer_store_dword v124, off, s[0:3], 0 offset:340
	s_waitcnt vmcnt(0)
	ds_write_b64 v123, v[125:126]
.LBB124_291:
	s_or_b32 exec_lo, exec_lo, s4
	s_waitcnt lgkmcnt(0)
	s_waitcnt_vscnt null, 0x0
	s_barrier
	buffer_gl0_inv
	s_clause 0x1c
	buffer_load_dword v133, off, s[0:3], 0 offset:344
	buffer_load_dword v134, off, s[0:3], 0 offset:348
	;; [unrolled: 1-line block ×29, first 2 shown]
	ds_read2_b64 v[125:128], v124 offset0:105 offset1:106
	ds_read2_b64 v[129:132], v124 offset0:107 offset1:108
	buffer_load_dword v158, off, s[0:3], 0 offset:460
	s_mov_b32 s4, exec_lo
	s_waitcnt vmcnt(28) lgkmcnt(1)
	v_fma_f64 v[125:126], v[133:134], v[125:126], 0
	s_clause 0x5
	buffer_load_dword v134, off, s[0:3], 0 offset:468
	buffer_load_dword v163, off, s[0:3], 0 offset:480
	;; [unrolled: 1-line block ×6, first 2 shown]
	s_waitcnt vmcnt(32)
	v_fma_f64 v[125:126], v[135:136], v[127:128], v[125:126]
	s_waitcnt vmcnt(30) lgkmcnt(0)
	v_fma_f64 v[125:126], v[137:138], v[129:130], v[125:126]
	s_waitcnt vmcnt(28)
	v_fma_f64 v[135:136], v[139:140], v[131:132], v[125:126]
	ds_read2_b64 v[125:128], v124 offset0:109 offset1:110
	s_clause 0x1
	buffer_load_dword v137, off, s[0:3], 0 offset:336
	buffer_load_dword v138, off, s[0:3], 0 offset:340
	ds_read2_b64 v[129:132], v124 offset0:111 offset1:112
	s_waitcnt vmcnt(28) lgkmcnt(1)
	v_fma_f64 v[125:126], v[141:142], v[125:126], v[135:136]
	s_waitcnt vmcnt(26)
	v_fma_f64 v[125:126], v[143:144], v[127:128], v[125:126]
	s_waitcnt vmcnt(24) lgkmcnt(0)
	v_fma_f64 v[125:126], v[145:146], v[129:130], v[125:126]
	s_waitcnt vmcnt(19)
	v_fma_f64 v[135:136], v[147:148], v[131:132], v[125:126]
	ds_read2_b64 v[125:128], v124 offset0:113 offset1:114
	ds_read2_b64 v[129:132], v124 offset0:115 offset1:116
	s_waitcnt vmcnt(18) lgkmcnt(1)
	v_fma_f64 v[125:126], v[153:154], v[125:126], v[135:136]
	s_waitcnt vmcnt(17)
	v_fma_f64 v[125:126], v[151:152], v[127:128], v[125:126]
	s_waitcnt vmcnt(16) lgkmcnt(0)
	v_fma_f64 v[125:126], v[149:150], v[129:130], v[125:126]
	s_waitcnt vmcnt(11)
	v_fma_f64 v[135:136], v[155:156], v[131:132], v[125:126]
	ds_read2_b64 v[125:128], v124 offset0:117 offset1:118
	;; [unrolled: 10-line block ×3, first 2 shown]
	s_waitcnt vmcnt(3) lgkmcnt(0)
	v_fma_f64 v[124:125], v[165:166], v[124:125], v[128:129]
	s_waitcnt vmcnt(2)
	v_fma_f64 v[124:125], v[163:164], v[126:127], v[124:125]
	s_waitcnt vmcnt(0)
	v_add_f64 v[124:125], v[137:138], -v[124:125]
	buffer_store_dword v125, off, s[0:3], 0 offset:340
	buffer_store_dword v124, off, s[0:3], 0 offset:336
	v_cmpx_lt_u32_e32 41, v0
	s_cbranch_execz .LBB124_293
; %bb.292:
	s_clause 0x1
	buffer_load_dword v124, off, s[0:3], 0 offset:328
	buffer_load_dword v125, off, s[0:3], 0 offset:332
	v_mov_b32_e32 v126, 0
	buffer_store_dword v126, off, s[0:3], 0 offset:328
	buffer_store_dword v126, off, s[0:3], 0 offset:332
	s_waitcnt vmcnt(0)
	ds_write_b64 v123, v[124:125]
.LBB124_293:
	s_or_b32 exec_lo, exec_lo, s4
	s_waitcnt lgkmcnt(0)
	s_waitcnt_vscnt null, 0x0
	s_barrier
	buffer_gl0_inv
	s_clause 0x1c
	buffer_load_dword v133, off, s[0:3], 0 offset:336
	buffer_load_dword v134, off, s[0:3], 0 offset:340
	;; [unrolled: 1-line block ×29, first 2 shown]
	v_mov_b32_e32 v124, 0
	buffer_load_dword v158, off, s[0:3], 0 offset:452
	s_mov_b32 s4, exec_lo
	ds_read_b128 v[125:128], v124 offset:832
	ds_read_b128 v[129:132], v124 offset:848
	s_waitcnt vmcnt(28) lgkmcnt(1)
	v_fma_f64 v[125:126], v[133:134], v[125:126], 0
	s_clause 0x7
	buffer_load_dword v134, off, s[0:3], 0 offset:460
	buffer_load_dword v163, off, s[0:3], 0 offset:480
	;; [unrolled: 1-line block ×8, first 2 shown]
	s_waitcnt vmcnt(34)
	v_fma_f64 v[125:126], v[135:136], v[127:128], v[125:126]
	s_waitcnt vmcnt(32) lgkmcnt(0)
	v_fma_f64 v[125:126], v[137:138], v[129:130], v[125:126]
	s_waitcnt vmcnt(30)
	v_fma_f64 v[135:136], v[139:140], v[131:132], v[125:126]
	ds_read_b128 v[125:128], v124 offset:864
	ds_read_b128 v[129:132], v124 offset:880
	s_waitcnt vmcnt(28) lgkmcnt(1)
	v_fma_f64 v[125:126], v[141:142], v[125:126], v[135:136]
	s_clause 0x1
	buffer_load_dword v135, off, s[0:3], 0 offset:328
	buffer_load_dword v136, off, s[0:3], 0 offset:332
	s_waitcnt vmcnt(28)
	v_fma_f64 v[125:126], v[143:144], v[127:128], v[125:126]
	s_waitcnt vmcnt(26) lgkmcnt(0)
	v_fma_f64 v[125:126], v[145:146], v[129:130], v[125:126]
	s_waitcnt vmcnt(21)
	v_fma_f64 v[137:138], v[147:148], v[131:132], v[125:126]
	ds_read_b128 v[125:128], v124 offset:896
	ds_read_b128 v[129:132], v124 offset:912
	s_waitcnt vmcnt(20) lgkmcnt(1)
	v_fma_f64 v[125:126], v[153:154], v[125:126], v[137:138]
	s_waitcnt vmcnt(19)
	v_fma_f64 v[125:126], v[151:152], v[127:128], v[125:126]
	s_waitcnt vmcnt(18) lgkmcnt(0)
	v_fma_f64 v[125:126], v[149:150], v[129:130], v[125:126]
	s_waitcnt vmcnt(13)
	v_fma_f64 v[137:138], v[155:156], v[131:132], v[125:126]
	ds_read_b128 v[125:128], v124 offset:928
	ds_read_b128 v[129:132], v124 offset:944
	s_waitcnt vmcnt(12) lgkmcnt(1)
	v_fma_f64 v[125:126], v[161:162], v[125:126], v[137:138]
	s_waitcnt vmcnt(11)
	v_fma_f64 v[125:126], v[159:160], v[127:128], v[125:126]
	s_waitcnt vmcnt(10) lgkmcnt(0)
	v_fma_f64 v[125:126], v[157:158], v[129:130], v[125:126]
	s_waitcnt vmcnt(5)
	v_fma_f64 v[129:130], v[133:134], v[131:132], v[125:126]
	ds_read_b128 v[125:128], v124 offset:960
	ds_read_b64 v[131:132], v124 offset:976
	s_waitcnt vmcnt(4) lgkmcnt(1)
	v_fma_f64 v[125:126], v[167:168], v[125:126], v[129:130]
	s_waitcnt vmcnt(3)
	v_fma_f64 v[125:126], v[165:166], v[127:128], v[125:126]
	s_waitcnt vmcnt(2) lgkmcnt(0)
	v_fma_f64 v[125:126], v[163:164], v[131:132], v[125:126]
	s_waitcnt vmcnt(0)
	v_add_f64 v[125:126], v[135:136], -v[125:126]
	buffer_store_dword v126, off, s[0:3], 0 offset:332
	buffer_store_dword v125, off, s[0:3], 0 offset:328
	v_cmpx_lt_u32_e32 40, v0
	s_cbranch_execz .LBB124_295
; %bb.294:
	s_clause 0x1
	buffer_load_dword v125, off, s[0:3], 0 offset:320
	buffer_load_dword v126, off, s[0:3], 0 offset:324
	buffer_store_dword v124, off, s[0:3], 0 offset:320
	buffer_store_dword v124, off, s[0:3], 0 offset:324
	s_waitcnt vmcnt(0)
	ds_write_b64 v123, v[125:126]
.LBB124_295:
	s_or_b32 exec_lo, exec_lo, s4
	s_waitcnt lgkmcnt(0)
	s_waitcnt_vscnt null, 0x0
	s_barrier
	buffer_gl0_inv
	s_clause 0x1c
	buffer_load_dword v133, off, s[0:3], 0 offset:328
	buffer_load_dword v134, off, s[0:3], 0 offset:332
	;; [unrolled: 1-line block ×29, first 2 shown]
	ds_read2_b64 v[125:128], v124 offset0:103 offset1:104
	ds_read2_b64 v[129:132], v124 offset0:105 offset1:106
	buffer_load_dword v158, off, s[0:3], 0 offset:444
	s_mov_b32 s4, exec_lo
	s_waitcnt vmcnt(28) lgkmcnt(1)
	v_fma_f64 v[125:126], v[133:134], v[125:126], 0
	s_clause 0x7
	buffer_load_dword v134, off, s[0:3], 0 offset:452
	buffer_load_dword v163, off, s[0:3], 0 offset:472
	;; [unrolled: 1-line block ×8, first 2 shown]
	s_waitcnt vmcnt(34)
	v_fma_f64 v[125:126], v[135:136], v[127:128], v[125:126]
	s_waitcnt vmcnt(32) lgkmcnt(0)
	v_fma_f64 v[125:126], v[137:138], v[129:130], v[125:126]
	s_waitcnt vmcnt(30)
	v_fma_f64 v[135:136], v[139:140], v[131:132], v[125:126]
	ds_read2_b64 v[125:128], v124 offset0:107 offset1:108
	ds_read2_b64 v[129:132], v124 offset0:109 offset1:110
	s_waitcnt vmcnt(28) lgkmcnt(1)
	v_fma_f64 v[125:126], v[141:142], v[125:126], v[135:136]
	s_clause 0x3
	buffer_load_dword v136, off, s[0:3], 0 offset:484
	buffer_load_dword v135, off, s[0:3], 0 offset:480
	;; [unrolled: 1-line block ×4, first 2 shown]
	s_waitcnt vmcnt(30)
	v_fma_f64 v[125:126], v[143:144], v[127:128], v[125:126]
	s_waitcnt vmcnt(28) lgkmcnt(0)
	v_fma_f64 v[125:126], v[145:146], v[129:130], v[125:126]
	s_waitcnt vmcnt(23)
	v_fma_f64 v[139:140], v[147:148], v[131:132], v[125:126]
	ds_read2_b64 v[125:128], v124 offset0:111 offset1:112
	ds_read2_b64 v[129:132], v124 offset0:113 offset1:114
	s_waitcnt vmcnt(22) lgkmcnt(1)
	v_fma_f64 v[125:126], v[153:154], v[125:126], v[139:140]
	s_waitcnt vmcnt(21)
	v_fma_f64 v[125:126], v[151:152], v[127:128], v[125:126]
	s_waitcnt vmcnt(20) lgkmcnt(0)
	v_fma_f64 v[125:126], v[149:150], v[129:130], v[125:126]
	s_waitcnt vmcnt(15)
	v_fma_f64 v[139:140], v[155:156], v[131:132], v[125:126]
	ds_read2_b64 v[125:128], v124 offset0:115 offset1:116
	ds_read2_b64 v[129:132], v124 offset0:117 offset1:118
	s_waitcnt vmcnt(14) lgkmcnt(1)
	v_fma_f64 v[125:126], v[161:162], v[125:126], v[139:140]
	;; [unrolled: 10-line block ×3, first 2 shown]
	s_waitcnt vmcnt(5)
	v_fma_f64 v[124:125], v[165:166], v[127:128], v[124:125]
	s_waitcnt vmcnt(4) lgkmcnt(0)
	v_fma_f64 v[124:125], v[163:164], v[129:130], v[124:125]
	s_waitcnt vmcnt(2)
	v_fma_f64 v[124:125], v[135:136], v[131:132], v[124:125]
	s_waitcnt vmcnt(0)
	v_add_f64 v[124:125], v[137:138], -v[124:125]
	buffer_store_dword v125, off, s[0:3], 0 offset:324
	buffer_store_dword v124, off, s[0:3], 0 offset:320
	v_cmpx_lt_u32_e32 39, v0
	s_cbranch_execz .LBB124_297
; %bb.296:
	s_clause 0x1
	buffer_load_dword v124, off, s[0:3], 0 offset:312
	buffer_load_dword v125, off, s[0:3], 0 offset:316
	v_mov_b32_e32 v126, 0
	buffer_store_dword v126, off, s[0:3], 0 offset:312
	buffer_store_dword v126, off, s[0:3], 0 offset:316
	s_waitcnt vmcnt(0)
	ds_write_b64 v123, v[124:125]
.LBB124_297:
	s_or_b32 exec_lo, exec_lo, s4
	s_waitcnt lgkmcnt(0)
	s_waitcnt_vscnt null, 0x0
	s_barrier
	buffer_gl0_inv
	s_clause 0x1c
	buffer_load_dword v133, off, s[0:3], 0 offset:320
	buffer_load_dword v134, off, s[0:3], 0 offset:324
	;; [unrolled: 1-line block ×29, first 2 shown]
	v_mov_b32_e32 v124, 0
	buffer_load_dword v158, off, s[0:3], 0 offset:436
	s_mov_b32 s4, exec_lo
	ds_read_b128 v[125:128], v124 offset:816
	ds_read_b128 v[129:132], v124 offset:832
	s_waitcnt vmcnt(28) lgkmcnt(1)
	v_fma_f64 v[125:126], v[133:134], v[125:126], 0
	s_clause 0x7
	buffer_load_dword v134, off, s[0:3], 0 offset:444
	buffer_load_dword v163, off, s[0:3], 0 offset:464
	;; [unrolled: 1-line block ×8, first 2 shown]
	s_waitcnt vmcnt(34)
	v_fma_f64 v[125:126], v[135:136], v[127:128], v[125:126]
	s_waitcnt vmcnt(32) lgkmcnt(0)
	v_fma_f64 v[125:126], v[137:138], v[129:130], v[125:126]
	s_waitcnt vmcnt(30)
	v_fma_f64 v[135:136], v[139:140], v[131:132], v[125:126]
	ds_read_b128 v[125:128], v124 offset:848
	ds_read_b128 v[129:132], v124 offset:864
	s_waitcnt vmcnt(28) lgkmcnt(1)
	v_fma_f64 v[125:126], v[141:142], v[125:126], v[135:136]
	s_clause 0x5
	buffer_load_dword v136, off, s[0:3], 0 offset:476
	buffer_load_dword v137, off, s[0:3], 0 offset:480
	;; [unrolled: 1-line block ×6, first 2 shown]
	s_waitcnt vmcnt(32)
	v_fma_f64 v[125:126], v[143:144], v[127:128], v[125:126]
	s_waitcnt vmcnt(30) lgkmcnt(0)
	v_fma_f64 v[125:126], v[145:146], v[129:130], v[125:126]
	s_waitcnt vmcnt(25)
	v_fma_f64 v[141:142], v[147:148], v[131:132], v[125:126]
	ds_read_b128 v[125:128], v124 offset:880
	ds_read_b128 v[129:132], v124 offset:896
	s_waitcnt vmcnt(24) lgkmcnt(1)
	v_fma_f64 v[125:126], v[153:154], v[125:126], v[141:142]
	s_waitcnt vmcnt(23)
	v_fma_f64 v[125:126], v[151:152], v[127:128], v[125:126]
	s_waitcnt vmcnt(22) lgkmcnt(0)
	v_fma_f64 v[125:126], v[149:150], v[129:130], v[125:126]
	s_waitcnt vmcnt(17)
	v_fma_f64 v[141:142], v[155:156], v[131:132], v[125:126]
	ds_read_b128 v[125:128], v124 offset:912
	ds_read_b128 v[129:132], v124 offset:928
	s_waitcnt vmcnt(16) lgkmcnt(1)
	v_fma_f64 v[125:126], v[161:162], v[125:126], v[141:142]
	;; [unrolled: 10-line block ×3, first 2 shown]
	s_waitcnt vmcnt(7)
	v_fma_f64 v[125:126], v[165:166], v[127:128], v[125:126]
	ds_read_b64 v[127:128], v124 offset:976
	s_waitcnt vmcnt(6) lgkmcnt(1)
	v_fma_f64 v[125:126], v[163:164], v[129:130], v[125:126]
	s_waitcnt vmcnt(3)
	v_fma_f64 v[125:126], v[135:136], v[131:132], v[125:126]
	s_waitcnt vmcnt(2) lgkmcnt(0)
	v_fma_f64 v[125:126], v[137:138], v[127:128], v[125:126]
	s_waitcnt vmcnt(0)
	v_add_f64 v[125:126], v[139:140], -v[125:126]
	buffer_store_dword v126, off, s[0:3], 0 offset:316
	buffer_store_dword v125, off, s[0:3], 0 offset:312
	v_cmpx_lt_u32_e32 38, v0
	s_cbranch_execz .LBB124_299
; %bb.298:
	s_clause 0x1
	buffer_load_dword v125, off, s[0:3], 0 offset:304
	buffer_load_dword v126, off, s[0:3], 0 offset:308
	buffer_store_dword v124, off, s[0:3], 0 offset:304
	buffer_store_dword v124, off, s[0:3], 0 offset:308
	s_waitcnt vmcnt(0)
	ds_write_b64 v123, v[125:126]
.LBB124_299:
	s_or_b32 exec_lo, exec_lo, s4
	s_waitcnt lgkmcnt(0)
	s_waitcnt_vscnt null, 0x0
	s_barrier
	buffer_gl0_inv
	s_clause 0x1c
	buffer_load_dword v133, off, s[0:3], 0 offset:312
	buffer_load_dword v134, off, s[0:3], 0 offset:316
	;; [unrolled: 1-line block ×29, first 2 shown]
	ds_read2_b64 v[125:128], v124 offset0:101 offset1:102
	ds_read2_b64 v[129:132], v124 offset0:103 offset1:104
	buffer_load_dword v158, off, s[0:3], 0 offset:428
	s_mov_b32 s4, exec_lo
	s_waitcnt vmcnt(28) lgkmcnt(1)
	v_fma_f64 v[125:126], v[133:134], v[125:126], 0
	s_clause 0x7
	buffer_load_dword v134, off, s[0:3], 0 offset:436
	buffer_load_dword v163, off, s[0:3], 0 offset:456
	;; [unrolled: 1-line block ×8, first 2 shown]
	s_waitcnt vmcnt(34)
	v_fma_f64 v[125:126], v[135:136], v[127:128], v[125:126]
	s_waitcnt vmcnt(32) lgkmcnt(0)
	v_fma_f64 v[125:126], v[137:138], v[129:130], v[125:126]
	s_waitcnt vmcnt(30)
	v_fma_f64 v[135:136], v[139:140], v[131:132], v[125:126]
	ds_read2_b64 v[125:128], v124 offset0:105 offset1:106
	ds_read2_b64 v[129:132], v124 offset0:107 offset1:108
	s_waitcnt vmcnt(28) lgkmcnt(1)
	v_fma_f64 v[125:126], v[141:142], v[125:126], v[135:136]
	s_clause 0x5
	buffer_load_dword v136, off, s[0:3], 0 offset:468
	buffer_load_dword v137, off, s[0:3], 0 offset:480
	;; [unrolled: 1-line block ×6, first 2 shown]
	s_waitcnt vmcnt(32)
	v_fma_f64 v[125:126], v[143:144], v[127:128], v[125:126]
	s_waitcnt vmcnt(30) lgkmcnt(0)
	v_fma_f64 v[125:126], v[145:146], v[129:130], v[125:126]
	s_waitcnt vmcnt(25)
	v_fma_f64 v[141:142], v[147:148], v[131:132], v[125:126]
	ds_read2_b64 v[125:128], v124 offset0:109 offset1:110
	s_clause 0x1
	buffer_load_dword v143, off, s[0:3], 0 offset:304
	buffer_load_dword v144, off, s[0:3], 0 offset:308
	ds_read2_b64 v[129:132], v124 offset0:111 offset1:112
	s_waitcnt vmcnt(26) lgkmcnt(1)
	v_fma_f64 v[125:126], v[153:154], v[125:126], v[141:142]
	s_waitcnt vmcnt(25)
	v_fma_f64 v[125:126], v[151:152], v[127:128], v[125:126]
	s_waitcnt vmcnt(24) lgkmcnt(0)
	v_fma_f64 v[125:126], v[149:150], v[129:130], v[125:126]
	s_waitcnt vmcnt(19)
	v_fma_f64 v[141:142], v[155:156], v[131:132], v[125:126]
	ds_read2_b64 v[125:128], v124 offset0:113 offset1:114
	ds_read2_b64 v[129:132], v124 offset0:115 offset1:116
	s_waitcnt vmcnt(18) lgkmcnt(1)
	v_fma_f64 v[125:126], v[161:162], v[125:126], v[141:142]
	s_waitcnt vmcnt(17)
	v_fma_f64 v[125:126], v[159:160], v[127:128], v[125:126]
	s_waitcnt vmcnt(16) lgkmcnt(0)
	v_fma_f64 v[125:126], v[157:158], v[129:130], v[125:126]
	s_waitcnt vmcnt(11)
	v_fma_f64 v[133:134], v[133:134], v[131:132], v[125:126]
	ds_read2_b64 v[125:128], v124 offset0:117 offset1:118
	;; [unrolled: 10-line block ×3, first 2 shown]
	s_waitcnt vmcnt(3) lgkmcnt(0)
	v_fma_f64 v[124:125], v[139:140], v[124:125], v[128:129]
	s_waitcnt vmcnt(2)
	v_fma_f64 v[124:125], v[137:138], v[126:127], v[124:125]
	s_waitcnt vmcnt(0)
	v_add_f64 v[124:125], v[143:144], -v[124:125]
	buffer_store_dword v125, off, s[0:3], 0 offset:308
	buffer_store_dword v124, off, s[0:3], 0 offset:304
	v_cmpx_lt_u32_e32 37, v0
	s_cbranch_execz .LBB124_301
; %bb.300:
	s_clause 0x1
	buffer_load_dword v124, off, s[0:3], 0 offset:296
	buffer_load_dword v125, off, s[0:3], 0 offset:300
	v_mov_b32_e32 v126, 0
	buffer_store_dword v126, off, s[0:3], 0 offset:296
	buffer_store_dword v126, off, s[0:3], 0 offset:300
	s_waitcnt vmcnt(0)
	ds_write_b64 v123, v[124:125]
.LBB124_301:
	s_or_b32 exec_lo, exec_lo, s4
	s_waitcnt lgkmcnt(0)
	s_waitcnt_vscnt null, 0x0
	s_barrier
	buffer_gl0_inv
	s_clause 0x1c
	buffer_load_dword v133, off, s[0:3], 0 offset:304
	buffer_load_dword v134, off, s[0:3], 0 offset:308
	;; [unrolled: 1-line block ×29, first 2 shown]
	v_mov_b32_e32 v124, 0
	buffer_load_dword v158, off, s[0:3], 0 offset:420
	s_mov_b32 s4, exec_lo
	ds_read_b128 v[125:128], v124 offset:800
	ds_read_b128 v[129:132], v124 offset:816
	s_waitcnt vmcnt(28) lgkmcnt(1)
	v_fma_f64 v[125:126], v[133:134], v[125:126], 0
	s_clause 0x7
	buffer_load_dword v134, off, s[0:3], 0 offset:428
	buffer_load_dword v163, off, s[0:3], 0 offset:448
	buffer_load_dword v165, off, s[0:3], 0 offset:440
	buffer_load_dword v167, off, s[0:3], 0 offset:432
	buffer_load_dword v133, off, s[0:3], 0 offset:424
	buffer_load_dword v168, off, s[0:3], 0 offset:436
	buffer_load_dword v166, off, s[0:3], 0 offset:444
	buffer_load_dword v164, off, s[0:3], 0 offset:452
	s_waitcnt vmcnt(34)
	v_fma_f64 v[125:126], v[135:136], v[127:128], v[125:126]
	s_waitcnt vmcnt(32) lgkmcnt(0)
	v_fma_f64 v[125:126], v[137:138], v[129:130], v[125:126]
	s_waitcnt vmcnt(30)
	v_fma_f64 v[135:136], v[139:140], v[131:132], v[125:126]
	ds_read_b128 v[125:128], v124 offset:832
	ds_read_b128 v[129:132], v124 offset:848
	s_waitcnt vmcnt(28) lgkmcnt(1)
	v_fma_f64 v[125:126], v[141:142], v[125:126], v[135:136]
	s_clause 0x7
	buffer_load_dword v136, off, s[0:3], 0 offset:460
	buffer_load_dword v137, off, s[0:3], 0 offset:480
	;; [unrolled: 1-line block ×8, first 2 shown]
	s_waitcnt vmcnt(34)
	v_fma_f64 v[125:126], v[143:144], v[127:128], v[125:126]
	s_waitcnt vmcnt(32) lgkmcnt(0)
	v_fma_f64 v[125:126], v[145:146], v[129:130], v[125:126]
	s_waitcnt vmcnt(27)
	v_fma_f64 v[143:144], v[147:148], v[131:132], v[125:126]
	ds_read_b128 v[125:128], v124 offset:864
	ds_read_b128 v[129:132], v124 offset:880
	s_waitcnt vmcnt(26) lgkmcnt(1)
	v_fma_f64 v[125:126], v[153:154], v[125:126], v[143:144]
	s_clause 0x1
	buffer_load_dword v143, off, s[0:3], 0 offset:296
	buffer_load_dword v144, off, s[0:3], 0 offset:300
	s_waitcnt vmcnt(27)
	v_fma_f64 v[125:126], v[151:152], v[127:128], v[125:126]
	s_waitcnt vmcnt(26) lgkmcnt(0)
	v_fma_f64 v[125:126], v[149:150], v[129:130], v[125:126]
	s_waitcnt vmcnt(21)
	v_fma_f64 v[145:146], v[155:156], v[131:132], v[125:126]
	ds_read_b128 v[125:128], v124 offset:896
	ds_read_b128 v[129:132], v124 offset:912
	s_waitcnt vmcnt(20) lgkmcnt(1)
	v_fma_f64 v[125:126], v[161:162], v[125:126], v[145:146]
	s_waitcnt vmcnt(19)
	v_fma_f64 v[125:126], v[159:160], v[127:128], v[125:126]
	s_waitcnt vmcnt(18) lgkmcnt(0)
	v_fma_f64 v[125:126], v[157:158], v[129:130], v[125:126]
	s_waitcnt vmcnt(13)
	v_fma_f64 v[133:134], v[133:134], v[131:132], v[125:126]
	ds_read_b128 v[125:128], v124 offset:928
	ds_read_b128 v[129:132], v124 offset:944
	s_waitcnt vmcnt(12) lgkmcnt(1)
	v_fma_f64 v[125:126], v[167:168], v[125:126], v[133:134]
	s_waitcnt vmcnt(11)
	v_fma_f64 v[125:126], v[165:166], v[127:128], v[125:126]
	s_waitcnt vmcnt(10) lgkmcnt(0)
	v_fma_f64 v[125:126], v[163:164], v[129:130], v[125:126]
	s_waitcnt vmcnt(5)
	v_fma_f64 v[129:130], v[135:136], v[131:132], v[125:126]
	ds_read_b128 v[125:128], v124 offset:960
	ds_read_b64 v[131:132], v124 offset:976
	s_waitcnt vmcnt(4) lgkmcnt(1)
	v_fma_f64 v[125:126], v[141:142], v[125:126], v[129:130]
	s_waitcnt vmcnt(3)
	v_fma_f64 v[125:126], v[139:140], v[127:128], v[125:126]
	s_waitcnt vmcnt(2) lgkmcnt(0)
	v_fma_f64 v[125:126], v[137:138], v[131:132], v[125:126]
	s_waitcnt vmcnt(0)
	v_add_f64 v[125:126], v[143:144], -v[125:126]
	buffer_store_dword v126, off, s[0:3], 0 offset:300
	buffer_store_dword v125, off, s[0:3], 0 offset:296
	v_cmpx_lt_u32_e32 36, v0
	s_cbranch_execz .LBB124_303
; %bb.302:
	s_clause 0x1
	buffer_load_dword v125, off, s[0:3], 0 offset:288
	buffer_load_dword v126, off, s[0:3], 0 offset:292
	buffer_store_dword v124, off, s[0:3], 0 offset:288
	buffer_store_dword v124, off, s[0:3], 0 offset:292
	s_waitcnt vmcnt(0)
	ds_write_b64 v123, v[125:126]
.LBB124_303:
	s_or_b32 exec_lo, exec_lo, s4
	s_waitcnt lgkmcnt(0)
	s_waitcnt_vscnt null, 0x0
	s_barrier
	buffer_gl0_inv
	s_clause 0x1c
	buffer_load_dword v133, off, s[0:3], 0 offset:296
	buffer_load_dword v134, off, s[0:3], 0 offset:300
	;; [unrolled: 1-line block ×29, first 2 shown]
	ds_read2_b64 v[125:128], v124 offset0:99 offset1:100
	ds_read2_b64 v[129:132], v124 offset0:101 offset1:102
	buffer_load_dword v158, off, s[0:3], 0 offset:412
	s_mov_b32 s4, exec_lo
	s_waitcnt vmcnt(28) lgkmcnt(1)
	v_fma_f64 v[125:126], v[133:134], v[125:126], 0
	s_clause 0x7
	buffer_load_dword v134, off, s[0:3], 0 offset:420
	buffer_load_dword v163, off, s[0:3], 0 offset:440
	;; [unrolled: 1-line block ×8, first 2 shown]
	s_waitcnt vmcnt(34)
	v_fma_f64 v[125:126], v[135:136], v[127:128], v[125:126]
	s_waitcnt vmcnt(32) lgkmcnt(0)
	v_fma_f64 v[125:126], v[137:138], v[129:130], v[125:126]
	s_waitcnt vmcnt(30)
	v_fma_f64 v[135:136], v[139:140], v[131:132], v[125:126]
	ds_read2_b64 v[125:128], v124 offset0:103 offset1:104
	ds_read2_b64 v[129:132], v124 offset0:105 offset1:106
	s_waitcnt vmcnt(28) lgkmcnt(1)
	v_fma_f64 v[125:126], v[141:142], v[125:126], v[135:136]
	s_clause 0x7
	buffer_load_dword v136, off, s[0:3], 0 offset:452
	buffer_load_dword v137, off, s[0:3], 0 offset:472
	;; [unrolled: 1-line block ×8, first 2 shown]
	s_waitcnt vmcnt(34)
	v_fma_f64 v[125:126], v[143:144], v[127:128], v[125:126]
	s_waitcnt vmcnt(32) lgkmcnt(0)
	v_fma_f64 v[125:126], v[145:146], v[129:130], v[125:126]
	s_waitcnt vmcnt(27)
	v_fma_f64 v[143:144], v[147:148], v[131:132], v[125:126]
	ds_read2_b64 v[125:128], v124 offset0:107 offset1:108
	ds_read2_b64 v[129:132], v124 offset0:109 offset1:110
	s_waitcnt vmcnt(26) lgkmcnt(1)
	v_fma_f64 v[125:126], v[153:154], v[125:126], v[143:144]
	s_clause 0x3
	buffer_load_dword v144, off, s[0:3], 0 offset:484
	buffer_load_dword v143, off, s[0:3], 0 offset:480
	;; [unrolled: 1-line block ×4, first 2 shown]
	s_waitcnt vmcnt(29)
	v_fma_f64 v[125:126], v[151:152], v[127:128], v[125:126]
	s_waitcnt vmcnt(28) lgkmcnt(0)
	v_fma_f64 v[125:126], v[149:150], v[129:130], v[125:126]
	s_waitcnt vmcnt(23)
	v_fma_f64 v[147:148], v[155:156], v[131:132], v[125:126]
	ds_read2_b64 v[125:128], v124 offset0:111 offset1:112
	ds_read2_b64 v[129:132], v124 offset0:113 offset1:114
	s_waitcnt vmcnt(22) lgkmcnt(1)
	v_fma_f64 v[125:126], v[161:162], v[125:126], v[147:148]
	s_waitcnt vmcnt(21)
	v_fma_f64 v[125:126], v[159:160], v[127:128], v[125:126]
	s_waitcnt vmcnt(20) lgkmcnt(0)
	v_fma_f64 v[125:126], v[157:158], v[129:130], v[125:126]
	s_waitcnt vmcnt(15)
	v_fma_f64 v[133:134], v[133:134], v[131:132], v[125:126]
	ds_read2_b64 v[125:128], v124 offset0:115 offset1:116
	ds_read2_b64 v[129:132], v124 offset0:117 offset1:118
	s_waitcnt vmcnt(14) lgkmcnt(1)
	v_fma_f64 v[125:126], v[167:168], v[125:126], v[133:134]
	s_waitcnt vmcnt(13)
	v_fma_f64 v[125:126], v[165:166], v[127:128], v[125:126]
	s_waitcnt vmcnt(12) lgkmcnt(0)
	v_fma_f64 v[125:126], v[163:164], v[129:130], v[125:126]
	s_waitcnt vmcnt(7)
	v_fma_f64 v[133:134], v[135:136], v[131:132], v[125:126]
	ds_read2_b64 v[125:128], v124 offset0:119 offset1:120
	ds_read2_b64 v[129:132], v124 offset0:121 offset1:122
	s_waitcnt vmcnt(6) lgkmcnt(1)
	v_fma_f64 v[124:125], v[141:142], v[125:126], v[133:134]
	s_waitcnt vmcnt(5)
	v_fma_f64 v[124:125], v[139:140], v[127:128], v[124:125]
	s_waitcnt vmcnt(4) lgkmcnt(0)
	v_fma_f64 v[124:125], v[137:138], v[129:130], v[124:125]
	s_waitcnt vmcnt(2)
	v_fma_f64 v[124:125], v[143:144], v[131:132], v[124:125]
	s_waitcnt vmcnt(0)
	v_add_f64 v[124:125], v[145:146], -v[124:125]
	buffer_store_dword v125, off, s[0:3], 0 offset:292
	buffer_store_dword v124, off, s[0:3], 0 offset:288
	v_cmpx_lt_u32_e32 35, v0
	s_cbranch_execz .LBB124_305
; %bb.304:
	s_clause 0x1
	buffer_load_dword v124, off, s[0:3], 0 offset:280
	buffer_load_dword v125, off, s[0:3], 0 offset:284
	v_mov_b32_e32 v126, 0
	buffer_store_dword v126, off, s[0:3], 0 offset:280
	buffer_store_dword v126, off, s[0:3], 0 offset:284
	s_waitcnt vmcnt(0)
	ds_write_b64 v123, v[124:125]
.LBB124_305:
	s_or_b32 exec_lo, exec_lo, s4
	s_waitcnt lgkmcnt(0)
	s_waitcnt_vscnt null, 0x0
	s_barrier
	buffer_gl0_inv
	s_clause 0x1c
	buffer_load_dword v133, off, s[0:3], 0 offset:288
	buffer_load_dword v134, off, s[0:3], 0 offset:292
	buffer_load_dword v135, off, s[0:3], 0 offset:296
	buffer_load_dword v136, off, s[0:3], 0 offset:300
	buffer_load_dword v137, off, s[0:3], 0 offset:304
	buffer_load_dword v138, off, s[0:3], 0 offset:308
	buffer_load_dword v139, off, s[0:3], 0 offset:312
	buffer_load_dword v140, off, s[0:3], 0 offset:316
	buffer_load_dword v141, off, s[0:3], 0 offset:320
	buffer_load_dword v142, off, s[0:3], 0 offset:324
	buffer_load_dword v143, off, s[0:3], 0 offset:328
	buffer_load_dword v144, off, s[0:3], 0 offset:332
	buffer_load_dword v145, off, s[0:3], 0 offset:336
	buffer_load_dword v146, off, s[0:3], 0 offset:340
	buffer_load_dword v148, off, s[0:3], 0 offset:348
	buffer_load_dword v149, off, s[0:3], 0 offset:368
	buffer_load_dword v151, off, s[0:3], 0 offset:360
	buffer_load_dword v153, off, s[0:3], 0 offset:352
	buffer_load_dword v147, off, s[0:3], 0 offset:344
	buffer_load_dword v154, off, s[0:3], 0 offset:356
	buffer_load_dword v152, off, s[0:3], 0 offset:364
	buffer_load_dword v150, off, s[0:3], 0 offset:372
	buffer_load_dword v156, off, s[0:3], 0 offset:380
	buffer_load_dword v157, off, s[0:3], 0 offset:400
	buffer_load_dword v159, off, s[0:3], 0 offset:392
	buffer_load_dword v161, off, s[0:3], 0 offset:384
	buffer_load_dword v155, off, s[0:3], 0 offset:376
	buffer_load_dword v162, off, s[0:3], 0 offset:388
	buffer_load_dword v160, off, s[0:3], 0 offset:396
	v_mov_b32_e32 v124, 0
	buffer_load_dword v158, off, s[0:3], 0 offset:404
	s_mov_b32 s4, exec_lo
	ds_read_b128 v[125:128], v124 offset:784
	ds_read_b128 v[129:132], v124 offset:800
	s_waitcnt vmcnt(28) lgkmcnt(1)
	v_fma_f64 v[125:126], v[133:134], v[125:126], 0
	s_clause 0x7
	buffer_load_dword v134, off, s[0:3], 0 offset:412
	buffer_load_dword v163, off, s[0:3], 0 offset:432
	;; [unrolled: 1-line block ×8, first 2 shown]
	s_waitcnt vmcnt(34)
	v_fma_f64 v[125:126], v[135:136], v[127:128], v[125:126]
	s_waitcnt vmcnt(32) lgkmcnt(0)
	v_fma_f64 v[125:126], v[137:138], v[129:130], v[125:126]
	s_waitcnt vmcnt(30)
	v_fma_f64 v[135:136], v[139:140], v[131:132], v[125:126]
	ds_read_b128 v[125:128], v124 offset:816
	ds_read_b128 v[129:132], v124 offset:832
	s_waitcnt vmcnt(28) lgkmcnt(1)
	v_fma_f64 v[125:126], v[141:142], v[125:126], v[135:136]
	s_clause 0x7
	buffer_load_dword v136, off, s[0:3], 0 offset:444
	buffer_load_dword v137, off, s[0:3], 0 offset:464
	;; [unrolled: 1-line block ×8, first 2 shown]
	s_waitcnt vmcnt(34)
	v_fma_f64 v[125:126], v[143:144], v[127:128], v[125:126]
	s_waitcnt vmcnt(32) lgkmcnt(0)
	v_fma_f64 v[125:126], v[145:146], v[129:130], v[125:126]
	s_waitcnt vmcnt(27)
	v_fma_f64 v[143:144], v[147:148], v[131:132], v[125:126]
	ds_read_b128 v[125:128], v124 offset:848
	ds_read_b128 v[129:132], v124 offset:864
	s_waitcnt vmcnt(26) lgkmcnt(1)
	v_fma_f64 v[125:126], v[153:154], v[125:126], v[143:144]
	s_clause 0x5
	buffer_load_dword v144, off, s[0:3], 0 offset:476
	buffer_load_dword v145, off, s[0:3], 0 offset:480
	;; [unrolled: 1-line block ×6, first 2 shown]
	s_waitcnt vmcnt(31)
	v_fma_f64 v[125:126], v[151:152], v[127:128], v[125:126]
	s_waitcnt vmcnt(30) lgkmcnt(0)
	v_fma_f64 v[125:126], v[149:150], v[129:130], v[125:126]
	s_waitcnt vmcnt(25)
	v_fma_f64 v[149:150], v[155:156], v[131:132], v[125:126]
	ds_read_b128 v[125:128], v124 offset:880
	ds_read_b128 v[129:132], v124 offset:896
	s_waitcnt vmcnt(24) lgkmcnt(1)
	v_fma_f64 v[125:126], v[161:162], v[125:126], v[149:150]
	s_waitcnt vmcnt(23)
	v_fma_f64 v[125:126], v[159:160], v[127:128], v[125:126]
	s_waitcnt vmcnt(22) lgkmcnt(0)
	v_fma_f64 v[125:126], v[157:158], v[129:130], v[125:126]
	s_waitcnt vmcnt(17)
	v_fma_f64 v[133:134], v[133:134], v[131:132], v[125:126]
	ds_read_b128 v[125:128], v124 offset:912
	ds_read_b128 v[129:132], v124 offset:928
	s_waitcnt vmcnt(16) lgkmcnt(1)
	v_fma_f64 v[125:126], v[167:168], v[125:126], v[133:134]
	;; [unrolled: 10-line block ×3, first 2 shown]
	s_waitcnt vmcnt(7)
	v_fma_f64 v[125:126], v[139:140], v[127:128], v[125:126]
	ds_read_b64 v[127:128], v124 offset:976
	s_waitcnt vmcnt(6) lgkmcnt(1)
	v_fma_f64 v[125:126], v[137:138], v[129:130], v[125:126]
	s_waitcnt vmcnt(3)
	v_fma_f64 v[125:126], v[143:144], v[131:132], v[125:126]
	s_waitcnt vmcnt(2) lgkmcnt(0)
	v_fma_f64 v[125:126], v[145:146], v[127:128], v[125:126]
	s_waitcnt vmcnt(0)
	v_add_f64 v[125:126], v[147:148], -v[125:126]
	buffer_store_dword v126, off, s[0:3], 0 offset:284
	buffer_store_dword v125, off, s[0:3], 0 offset:280
	v_cmpx_lt_u32_e32 34, v0
	s_cbranch_execz .LBB124_307
; %bb.306:
	s_clause 0x1
	buffer_load_dword v125, off, s[0:3], 0 offset:272
	buffer_load_dword v126, off, s[0:3], 0 offset:276
	buffer_store_dword v124, off, s[0:3], 0 offset:272
	buffer_store_dword v124, off, s[0:3], 0 offset:276
	s_waitcnt vmcnt(0)
	ds_write_b64 v123, v[125:126]
.LBB124_307:
	s_or_b32 exec_lo, exec_lo, s4
	s_waitcnt lgkmcnt(0)
	s_waitcnt_vscnt null, 0x0
	s_barrier
	buffer_gl0_inv
	s_clause 0x1c
	buffer_load_dword v133, off, s[0:3], 0 offset:280
	buffer_load_dword v134, off, s[0:3], 0 offset:284
	;; [unrolled: 1-line block ×29, first 2 shown]
	ds_read2_b64 v[125:128], v124 offset0:97 offset1:98
	ds_read2_b64 v[129:132], v124 offset0:99 offset1:100
	buffer_load_dword v158, off, s[0:3], 0 offset:396
	s_mov_b32 s4, exec_lo
	s_waitcnt vmcnt(28) lgkmcnt(1)
	v_fma_f64 v[125:126], v[133:134], v[125:126], 0
	s_clause 0x7
	buffer_load_dword v134, off, s[0:3], 0 offset:404
	buffer_load_dword v163, off, s[0:3], 0 offset:424
	;; [unrolled: 1-line block ×8, first 2 shown]
	s_waitcnt vmcnt(34)
	v_fma_f64 v[125:126], v[135:136], v[127:128], v[125:126]
	s_waitcnt vmcnt(32) lgkmcnt(0)
	v_fma_f64 v[125:126], v[137:138], v[129:130], v[125:126]
	s_waitcnt vmcnt(30)
	v_fma_f64 v[135:136], v[139:140], v[131:132], v[125:126]
	ds_read2_b64 v[125:128], v124 offset0:101 offset1:102
	ds_read2_b64 v[129:132], v124 offset0:103 offset1:104
	s_waitcnt vmcnt(28) lgkmcnt(1)
	v_fma_f64 v[125:126], v[141:142], v[125:126], v[135:136]
	s_clause 0x7
	buffer_load_dword v136, off, s[0:3], 0 offset:436
	buffer_load_dword v137, off, s[0:3], 0 offset:456
	;; [unrolled: 1-line block ×8, first 2 shown]
	s_waitcnt vmcnt(34)
	v_fma_f64 v[125:126], v[143:144], v[127:128], v[125:126]
	s_waitcnt vmcnt(32) lgkmcnt(0)
	v_fma_f64 v[125:126], v[145:146], v[129:130], v[125:126]
	s_waitcnt vmcnt(27)
	v_fma_f64 v[143:144], v[147:148], v[131:132], v[125:126]
	ds_read2_b64 v[125:128], v124 offset0:105 offset1:106
	ds_read2_b64 v[129:132], v124 offset0:107 offset1:108
	s_waitcnt vmcnt(26) lgkmcnt(1)
	v_fma_f64 v[125:126], v[153:154], v[125:126], v[143:144]
	s_clause 0x5
	buffer_load_dword v144, off, s[0:3], 0 offset:468
	buffer_load_dword v145, off, s[0:3], 0 offset:480
	buffer_load_dword v147, off, s[0:3], 0 offset:472
	buffer_load_dword v143, off, s[0:3], 0 offset:464
	buffer_load_dword v148, off, s[0:3], 0 offset:476
	buffer_load_dword v146, off, s[0:3], 0 offset:484
	s_waitcnt vmcnt(31)
	v_fma_f64 v[125:126], v[151:152], v[127:128], v[125:126]
	s_waitcnt vmcnt(30) lgkmcnt(0)
	v_fma_f64 v[125:126], v[149:150], v[129:130], v[125:126]
	s_waitcnt vmcnt(25)
	v_fma_f64 v[149:150], v[155:156], v[131:132], v[125:126]
	ds_read2_b64 v[125:128], v124 offset0:109 offset1:110
	s_clause 0x1
	buffer_load_dword v151, off, s[0:3], 0 offset:272
	buffer_load_dword v152, off, s[0:3], 0 offset:276
	ds_read2_b64 v[129:132], v124 offset0:111 offset1:112
	s_waitcnt vmcnt(26) lgkmcnt(1)
	v_fma_f64 v[125:126], v[161:162], v[125:126], v[149:150]
	s_waitcnt vmcnt(25)
	v_fma_f64 v[125:126], v[159:160], v[127:128], v[125:126]
	s_waitcnt vmcnt(24) lgkmcnt(0)
	v_fma_f64 v[125:126], v[157:158], v[129:130], v[125:126]
	s_waitcnt vmcnt(19)
	v_fma_f64 v[133:134], v[133:134], v[131:132], v[125:126]
	ds_read2_b64 v[125:128], v124 offset0:113 offset1:114
	ds_read2_b64 v[129:132], v124 offset0:115 offset1:116
	s_waitcnt vmcnt(18) lgkmcnt(1)
	v_fma_f64 v[125:126], v[167:168], v[125:126], v[133:134]
	s_waitcnt vmcnt(17)
	v_fma_f64 v[125:126], v[165:166], v[127:128], v[125:126]
	s_waitcnt vmcnt(16) lgkmcnt(0)
	v_fma_f64 v[125:126], v[163:164], v[129:130], v[125:126]
	s_waitcnt vmcnt(11)
	v_fma_f64 v[133:134], v[135:136], v[131:132], v[125:126]
	ds_read2_b64 v[125:128], v124 offset0:117 offset1:118
	;; [unrolled: 10-line block ×3, first 2 shown]
	s_waitcnt vmcnt(3) lgkmcnt(0)
	v_fma_f64 v[124:125], v[147:148], v[124:125], v[128:129]
	s_waitcnt vmcnt(2)
	v_fma_f64 v[124:125], v[145:146], v[126:127], v[124:125]
	s_waitcnt vmcnt(0)
	v_add_f64 v[124:125], v[151:152], -v[124:125]
	buffer_store_dword v125, off, s[0:3], 0 offset:276
	buffer_store_dword v124, off, s[0:3], 0 offset:272
	v_cmpx_lt_u32_e32 33, v0
	s_cbranch_execz .LBB124_309
; %bb.308:
	s_clause 0x1
	buffer_load_dword v124, off, s[0:3], 0 offset:264
	buffer_load_dword v125, off, s[0:3], 0 offset:268
	v_mov_b32_e32 v126, 0
	buffer_store_dword v126, off, s[0:3], 0 offset:264
	buffer_store_dword v126, off, s[0:3], 0 offset:268
	s_waitcnt vmcnt(0)
	ds_write_b64 v123, v[124:125]
.LBB124_309:
	s_or_b32 exec_lo, exec_lo, s4
	s_waitcnt lgkmcnt(0)
	s_waitcnt_vscnt null, 0x0
	s_barrier
	buffer_gl0_inv
	s_clause 0x1c
	buffer_load_dword v133, off, s[0:3], 0 offset:272
	buffer_load_dword v134, off, s[0:3], 0 offset:276
	;; [unrolled: 1-line block ×29, first 2 shown]
	v_mov_b32_e32 v124, 0
	buffer_load_dword v158, off, s[0:3], 0 offset:388
	s_mov_b32 s4, exec_lo
	ds_read_b128 v[125:128], v124 offset:768
	ds_read_b128 v[129:132], v124 offset:784
	s_waitcnt vmcnt(28) lgkmcnt(1)
	v_fma_f64 v[125:126], v[133:134], v[125:126], 0
	s_clause 0x7
	buffer_load_dword v134, off, s[0:3], 0 offset:396
	buffer_load_dword v163, off, s[0:3], 0 offset:416
	buffer_load_dword v165, off, s[0:3], 0 offset:408
	buffer_load_dword v167, off, s[0:3], 0 offset:400
	buffer_load_dword v133, off, s[0:3], 0 offset:392
	buffer_load_dword v168, off, s[0:3], 0 offset:404
	buffer_load_dword v166, off, s[0:3], 0 offset:412
	buffer_load_dword v164, off, s[0:3], 0 offset:420
	s_waitcnt vmcnt(34)
	v_fma_f64 v[125:126], v[135:136], v[127:128], v[125:126]
	s_waitcnt vmcnt(32) lgkmcnt(0)
	v_fma_f64 v[125:126], v[137:138], v[129:130], v[125:126]
	s_waitcnt vmcnt(30)
	v_fma_f64 v[135:136], v[139:140], v[131:132], v[125:126]
	ds_read_b128 v[125:128], v124 offset:800
	ds_read_b128 v[129:132], v124 offset:816
	s_waitcnt vmcnt(28) lgkmcnt(1)
	v_fma_f64 v[125:126], v[141:142], v[125:126], v[135:136]
	s_clause 0x7
	buffer_load_dword v136, off, s[0:3], 0 offset:428
	buffer_load_dword v137, off, s[0:3], 0 offset:448
	buffer_load_dword v139, off, s[0:3], 0 offset:440
	buffer_load_dword v141, off, s[0:3], 0 offset:432
	buffer_load_dword v135, off, s[0:3], 0 offset:424
	buffer_load_dword v142, off, s[0:3], 0 offset:436
	buffer_load_dword v140, off, s[0:3], 0 offset:444
	buffer_load_dword v138, off, s[0:3], 0 offset:452
	s_waitcnt vmcnt(34)
	v_fma_f64 v[125:126], v[143:144], v[127:128], v[125:126]
	s_waitcnt vmcnt(32) lgkmcnt(0)
	v_fma_f64 v[125:126], v[145:146], v[129:130], v[125:126]
	s_waitcnt vmcnt(27)
	v_fma_f64 v[143:144], v[147:148], v[131:132], v[125:126]
	ds_read_b128 v[125:128], v124 offset:832
	ds_read_b128 v[129:132], v124 offset:848
	s_waitcnt vmcnt(26) lgkmcnt(1)
	v_fma_f64 v[125:126], v[153:154], v[125:126], v[143:144]
	s_clause 0x7
	buffer_load_dword v144, off, s[0:3], 0 offset:460
	buffer_load_dword v145, off, s[0:3], 0 offset:480
	buffer_load_dword v147, off, s[0:3], 0 offset:472
	buffer_load_dword v153, off, s[0:3], 0 offset:464
	buffer_load_dword v143, off, s[0:3], 0 offset:456
	buffer_load_dword v154, off, s[0:3], 0 offset:468
	buffer_load_dword v148, off, s[0:3], 0 offset:476
	buffer_load_dword v146, off, s[0:3], 0 offset:484
	s_waitcnt vmcnt(33)
	v_fma_f64 v[125:126], v[151:152], v[127:128], v[125:126]
	s_waitcnt vmcnt(32) lgkmcnt(0)
	v_fma_f64 v[125:126], v[149:150], v[129:130], v[125:126]
	s_waitcnt vmcnt(27)
	v_fma_f64 v[149:150], v[155:156], v[131:132], v[125:126]
	ds_read_b128 v[125:128], v124 offset:864
	ds_read_b128 v[129:132], v124 offset:880
	s_waitcnt vmcnt(26) lgkmcnt(1)
	v_fma_f64 v[125:126], v[161:162], v[125:126], v[149:150]
	s_clause 0x1
	buffer_load_dword v149, off, s[0:3], 0 offset:264
	buffer_load_dword v150, off, s[0:3], 0 offset:268
	s_waitcnt vmcnt(27)
	v_fma_f64 v[125:126], v[159:160], v[127:128], v[125:126]
	s_waitcnt vmcnt(26) lgkmcnt(0)
	v_fma_f64 v[125:126], v[157:158], v[129:130], v[125:126]
	s_waitcnt vmcnt(21)
	v_fma_f64 v[133:134], v[133:134], v[131:132], v[125:126]
	ds_read_b128 v[125:128], v124 offset:896
	ds_read_b128 v[129:132], v124 offset:912
	s_waitcnt vmcnt(20) lgkmcnt(1)
	v_fma_f64 v[125:126], v[167:168], v[125:126], v[133:134]
	s_waitcnt vmcnt(19)
	v_fma_f64 v[125:126], v[165:166], v[127:128], v[125:126]
	s_waitcnt vmcnt(18) lgkmcnt(0)
	v_fma_f64 v[125:126], v[163:164], v[129:130], v[125:126]
	s_waitcnt vmcnt(13)
	v_fma_f64 v[133:134], v[135:136], v[131:132], v[125:126]
	ds_read_b128 v[125:128], v124 offset:928
	ds_read_b128 v[129:132], v124 offset:944
	s_waitcnt vmcnt(12) lgkmcnt(1)
	v_fma_f64 v[125:126], v[141:142], v[125:126], v[133:134]
	s_waitcnt vmcnt(11)
	v_fma_f64 v[125:126], v[139:140], v[127:128], v[125:126]
	s_waitcnt vmcnt(10) lgkmcnt(0)
	v_fma_f64 v[125:126], v[137:138], v[129:130], v[125:126]
	s_waitcnt vmcnt(5)
	v_fma_f64 v[129:130], v[143:144], v[131:132], v[125:126]
	ds_read_b128 v[125:128], v124 offset:960
	ds_read_b64 v[131:132], v124 offset:976
	s_waitcnt vmcnt(4) lgkmcnt(1)
	v_fma_f64 v[125:126], v[153:154], v[125:126], v[129:130]
	s_waitcnt vmcnt(3)
	v_fma_f64 v[125:126], v[147:148], v[127:128], v[125:126]
	s_waitcnt vmcnt(2) lgkmcnt(0)
	v_fma_f64 v[125:126], v[145:146], v[131:132], v[125:126]
	s_waitcnt vmcnt(0)
	v_add_f64 v[125:126], v[149:150], -v[125:126]
	buffer_store_dword v126, off, s[0:3], 0 offset:268
	buffer_store_dword v125, off, s[0:3], 0 offset:264
	v_cmpx_lt_u32_e32 32, v0
	s_cbranch_execz .LBB124_311
; %bb.310:
	s_clause 0x1
	buffer_load_dword v125, off, s[0:3], 0 offset:256
	buffer_load_dword v126, off, s[0:3], 0 offset:260
	buffer_store_dword v124, off, s[0:3], 0 offset:256
	buffer_store_dword v124, off, s[0:3], 0 offset:260
	s_waitcnt vmcnt(0)
	ds_write_b64 v123, v[125:126]
.LBB124_311:
	s_or_b32 exec_lo, exec_lo, s4
	s_waitcnt lgkmcnt(0)
	s_waitcnt_vscnt null, 0x0
	s_barrier
	buffer_gl0_inv
	s_clause 0x1c
	buffer_load_dword v133, off, s[0:3], 0 offset:264
	buffer_load_dword v134, off, s[0:3], 0 offset:268
	;; [unrolled: 1-line block ×29, first 2 shown]
	ds_read2_b64 v[125:128], v124 offset0:95 offset1:96
	ds_read2_b64 v[129:132], v124 offset0:97 offset1:98
	buffer_load_dword v158, off, s[0:3], 0 offset:380
	s_mov_b32 s4, exec_lo
	s_waitcnt vmcnt(28) lgkmcnt(1)
	v_fma_f64 v[125:126], v[133:134], v[125:126], 0
	s_clause 0x7
	buffer_load_dword v134, off, s[0:3], 0 offset:388
	buffer_load_dword v163, off, s[0:3], 0 offset:408
	buffer_load_dword v165, off, s[0:3], 0 offset:400
	buffer_load_dword v167, off, s[0:3], 0 offset:392
	buffer_load_dword v133, off, s[0:3], 0 offset:384
	buffer_load_dword v168, off, s[0:3], 0 offset:396
	buffer_load_dword v166, off, s[0:3], 0 offset:404
	buffer_load_dword v164, off, s[0:3], 0 offset:412
	s_waitcnt vmcnt(34)
	v_fma_f64 v[125:126], v[135:136], v[127:128], v[125:126]
	s_waitcnt vmcnt(32) lgkmcnt(0)
	v_fma_f64 v[125:126], v[137:138], v[129:130], v[125:126]
	s_waitcnt vmcnt(30)
	v_fma_f64 v[135:136], v[139:140], v[131:132], v[125:126]
	ds_read2_b64 v[125:128], v124 offset0:99 offset1:100
	ds_read2_b64 v[129:132], v124 offset0:101 offset1:102
	s_waitcnt vmcnt(28) lgkmcnt(1)
	v_fma_f64 v[125:126], v[141:142], v[125:126], v[135:136]
	s_clause 0x7
	buffer_load_dword v136, off, s[0:3], 0 offset:420
	buffer_load_dword v137, off, s[0:3], 0 offset:440
	buffer_load_dword v139, off, s[0:3], 0 offset:432
	buffer_load_dword v141, off, s[0:3], 0 offset:424
	buffer_load_dword v135, off, s[0:3], 0 offset:416
	buffer_load_dword v142, off, s[0:3], 0 offset:428
	buffer_load_dword v140, off, s[0:3], 0 offset:436
	buffer_load_dword v138, off, s[0:3], 0 offset:444
	s_waitcnt vmcnt(34)
	v_fma_f64 v[125:126], v[143:144], v[127:128], v[125:126]
	s_waitcnt vmcnt(32) lgkmcnt(0)
	v_fma_f64 v[125:126], v[145:146], v[129:130], v[125:126]
	s_waitcnt vmcnt(27)
	v_fma_f64 v[143:144], v[147:148], v[131:132], v[125:126]
	ds_read2_b64 v[125:128], v124 offset0:103 offset1:104
	ds_read2_b64 v[129:132], v124 offset0:105 offset1:106
	;; [unrolled: 19-line block ×3, first 2 shown]
	s_waitcnt vmcnt(26) lgkmcnt(1)
	v_fma_f64 v[125:126], v[161:162], v[125:126], v[149:150]
	s_clause 0x3
	buffer_load_dword v150, off, s[0:3], 0 offset:484
	buffer_load_dword v149, off, s[0:3], 0 offset:480
	;; [unrolled: 1-line block ×4, first 2 shown]
	s_waitcnt vmcnt(29)
	v_fma_f64 v[125:126], v[159:160], v[127:128], v[125:126]
	s_waitcnt vmcnt(28) lgkmcnt(0)
	v_fma_f64 v[125:126], v[157:158], v[129:130], v[125:126]
	s_waitcnt vmcnt(23)
	v_fma_f64 v[133:134], v[133:134], v[131:132], v[125:126]
	ds_read2_b64 v[125:128], v124 offset0:111 offset1:112
	ds_read2_b64 v[129:132], v124 offset0:113 offset1:114
	s_waitcnt vmcnt(22) lgkmcnt(1)
	v_fma_f64 v[125:126], v[167:168], v[125:126], v[133:134]
	s_waitcnt vmcnt(21)
	v_fma_f64 v[125:126], v[165:166], v[127:128], v[125:126]
	s_waitcnt vmcnt(20) lgkmcnt(0)
	v_fma_f64 v[125:126], v[163:164], v[129:130], v[125:126]
	s_waitcnt vmcnt(15)
	v_fma_f64 v[133:134], v[135:136], v[131:132], v[125:126]
	ds_read2_b64 v[125:128], v124 offset0:115 offset1:116
	ds_read2_b64 v[129:132], v124 offset0:117 offset1:118
	s_waitcnt vmcnt(14) lgkmcnt(1)
	v_fma_f64 v[125:126], v[141:142], v[125:126], v[133:134]
	;; [unrolled: 10-line block ×3, first 2 shown]
	s_waitcnt vmcnt(5)
	v_fma_f64 v[124:125], v[147:148], v[127:128], v[124:125]
	s_waitcnt vmcnt(4) lgkmcnt(0)
	v_fma_f64 v[124:125], v[145:146], v[129:130], v[124:125]
	s_waitcnt vmcnt(2)
	v_fma_f64 v[124:125], v[149:150], v[131:132], v[124:125]
	s_waitcnt vmcnt(0)
	v_add_f64 v[124:125], v[151:152], -v[124:125]
	buffer_store_dword v125, off, s[0:3], 0 offset:260
	buffer_store_dword v124, off, s[0:3], 0 offset:256
	v_cmpx_lt_u32_e32 31, v0
	s_cbranch_execz .LBB124_313
; %bb.312:
	s_clause 0x1
	buffer_load_dword v124, off, s[0:3], 0 offset:248
	buffer_load_dword v125, off, s[0:3], 0 offset:252
	v_mov_b32_e32 v126, 0
	buffer_store_dword v126, off, s[0:3], 0 offset:248
	buffer_store_dword v126, off, s[0:3], 0 offset:252
	s_waitcnt vmcnt(0)
	ds_write_b64 v123, v[124:125]
.LBB124_313:
	s_or_b32 exec_lo, exec_lo, s4
	s_waitcnt lgkmcnt(0)
	s_waitcnt_vscnt null, 0x0
	s_barrier
	buffer_gl0_inv
	s_clause 0x1c
	buffer_load_dword v133, off, s[0:3], 0 offset:256
	buffer_load_dword v134, off, s[0:3], 0 offset:260
	;; [unrolled: 1-line block ×29, first 2 shown]
	v_mov_b32_e32 v124, 0
	buffer_load_dword v158, off, s[0:3], 0 offset:372
	s_mov_b32 s4, exec_lo
	ds_read_b128 v[125:128], v124 offset:752
	ds_read_b128 v[129:132], v124 offset:768
	s_waitcnt vmcnt(28) lgkmcnt(1)
	v_fma_f64 v[125:126], v[133:134], v[125:126], 0
	s_clause 0x7
	buffer_load_dword v134, off, s[0:3], 0 offset:380
	buffer_load_dword v163, off, s[0:3], 0 offset:400
	buffer_load_dword v165, off, s[0:3], 0 offset:392
	buffer_load_dword v167, off, s[0:3], 0 offset:384
	buffer_load_dword v133, off, s[0:3], 0 offset:376
	buffer_load_dword v168, off, s[0:3], 0 offset:388
	buffer_load_dword v166, off, s[0:3], 0 offset:396
	buffer_load_dword v164, off, s[0:3], 0 offset:404
	s_waitcnt vmcnt(34)
	v_fma_f64 v[125:126], v[135:136], v[127:128], v[125:126]
	s_waitcnt vmcnt(32) lgkmcnt(0)
	v_fma_f64 v[125:126], v[137:138], v[129:130], v[125:126]
	s_waitcnt vmcnt(30)
	v_fma_f64 v[135:136], v[139:140], v[131:132], v[125:126]
	ds_read_b128 v[125:128], v124 offset:784
	ds_read_b128 v[129:132], v124 offset:800
	s_waitcnt vmcnt(28) lgkmcnt(1)
	v_fma_f64 v[125:126], v[141:142], v[125:126], v[135:136]
	s_clause 0x7
	buffer_load_dword v136, off, s[0:3], 0 offset:412
	buffer_load_dword v137, off, s[0:3], 0 offset:432
	buffer_load_dword v139, off, s[0:3], 0 offset:424
	buffer_load_dword v141, off, s[0:3], 0 offset:416
	buffer_load_dword v135, off, s[0:3], 0 offset:408
	buffer_load_dword v142, off, s[0:3], 0 offset:420
	buffer_load_dword v140, off, s[0:3], 0 offset:428
	buffer_load_dword v138, off, s[0:3], 0 offset:436
	s_waitcnt vmcnt(34)
	v_fma_f64 v[125:126], v[143:144], v[127:128], v[125:126]
	s_waitcnt vmcnt(32) lgkmcnt(0)
	v_fma_f64 v[125:126], v[145:146], v[129:130], v[125:126]
	s_waitcnt vmcnt(27)
	v_fma_f64 v[143:144], v[147:148], v[131:132], v[125:126]
	ds_read_b128 v[125:128], v124 offset:816
	ds_read_b128 v[129:132], v124 offset:832
	s_waitcnt vmcnt(26) lgkmcnt(1)
	v_fma_f64 v[125:126], v[153:154], v[125:126], v[143:144]
	s_clause 0x7
	buffer_load_dword v144, off, s[0:3], 0 offset:444
	buffer_load_dword v145, off, s[0:3], 0 offset:464
	buffer_load_dword v147, off, s[0:3], 0 offset:456
	buffer_load_dword v153, off, s[0:3], 0 offset:448
	buffer_load_dword v143, off, s[0:3], 0 offset:440
	buffer_load_dword v154, off, s[0:3], 0 offset:452
	buffer_load_dword v148, off, s[0:3], 0 offset:460
	buffer_load_dword v146, off, s[0:3], 0 offset:468
	s_waitcnt vmcnt(33)
	v_fma_f64 v[125:126], v[151:152], v[127:128], v[125:126]
	s_waitcnt vmcnt(32) lgkmcnt(0)
	v_fma_f64 v[125:126], v[149:150], v[129:130], v[125:126]
	s_waitcnt vmcnt(27)
	v_fma_f64 v[149:150], v[155:156], v[131:132], v[125:126]
	ds_read_b128 v[125:128], v124 offset:848
	ds_read_b128 v[129:132], v124 offset:864
	s_waitcnt vmcnt(26) lgkmcnt(1)
	v_fma_f64 v[125:126], v[161:162], v[125:126], v[149:150]
	s_clause 0x5
	buffer_load_dword v150, off, s[0:3], 0 offset:476
	buffer_load_dword v151, off, s[0:3], 0 offset:480
	;; [unrolled: 1-line block ×6, first 2 shown]
	s_waitcnt vmcnt(31)
	v_fma_f64 v[125:126], v[159:160], v[127:128], v[125:126]
	s_waitcnt vmcnt(30) lgkmcnt(0)
	v_fma_f64 v[125:126], v[157:158], v[129:130], v[125:126]
	s_waitcnt vmcnt(25)
	v_fma_f64 v[133:134], v[133:134], v[131:132], v[125:126]
	ds_read_b128 v[125:128], v124 offset:880
	ds_read_b128 v[129:132], v124 offset:896
	s_waitcnt vmcnt(24) lgkmcnt(1)
	v_fma_f64 v[125:126], v[167:168], v[125:126], v[133:134]
	s_waitcnt vmcnt(23)
	v_fma_f64 v[125:126], v[165:166], v[127:128], v[125:126]
	s_waitcnt vmcnt(22) lgkmcnt(0)
	v_fma_f64 v[125:126], v[163:164], v[129:130], v[125:126]
	s_waitcnt vmcnt(17)
	v_fma_f64 v[133:134], v[135:136], v[131:132], v[125:126]
	ds_read_b128 v[125:128], v124 offset:912
	ds_read_b128 v[129:132], v124 offset:928
	s_waitcnt vmcnt(16) lgkmcnt(1)
	v_fma_f64 v[125:126], v[141:142], v[125:126], v[133:134]
	;; [unrolled: 10-line block ×3, first 2 shown]
	s_waitcnt vmcnt(7)
	v_fma_f64 v[125:126], v[147:148], v[127:128], v[125:126]
	ds_read_b64 v[127:128], v124 offset:976
	s_waitcnt vmcnt(6) lgkmcnt(1)
	v_fma_f64 v[125:126], v[145:146], v[129:130], v[125:126]
	s_waitcnt vmcnt(3)
	v_fma_f64 v[125:126], v[149:150], v[131:132], v[125:126]
	s_waitcnt vmcnt(2) lgkmcnt(0)
	v_fma_f64 v[125:126], v[151:152], v[127:128], v[125:126]
	s_waitcnt vmcnt(0)
	v_add_f64 v[125:126], v[155:156], -v[125:126]
	buffer_store_dword v126, off, s[0:3], 0 offset:252
	buffer_store_dword v125, off, s[0:3], 0 offset:248
	v_cmpx_lt_u32_e32 30, v0
	s_cbranch_execz .LBB124_315
; %bb.314:
	s_clause 0x1
	buffer_load_dword v125, off, s[0:3], 0 offset:240
	buffer_load_dword v126, off, s[0:3], 0 offset:244
	buffer_store_dword v124, off, s[0:3], 0 offset:240
	buffer_store_dword v124, off, s[0:3], 0 offset:244
	s_waitcnt vmcnt(0)
	ds_write_b64 v123, v[125:126]
.LBB124_315:
	s_or_b32 exec_lo, exec_lo, s4
	s_waitcnt lgkmcnt(0)
	s_waitcnt_vscnt null, 0x0
	s_barrier
	buffer_gl0_inv
	s_clause 0x1c
	buffer_load_dword v133, off, s[0:3], 0 offset:248
	buffer_load_dword v134, off, s[0:3], 0 offset:252
	;; [unrolled: 1-line block ×29, first 2 shown]
	ds_read2_b64 v[125:128], v124 offset0:93 offset1:94
	ds_read2_b64 v[129:132], v124 offset0:95 offset1:96
	buffer_load_dword v158, off, s[0:3], 0 offset:364
	s_mov_b32 s4, exec_lo
	s_waitcnt vmcnt(28) lgkmcnt(1)
	v_fma_f64 v[125:126], v[133:134], v[125:126], 0
	s_clause 0x7
	buffer_load_dword v134, off, s[0:3], 0 offset:372
	buffer_load_dword v163, off, s[0:3], 0 offset:392
	buffer_load_dword v165, off, s[0:3], 0 offset:384
	buffer_load_dword v167, off, s[0:3], 0 offset:376
	buffer_load_dword v133, off, s[0:3], 0 offset:368
	buffer_load_dword v168, off, s[0:3], 0 offset:380
	buffer_load_dword v166, off, s[0:3], 0 offset:388
	buffer_load_dword v164, off, s[0:3], 0 offset:396
	s_waitcnt vmcnt(34)
	v_fma_f64 v[125:126], v[135:136], v[127:128], v[125:126]
	s_waitcnt vmcnt(32) lgkmcnt(0)
	v_fma_f64 v[125:126], v[137:138], v[129:130], v[125:126]
	s_waitcnt vmcnt(30)
	v_fma_f64 v[135:136], v[139:140], v[131:132], v[125:126]
	ds_read2_b64 v[125:128], v124 offset0:97 offset1:98
	ds_read2_b64 v[129:132], v124 offset0:99 offset1:100
	s_waitcnt vmcnt(28) lgkmcnt(1)
	v_fma_f64 v[125:126], v[141:142], v[125:126], v[135:136]
	s_clause 0x7
	buffer_load_dword v136, off, s[0:3], 0 offset:404
	buffer_load_dword v137, off, s[0:3], 0 offset:424
	buffer_load_dword v139, off, s[0:3], 0 offset:416
	buffer_load_dword v141, off, s[0:3], 0 offset:408
	buffer_load_dword v135, off, s[0:3], 0 offset:400
	buffer_load_dword v142, off, s[0:3], 0 offset:412
	buffer_load_dword v140, off, s[0:3], 0 offset:420
	buffer_load_dword v138, off, s[0:3], 0 offset:428
	s_waitcnt vmcnt(34)
	v_fma_f64 v[125:126], v[143:144], v[127:128], v[125:126]
	s_waitcnt vmcnt(32) lgkmcnt(0)
	v_fma_f64 v[125:126], v[145:146], v[129:130], v[125:126]
	s_waitcnt vmcnt(27)
	v_fma_f64 v[143:144], v[147:148], v[131:132], v[125:126]
	ds_read2_b64 v[125:128], v124 offset0:101 offset1:102
	ds_read2_b64 v[129:132], v124 offset0:103 offset1:104
	;; [unrolled: 19-line block ×3, first 2 shown]
	s_waitcnt vmcnt(26) lgkmcnt(1)
	v_fma_f64 v[125:126], v[161:162], v[125:126], v[149:150]
	s_clause 0x5
	buffer_load_dword v150, off, s[0:3], 0 offset:468
	buffer_load_dword v151, off, s[0:3], 0 offset:480
	;; [unrolled: 1-line block ×6, first 2 shown]
	s_waitcnt vmcnt(31)
	v_fma_f64 v[125:126], v[159:160], v[127:128], v[125:126]
	s_waitcnt vmcnt(30) lgkmcnt(0)
	v_fma_f64 v[125:126], v[157:158], v[129:130], v[125:126]
	s_waitcnt vmcnt(25)
	v_fma_f64 v[133:134], v[133:134], v[131:132], v[125:126]
	ds_read2_b64 v[125:128], v124 offset0:109 offset1:110
	s_clause 0x1
	buffer_load_dword v157, off, s[0:3], 0 offset:240
	buffer_load_dword v158, off, s[0:3], 0 offset:244
	ds_read2_b64 v[129:132], v124 offset0:111 offset1:112
	s_waitcnt vmcnt(26) lgkmcnt(1)
	v_fma_f64 v[125:126], v[167:168], v[125:126], v[133:134]
	s_waitcnt vmcnt(25)
	v_fma_f64 v[125:126], v[165:166], v[127:128], v[125:126]
	s_waitcnt vmcnt(24) lgkmcnt(0)
	v_fma_f64 v[125:126], v[163:164], v[129:130], v[125:126]
	s_waitcnt vmcnt(19)
	v_fma_f64 v[133:134], v[135:136], v[131:132], v[125:126]
	ds_read2_b64 v[125:128], v124 offset0:113 offset1:114
	ds_read2_b64 v[129:132], v124 offset0:115 offset1:116
	s_waitcnt vmcnt(18) lgkmcnt(1)
	v_fma_f64 v[125:126], v[141:142], v[125:126], v[133:134]
	s_waitcnt vmcnt(17)
	v_fma_f64 v[125:126], v[139:140], v[127:128], v[125:126]
	s_waitcnt vmcnt(16) lgkmcnt(0)
	v_fma_f64 v[125:126], v[137:138], v[129:130], v[125:126]
	s_waitcnt vmcnt(11)
	v_fma_f64 v[133:134], v[143:144], v[131:132], v[125:126]
	ds_read2_b64 v[125:128], v124 offset0:117 offset1:118
	;; [unrolled: 10-line block ×3, first 2 shown]
	s_waitcnt vmcnt(3) lgkmcnt(0)
	v_fma_f64 v[124:125], v[155:156], v[124:125], v[128:129]
	s_waitcnt vmcnt(2)
	v_fma_f64 v[124:125], v[151:152], v[126:127], v[124:125]
	s_waitcnt vmcnt(0)
	v_add_f64 v[124:125], v[157:158], -v[124:125]
	buffer_store_dword v125, off, s[0:3], 0 offset:244
	buffer_store_dword v124, off, s[0:3], 0 offset:240
	v_cmpx_lt_u32_e32 29, v0
	s_cbranch_execz .LBB124_317
; %bb.316:
	s_clause 0x1
	buffer_load_dword v124, off, s[0:3], 0 offset:232
	buffer_load_dword v125, off, s[0:3], 0 offset:236
	v_mov_b32_e32 v126, 0
	buffer_store_dword v126, off, s[0:3], 0 offset:232
	buffer_store_dword v126, off, s[0:3], 0 offset:236
	s_waitcnt vmcnt(0)
	ds_write_b64 v123, v[124:125]
.LBB124_317:
	s_or_b32 exec_lo, exec_lo, s4
	s_waitcnt lgkmcnt(0)
	s_waitcnt_vscnt null, 0x0
	s_barrier
	buffer_gl0_inv
	s_clause 0x1c
	buffer_load_dword v133, off, s[0:3], 0 offset:240
	buffer_load_dword v134, off, s[0:3], 0 offset:244
	;; [unrolled: 1-line block ×29, first 2 shown]
	v_mov_b32_e32 v124, 0
	buffer_load_dword v158, off, s[0:3], 0 offset:356
	s_mov_b32 s4, exec_lo
	ds_read_b128 v[125:128], v124 offset:736
	ds_read_b128 v[129:132], v124 offset:752
	s_waitcnt vmcnt(28) lgkmcnt(1)
	v_fma_f64 v[125:126], v[133:134], v[125:126], 0
	s_clause 0x7
	buffer_load_dword v134, off, s[0:3], 0 offset:364
	buffer_load_dword v163, off, s[0:3], 0 offset:384
	buffer_load_dword v165, off, s[0:3], 0 offset:376
	buffer_load_dword v167, off, s[0:3], 0 offset:368
	buffer_load_dword v133, off, s[0:3], 0 offset:360
	buffer_load_dword v168, off, s[0:3], 0 offset:372
	buffer_load_dword v166, off, s[0:3], 0 offset:380
	buffer_load_dword v164, off, s[0:3], 0 offset:388
	s_waitcnt vmcnt(34)
	v_fma_f64 v[125:126], v[135:136], v[127:128], v[125:126]
	s_waitcnt vmcnt(32) lgkmcnt(0)
	v_fma_f64 v[125:126], v[137:138], v[129:130], v[125:126]
	s_waitcnt vmcnt(30)
	v_fma_f64 v[135:136], v[139:140], v[131:132], v[125:126]
	ds_read_b128 v[125:128], v124 offset:768
	ds_read_b128 v[129:132], v124 offset:784
	s_waitcnt vmcnt(28) lgkmcnt(1)
	v_fma_f64 v[125:126], v[141:142], v[125:126], v[135:136]
	s_clause 0x7
	buffer_load_dword v136, off, s[0:3], 0 offset:396
	buffer_load_dword v137, off, s[0:3], 0 offset:416
	buffer_load_dword v139, off, s[0:3], 0 offset:408
	buffer_load_dword v141, off, s[0:3], 0 offset:400
	buffer_load_dword v135, off, s[0:3], 0 offset:392
	buffer_load_dword v142, off, s[0:3], 0 offset:404
	buffer_load_dword v140, off, s[0:3], 0 offset:412
	buffer_load_dword v138, off, s[0:3], 0 offset:420
	s_waitcnt vmcnt(34)
	v_fma_f64 v[125:126], v[143:144], v[127:128], v[125:126]
	s_waitcnt vmcnt(32) lgkmcnt(0)
	v_fma_f64 v[125:126], v[145:146], v[129:130], v[125:126]
	s_waitcnt vmcnt(27)
	v_fma_f64 v[143:144], v[147:148], v[131:132], v[125:126]
	;; [unrolled: 19-line block ×4, first 2 shown]
	ds_read_b128 v[125:128], v124 offset:864
	ds_read_b128 v[129:132], v124 offset:880
	s_waitcnt vmcnt(26) lgkmcnt(1)
	v_fma_f64 v[125:126], v[167:168], v[125:126], v[133:134]
	s_clause 0x1
	buffer_load_dword v133, off, s[0:3], 0 offset:232
	buffer_load_dword v134, off, s[0:3], 0 offset:236
	s_waitcnt vmcnt(27)
	v_fma_f64 v[125:126], v[165:166], v[127:128], v[125:126]
	s_waitcnt vmcnt(26) lgkmcnt(0)
	v_fma_f64 v[125:126], v[163:164], v[129:130], v[125:126]
	s_waitcnt vmcnt(21)
	v_fma_f64 v[135:136], v[135:136], v[131:132], v[125:126]
	ds_read_b128 v[125:128], v124 offset:896
	ds_read_b128 v[129:132], v124 offset:912
	s_waitcnt vmcnt(20) lgkmcnt(1)
	v_fma_f64 v[125:126], v[141:142], v[125:126], v[135:136]
	s_waitcnt vmcnt(19)
	v_fma_f64 v[125:126], v[139:140], v[127:128], v[125:126]
	s_waitcnt vmcnt(18) lgkmcnt(0)
	v_fma_f64 v[125:126], v[137:138], v[129:130], v[125:126]
	s_waitcnt vmcnt(13)
	v_fma_f64 v[135:136], v[143:144], v[131:132], v[125:126]
	ds_read_b128 v[125:128], v124 offset:928
	ds_read_b128 v[129:132], v124 offset:944
	s_waitcnt vmcnt(12) lgkmcnt(1)
	v_fma_f64 v[125:126], v[153:154], v[125:126], v[135:136]
	s_waitcnt vmcnt(11)
	v_fma_f64 v[125:126], v[147:148], v[127:128], v[125:126]
	s_waitcnt vmcnt(10) lgkmcnt(0)
	v_fma_f64 v[125:126], v[145:146], v[129:130], v[125:126]
	s_waitcnt vmcnt(5)
	v_fma_f64 v[129:130], v[149:150], v[131:132], v[125:126]
	ds_read_b128 v[125:128], v124 offset:960
	ds_read_b64 v[131:132], v124 offset:976
	s_waitcnt vmcnt(4) lgkmcnt(1)
	v_fma_f64 v[125:126], v[161:162], v[125:126], v[129:130]
	s_waitcnt vmcnt(3)
	v_fma_f64 v[125:126], v[155:156], v[127:128], v[125:126]
	s_waitcnt vmcnt(2) lgkmcnt(0)
	v_fma_f64 v[125:126], v[151:152], v[131:132], v[125:126]
	s_waitcnt vmcnt(0)
	v_add_f64 v[125:126], v[133:134], -v[125:126]
	buffer_store_dword v126, off, s[0:3], 0 offset:236
	buffer_store_dword v125, off, s[0:3], 0 offset:232
	v_cmpx_lt_u32_e32 28, v0
	s_cbranch_execz .LBB124_319
; %bb.318:
	s_clause 0x1
	buffer_load_dword v125, off, s[0:3], 0 offset:224
	buffer_load_dword v126, off, s[0:3], 0 offset:228
	buffer_store_dword v124, off, s[0:3], 0 offset:224
	buffer_store_dword v124, off, s[0:3], 0 offset:228
	s_waitcnt vmcnt(0)
	ds_write_b64 v123, v[125:126]
.LBB124_319:
	s_or_b32 exec_lo, exec_lo, s4
	s_waitcnt lgkmcnt(0)
	s_waitcnt_vscnt null, 0x0
	s_barrier
	buffer_gl0_inv
	s_clause 0x1c
	buffer_load_dword v133, off, s[0:3], 0 offset:232
	buffer_load_dword v134, off, s[0:3], 0 offset:236
	;; [unrolled: 1-line block ×29, first 2 shown]
	ds_read2_b64 v[125:128], v124 offset0:91 offset1:92
	ds_read2_b64 v[129:132], v124 offset0:93 offset1:94
	buffer_load_dword v158, off, s[0:3], 0 offset:348
	s_mov_b32 s4, exec_lo
	s_waitcnt vmcnt(28) lgkmcnt(1)
	v_fma_f64 v[125:126], v[133:134], v[125:126], 0
	s_clause 0x7
	buffer_load_dword v134, off, s[0:3], 0 offset:356
	buffer_load_dword v163, off, s[0:3], 0 offset:376
	buffer_load_dword v165, off, s[0:3], 0 offset:368
	buffer_load_dword v167, off, s[0:3], 0 offset:360
	buffer_load_dword v133, off, s[0:3], 0 offset:352
	buffer_load_dword v168, off, s[0:3], 0 offset:364
	buffer_load_dword v166, off, s[0:3], 0 offset:372
	buffer_load_dword v164, off, s[0:3], 0 offset:380
	s_waitcnt vmcnt(34)
	v_fma_f64 v[125:126], v[135:136], v[127:128], v[125:126]
	s_waitcnt vmcnt(32) lgkmcnt(0)
	v_fma_f64 v[125:126], v[137:138], v[129:130], v[125:126]
	s_waitcnt vmcnt(30)
	v_fma_f64 v[135:136], v[139:140], v[131:132], v[125:126]
	ds_read2_b64 v[125:128], v124 offset0:95 offset1:96
	ds_read2_b64 v[129:132], v124 offset0:97 offset1:98
	s_waitcnt vmcnt(28) lgkmcnt(1)
	v_fma_f64 v[125:126], v[141:142], v[125:126], v[135:136]
	s_clause 0x7
	buffer_load_dword v136, off, s[0:3], 0 offset:388
	buffer_load_dword v137, off, s[0:3], 0 offset:408
	buffer_load_dword v139, off, s[0:3], 0 offset:400
	buffer_load_dword v141, off, s[0:3], 0 offset:392
	buffer_load_dword v135, off, s[0:3], 0 offset:384
	buffer_load_dword v142, off, s[0:3], 0 offset:396
	buffer_load_dword v140, off, s[0:3], 0 offset:404
	buffer_load_dword v138, off, s[0:3], 0 offset:412
	s_waitcnt vmcnt(34)
	v_fma_f64 v[125:126], v[143:144], v[127:128], v[125:126]
	s_waitcnt vmcnt(32) lgkmcnt(0)
	v_fma_f64 v[125:126], v[145:146], v[129:130], v[125:126]
	s_waitcnt vmcnt(27)
	v_fma_f64 v[143:144], v[147:148], v[131:132], v[125:126]
	ds_read2_b64 v[125:128], v124 offset0:99 offset1:100
	ds_read2_b64 v[129:132], v124 offset0:101 offset1:102
	;; [unrolled: 19-line block ×4, first 2 shown]
	s_waitcnt vmcnt(26) lgkmcnt(1)
	v_fma_f64 v[125:126], v[167:168], v[125:126], v[133:134]
	s_clause 0x3
	buffer_load_dword v134, off, s[0:3], 0 offset:484
	buffer_load_dword v133, off, s[0:3], 0 offset:480
	;; [unrolled: 1-line block ×4, first 2 shown]
	s_waitcnt vmcnt(29)
	v_fma_f64 v[125:126], v[165:166], v[127:128], v[125:126]
	s_waitcnt vmcnt(28) lgkmcnt(0)
	v_fma_f64 v[125:126], v[163:164], v[129:130], v[125:126]
	s_waitcnt vmcnt(23)
	v_fma_f64 v[135:136], v[135:136], v[131:132], v[125:126]
	ds_read2_b64 v[125:128], v124 offset0:111 offset1:112
	ds_read2_b64 v[129:132], v124 offset0:113 offset1:114
	s_waitcnt vmcnt(22) lgkmcnt(1)
	v_fma_f64 v[125:126], v[141:142], v[125:126], v[135:136]
	s_waitcnt vmcnt(21)
	v_fma_f64 v[125:126], v[139:140], v[127:128], v[125:126]
	s_waitcnt vmcnt(20) lgkmcnt(0)
	v_fma_f64 v[125:126], v[137:138], v[129:130], v[125:126]
	s_waitcnt vmcnt(15)
	v_fma_f64 v[135:136], v[143:144], v[131:132], v[125:126]
	ds_read2_b64 v[125:128], v124 offset0:115 offset1:116
	ds_read2_b64 v[129:132], v124 offset0:117 offset1:118
	s_waitcnt vmcnt(14) lgkmcnt(1)
	v_fma_f64 v[125:126], v[153:154], v[125:126], v[135:136]
	;; [unrolled: 10-line block ×3, first 2 shown]
	s_waitcnt vmcnt(5)
	v_fma_f64 v[124:125], v[155:156], v[127:128], v[124:125]
	s_waitcnt vmcnt(4) lgkmcnt(0)
	v_fma_f64 v[124:125], v[151:152], v[129:130], v[124:125]
	s_waitcnt vmcnt(2)
	v_fma_f64 v[124:125], v[133:134], v[131:132], v[124:125]
	s_waitcnt vmcnt(0)
	v_add_f64 v[124:125], v[157:158], -v[124:125]
	buffer_store_dword v125, off, s[0:3], 0 offset:228
	buffer_store_dword v124, off, s[0:3], 0 offset:224
	v_cmpx_lt_u32_e32 27, v0
	s_cbranch_execz .LBB124_321
; %bb.320:
	s_clause 0x1
	buffer_load_dword v124, off, s[0:3], 0 offset:216
	buffer_load_dword v125, off, s[0:3], 0 offset:220
	v_mov_b32_e32 v126, 0
	buffer_store_dword v126, off, s[0:3], 0 offset:216
	buffer_store_dword v126, off, s[0:3], 0 offset:220
	s_waitcnt vmcnt(0)
	ds_write_b64 v123, v[124:125]
.LBB124_321:
	s_or_b32 exec_lo, exec_lo, s4
	s_waitcnt lgkmcnt(0)
	s_waitcnt_vscnt null, 0x0
	s_barrier
	buffer_gl0_inv
	s_clause 0x1c
	buffer_load_dword v133, off, s[0:3], 0 offset:224
	buffer_load_dword v134, off, s[0:3], 0 offset:228
	;; [unrolled: 1-line block ×29, first 2 shown]
	v_mov_b32_e32 v124, 0
	buffer_load_dword v158, off, s[0:3], 0 offset:340
	s_mov_b32 s4, exec_lo
	ds_read_b128 v[125:128], v124 offset:720
	ds_read_b128 v[129:132], v124 offset:736
	s_waitcnt vmcnt(28) lgkmcnt(1)
	v_fma_f64 v[125:126], v[133:134], v[125:126], 0
	s_clause 0x7
	buffer_load_dword v134, off, s[0:3], 0 offset:348
	buffer_load_dword v163, off, s[0:3], 0 offset:368
	buffer_load_dword v165, off, s[0:3], 0 offset:360
	buffer_load_dword v167, off, s[0:3], 0 offset:352
	buffer_load_dword v133, off, s[0:3], 0 offset:344
	buffer_load_dword v168, off, s[0:3], 0 offset:356
	buffer_load_dword v166, off, s[0:3], 0 offset:364
	buffer_load_dword v164, off, s[0:3], 0 offset:372
	s_waitcnt vmcnt(34)
	v_fma_f64 v[125:126], v[135:136], v[127:128], v[125:126]
	s_waitcnt vmcnt(32) lgkmcnt(0)
	v_fma_f64 v[125:126], v[137:138], v[129:130], v[125:126]
	s_waitcnt vmcnt(30)
	v_fma_f64 v[135:136], v[139:140], v[131:132], v[125:126]
	ds_read_b128 v[125:128], v124 offset:752
	ds_read_b128 v[129:132], v124 offset:768
	s_waitcnt vmcnt(28) lgkmcnt(1)
	v_fma_f64 v[125:126], v[141:142], v[125:126], v[135:136]
	s_clause 0x7
	buffer_load_dword v136, off, s[0:3], 0 offset:380
	buffer_load_dword v137, off, s[0:3], 0 offset:400
	buffer_load_dword v139, off, s[0:3], 0 offset:392
	buffer_load_dword v141, off, s[0:3], 0 offset:384
	buffer_load_dword v135, off, s[0:3], 0 offset:376
	buffer_load_dword v142, off, s[0:3], 0 offset:388
	buffer_load_dword v140, off, s[0:3], 0 offset:396
	buffer_load_dword v138, off, s[0:3], 0 offset:404
	s_waitcnt vmcnt(34)
	v_fma_f64 v[125:126], v[143:144], v[127:128], v[125:126]
	s_waitcnt vmcnt(32) lgkmcnt(0)
	v_fma_f64 v[125:126], v[145:146], v[129:130], v[125:126]
	s_waitcnt vmcnt(27)
	v_fma_f64 v[143:144], v[147:148], v[131:132], v[125:126]
	;; [unrolled: 19-line block ×4, first 2 shown]
	ds_read_b128 v[125:128], v124 offset:848
	ds_read_b128 v[129:132], v124 offset:864
	s_waitcnt vmcnt(26) lgkmcnt(1)
	v_fma_f64 v[125:126], v[167:168], v[125:126], v[133:134]
	s_clause 0x5
	buffer_load_dword v134, off, s[0:3], 0 offset:476
	buffer_load_dword v157, off, s[0:3], 0 offset:480
	;; [unrolled: 1-line block ×6, first 2 shown]
	s_waitcnt vmcnt(31)
	v_fma_f64 v[125:126], v[165:166], v[127:128], v[125:126]
	s_waitcnt vmcnt(30) lgkmcnt(0)
	v_fma_f64 v[125:126], v[163:164], v[129:130], v[125:126]
	s_waitcnt vmcnt(25)
	v_fma_f64 v[135:136], v[135:136], v[131:132], v[125:126]
	ds_read_b128 v[125:128], v124 offset:880
	ds_read_b128 v[129:132], v124 offset:896
	s_waitcnt vmcnt(24) lgkmcnt(1)
	v_fma_f64 v[125:126], v[141:142], v[125:126], v[135:136]
	s_waitcnt vmcnt(23)
	v_fma_f64 v[125:126], v[139:140], v[127:128], v[125:126]
	s_waitcnt vmcnt(22) lgkmcnt(0)
	v_fma_f64 v[125:126], v[137:138], v[129:130], v[125:126]
	s_waitcnt vmcnt(17)
	v_fma_f64 v[135:136], v[143:144], v[131:132], v[125:126]
	ds_read_b128 v[125:128], v124 offset:912
	ds_read_b128 v[129:132], v124 offset:928
	s_waitcnt vmcnt(16) lgkmcnt(1)
	v_fma_f64 v[125:126], v[153:154], v[125:126], v[135:136]
	;; [unrolled: 10-line block ×3, first 2 shown]
	s_waitcnt vmcnt(7)
	v_fma_f64 v[125:126], v[155:156], v[127:128], v[125:126]
	ds_read_b64 v[127:128], v124 offset:976
	s_waitcnt vmcnt(6) lgkmcnt(1)
	v_fma_f64 v[125:126], v[151:152], v[129:130], v[125:126]
	s_waitcnt vmcnt(3)
	v_fma_f64 v[125:126], v[133:134], v[131:132], v[125:126]
	s_waitcnt vmcnt(2) lgkmcnt(0)
	v_fma_f64 v[125:126], v[157:158], v[127:128], v[125:126]
	s_waitcnt vmcnt(0)
	v_add_f64 v[125:126], v[159:160], -v[125:126]
	buffer_store_dword v126, off, s[0:3], 0 offset:220
	buffer_store_dword v125, off, s[0:3], 0 offset:216
	v_cmpx_lt_u32_e32 26, v0
	s_cbranch_execz .LBB124_323
; %bb.322:
	s_clause 0x1
	buffer_load_dword v125, off, s[0:3], 0 offset:208
	buffer_load_dword v126, off, s[0:3], 0 offset:212
	buffer_store_dword v124, off, s[0:3], 0 offset:208
	buffer_store_dword v124, off, s[0:3], 0 offset:212
	s_waitcnt vmcnt(0)
	ds_write_b64 v123, v[125:126]
.LBB124_323:
	s_or_b32 exec_lo, exec_lo, s4
	s_waitcnt lgkmcnt(0)
	s_waitcnt_vscnt null, 0x0
	s_barrier
	buffer_gl0_inv
	s_clause 0x1c
	buffer_load_dword v133, off, s[0:3], 0 offset:216
	buffer_load_dword v134, off, s[0:3], 0 offset:220
	;; [unrolled: 1-line block ×29, first 2 shown]
	ds_read2_b64 v[125:128], v124 offset0:89 offset1:90
	ds_read2_b64 v[129:132], v124 offset0:91 offset1:92
	buffer_load_dword v158, off, s[0:3], 0 offset:332
	s_mov_b32 s4, exec_lo
	s_waitcnt vmcnt(28) lgkmcnt(1)
	v_fma_f64 v[125:126], v[133:134], v[125:126], 0
	s_clause 0x7
	buffer_load_dword v134, off, s[0:3], 0 offset:340
	buffer_load_dword v163, off, s[0:3], 0 offset:360
	buffer_load_dword v165, off, s[0:3], 0 offset:352
	buffer_load_dword v167, off, s[0:3], 0 offset:344
	buffer_load_dword v133, off, s[0:3], 0 offset:336
	buffer_load_dword v168, off, s[0:3], 0 offset:348
	buffer_load_dword v166, off, s[0:3], 0 offset:356
	buffer_load_dword v164, off, s[0:3], 0 offset:364
	s_waitcnt vmcnt(34)
	v_fma_f64 v[125:126], v[135:136], v[127:128], v[125:126]
	s_waitcnt vmcnt(32) lgkmcnt(0)
	v_fma_f64 v[125:126], v[137:138], v[129:130], v[125:126]
	s_waitcnt vmcnt(30)
	v_fma_f64 v[135:136], v[139:140], v[131:132], v[125:126]
	ds_read2_b64 v[125:128], v124 offset0:93 offset1:94
	ds_read2_b64 v[129:132], v124 offset0:95 offset1:96
	s_waitcnt vmcnt(28) lgkmcnt(1)
	v_fma_f64 v[125:126], v[141:142], v[125:126], v[135:136]
	s_clause 0x7
	buffer_load_dword v136, off, s[0:3], 0 offset:372
	buffer_load_dword v137, off, s[0:3], 0 offset:392
	buffer_load_dword v139, off, s[0:3], 0 offset:384
	buffer_load_dword v141, off, s[0:3], 0 offset:376
	buffer_load_dword v135, off, s[0:3], 0 offset:368
	buffer_load_dword v142, off, s[0:3], 0 offset:380
	buffer_load_dword v140, off, s[0:3], 0 offset:388
	buffer_load_dword v138, off, s[0:3], 0 offset:396
	s_waitcnt vmcnt(34)
	v_fma_f64 v[125:126], v[143:144], v[127:128], v[125:126]
	s_waitcnt vmcnt(32) lgkmcnt(0)
	v_fma_f64 v[125:126], v[145:146], v[129:130], v[125:126]
	s_waitcnt vmcnt(27)
	v_fma_f64 v[143:144], v[147:148], v[131:132], v[125:126]
	ds_read2_b64 v[125:128], v124 offset0:97 offset1:98
	ds_read2_b64 v[129:132], v124 offset0:99 offset1:100
	;; [unrolled: 19-line block ×4, first 2 shown]
	s_waitcnt vmcnt(26) lgkmcnt(1)
	v_fma_f64 v[125:126], v[167:168], v[125:126], v[133:134]
	s_clause 0x5
	buffer_load_dword v134, off, s[0:3], 0 offset:468
	buffer_load_dword v157, off, s[0:3], 0 offset:480
	;; [unrolled: 1-line block ×6, first 2 shown]
	s_waitcnt vmcnt(31)
	v_fma_f64 v[125:126], v[165:166], v[127:128], v[125:126]
	s_waitcnt vmcnt(30) lgkmcnt(0)
	v_fma_f64 v[125:126], v[163:164], v[129:130], v[125:126]
	s_waitcnt vmcnt(25)
	v_fma_f64 v[135:136], v[135:136], v[131:132], v[125:126]
	ds_read2_b64 v[125:128], v124 offset0:109 offset1:110
	s_clause 0x1
	buffer_load_dword v163, off, s[0:3], 0 offset:208
	buffer_load_dword v164, off, s[0:3], 0 offset:212
	ds_read2_b64 v[129:132], v124 offset0:111 offset1:112
	s_waitcnt vmcnt(26) lgkmcnt(1)
	v_fma_f64 v[125:126], v[141:142], v[125:126], v[135:136]
	s_waitcnt vmcnt(25)
	v_fma_f64 v[125:126], v[139:140], v[127:128], v[125:126]
	s_waitcnt vmcnt(24) lgkmcnt(0)
	v_fma_f64 v[125:126], v[137:138], v[129:130], v[125:126]
	s_waitcnt vmcnt(19)
	v_fma_f64 v[135:136], v[143:144], v[131:132], v[125:126]
	ds_read2_b64 v[125:128], v124 offset0:113 offset1:114
	ds_read2_b64 v[129:132], v124 offset0:115 offset1:116
	s_waitcnt vmcnt(18) lgkmcnt(1)
	v_fma_f64 v[125:126], v[153:154], v[125:126], v[135:136]
	s_waitcnt vmcnt(17)
	v_fma_f64 v[125:126], v[147:148], v[127:128], v[125:126]
	s_waitcnt vmcnt(16) lgkmcnt(0)
	v_fma_f64 v[125:126], v[145:146], v[129:130], v[125:126]
	s_waitcnt vmcnt(11)
	v_fma_f64 v[135:136], v[149:150], v[131:132], v[125:126]
	ds_read2_b64 v[125:128], v124 offset0:117 offset1:118
	ds_read2_b64 v[129:132], v124 offset0:119 offset1:120
	s_waitcnt vmcnt(10) lgkmcnt(1)
	v_fma_f64 v[125:126], v[161:162], v[125:126], v[135:136]
	s_waitcnt vmcnt(9)
	v_fma_f64 v[125:126], v[155:156], v[127:128], v[125:126]
	s_waitcnt vmcnt(8) lgkmcnt(0)
	v_fma_f64 v[125:126], v[151:152], v[129:130], v[125:126]
	s_waitcnt vmcnt(4)
	v_fma_f64 v[128:129], v[133:134], v[131:132], v[125:126]
	ds_read2_b64 v[124:127], v124 offset0:121 offset1:122
	s_waitcnt vmcnt(3) lgkmcnt(0)
	v_fma_f64 v[124:125], v[159:160], v[124:125], v[128:129]
	s_waitcnt vmcnt(2)
	v_fma_f64 v[124:125], v[157:158], v[126:127], v[124:125]
	s_waitcnt vmcnt(0)
	v_add_f64 v[124:125], v[163:164], -v[124:125]
	buffer_store_dword v125, off, s[0:3], 0 offset:212
	buffer_store_dword v124, off, s[0:3], 0 offset:208
	v_cmpx_lt_u32_e32 25, v0
	s_cbranch_execz .LBB124_325
; %bb.324:
	s_clause 0x1
	buffer_load_dword v124, off, s[0:3], 0 offset:200
	buffer_load_dword v125, off, s[0:3], 0 offset:204
	v_mov_b32_e32 v126, 0
	buffer_store_dword v126, off, s[0:3], 0 offset:200
	buffer_store_dword v126, off, s[0:3], 0 offset:204
	s_waitcnt vmcnt(0)
	ds_write_b64 v123, v[124:125]
.LBB124_325:
	s_or_b32 exec_lo, exec_lo, s4
	s_waitcnt lgkmcnt(0)
	s_waitcnt_vscnt null, 0x0
	s_barrier
	buffer_gl0_inv
	s_clause 0x1c
	buffer_load_dword v133, off, s[0:3], 0 offset:208
	buffer_load_dword v134, off, s[0:3], 0 offset:212
	;; [unrolled: 1-line block ×29, first 2 shown]
	v_mov_b32_e32 v124, 0
	buffer_load_dword v158, off, s[0:3], 0 offset:324
	s_mov_b32 s4, exec_lo
	ds_read_b128 v[125:128], v124 offset:704
	ds_read_b128 v[129:132], v124 offset:720
	s_waitcnt vmcnt(28) lgkmcnt(1)
	v_fma_f64 v[125:126], v[133:134], v[125:126], 0
	s_clause 0x7
	buffer_load_dword v134, off, s[0:3], 0 offset:332
	buffer_load_dword v163, off, s[0:3], 0 offset:352
	buffer_load_dword v165, off, s[0:3], 0 offset:344
	buffer_load_dword v167, off, s[0:3], 0 offset:336
	buffer_load_dword v133, off, s[0:3], 0 offset:328
	buffer_load_dword v168, off, s[0:3], 0 offset:340
	buffer_load_dword v166, off, s[0:3], 0 offset:348
	buffer_load_dword v164, off, s[0:3], 0 offset:356
	s_waitcnt vmcnt(34)
	v_fma_f64 v[125:126], v[135:136], v[127:128], v[125:126]
	s_waitcnt vmcnt(32) lgkmcnt(0)
	v_fma_f64 v[125:126], v[137:138], v[129:130], v[125:126]
	s_waitcnt vmcnt(30)
	v_fma_f64 v[135:136], v[139:140], v[131:132], v[125:126]
	ds_read_b128 v[125:128], v124 offset:736
	ds_read_b128 v[129:132], v124 offset:752
	s_waitcnt vmcnt(28) lgkmcnt(1)
	v_fma_f64 v[125:126], v[141:142], v[125:126], v[135:136]
	s_clause 0x7
	buffer_load_dword v136, off, s[0:3], 0 offset:364
	buffer_load_dword v137, off, s[0:3], 0 offset:384
	buffer_load_dword v139, off, s[0:3], 0 offset:376
	buffer_load_dword v141, off, s[0:3], 0 offset:368
	buffer_load_dword v135, off, s[0:3], 0 offset:360
	buffer_load_dword v142, off, s[0:3], 0 offset:372
	buffer_load_dword v140, off, s[0:3], 0 offset:380
	buffer_load_dword v138, off, s[0:3], 0 offset:388
	s_waitcnt vmcnt(34)
	v_fma_f64 v[125:126], v[143:144], v[127:128], v[125:126]
	s_waitcnt vmcnt(32) lgkmcnt(0)
	v_fma_f64 v[125:126], v[145:146], v[129:130], v[125:126]
	s_waitcnt vmcnt(27)
	v_fma_f64 v[143:144], v[147:148], v[131:132], v[125:126]
	;; [unrolled: 19-line block ×5, first 2 shown]
	ds_read_b128 v[125:128], v124 offset:864
	ds_read_b128 v[129:132], v124 offset:880
	s_waitcnt vmcnt(26) lgkmcnt(1)
	v_fma_f64 v[125:126], v[141:142], v[125:126], v[135:136]
	s_clause 0x1
	buffer_load_dword v135, off, s[0:3], 0 offset:200
	buffer_load_dword v136, off, s[0:3], 0 offset:204
	s_waitcnt vmcnt(27)
	v_fma_f64 v[125:126], v[139:140], v[127:128], v[125:126]
	s_waitcnt vmcnt(26) lgkmcnt(0)
	v_fma_f64 v[125:126], v[137:138], v[129:130], v[125:126]
	s_waitcnt vmcnt(21)
	v_fma_f64 v[137:138], v[143:144], v[131:132], v[125:126]
	ds_read_b128 v[125:128], v124 offset:896
	ds_read_b128 v[129:132], v124 offset:912
	s_waitcnt vmcnt(20) lgkmcnt(1)
	v_fma_f64 v[125:126], v[153:154], v[125:126], v[137:138]
	s_waitcnt vmcnt(19)
	v_fma_f64 v[125:126], v[147:148], v[127:128], v[125:126]
	s_waitcnt vmcnt(18) lgkmcnt(0)
	v_fma_f64 v[125:126], v[145:146], v[129:130], v[125:126]
	s_waitcnt vmcnt(13)
	v_fma_f64 v[137:138], v[149:150], v[131:132], v[125:126]
	ds_read_b128 v[125:128], v124 offset:928
	ds_read_b128 v[129:132], v124 offset:944
	s_waitcnt vmcnt(12) lgkmcnt(1)
	v_fma_f64 v[125:126], v[161:162], v[125:126], v[137:138]
	s_waitcnt vmcnt(11)
	v_fma_f64 v[125:126], v[155:156], v[127:128], v[125:126]
	s_waitcnt vmcnt(10) lgkmcnt(0)
	v_fma_f64 v[125:126], v[151:152], v[129:130], v[125:126]
	s_waitcnt vmcnt(5)
	v_fma_f64 v[129:130], v[133:134], v[131:132], v[125:126]
	ds_read_b128 v[125:128], v124 offset:960
	ds_read_b64 v[131:132], v124 offset:976
	s_waitcnt vmcnt(4) lgkmcnt(1)
	v_fma_f64 v[125:126], v[167:168], v[125:126], v[129:130]
	s_waitcnt vmcnt(3)
	v_fma_f64 v[125:126], v[159:160], v[127:128], v[125:126]
	s_waitcnt vmcnt(2) lgkmcnt(0)
	v_fma_f64 v[125:126], v[157:158], v[131:132], v[125:126]
	s_waitcnt vmcnt(0)
	v_add_f64 v[125:126], v[135:136], -v[125:126]
	buffer_store_dword v126, off, s[0:3], 0 offset:204
	buffer_store_dword v125, off, s[0:3], 0 offset:200
	v_cmpx_lt_u32_e32 24, v0
	s_cbranch_execz .LBB124_327
; %bb.326:
	s_clause 0x1
	buffer_load_dword v125, off, s[0:3], 0 offset:192
	buffer_load_dword v126, off, s[0:3], 0 offset:196
	buffer_store_dword v124, off, s[0:3], 0 offset:192
	buffer_store_dword v124, off, s[0:3], 0 offset:196
	s_waitcnt vmcnt(0)
	ds_write_b64 v123, v[125:126]
.LBB124_327:
	s_or_b32 exec_lo, exec_lo, s4
	s_waitcnt lgkmcnt(0)
	s_waitcnt_vscnt null, 0x0
	s_barrier
	buffer_gl0_inv
	s_clause 0x1c
	buffer_load_dword v133, off, s[0:3], 0 offset:200
	buffer_load_dword v134, off, s[0:3], 0 offset:204
	;; [unrolled: 1-line block ×29, first 2 shown]
	ds_read2_b64 v[125:128], v124 offset0:87 offset1:88
	ds_read2_b64 v[129:132], v124 offset0:89 offset1:90
	buffer_load_dword v158, off, s[0:3], 0 offset:316
	s_mov_b32 s4, exec_lo
	s_waitcnt vmcnt(28) lgkmcnt(1)
	v_fma_f64 v[125:126], v[133:134], v[125:126], 0
	s_clause 0x7
	buffer_load_dword v134, off, s[0:3], 0 offset:324
	buffer_load_dword v163, off, s[0:3], 0 offset:344
	buffer_load_dword v165, off, s[0:3], 0 offset:336
	buffer_load_dword v167, off, s[0:3], 0 offset:328
	buffer_load_dword v133, off, s[0:3], 0 offset:320
	buffer_load_dword v168, off, s[0:3], 0 offset:332
	buffer_load_dword v166, off, s[0:3], 0 offset:340
	buffer_load_dword v164, off, s[0:3], 0 offset:348
	s_waitcnt vmcnt(34)
	v_fma_f64 v[125:126], v[135:136], v[127:128], v[125:126]
	s_waitcnt vmcnt(32) lgkmcnt(0)
	v_fma_f64 v[125:126], v[137:138], v[129:130], v[125:126]
	s_waitcnt vmcnt(30)
	v_fma_f64 v[135:136], v[139:140], v[131:132], v[125:126]
	ds_read2_b64 v[125:128], v124 offset0:91 offset1:92
	ds_read2_b64 v[129:132], v124 offset0:93 offset1:94
	s_waitcnt vmcnt(28) lgkmcnt(1)
	v_fma_f64 v[125:126], v[141:142], v[125:126], v[135:136]
	s_clause 0x7
	buffer_load_dword v136, off, s[0:3], 0 offset:356
	buffer_load_dword v137, off, s[0:3], 0 offset:376
	buffer_load_dword v139, off, s[0:3], 0 offset:368
	buffer_load_dword v141, off, s[0:3], 0 offset:360
	buffer_load_dword v135, off, s[0:3], 0 offset:352
	buffer_load_dword v142, off, s[0:3], 0 offset:364
	buffer_load_dword v140, off, s[0:3], 0 offset:372
	buffer_load_dword v138, off, s[0:3], 0 offset:380
	s_waitcnt vmcnt(34)
	v_fma_f64 v[125:126], v[143:144], v[127:128], v[125:126]
	s_waitcnt vmcnt(32) lgkmcnt(0)
	v_fma_f64 v[125:126], v[145:146], v[129:130], v[125:126]
	s_waitcnt vmcnt(27)
	v_fma_f64 v[143:144], v[147:148], v[131:132], v[125:126]
	ds_read2_b64 v[125:128], v124 offset0:95 offset1:96
	ds_read2_b64 v[129:132], v124 offset0:97 offset1:98
	;; [unrolled: 19-line block ×5, first 2 shown]
	s_waitcnt vmcnt(26) lgkmcnt(1)
	v_fma_f64 v[125:126], v[141:142], v[125:126], v[135:136]
	s_clause 0x1
	buffer_load_dword v136, off, s[0:3], 0 offset:484
	buffer_load_dword v135, off, s[0:3], 0 offset:480
	s_waitcnt vmcnt(27)
	v_fma_f64 v[125:126], v[139:140], v[127:128], v[125:126]
	s_clause 0x1
	buffer_load_dword v139, off, s[0:3], 0 offset:192
	buffer_load_dword v140, off, s[0:3], 0 offset:196
	s_waitcnt vmcnt(28) lgkmcnt(0)
	v_fma_f64 v[125:126], v[137:138], v[129:130], v[125:126]
	s_waitcnt vmcnt(23)
	v_fma_f64 v[137:138], v[143:144], v[131:132], v[125:126]
	ds_read2_b64 v[125:128], v124 offset0:111 offset1:112
	ds_read2_b64 v[129:132], v124 offset0:113 offset1:114
	s_waitcnt vmcnt(22) lgkmcnt(1)
	v_fma_f64 v[125:126], v[153:154], v[125:126], v[137:138]
	s_waitcnt vmcnt(21)
	v_fma_f64 v[125:126], v[147:148], v[127:128], v[125:126]
	s_waitcnt vmcnt(20) lgkmcnt(0)
	v_fma_f64 v[125:126], v[145:146], v[129:130], v[125:126]
	s_waitcnt vmcnt(15)
	v_fma_f64 v[137:138], v[149:150], v[131:132], v[125:126]
	ds_read2_b64 v[125:128], v124 offset0:115 offset1:116
	ds_read2_b64 v[129:132], v124 offset0:117 offset1:118
	s_waitcnt vmcnt(14) lgkmcnt(1)
	v_fma_f64 v[125:126], v[161:162], v[125:126], v[137:138]
	s_waitcnt vmcnt(13)
	v_fma_f64 v[125:126], v[155:156], v[127:128], v[125:126]
	;; [unrolled: 10-line block ×3, first 2 shown]
	s_waitcnt vmcnt(4) lgkmcnt(0)
	v_fma_f64 v[124:125], v[157:158], v[129:130], v[124:125]
	s_waitcnt vmcnt(2)
	v_fma_f64 v[124:125], v[135:136], v[131:132], v[124:125]
	s_waitcnt vmcnt(0)
	v_add_f64 v[124:125], v[139:140], -v[124:125]
	buffer_store_dword v125, off, s[0:3], 0 offset:196
	buffer_store_dword v124, off, s[0:3], 0 offset:192
	v_cmpx_lt_u32_e32 23, v0
	s_cbranch_execz .LBB124_329
; %bb.328:
	s_clause 0x1
	buffer_load_dword v124, off, s[0:3], 0 offset:184
	buffer_load_dword v125, off, s[0:3], 0 offset:188
	v_mov_b32_e32 v126, 0
	buffer_store_dword v126, off, s[0:3], 0 offset:184
	buffer_store_dword v126, off, s[0:3], 0 offset:188
	s_waitcnt vmcnt(0)
	ds_write_b64 v123, v[124:125]
.LBB124_329:
	s_or_b32 exec_lo, exec_lo, s4
	s_waitcnt lgkmcnt(0)
	s_waitcnt_vscnt null, 0x0
	s_barrier
	buffer_gl0_inv
	s_clause 0x1c
	buffer_load_dword v133, off, s[0:3], 0 offset:192
	buffer_load_dword v134, off, s[0:3], 0 offset:196
	;; [unrolled: 1-line block ×29, first 2 shown]
	v_mov_b32_e32 v124, 0
	buffer_load_dword v158, off, s[0:3], 0 offset:308
	s_mov_b32 s4, exec_lo
	ds_read_b128 v[125:128], v124 offset:688
	ds_read_b128 v[129:132], v124 offset:704
	s_waitcnt vmcnt(28) lgkmcnt(1)
	v_fma_f64 v[125:126], v[133:134], v[125:126], 0
	s_clause 0x7
	buffer_load_dword v134, off, s[0:3], 0 offset:316
	buffer_load_dword v163, off, s[0:3], 0 offset:336
	buffer_load_dword v165, off, s[0:3], 0 offset:328
	buffer_load_dword v167, off, s[0:3], 0 offset:320
	buffer_load_dword v133, off, s[0:3], 0 offset:312
	buffer_load_dword v168, off, s[0:3], 0 offset:324
	buffer_load_dword v166, off, s[0:3], 0 offset:332
	buffer_load_dword v164, off, s[0:3], 0 offset:340
	s_waitcnt vmcnt(34)
	v_fma_f64 v[125:126], v[135:136], v[127:128], v[125:126]
	s_waitcnt vmcnt(32) lgkmcnt(0)
	v_fma_f64 v[125:126], v[137:138], v[129:130], v[125:126]
	s_waitcnt vmcnt(30)
	v_fma_f64 v[135:136], v[139:140], v[131:132], v[125:126]
	ds_read_b128 v[125:128], v124 offset:720
	ds_read_b128 v[129:132], v124 offset:736
	s_waitcnt vmcnt(28) lgkmcnt(1)
	v_fma_f64 v[125:126], v[141:142], v[125:126], v[135:136]
	s_clause 0x7
	buffer_load_dword v136, off, s[0:3], 0 offset:348
	buffer_load_dword v137, off, s[0:3], 0 offset:368
	buffer_load_dword v139, off, s[0:3], 0 offset:360
	buffer_load_dword v141, off, s[0:3], 0 offset:352
	buffer_load_dword v135, off, s[0:3], 0 offset:344
	buffer_load_dword v142, off, s[0:3], 0 offset:356
	buffer_load_dword v140, off, s[0:3], 0 offset:364
	buffer_load_dword v138, off, s[0:3], 0 offset:372
	s_waitcnt vmcnt(34)
	v_fma_f64 v[125:126], v[143:144], v[127:128], v[125:126]
	s_waitcnt vmcnt(32) lgkmcnt(0)
	v_fma_f64 v[125:126], v[145:146], v[129:130], v[125:126]
	s_waitcnt vmcnt(27)
	v_fma_f64 v[143:144], v[147:148], v[131:132], v[125:126]
	ds_read_b128 v[125:128], v124 offset:752
	ds_read_b128 v[129:132], v124 offset:768
	s_waitcnt vmcnt(26) lgkmcnt(1)
	v_fma_f64 v[125:126], v[153:154], v[125:126], v[143:144]
	s_clause 0x7
	buffer_load_dword v144, off, s[0:3], 0 offset:380
	buffer_load_dword v145, off, s[0:3], 0 offset:400
	buffer_load_dword v147, off, s[0:3], 0 offset:392
	buffer_load_dword v153, off, s[0:3], 0 offset:384
	buffer_load_dword v143, off, s[0:3], 0 offset:376
	buffer_load_dword v154, off, s[0:3], 0 offset:388
	buffer_load_dword v148, off, s[0:3], 0 offset:396
	buffer_load_dword v146, off, s[0:3], 0 offset:404
	s_waitcnt vmcnt(33)
	v_fma_f64 v[125:126], v[151:152], v[127:128], v[125:126]
	s_waitcnt vmcnt(32) lgkmcnt(0)
	v_fma_f64 v[125:126], v[149:150], v[129:130], v[125:126]
	s_waitcnt vmcnt(27)
	v_fma_f64 v[149:150], v[155:156], v[131:132], v[125:126]
	ds_read_b128 v[125:128], v124 offset:784
	ds_read_b128 v[129:132], v124 offset:800
	s_waitcnt vmcnt(26) lgkmcnt(1)
	v_fma_f64 v[125:126], v[161:162], v[125:126], v[149:150]
	s_clause 0x7
	buffer_load_dword v150, off, s[0:3], 0 offset:412
	buffer_load_dword v151, off, s[0:3], 0 offset:432
	buffer_load_dword v155, off, s[0:3], 0 offset:424
	buffer_load_dword v161, off, s[0:3], 0 offset:416
	buffer_load_dword v149, off, s[0:3], 0 offset:408
	buffer_load_dword v162, off, s[0:3], 0 offset:420
	buffer_load_dword v156, off, s[0:3], 0 offset:428
	buffer_load_dword v152, off, s[0:3], 0 offset:436
	s_waitcnt vmcnt(33)
	v_fma_f64 v[125:126], v[159:160], v[127:128], v[125:126]
	s_waitcnt vmcnt(32) lgkmcnt(0)
	v_fma_f64 v[125:126], v[157:158], v[129:130], v[125:126]
	s_waitcnt vmcnt(27)
	v_fma_f64 v[133:134], v[133:134], v[131:132], v[125:126]
	ds_read_b128 v[125:128], v124 offset:816
	ds_read_b128 v[129:132], v124 offset:832
	s_waitcnt vmcnt(26) lgkmcnt(1)
	v_fma_f64 v[125:126], v[167:168], v[125:126], v[133:134]
	s_clause 0x7
	buffer_load_dword v134, off, s[0:3], 0 offset:444
	buffer_load_dword v157, off, s[0:3], 0 offset:464
	buffer_load_dword v159, off, s[0:3], 0 offset:456
	buffer_load_dword v167, off, s[0:3], 0 offset:448
	buffer_load_dword v133, off, s[0:3], 0 offset:440
	buffer_load_dword v168, off, s[0:3], 0 offset:452
	buffer_load_dword v160, off, s[0:3], 0 offset:460
	buffer_load_dword v158, off, s[0:3], 0 offset:468
	s_waitcnt vmcnt(33)
	v_fma_f64 v[125:126], v[165:166], v[127:128], v[125:126]
	s_waitcnt vmcnt(32) lgkmcnt(0)
	v_fma_f64 v[125:126], v[163:164], v[129:130], v[125:126]
	s_waitcnt vmcnt(27)
	v_fma_f64 v[135:136], v[135:136], v[131:132], v[125:126]
	ds_read_b128 v[125:128], v124 offset:848
	ds_read_b128 v[129:132], v124 offset:864
	s_waitcnt vmcnt(26) lgkmcnt(1)
	v_fma_f64 v[125:126], v[141:142], v[125:126], v[135:136]
	s_clause 0x3
	buffer_load_dword v136, off, s[0:3], 0 offset:476
	buffer_load_dword v141, off, s[0:3], 0 offset:480
	;; [unrolled: 1-line block ×4, first 2 shown]
	s_waitcnt vmcnt(29)
	v_fma_f64 v[125:126], v[139:140], v[127:128], v[125:126]
	s_waitcnt vmcnt(28) lgkmcnt(0)
	v_fma_f64 v[125:126], v[137:138], v[129:130], v[125:126]
	s_clause 0x1
	buffer_load_dword v137, off, s[0:3], 0 offset:184
	buffer_load_dword v138, off, s[0:3], 0 offset:188
	s_waitcnt vmcnt(25)
	v_fma_f64 v[139:140], v[143:144], v[131:132], v[125:126]
	ds_read_b128 v[125:128], v124 offset:880
	ds_read_b128 v[129:132], v124 offset:896
	s_waitcnt vmcnt(24) lgkmcnt(1)
	v_fma_f64 v[125:126], v[153:154], v[125:126], v[139:140]
	s_waitcnt vmcnt(23)
	v_fma_f64 v[125:126], v[147:148], v[127:128], v[125:126]
	s_waitcnt vmcnt(22) lgkmcnt(0)
	v_fma_f64 v[125:126], v[145:146], v[129:130], v[125:126]
	s_waitcnt vmcnt(17)
	v_fma_f64 v[139:140], v[149:150], v[131:132], v[125:126]
	ds_read_b128 v[125:128], v124 offset:912
	ds_read_b128 v[129:132], v124 offset:928
	s_waitcnt vmcnt(16) lgkmcnt(1)
	v_fma_f64 v[125:126], v[161:162], v[125:126], v[139:140]
	s_waitcnt vmcnt(15)
	v_fma_f64 v[125:126], v[155:156], v[127:128], v[125:126]
	s_waitcnt vmcnt(14) lgkmcnt(0)
	v_fma_f64 v[125:126], v[151:152], v[129:130], v[125:126]
	s_waitcnt vmcnt(9)
	v_fma_f64 v[133:134], v[133:134], v[131:132], v[125:126]
	ds_read_b128 v[125:128], v124 offset:944
	ds_read_b128 v[129:132], v124 offset:960
	s_waitcnt vmcnt(8) lgkmcnt(1)
	v_fma_f64 v[125:126], v[167:168], v[125:126], v[133:134]
	s_waitcnt vmcnt(7)
	v_fma_f64 v[125:126], v[159:160], v[127:128], v[125:126]
	ds_read_b64 v[127:128], v124 offset:976
	s_waitcnt vmcnt(6) lgkmcnt(1)
	v_fma_f64 v[125:126], v[157:158], v[129:130], v[125:126]
	s_waitcnt vmcnt(3)
	v_fma_f64 v[125:126], v[135:136], v[131:132], v[125:126]
	s_waitcnt vmcnt(2) lgkmcnt(0)
	v_fma_f64 v[125:126], v[141:142], v[127:128], v[125:126]
	s_waitcnt vmcnt(0)
	v_add_f64 v[125:126], v[137:138], -v[125:126]
	buffer_store_dword v126, off, s[0:3], 0 offset:188
	buffer_store_dword v125, off, s[0:3], 0 offset:184
	v_cmpx_lt_u32_e32 22, v0
	s_cbranch_execz .LBB124_331
; %bb.330:
	s_clause 0x1
	buffer_load_dword v125, off, s[0:3], 0 offset:176
	buffer_load_dword v126, off, s[0:3], 0 offset:180
	buffer_store_dword v124, off, s[0:3], 0 offset:176
	buffer_store_dword v124, off, s[0:3], 0 offset:180
	s_waitcnt vmcnt(0)
	ds_write_b64 v123, v[125:126]
.LBB124_331:
	s_or_b32 exec_lo, exec_lo, s4
	s_waitcnt lgkmcnt(0)
	s_waitcnt_vscnt null, 0x0
	s_barrier
	buffer_gl0_inv
	s_clause 0x1c
	buffer_load_dword v133, off, s[0:3], 0 offset:184
	buffer_load_dword v134, off, s[0:3], 0 offset:188
	;; [unrolled: 1-line block ×29, first 2 shown]
	ds_read2_b64 v[125:128], v124 offset0:85 offset1:86
	ds_read2_b64 v[129:132], v124 offset0:87 offset1:88
	buffer_load_dword v158, off, s[0:3], 0 offset:300
	s_mov_b32 s4, exec_lo
	s_waitcnt vmcnt(28) lgkmcnt(1)
	v_fma_f64 v[125:126], v[133:134], v[125:126], 0
	s_clause 0x7
	buffer_load_dword v134, off, s[0:3], 0 offset:308
	buffer_load_dword v163, off, s[0:3], 0 offset:328
	buffer_load_dword v165, off, s[0:3], 0 offset:320
	buffer_load_dword v167, off, s[0:3], 0 offset:312
	buffer_load_dword v133, off, s[0:3], 0 offset:304
	buffer_load_dword v168, off, s[0:3], 0 offset:316
	buffer_load_dword v166, off, s[0:3], 0 offset:324
	buffer_load_dword v164, off, s[0:3], 0 offset:332
	s_waitcnt vmcnt(34)
	v_fma_f64 v[125:126], v[135:136], v[127:128], v[125:126]
	s_waitcnt vmcnt(32) lgkmcnt(0)
	v_fma_f64 v[125:126], v[137:138], v[129:130], v[125:126]
	s_waitcnt vmcnt(30)
	v_fma_f64 v[135:136], v[139:140], v[131:132], v[125:126]
	ds_read2_b64 v[125:128], v124 offset0:89 offset1:90
	ds_read2_b64 v[129:132], v124 offset0:91 offset1:92
	s_waitcnt vmcnt(28) lgkmcnt(1)
	v_fma_f64 v[125:126], v[141:142], v[125:126], v[135:136]
	s_clause 0x7
	buffer_load_dword v136, off, s[0:3], 0 offset:340
	buffer_load_dword v137, off, s[0:3], 0 offset:360
	buffer_load_dword v139, off, s[0:3], 0 offset:352
	buffer_load_dword v141, off, s[0:3], 0 offset:344
	buffer_load_dword v135, off, s[0:3], 0 offset:336
	buffer_load_dword v142, off, s[0:3], 0 offset:348
	buffer_load_dword v140, off, s[0:3], 0 offset:356
	buffer_load_dword v138, off, s[0:3], 0 offset:364
	s_waitcnt vmcnt(34)
	v_fma_f64 v[125:126], v[143:144], v[127:128], v[125:126]
	s_waitcnt vmcnt(32) lgkmcnt(0)
	v_fma_f64 v[125:126], v[145:146], v[129:130], v[125:126]
	s_waitcnt vmcnt(27)
	v_fma_f64 v[143:144], v[147:148], v[131:132], v[125:126]
	ds_read2_b64 v[125:128], v124 offset0:93 offset1:94
	ds_read2_b64 v[129:132], v124 offset0:95 offset1:96
	s_waitcnt vmcnt(26) lgkmcnt(1)
	v_fma_f64 v[125:126], v[153:154], v[125:126], v[143:144]
	s_clause 0x7
	buffer_load_dword v144, off, s[0:3], 0 offset:372
	buffer_load_dword v145, off, s[0:3], 0 offset:392
	buffer_load_dword v147, off, s[0:3], 0 offset:384
	buffer_load_dword v153, off, s[0:3], 0 offset:376
	buffer_load_dword v143, off, s[0:3], 0 offset:368
	buffer_load_dword v154, off, s[0:3], 0 offset:380
	buffer_load_dword v148, off, s[0:3], 0 offset:388
	buffer_load_dword v146, off, s[0:3], 0 offset:396
	s_waitcnt vmcnt(33)
	v_fma_f64 v[125:126], v[151:152], v[127:128], v[125:126]
	s_waitcnt vmcnt(32) lgkmcnt(0)
	v_fma_f64 v[125:126], v[149:150], v[129:130], v[125:126]
	s_waitcnt vmcnt(27)
	v_fma_f64 v[149:150], v[155:156], v[131:132], v[125:126]
	ds_read2_b64 v[125:128], v124 offset0:97 offset1:98
	ds_read2_b64 v[129:132], v124 offset0:99 offset1:100
	s_waitcnt vmcnt(26) lgkmcnt(1)
	v_fma_f64 v[125:126], v[161:162], v[125:126], v[149:150]
	s_clause 0x7
	buffer_load_dword v150, off, s[0:3], 0 offset:404
	buffer_load_dword v151, off, s[0:3], 0 offset:424
	buffer_load_dword v155, off, s[0:3], 0 offset:416
	buffer_load_dword v161, off, s[0:3], 0 offset:408
	buffer_load_dword v149, off, s[0:3], 0 offset:400
	buffer_load_dword v162, off, s[0:3], 0 offset:412
	buffer_load_dword v156, off, s[0:3], 0 offset:420
	buffer_load_dword v152, off, s[0:3], 0 offset:428
	s_waitcnt vmcnt(33)
	v_fma_f64 v[125:126], v[159:160], v[127:128], v[125:126]
	s_waitcnt vmcnt(32) lgkmcnt(0)
	v_fma_f64 v[125:126], v[157:158], v[129:130], v[125:126]
	s_waitcnt vmcnt(27)
	v_fma_f64 v[133:134], v[133:134], v[131:132], v[125:126]
	ds_read2_b64 v[125:128], v124 offset0:101 offset1:102
	ds_read2_b64 v[129:132], v124 offset0:103 offset1:104
	s_waitcnt vmcnt(26) lgkmcnt(1)
	v_fma_f64 v[125:126], v[167:168], v[125:126], v[133:134]
	s_clause 0x7
	buffer_load_dword v134, off, s[0:3], 0 offset:436
	buffer_load_dword v157, off, s[0:3], 0 offset:456
	buffer_load_dword v159, off, s[0:3], 0 offset:448
	buffer_load_dword v167, off, s[0:3], 0 offset:440
	buffer_load_dword v133, off, s[0:3], 0 offset:432
	buffer_load_dword v168, off, s[0:3], 0 offset:444
	buffer_load_dword v160, off, s[0:3], 0 offset:452
	buffer_load_dword v158, off, s[0:3], 0 offset:460
	s_waitcnt vmcnt(33)
	v_fma_f64 v[125:126], v[165:166], v[127:128], v[125:126]
	s_waitcnt vmcnt(32) lgkmcnt(0)
	v_fma_f64 v[125:126], v[163:164], v[129:130], v[125:126]
	s_waitcnt vmcnt(27)
	v_fma_f64 v[135:136], v[135:136], v[131:132], v[125:126]
	ds_read2_b64 v[125:128], v124 offset0:105 offset1:106
	ds_read2_b64 v[129:132], v124 offset0:107 offset1:108
	s_waitcnt vmcnt(26) lgkmcnt(1)
	v_fma_f64 v[125:126], v[141:142], v[125:126], v[135:136]
	s_clause 0x5
	buffer_load_dword v136, off, s[0:3], 0 offset:468
	buffer_load_dword v141, off, s[0:3], 0 offset:480
	;; [unrolled: 1-line block ×6, first 2 shown]
	s_waitcnt vmcnt(31)
	v_fma_f64 v[125:126], v[139:140], v[127:128], v[125:126]
	s_waitcnt vmcnt(30) lgkmcnt(0)
	v_fma_f64 v[125:126], v[137:138], v[129:130], v[125:126]
	s_waitcnt vmcnt(25)
	v_fma_f64 v[137:138], v[143:144], v[131:132], v[125:126]
	ds_read2_b64 v[125:128], v124 offset0:109 offset1:110
	s_clause 0x1
	buffer_load_dword v139, off, s[0:3], 0 offset:176
	buffer_load_dword v140, off, s[0:3], 0 offset:180
	ds_read2_b64 v[129:132], v124 offset0:111 offset1:112
	s_waitcnt vmcnt(26) lgkmcnt(1)
	v_fma_f64 v[125:126], v[153:154], v[125:126], v[137:138]
	s_waitcnt vmcnt(25)
	v_fma_f64 v[125:126], v[147:148], v[127:128], v[125:126]
	s_waitcnt vmcnt(24) lgkmcnt(0)
	v_fma_f64 v[125:126], v[145:146], v[129:130], v[125:126]
	s_waitcnt vmcnt(19)
	v_fma_f64 v[137:138], v[149:150], v[131:132], v[125:126]
	ds_read2_b64 v[125:128], v124 offset0:113 offset1:114
	ds_read2_b64 v[129:132], v124 offset0:115 offset1:116
	s_waitcnt vmcnt(18) lgkmcnt(1)
	v_fma_f64 v[125:126], v[161:162], v[125:126], v[137:138]
	s_waitcnt vmcnt(17)
	v_fma_f64 v[125:126], v[155:156], v[127:128], v[125:126]
	s_waitcnt vmcnt(16) lgkmcnt(0)
	v_fma_f64 v[125:126], v[151:152], v[129:130], v[125:126]
	s_waitcnt vmcnt(11)
	v_fma_f64 v[133:134], v[133:134], v[131:132], v[125:126]
	ds_read2_b64 v[125:128], v124 offset0:117 offset1:118
	;; [unrolled: 10-line block ×3, first 2 shown]
	s_waitcnt vmcnt(3) lgkmcnt(0)
	v_fma_f64 v[124:125], v[163:164], v[124:125], v[128:129]
	s_waitcnt vmcnt(2)
	v_fma_f64 v[124:125], v[141:142], v[126:127], v[124:125]
	s_waitcnt vmcnt(0)
	v_add_f64 v[124:125], v[139:140], -v[124:125]
	buffer_store_dword v125, off, s[0:3], 0 offset:180
	buffer_store_dword v124, off, s[0:3], 0 offset:176
	v_cmpx_lt_u32_e32 21, v0
	s_cbranch_execz .LBB124_333
; %bb.332:
	s_clause 0x1
	buffer_load_dword v124, off, s[0:3], 0 offset:168
	buffer_load_dword v125, off, s[0:3], 0 offset:172
	v_mov_b32_e32 v126, 0
	buffer_store_dword v126, off, s[0:3], 0 offset:168
	buffer_store_dword v126, off, s[0:3], 0 offset:172
	s_waitcnt vmcnt(0)
	ds_write_b64 v123, v[124:125]
.LBB124_333:
	s_or_b32 exec_lo, exec_lo, s4
	s_waitcnt lgkmcnt(0)
	s_waitcnt_vscnt null, 0x0
	s_barrier
	buffer_gl0_inv
	s_clause 0x1c
	buffer_load_dword v133, off, s[0:3], 0 offset:176
	buffer_load_dword v134, off, s[0:3], 0 offset:180
	;; [unrolled: 1-line block ×29, first 2 shown]
	v_mov_b32_e32 v124, 0
	buffer_load_dword v158, off, s[0:3], 0 offset:292
	s_mov_b32 s4, exec_lo
	ds_read_b128 v[125:128], v124 offset:672
	ds_read_b128 v[129:132], v124 offset:688
	s_waitcnt vmcnt(28) lgkmcnt(1)
	v_fma_f64 v[125:126], v[133:134], v[125:126], 0
	s_clause 0x7
	buffer_load_dword v134, off, s[0:3], 0 offset:300
	buffer_load_dword v163, off, s[0:3], 0 offset:320
	buffer_load_dword v165, off, s[0:3], 0 offset:312
	buffer_load_dword v167, off, s[0:3], 0 offset:304
	buffer_load_dword v133, off, s[0:3], 0 offset:296
	buffer_load_dword v168, off, s[0:3], 0 offset:308
	buffer_load_dword v166, off, s[0:3], 0 offset:316
	buffer_load_dword v164, off, s[0:3], 0 offset:324
	s_waitcnt vmcnt(34)
	v_fma_f64 v[125:126], v[135:136], v[127:128], v[125:126]
	s_waitcnt vmcnt(32) lgkmcnt(0)
	v_fma_f64 v[125:126], v[137:138], v[129:130], v[125:126]
	s_waitcnt vmcnt(30)
	v_fma_f64 v[135:136], v[139:140], v[131:132], v[125:126]
	ds_read_b128 v[125:128], v124 offset:704
	ds_read_b128 v[129:132], v124 offset:720
	s_waitcnt vmcnt(28) lgkmcnt(1)
	v_fma_f64 v[125:126], v[141:142], v[125:126], v[135:136]
	s_clause 0x7
	buffer_load_dword v136, off, s[0:3], 0 offset:332
	buffer_load_dword v137, off, s[0:3], 0 offset:352
	buffer_load_dword v139, off, s[0:3], 0 offset:344
	buffer_load_dword v141, off, s[0:3], 0 offset:336
	buffer_load_dword v135, off, s[0:3], 0 offset:328
	buffer_load_dword v142, off, s[0:3], 0 offset:340
	buffer_load_dword v140, off, s[0:3], 0 offset:348
	buffer_load_dword v138, off, s[0:3], 0 offset:356
	s_waitcnt vmcnt(34)
	v_fma_f64 v[125:126], v[143:144], v[127:128], v[125:126]
	s_waitcnt vmcnt(32) lgkmcnt(0)
	v_fma_f64 v[125:126], v[145:146], v[129:130], v[125:126]
	s_waitcnt vmcnt(27)
	v_fma_f64 v[143:144], v[147:148], v[131:132], v[125:126]
	;; [unrolled: 19-line block ×6, first 2 shown]
	ds_read_b128 v[125:128], v124 offset:864
	ds_read_b128 v[129:132], v124 offset:880
	s_waitcnt vmcnt(26) lgkmcnt(1)
	v_fma_f64 v[125:126], v[153:154], v[125:126], v[137:138]
	s_clause 0x1
	buffer_load_dword v137, off, s[0:3], 0 offset:168
	buffer_load_dword v138, off, s[0:3], 0 offset:172
	s_waitcnt vmcnt(27)
	v_fma_f64 v[125:126], v[147:148], v[127:128], v[125:126]
	s_waitcnt vmcnt(26) lgkmcnt(0)
	v_fma_f64 v[125:126], v[145:146], v[129:130], v[125:126]
	s_waitcnt vmcnt(21)
	v_fma_f64 v[139:140], v[149:150], v[131:132], v[125:126]
	ds_read_b128 v[125:128], v124 offset:896
	ds_read_b128 v[129:132], v124 offset:912
	s_waitcnt vmcnt(20) lgkmcnt(1)
	v_fma_f64 v[125:126], v[161:162], v[125:126], v[139:140]
	s_waitcnt vmcnt(19)
	v_fma_f64 v[125:126], v[155:156], v[127:128], v[125:126]
	s_waitcnt vmcnt(18) lgkmcnt(0)
	v_fma_f64 v[125:126], v[151:152], v[129:130], v[125:126]
	s_waitcnt vmcnt(13)
	v_fma_f64 v[133:134], v[133:134], v[131:132], v[125:126]
	ds_read_b128 v[125:128], v124 offset:928
	ds_read_b128 v[129:132], v124 offset:944
	s_waitcnt vmcnt(12) lgkmcnt(1)
	v_fma_f64 v[125:126], v[167:168], v[125:126], v[133:134]
	s_waitcnt vmcnt(11)
	v_fma_f64 v[125:126], v[159:160], v[127:128], v[125:126]
	s_waitcnt vmcnt(10) lgkmcnt(0)
	v_fma_f64 v[125:126], v[157:158], v[129:130], v[125:126]
	s_waitcnt vmcnt(5)
	v_fma_f64 v[129:130], v[135:136], v[131:132], v[125:126]
	ds_read_b128 v[125:128], v124 offset:960
	ds_read_b64 v[131:132], v124 offset:976
	s_waitcnt vmcnt(4) lgkmcnt(1)
	v_fma_f64 v[125:126], v[165:166], v[125:126], v[129:130]
	s_waitcnt vmcnt(3)
	v_fma_f64 v[125:126], v[163:164], v[127:128], v[125:126]
	s_waitcnt vmcnt(2) lgkmcnt(0)
	v_fma_f64 v[125:126], v[141:142], v[131:132], v[125:126]
	s_waitcnt vmcnt(0)
	v_add_f64 v[125:126], v[137:138], -v[125:126]
	buffer_store_dword v126, off, s[0:3], 0 offset:172
	buffer_store_dword v125, off, s[0:3], 0 offset:168
	v_cmpx_lt_u32_e32 20, v0
	s_cbranch_execz .LBB124_335
; %bb.334:
	s_clause 0x1
	buffer_load_dword v125, off, s[0:3], 0 offset:160
	buffer_load_dword v126, off, s[0:3], 0 offset:164
	buffer_store_dword v124, off, s[0:3], 0 offset:160
	buffer_store_dword v124, off, s[0:3], 0 offset:164
	s_waitcnt vmcnt(0)
	ds_write_b64 v123, v[125:126]
.LBB124_335:
	s_or_b32 exec_lo, exec_lo, s4
	s_waitcnt lgkmcnt(0)
	s_waitcnt_vscnt null, 0x0
	s_barrier
	buffer_gl0_inv
	s_clause 0x1c
	buffer_load_dword v133, off, s[0:3], 0 offset:168
	buffer_load_dword v134, off, s[0:3], 0 offset:172
	;; [unrolled: 1-line block ×29, first 2 shown]
	ds_read2_b64 v[125:128], v124 offset0:83 offset1:84
	ds_read2_b64 v[129:132], v124 offset0:85 offset1:86
	buffer_load_dword v158, off, s[0:3], 0 offset:284
	s_mov_b32 s4, exec_lo
	s_waitcnt vmcnt(28) lgkmcnt(1)
	v_fma_f64 v[125:126], v[133:134], v[125:126], 0
	s_clause 0x7
	buffer_load_dword v134, off, s[0:3], 0 offset:292
	buffer_load_dword v163, off, s[0:3], 0 offset:312
	buffer_load_dword v165, off, s[0:3], 0 offset:304
	buffer_load_dword v167, off, s[0:3], 0 offset:296
	buffer_load_dword v133, off, s[0:3], 0 offset:288
	buffer_load_dword v168, off, s[0:3], 0 offset:300
	buffer_load_dword v166, off, s[0:3], 0 offset:308
	buffer_load_dword v164, off, s[0:3], 0 offset:316
	s_waitcnt vmcnt(34)
	v_fma_f64 v[125:126], v[135:136], v[127:128], v[125:126]
	s_waitcnt vmcnt(32) lgkmcnt(0)
	v_fma_f64 v[125:126], v[137:138], v[129:130], v[125:126]
	s_waitcnt vmcnt(30)
	v_fma_f64 v[135:136], v[139:140], v[131:132], v[125:126]
	ds_read2_b64 v[125:128], v124 offset0:87 offset1:88
	ds_read2_b64 v[129:132], v124 offset0:89 offset1:90
	s_waitcnt vmcnt(28) lgkmcnt(1)
	v_fma_f64 v[125:126], v[141:142], v[125:126], v[135:136]
	s_clause 0x7
	buffer_load_dword v136, off, s[0:3], 0 offset:324
	buffer_load_dword v137, off, s[0:3], 0 offset:344
	buffer_load_dword v139, off, s[0:3], 0 offset:336
	buffer_load_dword v141, off, s[0:3], 0 offset:328
	buffer_load_dword v135, off, s[0:3], 0 offset:320
	buffer_load_dword v142, off, s[0:3], 0 offset:332
	buffer_load_dword v140, off, s[0:3], 0 offset:340
	buffer_load_dword v138, off, s[0:3], 0 offset:348
	s_waitcnt vmcnt(34)
	v_fma_f64 v[125:126], v[143:144], v[127:128], v[125:126]
	s_waitcnt vmcnt(32) lgkmcnt(0)
	v_fma_f64 v[125:126], v[145:146], v[129:130], v[125:126]
	s_waitcnt vmcnt(27)
	v_fma_f64 v[143:144], v[147:148], v[131:132], v[125:126]
	ds_read2_b64 v[125:128], v124 offset0:91 offset1:92
	ds_read2_b64 v[129:132], v124 offset0:93 offset1:94
	;; [unrolled: 19-line block ×6, first 2 shown]
	s_waitcnt vmcnt(26) lgkmcnt(1)
	v_fma_f64 v[125:126], v[153:154], v[125:126], v[137:138]
	s_clause 0x3
	buffer_load_dword v138, off, s[0:3], 0 offset:484
	buffer_load_dword v137, off, s[0:3], 0 offset:480
	;; [unrolled: 1-line block ×4, first 2 shown]
	s_waitcnt vmcnt(29)
	v_fma_f64 v[125:126], v[147:148], v[127:128], v[125:126]
	s_waitcnt vmcnt(28) lgkmcnt(0)
	v_fma_f64 v[125:126], v[145:146], v[129:130], v[125:126]
	s_waitcnt vmcnt(23)
	v_fma_f64 v[143:144], v[149:150], v[131:132], v[125:126]
	ds_read2_b64 v[125:128], v124 offset0:111 offset1:112
	ds_read2_b64 v[129:132], v124 offset0:113 offset1:114
	s_waitcnt vmcnt(22) lgkmcnt(1)
	v_fma_f64 v[125:126], v[161:162], v[125:126], v[143:144]
	s_waitcnt vmcnt(21)
	v_fma_f64 v[125:126], v[155:156], v[127:128], v[125:126]
	s_waitcnt vmcnt(20) lgkmcnt(0)
	v_fma_f64 v[125:126], v[151:152], v[129:130], v[125:126]
	s_waitcnt vmcnt(15)
	v_fma_f64 v[133:134], v[133:134], v[131:132], v[125:126]
	ds_read2_b64 v[125:128], v124 offset0:115 offset1:116
	ds_read2_b64 v[129:132], v124 offset0:117 offset1:118
	s_waitcnt vmcnt(14) lgkmcnt(1)
	v_fma_f64 v[125:126], v[167:168], v[125:126], v[133:134]
	;; [unrolled: 10-line block ×3, first 2 shown]
	s_waitcnt vmcnt(5)
	v_fma_f64 v[124:125], v[163:164], v[127:128], v[124:125]
	s_waitcnt vmcnt(4) lgkmcnt(0)
	v_fma_f64 v[124:125], v[141:142], v[129:130], v[124:125]
	s_waitcnt vmcnt(2)
	v_fma_f64 v[124:125], v[137:138], v[131:132], v[124:125]
	s_waitcnt vmcnt(0)
	v_add_f64 v[124:125], v[139:140], -v[124:125]
	buffer_store_dword v125, off, s[0:3], 0 offset:164
	buffer_store_dword v124, off, s[0:3], 0 offset:160
	v_cmpx_lt_u32_e32 19, v0
	s_cbranch_execz .LBB124_337
; %bb.336:
	s_clause 0x1
	buffer_load_dword v124, off, s[0:3], 0 offset:152
	buffer_load_dword v125, off, s[0:3], 0 offset:156
	v_mov_b32_e32 v126, 0
	buffer_store_dword v126, off, s[0:3], 0 offset:152
	buffer_store_dword v126, off, s[0:3], 0 offset:156
	s_waitcnt vmcnt(0)
	ds_write_b64 v123, v[124:125]
.LBB124_337:
	s_or_b32 exec_lo, exec_lo, s4
	s_waitcnt lgkmcnt(0)
	s_waitcnt_vscnt null, 0x0
	s_barrier
	buffer_gl0_inv
	s_clause 0x1c
	buffer_load_dword v133, off, s[0:3], 0 offset:160
	buffer_load_dword v134, off, s[0:3], 0 offset:164
	;; [unrolled: 1-line block ×29, first 2 shown]
	v_mov_b32_e32 v124, 0
	buffer_load_dword v158, off, s[0:3], 0 offset:276
	s_mov_b32 s4, exec_lo
	ds_read_b128 v[125:128], v124 offset:656
	ds_read_b128 v[129:132], v124 offset:672
	s_waitcnt vmcnt(28) lgkmcnt(1)
	v_fma_f64 v[125:126], v[133:134], v[125:126], 0
	s_clause 0x7
	buffer_load_dword v134, off, s[0:3], 0 offset:284
	buffer_load_dword v163, off, s[0:3], 0 offset:304
	buffer_load_dword v165, off, s[0:3], 0 offset:296
	buffer_load_dword v167, off, s[0:3], 0 offset:288
	buffer_load_dword v133, off, s[0:3], 0 offset:280
	buffer_load_dword v168, off, s[0:3], 0 offset:292
	buffer_load_dword v166, off, s[0:3], 0 offset:300
	buffer_load_dword v164, off, s[0:3], 0 offset:308
	s_waitcnt vmcnt(34)
	v_fma_f64 v[125:126], v[135:136], v[127:128], v[125:126]
	s_waitcnt vmcnt(32) lgkmcnt(0)
	v_fma_f64 v[125:126], v[137:138], v[129:130], v[125:126]
	s_waitcnt vmcnt(30)
	v_fma_f64 v[135:136], v[139:140], v[131:132], v[125:126]
	ds_read_b128 v[125:128], v124 offset:688
	ds_read_b128 v[129:132], v124 offset:704
	s_waitcnt vmcnt(28) lgkmcnt(1)
	v_fma_f64 v[125:126], v[141:142], v[125:126], v[135:136]
	s_clause 0x7
	buffer_load_dword v136, off, s[0:3], 0 offset:316
	buffer_load_dword v137, off, s[0:3], 0 offset:336
	buffer_load_dword v139, off, s[0:3], 0 offset:328
	buffer_load_dword v141, off, s[0:3], 0 offset:320
	buffer_load_dword v135, off, s[0:3], 0 offset:312
	buffer_load_dword v142, off, s[0:3], 0 offset:324
	buffer_load_dword v140, off, s[0:3], 0 offset:332
	buffer_load_dword v138, off, s[0:3], 0 offset:340
	s_waitcnt vmcnt(34)
	v_fma_f64 v[125:126], v[143:144], v[127:128], v[125:126]
	s_waitcnt vmcnt(32) lgkmcnt(0)
	v_fma_f64 v[125:126], v[145:146], v[129:130], v[125:126]
	s_waitcnt vmcnt(27)
	v_fma_f64 v[143:144], v[147:148], v[131:132], v[125:126]
	;; [unrolled: 19-line block ×6, first 2 shown]
	ds_read_b128 v[125:128], v124 offset:848
	ds_read_b128 v[129:132], v124 offset:864
	s_waitcnt vmcnt(26) lgkmcnt(1)
	v_fma_f64 v[125:126], v[153:154], v[125:126], v[137:138]
	s_clause 0x5
	buffer_load_dword v138, off, s[0:3], 0 offset:476
	buffer_load_dword v139, off, s[0:3], 0 offset:480
	;; [unrolled: 1-line block ×6, first 2 shown]
	s_waitcnt vmcnt(31)
	v_fma_f64 v[125:126], v[147:148], v[127:128], v[125:126]
	s_waitcnt vmcnt(30) lgkmcnt(0)
	v_fma_f64 v[125:126], v[145:146], v[129:130], v[125:126]
	s_waitcnt vmcnt(25)
	v_fma_f64 v[145:146], v[149:150], v[131:132], v[125:126]
	ds_read_b128 v[125:128], v124 offset:880
	ds_read_b128 v[129:132], v124 offset:896
	s_waitcnt vmcnt(24) lgkmcnt(1)
	v_fma_f64 v[125:126], v[161:162], v[125:126], v[145:146]
	s_waitcnt vmcnt(23)
	v_fma_f64 v[125:126], v[155:156], v[127:128], v[125:126]
	s_waitcnt vmcnt(22) lgkmcnt(0)
	v_fma_f64 v[125:126], v[151:152], v[129:130], v[125:126]
	s_waitcnt vmcnt(17)
	v_fma_f64 v[133:134], v[133:134], v[131:132], v[125:126]
	ds_read_b128 v[125:128], v124 offset:912
	ds_read_b128 v[129:132], v124 offset:928
	s_waitcnt vmcnt(16) lgkmcnt(1)
	v_fma_f64 v[125:126], v[167:168], v[125:126], v[133:134]
	s_waitcnt vmcnt(15)
	v_fma_f64 v[125:126], v[159:160], v[127:128], v[125:126]
	s_waitcnt vmcnt(14) lgkmcnt(0)
	v_fma_f64 v[125:126], v[157:158], v[129:130], v[125:126]
	s_waitcnt vmcnt(9)
	v_fma_f64 v[133:134], v[135:136], v[131:132], v[125:126]
	ds_read_b128 v[125:128], v124 offset:944
	ds_read_b128 v[129:132], v124 offset:960
	s_waitcnt vmcnt(8) lgkmcnt(1)
	v_fma_f64 v[125:126], v[165:166], v[125:126], v[133:134]
	s_waitcnt vmcnt(7)
	v_fma_f64 v[125:126], v[163:164], v[127:128], v[125:126]
	ds_read_b64 v[127:128], v124 offset:976
	s_waitcnt vmcnt(6) lgkmcnt(1)
	v_fma_f64 v[125:126], v[141:142], v[129:130], v[125:126]
	s_waitcnt vmcnt(3)
	v_fma_f64 v[125:126], v[137:138], v[131:132], v[125:126]
	s_waitcnt vmcnt(2) lgkmcnt(0)
	v_fma_f64 v[125:126], v[139:140], v[127:128], v[125:126]
	s_waitcnt vmcnt(0)
	v_add_f64 v[125:126], v[143:144], -v[125:126]
	buffer_store_dword v126, off, s[0:3], 0 offset:156
	buffer_store_dword v125, off, s[0:3], 0 offset:152
	v_cmpx_lt_u32_e32 18, v0
	s_cbranch_execz .LBB124_339
; %bb.338:
	s_clause 0x1
	buffer_load_dword v125, off, s[0:3], 0 offset:144
	buffer_load_dword v126, off, s[0:3], 0 offset:148
	buffer_store_dword v124, off, s[0:3], 0 offset:144
	buffer_store_dword v124, off, s[0:3], 0 offset:148
	s_waitcnt vmcnt(0)
	ds_write_b64 v123, v[125:126]
.LBB124_339:
	s_or_b32 exec_lo, exec_lo, s4
	s_waitcnt lgkmcnt(0)
	s_waitcnt_vscnt null, 0x0
	s_barrier
	buffer_gl0_inv
	s_clause 0x1c
	buffer_load_dword v133, off, s[0:3], 0 offset:152
	buffer_load_dword v134, off, s[0:3], 0 offset:156
	;; [unrolled: 1-line block ×29, first 2 shown]
	ds_read2_b64 v[125:128], v124 offset0:81 offset1:82
	ds_read2_b64 v[129:132], v124 offset0:83 offset1:84
	buffer_load_dword v158, off, s[0:3], 0 offset:268
	s_mov_b32 s4, exec_lo
	s_waitcnt vmcnt(28) lgkmcnt(1)
	v_fma_f64 v[125:126], v[133:134], v[125:126], 0
	s_clause 0x7
	buffer_load_dword v134, off, s[0:3], 0 offset:276
	buffer_load_dword v163, off, s[0:3], 0 offset:296
	buffer_load_dword v165, off, s[0:3], 0 offset:288
	buffer_load_dword v167, off, s[0:3], 0 offset:280
	buffer_load_dword v133, off, s[0:3], 0 offset:272
	buffer_load_dword v168, off, s[0:3], 0 offset:284
	buffer_load_dword v166, off, s[0:3], 0 offset:292
	buffer_load_dword v164, off, s[0:3], 0 offset:300
	s_waitcnt vmcnt(34)
	v_fma_f64 v[125:126], v[135:136], v[127:128], v[125:126]
	s_waitcnt vmcnt(32) lgkmcnt(0)
	v_fma_f64 v[125:126], v[137:138], v[129:130], v[125:126]
	s_waitcnt vmcnt(30)
	v_fma_f64 v[135:136], v[139:140], v[131:132], v[125:126]
	ds_read2_b64 v[125:128], v124 offset0:85 offset1:86
	ds_read2_b64 v[129:132], v124 offset0:87 offset1:88
	s_waitcnt vmcnt(28) lgkmcnt(1)
	v_fma_f64 v[125:126], v[141:142], v[125:126], v[135:136]
	s_clause 0x7
	buffer_load_dword v136, off, s[0:3], 0 offset:308
	buffer_load_dword v137, off, s[0:3], 0 offset:328
	buffer_load_dword v139, off, s[0:3], 0 offset:320
	buffer_load_dword v141, off, s[0:3], 0 offset:312
	buffer_load_dword v135, off, s[0:3], 0 offset:304
	buffer_load_dword v142, off, s[0:3], 0 offset:316
	buffer_load_dword v140, off, s[0:3], 0 offset:324
	buffer_load_dword v138, off, s[0:3], 0 offset:332
	s_waitcnt vmcnt(34)
	v_fma_f64 v[125:126], v[143:144], v[127:128], v[125:126]
	s_waitcnt vmcnt(32) lgkmcnt(0)
	v_fma_f64 v[125:126], v[145:146], v[129:130], v[125:126]
	s_waitcnt vmcnt(27)
	v_fma_f64 v[143:144], v[147:148], v[131:132], v[125:126]
	ds_read2_b64 v[125:128], v124 offset0:89 offset1:90
	ds_read2_b64 v[129:132], v124 offset0:91 offset1:92
	s_waitcnt vmcnt(26) lgkmcnt(1)
	v_fma_f64 v[125:126], v[153:154], v[125:126], v[143:144]
	s_clause 0x7
	buffer_load_dword v144, off, s[0:3], 0 offset:340
	buffer_load_dword v145, off, s[0:3], 0 offset:360
	buffer_load_dword v147, off, s[0:3], 0 offset:352
	buffer_load_dword v153, off, s[0:3], 0 offset:344
	buffer_load_dword v143, off, s[0:3], 0 offset:336
	buffer_load_dword v154, off, s[0:3], 0 offset:348
	buffer_load_dword v148, off, s[0:3], 0 offset:356
	buffer_load_dword v146, off, s[0:3], 0 offset:364
	s_waitcnt vmcnt(33)
	v_fma_f64 v[125:126], v[151:152], v[127:128], v[125:126]
	s_waitcnt vmcnt(32) lgkmcnt(0)
	v_fma_f64 v[125:126], v[149:150], v[129:130], v[125:126]
	s_waitcnt vmcnt(27)
	v_fma_f64 v[149:150], v[155:156], v[131:132], v[125:126]
	ds_read2_b64 v[125:128], v124 offset0:93 offset1:94
	ds_read2_b64 v[129:132], v124 offset0:95 offset1:96
	s_waitcnt vmcnt(26) lgkmcnt(1)
	v_fma_f64 v[125:126], v[161:162], v[125:126], v[149:150]
	s_clause 0x7
	buffer_load_dword v150, off, s[0:3], 0 offset:372
	buffer_load_dword v151, off, s[0:3], 0 offset:392
	buffer_load_dword v155, off, s[0:3], 0 offset:384
	buffer_load_dword v161, off, s[0:3], 0 offset:376
	buffer_load_dword v149, off, s[0:3], 0 offset:368
	buffer_load_dword v162, off, s[0:3], 0 offset:380
	buffer_load_dword v156, off, s[0:3], 0 offset:388
	buffer_load_dword v152, off, s[0:3], 0 offset:396
	s_waitcnt vmcnt(33)
	v_fma_f64 v[125:126], v[159:160], v[127:128], v[125:126]
	s_waitcnt vmcnt(32) lgkmcnt(0)
	v_fma_f64 v[125:126], v[157:158], v[129:130], v[125:126]
	s_waitcnt vmcnt(27)
	v_fma_f64 v[133:134], v[133:134], v[131:132], v[125:126]
	ds_read2_b64 v[125:128], v124 offset0:97 offset1:98
	ds_read2_b64 v[129:132], v124 offset0:99 offset1:100
	s_waitcnt vmcnt(26) lgkmcnt(1)
	v_fma_f64 v[125:126], v[167:168], v[125:126], v[133:134]
	s_clause 0x7
	buffer_load_dword v134, off, s[0:3], 0 offset:404
	buffer_load_dword v157, off, s[0:3], 0 offset:424
	buffer_load_dword v159, off, s[0:3], 0 offset:416
	buffer_load_dword v167, off, s[0:3], 0 offset:408
	buffer_load_dword v133, off, s[0:3], 0 offset:400
	buffer_load_dword v168, off, s[0:3], 0 offset:412
	buffer_load_dword v160, off, s[0:3], 0 offset:420
	buffer_load_dword v158, off, s[0:3], 0 offset:428
	s_waitcnt vmcnt(33)
	v_fma_f64 v[125:126], v[165:166], v[127:128], v[125:126]
	s_waitcnt vmcnt(32) lgkmcnt(0)
	v_fma_f64 v[125:126], v[163:164], v[129:130], v[125:126]
	s_waitcnt vmcnt(27)
	v_fma_f64 v[135:136], v[135:136], v[131:132], v[125:126]
	ds_read2_b64 v[125:128], v124 offset0:101 offset1:102
	ds_read2_b64 v[129:132], v124 offset0:103 offset1:104
	s_waitcnt vmcnt(26) lgkmcnt(1)
	v_fma_f64 v[125:126], v[141:142], v[125:126], v[135:136]
	s_clause 0x7
	buffer_load_dword v136, off, s[0:3], 0 offset:436
	buffer_load_dword v141, off, s[0:3], 0 offset:456
	buffer_load_dword v163, off, s[0:3], 0 offset:448
	buffer_load_dword v165, off, s[0:3], 0 offset:440
	buffer_load_dword v135, off, s[0:3], 0 offset:432
	buffer_load_dword v166, off, s[0:3], 0 offset:444
	buffer_load_dword v164, off, s[0:3], 0 offset:452
	buffer_load_dword v142, off, s[0:3], 0 offset:460
	s_waitcnt vmcnt(33)
	v_fma_f64 v[125:126], v[139:140], v[127:128], v[125:126]
	s_waitcnt vmcnt(32) lgkmcnt(0)
	v_fma_f64 v[125:126], v[137:138], v[129:130], v[125:126]
	s_waitcnt vmcnt(27)
	v_fma_f64 v[137:138], v[143:144], v[131:132], v[125:126]
	ds_read2_b64 v[125:128], v124 offset0:105 offset1:106
	ds_read2_b64 v[129:132], v124 offset0:107 offset1:108
	s_waitcnt vmcnt(26) lgkmcnt(1)
	v_fma_f64 v[125:126], v[153:154], v[125:126], v[137:138]
	s_clause 0x5
	buffer_load_dword v138, off, s[0:3], 0 offset:468
	buffer_load_dword v139, off, s[0:3], 0 offset:480
	;; [unrolled: 1-line block ×6, first 2 shown]
	s_waitcnt vmcnt(31)
	v_fma_f64 v[125:126], v[147:148], v[127:128], v[125:126]
	s_waitcnt vmcnt(30) lgkmcnt(0)
	v_fma_f64 v[125:126], v[145:146], v[129:130], v[125:126]
	s_waitcnt vmcnt(25)
	v_fma_f64 v[145:146], v[149:150], v[131:132], v[125:126]
	ds_read2_b64 v[125:128], v124 offset0:109 offset1:110
	s_clause 0x1
	buffer_load_dword v147, off, s[0:3], 0 offset:144
	buffer_load_dword v148, off, s[0:3], 0 offset:148
	ds_read2_b64 v[129:132], v124 offset0:111 offset1:112
	s_waitcnt vmcnt(26) lgkmcnt(1)
	v_fma_f64 v[125:126], v[161:162], v[125:126], v[145:146]
	s_waitcnt vmcnt(25)
	v_fma_f64 v[125:126], v[155:156], v[127:128], v[125:126]
	s_waitcnt vmcnt(24) lgkmcnt(0)
	v_fma_f64 v[125:126], v[151:152], v[129:130], v[125:126]
	s_waitcnt vmcnt(19)
	v_fma_f64 v[133:134], v[133:134], v[131:132], v[125:126]
	ds_read2_b64 v[125:128], v124 offset0:113 offset1:114
	ds_read2_b64 v[129:132], v124 offset0:115 offset1:116
	s_waitcnt vmcnt(18) lgkmcnt(1)
	v_fma_f64 v[125:126], v[167:168], v[125:126], v[133:134]
	s_waitcnt vmcnt(17)
	v_fma_f64 v[125:126], v[159:160], v[127:128], v[125:126]
	s_waitcnt vmcnt(16) lgkmcnt(0)
	v_fma_f64 v[125:126], v[157:158], v[129:130], v[125:126]
	s_waitcnt vmcnt(11)
	v_fma_f64 v[133:134], v[135:136], v[131:132], v[125:126]
	ds_read2_b64 v[125:128], v124 offset0:117 offset1:118
	;; [unrolled: 10-line block ×3, first 2 shown]
	s_waitcnt vmcnt(3) lgkmcnt(0)
	v_fma_f64 v[124:125], v[143:144], v[124:125], v[128:129]
	s_waitcnt vmcnt(2)
	v_fma_f64 v[124:125], v[139:140], v[126:127], v[124:125]
	s_waitcnt vmcnt(0)
	v_add_f64 v[124:125], v[147:148], -v[124:125]
	buffer_store_dword v125, off, s[0:3], 0 offset:148
	buffer_store_dword v124, off, s[0:3], 0 offset:144
	v_cmpx_lt_u32_e32 17, v0
	s_cbranch_execz .LBB124_341
; %bb.340:
	s_clause 0x1
	buffer_load_dword v124, off, s[0:3], 0 offset:136
	buffer_load_dword v125, off, s[0:3], 0 offset:140
	v_mov_b32_e32 v126, 0
	buffer_store_dword v126, off, s[0:3], 0 offset:136
	buffer_store_dword v126, off, s[0:3], 0 offset:140
	s_waitcnt vmcnt(0)
	ds_write_b64 v123, v[124:125]
.LBB124_341:
	s_or_b32 exec_lo, exec_lo, s4
	s_waitcnt lgkmcnt(0)
	s_waitcnt_vscnt null, 0x0
	s_barrier
	buffer_gl0_inv
	s_clause 0x1c
	buffer_load_dword v133, off, s[0:3], 0 offset:144
	buffer_load_dword v134, off, s[0:3], 0 offset:148
	;; [unrolled: 1-line block ×29, first 2 shown]
	v_mov_b32_e32 v124, 0
	buffer_load_dword v158, off, s[0:3], 0 offset:260
	s_mov_b32 s4, exec_lo
	ds_read_b128 v[125:128], v124 offset:640
	ds_read_b128 v[129:132], v124 offset:656
	s_waitcnt vmcnt(28) lgkmcnt(1)
	v_fma_f64 v[125:126], v[133:134], v[125:126], 0
	s_clause 0x7
	buffer_load_dword v134, off, s[0:3], 0 offset:268
	buffer_load_dword v163, off, s[0:3], 0 offset:288
	buffer_load_dword v165, off, s[0:3], 0 offset:280
	buffer_load_dword v167, off, s[0:3], 0 offset:272
	buffer_load_dword v133, off, s[0:3], 0 offset:264
	buffer_load_dword v168, off, s[0:3], 0 offset:276
	buffer_load_dword v166, off, s[0:3], 0 offset:284
	buffer_load_dword v164, off, s[0:3], 0 offset:292
	s_waitcnt vmcnt(34)
	v_fma_f64 v[125:126], v[135:136], v[127:128], v[125:126]
	s_waitcnt vmcnt(32) lgkmcnt(0)
	v_fma_f64 v[125:126], v[137:138], v[129:130], v[125:126]
	s_waitcnt vmcnt(30)
	v_fma_f64 v[135:136], v[139:140], v[131:132], v[125:126]
	ds_read_b128 v[125:128], v124 offset:672
	ds_read_b128 v[129:132], v124 offset:688
	s_waitcnt vmcnt(28) lgkmcnt(1)
	v_fma_f64 v[125:126], v[141:142], v[125:126], v[135:136]
	s_clause 0x7
	buffer_load_dword v136, off, s[0:3], 0 offset:300
	buffer_load_dword v137, off, s[0:3], 0 offset:320
	buffer_load_dword v139, off, s[0:3], 0 offset:312
	buffer_load_dword v141, off, s[0:3], 0 offset:304
	buffer_load_dword v135, off, s[0:3], 0 offset:296
	buffer_load_dword v142, off, s[0:3], 0 offset:308
	buffer_load_dword v140, off, s[0:3], 0 offset:316
	buffer_load_dword v138, off, s[0:3], 0 offset:324
	s_waitcnt vmcnt(34)
	v_fma_f64 v[125:126], v[143:144], v[127:128], v[125:126]
	s_waitcnt vmcnt(32) lgkmcnt(0)
	v_fma_f64 v[125:126], v[145:146], v[129:130], v[125:126]
	s_waitcnt vmcnt(27)
	v_fma_f64 v[143:144], v[147:148], v[131:132], v[125:126]
	;; [unrolled: 19-line block ×7, first 2 shown]
	ds_read_b128 v[125:128], v124 offset:864
	ds_read_b128 v[129:132], v124 offset:880
	s_waitcnt vmcnt(26) lgkmcnt(1)
	v_fma_f64 v[125:126], v[161:162], v[125:126], v[145:146]
	s_clause 0x1
	buffer_load_dword v145, off, s[0:3], 0 offset:136
	buffer_load_dword v146, off, s[0:3], 0 offset:140
	s_waitcnt vmcnt(27)
	v_fma_f64 v[125:126], v[155:156], v[127:128], v[125:126]
	s_waitcnt vmcnt(26) lgkmcnt(0)
	v_fma_f64 v[125:126], v[151:152], v[129:130], v[125:126]
	s_waitcnt vmcnt(21)
	v_fma_f64 v[133:134], v[133:134], v[131:132], v[125:126]
	ds_read_b128 v[125:128], v124 offset:896
	ds_read_b128 v[129:132], v124 offset:912
	s_waitcnt vmcnt(20) lgkmcnt(1)
	v_fma_f64 v[125:126], v[167:168], v[125:126], v[133:134]
	s_waitcnt vmcnt(19)
	v_fma_f64 v[125:126], v[159:160], v[127:128], v[125:126]
	s_waitcnt vmcnt(18) lgkmcnt(0)
	v_fma_f64 v[125:126], v[157:158], v[129:130], v[125:126]
	s_waitcnt vmcnt(13)
	v_fma_f64 v[133:134], v[135:136], v[131:132], v[125:126]
	ds_read_b128 v[125:128], v124 offset:928
	ds_read_b128 v[129:132], v124 offset:944
	s_waitcnt vmcnt(12) lgkmcnt(1)
	v_fma_f64 v[125:126], v[165:166], v[125:126], v[133:134]
	s_waitcnt vmcnt(11)
	v_fma_f64 v[125:126], v[163:164], v[127:128], v[125:126]
	s_waitcnt vmcnt(10) lgkmcnt(0)
	v_fma_f64 v[125:126], v[141:142], v[129:130], v[125:126]
	s_waitcnt vmcnt(5)
	v_fma_f64 v[129:130], v[137:138], v[131:132], v[125:126]
	ds_read_b128 v[125:128], v124 offset:960
	ds_read_b64 v[131:132], v124 offset:976
	s_waitcnt vmcnt(4) lgkmcnt(1)
	v_fma_f64 v[125:126], v[153:154], v[125:126], v[129:130]
	s_waitcnt vmcnt(3)
	v_fma_f64 v[125:126], v[143:144], v[127:128], v[125:126]
	s_waitcnt vmcnt(2) lgkmcnt(0)
	v_fma_f64 v[125:126], v[139:140], v[131:132], v[125:126]
	s_waitcnt vmcnt(0)
	v_add_f64 v[125:126], v[145:146], -v[125:126]
	buffer_store_dword v126, off, s[0:3], 0 offset:140
	buffer_store_dword v125, off, s[0:3], 0 offset:136
	v_cmpx_lt_u32_e32 16, v0
	s_cbranch_execz .LBB124_343
; %bb.342:
	s_clause 0x1
	buffer_load_dword v125, off, s[0:3], 0 offset:128
	buffer_load_dword v126, off, s[0:3], 0 offset:132
	buffer_store_dword v124, off, s[0:3], 0 offset:128
	buffer_store_dword v124, off, s[0:3], 0 offset:132
	s_waitcnt vmcnt(0)
	ds_write_b64 v123, v[125:126]
.LBB124_343:
	s_or_b32 exec_lo, exec_lo, s4
	s_waitcnt lgkmcnt(0)
	s_waitcnt_vscnt null, 0x0
	s_barrier
	buffer_gl0_inv
	s_clause 0x1c
	buffer_load_dword v133, off, s[0:3], 0 offset:136
	buffer_load_dword v134, off, s[0:3], 0 offset:140
	;; [unrolled: 1-line block ×29, first 2 shown]
	ds_read2_b64 v[125:128], v124 offset0:79 offset1:80
	ds_read2_b64 v[129:132], v124 offset0:81 offset1:82
	buffer_load_dword v158, off, s[0:3], 0 offset:252
	s_mov_b32 s4, exec_lo
	s_waitcnt vmcnt(28) lgkmcnt(1)
	v_fma_f64 v[125:126], v[133:134], v[125:126], 0
	s_clause 0x7
	buffer_load_dword v134, off, s[0:3], 0 offset:260
	buffer_load_dword v163, off, s[0:3], 0 offset:280
	buffer_load_dword v165, off, s[0:3], 0 offset:272
	buffer_load_dword v167, off, s[0:3], 0 offset:264
	buffer_load_dword v133, off, s[0:3], 0 offset:256
	buffer_load_dword v168, off, s[0:3], 0 offset:268
	buffer_load_dword v166, off, s[0:3], 0 offset:276
	buffer_load_dword v164, off, s[0:3], 0 offset:284
	s_waitcnt vmcnt(34)
	v_fma_f64 v[125:126], v[135:136], v[127:128], v[125:126]
	s_waitcnt vmcnt(32) lgkmcnt(0)
	v_fma_f64 v[125:126], v[137:138], v[129:130], v[125:126]
	s_waitcnt vmcnt(30)
	v_fma_f64 v[135:136], v[139:140], v[131:132], v[125:126]
	ds_read2_b64 v[125:128], v124 offset0:83 offset1:84
	ds_read2_b64 v[129:132], v124 offset0:85 offset1:86
	s_waitcnt vmcnt(28) lgkmcnt(1)
	v_fma_f64 v[125:126], v[141:142], v[125:126], v[135:136]
	s_clause 0x7
	buffer_load_dword v136, off, s[0:3], 0 offset:292
	buffer_load_dword v137, off, s[0:3], 0 offset:312
	buffer_load_dword v139, off, s[0:3], 0 offset:304
	buffer_load_dword v141, off, s[0:3], 0 offset:296
	buffer_load_dword v135, off, s[0:3], 0 offset:288
	buffer_load_dword v142, off, s[0:3], 0 offset:300
	buffer_load_dword v140, off, s[0:3], 0 offset:308
	buffer_load_dword v138, off, s[0:3], 0 offset:316
	s_waitcnt vmcnt(34)
	v_fma_f64 v[125:126], v[143:144], v[127:128], v[125:126]
	s_waitcnt vmcnt(32) lgkmcnt(0)
	v_fma_f64 v[125:126], v[145:146], v[129:130], v[125:126]
	s_waitcnt vmcnt(27)
	v_fma_f64 v[143:144], v[147:148], v[131:132], v[125:126]
	ds_read2_b64 v[125:128], v124 offset0:87 offset1:88
	ds_read2_b64 v[129:132], v124 offset0:89 offset1:90
	;; [unrolled: 19-line block ×7, first 2 shown]
	s_waitcnt vmcnt(26) lgkmcnt(1)
	v_fma_f64 v[125:126], v[161:162], v[125:126], v[145:146]
	s_clause 0x3
	buffer_load_dword v146, off, s[0:3], 0 offset:484
	buffer_load_dword v145, off, s[0:3], 0 offset:480
	;; [unrolled: 1-line block ×4, first 2 shown]
	s_waitcnt vmcnt(29)
	v_fma_f64 v[125:126], v[155:156], v[127:128], v[125:126]
	s_waitcnt vmcnt(28) lgkmcnt(0)
	v_fma_f64 v[125:126], v[151:152], v[129:130], v[125:126]
	s_waitcnt vmcnt(23)
	v_fma_f64 v[133:134], v[133:134], v[131:132], v[125:126]
	ds_read2_b64 v[125:128], v124 offset0:111 offset1:112
	ds_read2_b64 v[129:132], v124 offset0:113 offset1:114
	s_waitcnt vmcnt(22) lgkmcnt(1)
	v_fma_f64 v[125:126], v[167:168], v[125:126], v[133:134]
	s_waitcnt vmcnt(21)
	v_fma_f64 v[125:126], v[159:160], v[127:128], v[125:126]
	s_waitcnt vmcnt(20) lgkmcnt(0)
	v_fma_f64 v[125:126], v[157:158], v[129:130], v[125:126]
	s_waitcnt vmcnt(15)
	v_fma_f64 v[133:134], v[135:136], v[131:132], v[125:126]
	ds_read2_b64 v[125:128], v124 offset0:115 offset1:116
	ds_read2_b64 v[129:132], v124 offset0:117 offset1:118
	s_waitcnt vmcnt(14) lgkmcnt(1)
	v_fma_f64 v[125:126], v[165:166], v[125:126], v[133:134]
	s_waitcnt vmcnt(13)
	v_fma_f64 v[125:126], v[163:164], v[127:128], v[125:126]
	s_waitcnt vmcnt(12) lgkmcnt(0)
	v_fma_f64 v[125:126], v[141:142], v[129:130], v[125:126]
	s_waitcnt vmcnt(7)
	v_fma_f64 v[133:134], v[137:138], v[131:132], v[125:126]
	ds_read2_b64 v[125:128], v124 offset0:119 offset1:120
	ds_read2_b64 v[129:132], v124 offset0:121 offset1:122
	s_waitcnt vmcnt(6) lgkmcnt(1)
	v_fma_f64 v[124:125], v[153:154], v[125:126], v[133:134]
	s_waitcnt vmcnt(5)
	v_fma_f64 v[124:125], v[143:144], v[127:128], v[124:125]
	s_waitcnt vmcnt(4) lgkmcnt(0)
	v_fma_f64 v[124:125], v[139:140], v[129:130], v[124:125]
	s_waitcnt vmcnt(2)
	v_fma_f64 v[124:125], v[145:146], v[131:132], v[124:125]
	s_waitcnt vmcnt(0)
	v_add_f64 v[124:125], v[147:148], -v[124:125]
	buffer_store_dword v125, off, s[0:3], 0 offset:132
	buffer_store_dword v124, off, s[0:3], 0 offset:128
	v_cmpx_lt_u32_e32 15, v0
	s_cbranch_execz .LBB124_345
; %bb.344:
	s_clause 0x1
	buffer_load_dword v124, off, s[0:3], 0 offset:120
	buffer_load_dword v125, off, s[0:3], 0 offset:124
	v_mov_b32_e32 v126, 0
	buffer_store_dword v126, off, s[0:3], 0 offset:120
	buffer_store_dword v126, off, s[0:3], 0 offset:124
	s_waitcnt vmcnt(0)
	ds_write_b64 v123, v[124:125]
.LBB124_345:
	s_or_b32 exec_lo, exec_lo, s4
	s_waitcnt lgkmcnt(0)
	s_waitcnt_vscnt null, 0x0
	s_barrier
	buffer_gl0_inv
	s_clause 0x1c
	buffer_load_dword v133, off, s[0:3], 0 offset:128
	buffer_load_dword v134, off, s[0:3], 0 offset:132
	;; [unrolled: 1-line block ×29, first 2 shown]
	v_mov_b32_e32 v124, 0
	buffer_load_dword v158, off, s[0:3], 0 offset:244
	s_mov_b32 s4, exec_lo
	ds_read_b128 v[125:128], v124 offset:624
	ds_read_b128 v[129:132], v124 offset:640
	s_waitcnt vmcnt(28) lgkmcnt(1)
	v_fma_f64 v[125:126], v[133:134], v[125:126], 0
	s_clause 0x7
	buffer_load_dword v134, off, s[0:3], 0 offset:252
	buffer_load_dword v163, off, s[0:3], 0 offset:272
	buffer_load_dword v165, off, s[0:3], 0 offset:264
	buffer_load_dword v167, off, s[0:3], 0 offset:256
	buffer_load_dword v133, off, s[0:3], 0 offset:248
	buffer_load_dword v168, off, s[0:3], 0 offset:260
	buffer_load_dword v166, off, s[0:3], 0 offset:268
	buffer_load_dword v164, off, s[0:3], 0 offset:276
	s_waitcnt vmcnt(34)
	v_fma_f64 v[125:126], v[135:136], v[127:128], v[125:126]
	s_waitcnt vmcnt(32) lgkmcnt(0)
	v_fma_f64 v[125:126], v[137:138], v[129:130], v[125:126]
	s_waitcnt vmcnt(30)
	v_fma_f64 v[135:136], v[139:140], v[131:132], v[125:126]
	ds_read_b128 v[125:128], v124 offset:656
	ds_read_b128 v[129:132], v124 offset:672
	s_waitcnt vmcnt(28) lgkmcnt(1)
	v_fma_f64 v[125:126], v[141:142], v[125:126], v[135:136]
	s_clause 0x7
	buffer_load_dword v136, off, s[0:3], 0 offset:284
	buffer_load_dword v137, off, s[0:3], 0 offset:304
	buffer_load_dword v139, off, s[0:3], 0 offset:296
	buffer_load_dword v141, off, s[0:3], 0 offset:288
	buffer_load_dword v135, off, s[0:3], 0 offset:280
	buffer_load_dword v142, off, s[0:3], 0 offset:292
	buffer_load_dword v140, off, s[0:3], 0 offset:300
	buffer_load_dword v138, off, s[0:3], 0 offset:308
	s_waitcnt vmcnt(34)
	v_fma_f64 v[125:126], v[143:144], v[127:128], v[125:126]
	s_waitcnt vmcnt(32) lgkmcnt(0)
	v_fma_f64 v[125:126], v[145:146], v[129:130], v[125:126]
	s_waitcnt vmcnt(27)
	v_fma_f64 v[143:144], v[147:148], v[131:132], v[125:126]
	;; [unrolled: 19-line block ×7, first 2 shown]
	ds_read_b128 v[125:128], v124 offset:848
	ds_read_b128 v[129:132], v124 offset:864
	s_waitcnt vmcnt(26) lgkmcnt(1)
	v_fma_f64 v[125:126], v[161:162], v[125:126], v[145:146]
	s_clause 0x5
	buffer_load_dword v146, off, s[0:3], 0 offset:476
	buffer_load_dword v147, off, s[0:3], 0 offset:480
	;; [unrolled: 1-line block ×6, first 2 shown]
	s_waitcnt vmcnt(31)
	v_fma_f64 v[125:126], v[155:156], v[127:128], v[125:126]
	s_waitcnt vmcnt(30) lgkmcnt(0)
	v_fma_f64 v[125:126], v[151:152], v[129:130], v[125:126]
	s_waitcnt vmcnt(25)
	v_fma_f64 v[133:134], v[133:134], v[131:132], v[125:126]
	ds_read_b128 v[125:128], v124 offset:880
	ds_read_b128 v[129:132], v124 offset:896
	s_waitcnt vmcnt(24) lgkmcnt(1)
	v_fma_f64 v[125:126], v[167:168], v[125:126], v[133:134]
	s_waitcnt vmcnt(23)
	v_fma_f64 v[125:126], v[159:160], v[127:128], v[125:126]
	s_waitcnt vmcnt(22) lgkmcnt(0)
	v_fma_f64 v[125:126], v[157:158], v[129:130], v[125:126]
	s_waitcnt vmcnt(17)
	v_fma_f64 v[133:134], v[135:136], v[131:132], v[125:126]
	ds_read_b128 v[125:128], v124 offset:912
	ds_read_b128 v[129:132], v124 offset:928
	s_waitcnt vmcnt(16) lgkmcnt(1)
	v_fma_f64 v[125:126], v[165:166], v[125:126], v[133:134]
	;; [unrolled: 10-line block ×3, first 2 shown]
	s_waitcnt vmcnt(7)
	v_fma_f64 v[125:126], v[143:144], v[127:128], v[125:126]
	ds_read_b64 v[127:128], v124 offset:976
	s_waitcnt vmcnt(6) lgkmcnt(1)
	v_fma_f64 v[125:126], v[139:140], v[129:130], v[125:126]
	s_waitcnt vmcnt(3)
	v_fma_f64 v[125:126], v[145:146], v[131:132], v[125:126]
	s_waitcnt vmcnt(2) lgkmcnt(0)
	v_fma_f64 v[125:126], v[147:148], v[127:128], v[125:126]
	s_waitcnt vmcnt(0)
	v_add_f64 v[125:126], v[149:150], -v[125:126]
	buffer_store_dword v126, off, s[0:3], 0 offset:124
	buffer_store_dword v125, off, s[0:3], 0 offset:120
	v_cmpx_lt_u32_e32 14, v0
	s_cbranch_execz .LBB124_347
; %bb.346:
	s_clause 0x1
	buffer_load_dword v125, off, s[0:3], 0 offset:112
	buffer_load_dword v126, off, s[0:3], 0 offset:116
	buffer_store_dword v124, off, s[0:3], 0 offset:112
	buffer_store_dword v124, off, s[0:3], 0 offset:116
	s_waitcnt vmcnt(0)
	ds_write_b64 v123, v[125:126]
.LBB124_347:
	s_or_b32 exec_lo, exec_lo, s4
	s_waitcnt lgkmcnt(0)
	s_waitcnt_vscnt null, 0x0
	s_barrier
	buffer_gl0_inv
	s_clause 0x1c
	buffer_load_dword v133, off, s[0:3], 0 offset:120
	buffer_load_dword v134, off, s[0:3], 0 offset:124
	;; [unrolled: 1-line block ×29, first 2 shown]
	ds_read2_b64 v[125:128], v124 offset0:77 offset1:78
	ds_read2_b64 v[129:132], v124 offset0:79 offset1:80
	buffer_load_dword v158, off, s[0:3], 0 offset:236
	s_mov_b32 s4, exec_lo
	s_waitcnt vmcnt(28) lgkmcnt(1)
	v_fma_f64 v[125:126], v[133:134], v[125:126], 0
	s_clause 0x7
	buffer_load_dword v134, off, s[0:3], 0 offset:244
	buffer_load_dword v163, off, s[0:3], 0 offset:264
	buffer_load_dword v165, off, s[0:3], 0 offset:256
	buffer_load_dword v167, off, s[0:3], 0 offset:248
	buffer_load_dword v133, off, s[0:3], 0 offset:240
	buffer_load_dword v168, off, s[0:3], 0 offset:252
	buffer_load_dword v166, off, s[0:3], 0 offset:260
	buffer_load_dword v164, off, s[0:3], 0 offset:268
	s_waitcnt vmcnt(34)
	v_fma_f64 v[125:126], v[135:136], v[127:128], v[125:126]
	s_waitcnt vmcnt(32) lgkmcnt(0)
	v_fma_f64 v[125:126], v[137:138], v[129:130], v[125:126]
	s_waitcnt vmcnt(30)
	v_fma_f64 v[135:136], v[139:140], v[131:132], v[125:126]
	ds_read2_b64 v[125:128], v124 offset0:81 offset1:82
	ds_read2_b64 v[129:132], v124 offset0:83 offset1:84
	s_waitcnt vmcnt(28) lgkmcnt(1)
	v_fma_f64 v[125:126], v[141:142], v[125:126], v[135:136]
	s_clause 0x7
	buffer_load_dword v136, off, s[0:3], 0 offset:276
	buffer_load_dword v137, off, s[0:3], 0 offset:296
	buffer_load_dword v139, off, s[0:3], 0 offset:288
	buffer_load_dword v141, off, s[0:3], 0 offset:280
	buffer_load_dword v135, off, s[0:3], 0 offset:272
	buffer_load_dword v142, off, s[0:3], 0 offset:284
	buffer_load_dword v140, off, s[0:3], 0 offset:292
	buffer_load_dword v138, off, s[0:3], 0 offset:300
	s_waitcnt vmcnt(34)
	v_fma_f64 v[125:126], v[143:144], v[127:128], v[125:126]
	s_waitcnt vmcnt(32) lgkmcnt(0)
	v_fma_f64 v[125:126], v[145:146], v[129:130], v[125:126]
	s_waitcnt vmcnt(27)
	v_fma_f64 v[143:144], v[147:148], v[131:132], v[125:126]
	ds_read2_b64 v[125:128], v124 offset0:85 offset1:86
	ds_read2_b64 v[129:132], v124 offset0:87 offset1:88
	;; [unrolled: 19-line block ×7, first 2 shown]
	s_waitcnt vmcnt(26) lgkmcnt(1)
	v_fma_f64 v[125:126], v[161:162], v[125:126], v[145:146]
	s_clause 0x5
	buffer_load_dword v146, off, s[0:3], 0 offset:468
	buffer_load_dword v147, off, s[0:3], 0 offset:480
	;; [unrolled: 1-line block ×6, first 2 shown]
	s_waitcnt vmcnt(31)
	v_fma_f64 v[125:126], v[155:156], v[127:128], v[125:126]
	s_waitcnt vmcnt(30) lgkmcnt(0)
	v_fma_f64 v[125:126], v[151:152], v[129:130], v[125:126]
	s_waitcnt vmcnt(25)
	v_fma_f64 v[133:134], v[133:134], v[131:132], v[125:126]
	ds_read2_b64 v[125:128], v124 offset0:109 offset1:110
	s_clause 0x1
	buffer_load_dword v151, off, s[0:3], 0 offset:112
	buffer_load_dword v152, off, s[0:3], 0 offset:116
	ds_read2_b64 v[129:132], v124 offset0:111 offset1:112
	s_waitcnt vmcnt(26) lgkmcnt(1)
	v_fma_f64 v[125:126], v[167:168], v[125:126], v[133:134]
	s_waitcnt vmcnt(25)
	v_fma_f64 v[125:126], v[159:160], v[127:128], v[125:126]
	s_waitcnt vmcnt(24) lgkmcnt(0)
	v_fma_f64 v[125:126], v[157:158], v[129:130], v[125:126]
	s_waitcnt vmcnt(19)
	v_fma_f64 v[133:134], v[135:136], v[131:132], v[125:126]
	ds_read2_b64 v[125:128], v124 offset0:113 offset1:114
	ds_read2_b64 v[129:132], v124 offset0:115 offset1:116
	s_waitcnt vmcnt(18) lgkmcnt(1)
	v_fma_f64 v[125:126], v[165:166], v[125:126], v[133:134]
	s_waitcnt vmcnt(17)
	v_fma_f64 v[125:126], v[163:164], v[127:128], v[125:126]
	s_waitcnt vmcnt(16) lgkmcnt(0)
	v_fma_f64 v[125:126], v[141:142], v[129:130], v[125:126]
	s_waitcnt vmcnt(11)
	v_fma_f64 v[133:134], v[137:138], v[131:132], v[125:126]
	ds_read2_b64 v[125:128], v124 offset0:117 offset1:118
	;; [unrolled: 10-line block ×3, first 2 shown]
	s_waitcnt vmcnt(3) lgkmcnt(0)
	v_fma_f64 v[124:125], v[149:150], v[124:125], v[128:129]
	s_waitcnt vmcnt(2)
	v_fma_f64 v[124:125], v[147:148], v[126:127], v[124:125]
	s_waitcnt vmcnt(0)
	v_add_f64 v[124:125], v[151:152], -v[124:125]
	buffer_store_dword v125, off, s[0:3], 0 offset:116
	buffer_store_dword v124, off, s[0:3], 0 offset:112
	v_cmpx_lt_u32_e32 13, v0
	s_cbranch_execz .LBB124_349
; %bb.348:
	s_clause 0x1
	buffer_load_dword v124, off, s[0:3], 0 offset:104
	buffer_load_dword v125, off, s[0:3], 0 offset:108
	v_mov_b32_e32 v126, 0
	buffer_store_dword v126, off, s[0:3], 0 offset:104
	buffer_store_dword v126, off, s[0:3], 0 offset:108
	s_waitcnt vmcnt(0)
	ds_write_b64 v123, v[124:125]
.LBB124_349:
	s_or_b32 exec_lo, exec_lo, s4
	s_waitcnt lgkmcnt(0)
	s_waitcnt_vscnt null, 0x0
	s_barrier
	buffer_gl0_inv
	s_clause 0x1c
	buffer_load_dword v133, off, s[0:3], 0 offset:112
	buffer_load_dword v134, off, s[0:3], 0 offset:116
	;; [unrolled: 1-line block ×29, first 2 shown]
	v_mov_b32_e32 v124, 0
	buffer_load_dword v158, off, s[0:3], 0 offset:228
	s_mov_b32 s4, exec_lo
	ds_read_b128 v[125:128], v124 offset:608
	ds_read_b128 v[129:132], v124 offset:624
	s_waitcnt vmcnt(28) lgkmcnt(1)
	v_fma_f64 v[125:126], v[133:134], v[125:126], 0
	s_clause 0x7
	buffer_load_dword v134, off, s[0:3], 0 offset:236
	buffer_load_dword v163, off, s[0:3], 0 offset:256
	buffer_load_dword v165, off, s[0:3], 0 offset:248
	buffer_load_dword v167, off, s[0:3], 0 offset:240
	buffer_load_dword v133, off, s[0:3], 0 offset:232
	buffer_load_dword v168, off, s[0:3], 0 offset:244
	buffer_load_dword v166, off, s[0:3], 0 offset:252
	buffer_load_dword v164, off, s[0:3], 0 offset:260
	s_waitcnt vmcnt(34)
	v_fma_f64 v[125:126], v[135:136], v[127:128], v[125:126]
	s_waitcnt vmcnt(32) lgkmcnt(0)
	v_fma_f64 v[125:126], v[137:138], v[129:130], v[125:126]
	s_waitcnt vmcnt(30)
	v_fma_f64 v[135:136], v[139:140], v[131:132], v[125:126]
	ds_read_b128 v[125:128], v124 offset:640
	ds_read_b128 v[129:132], v124 offset:656
	s_waitcnt vmcnt(28) lgkmcnt(1)
	v_fma_f64 v[125:126], v[141:142], v[125:126], v[135:136]
	s_clause 0x7
	buffer_load_dword v136, off, s[0:3], 0 offset:268
	buffer_load_dword v137, off, s[0:3], 0 offset:288
	buffer_load_dword v139, off, s[0:3], 0 offset:280
	buffer_load_dword v141, off, s[0:3], 0 offset:272
	buffer_load_dword v135, off, s[0:3], 0 offset:264
	buffer_load_dword v142, off, s[0:3], 0 offset:276
	buffer_load_dword v140, off, s[0:3], 0 offset:284
	buffer_load_dword v138, off, s[0:3], 0 offset:292
	s_waitcnt vmcnt(34)
	v_fma_f64 v[125:126], v[143:144], v[127:128], v[125:126]
	s_waitcnt vmcnt(32) lgkmcnt(0)
	v_fma_f64 v[125:126], v[145:146], v[129:130], v[125:126]
	s_waitcnt vmcnt(27)
	v_fma_f64 v[143:144], v[147:148], v[131:132], v[125:126]
	;; [unrolled: 19-line block ×8, first 2 shown]
	ds_read_b128 v[125:128], v124 offset:864
	ds_read_b128 v[129:132], v124 offset:880
	s_waitcnt vmcnt(26) lgkmcnt(1)
	v_fma_f64 v[125:126], v[167:168], v[125:126], v[133:134]
	s_clause 0x1
	buffer_load_dword v133, off, s[0:3], 0 offset:104
	buffer_load_dword v134, off, s[0:3], 0 offset:108
	s_waitcnt vmcnt(27)
	v_fma_f64 v[125:126], v[159:160], v[127:128], v[125:126]
	s_waitcnt vmcnt(26) lgkmcnt(0)
	v_fma_f64 v[125:126], v[157:158], v[129:130], v[125:126]
	s_waitcnt vmcnt(21)
	v_fma_f64 v[135:136], v[135:136], v[131:132], v[125:126]
	ds_read_b128 v[125:128], v124 offset:896
	ds_read_b128 v[129:132], v124 offset:912
	s_waitcnt vmcnt(20) lgkmcnt(1)
	v_fma_f64 v[125:126], v[165:166], v[125:126], v[135:136]
	s_waitcnt vmcnt(19)
	v_fma_f64 v[125:126], v[163:164], v[127:128], v[125:126]
	s_waitcnt vmcnt(18) lgkmcnt(0)
	v_fma_f64 v[125:126], v[141:142], v[129:130], v[125:126]
	s_waitcnt vmcnt(13)
	v_fma_f64 v[135:136], v[137:138], v[131:132], v[125:126]
	ds_read_b128 v[125:128], v124 offset:928
	ds_read_b128 v[129:132], v124 offset:944
	s_waitcnt vmcnt(12) lgkmcnt(1)
	v_fma_f64 v[125:126], v[153:154], v[125:126], v[135:136]
	s_waitcnt vmcnt(11)
	v_fma_f64 v[125:126], v[143:144], v[127:128], v[125:126]
	s_waitcnt vmcnt(10) lgkmcnt(0)
	v_fma_f64 v[125:126], v[139:140], v[129:130], v[125:126]
	s_waitcnt vmcnt(5)
	v_fma_f64 v[129:130], v[145:146], v[131:132], v[125:126]
	ds_read_b128 v[125:128], v124 offset:960
	ds_read_b64 v[131:132], v124 offset:976
	s_waitcnt vmcnt(4) lgkmcnt(1)
	v_fma_f64 v[125:126], v[161:162], v[125:126], v[129:130]
	s_waitcnt vmcnt(3)
	v_fma_f64 v[125:126], v[149:150], v[127:128], v[125:126]
	s_waitcnt vmcnt(2) lgkmcnt(0)
	v_fma_f64 v[125:126], v[147:148], v[131:132], v[125:126]
	s_waitcnt vmcnt(0)
	v_add_f64 v[125:126], v[133:134], -v[125:126]
	buffer_store_dword v126, off, s[0:3], 0 offset:108
	buffer_store_dword v125, off, s[0:3], 0 offset:104
	v_cmpx_lt_u32_e32 12, v0
	s_cbranch_execz .LBB124_351
; %bb.350:
	s_clause 0x1
	buffer_load_dword v125, off, s[0:3], 0 offset:96
	buffer_load_dword v126, off, s[0:3], 0 offset:100
	buffer_store_dword v124, off, s[0:3], 0 offset:96
	buffer_store_dword v124, off, s[0:3], 0 offset:100
	s_waitcnt vmcnt(0)
	ds_write_b64 v123, v[125:126]
.LBB124_351:
	s_or_b32 exec_lo, exec_lo, s4
	s_waitcnt lgkmcnt(0)
	s_waitcnt_vscnt null, 0x0
	s_barrier
	buffer_gl0_inv
	s_clause 0x1c
	buffer_load_dword v133, off, s[0:3], 0 offset:104
	buffer_load_dword v134, off, s[0:3], 0 offset:108
	;; [unrolled: 1-line block ×29, first 2 shown]
	ds_read2_b64 v[125:128], v124 offset0:75 offset1:76
	ds_read2_b64 v[129:132], v124 offset0:77 offset1:78
	buffer_load_dword v158, off, s[0:3], 0 offset:220
	s_mov_b32 s4, exec_lo
	s_waitcnt vmcnt(28) lgkmcnt(1)
	v_fma_f64 v[125:126], v[133:134], v[125:126], 0
	s_clause 0x7
	buffer_load_dword v134, off, s[0:3], 0 offset:228
	buffer_load_dword v163, off, s[0:3], 0 offset:248
	buffer_load_dword v165, off, s[0:3], 0 offset:240
	buffer_load_dword v167, off, s[0:3], 0 offset:232
	buffer_load_dword v133, off, s[0:3], 0 offset:224
	buffer_load_dword v168, off, s[0:3], 0 offset:236
	buffer_load_dword v166, off, s[0:3], 0 offset:244
	buffer_load_dword v164, off, s[0:3], 0 offset:252
	s_waitcnt vmcnt(34)
	v_fma_f64 v[125:126], v[135:136], v[127:128], v[125:126]
	s_waitcnt vmcnt(32) lgkmcnt(0)
	v_fma_f64 v[125:126], v[137:138], v[129:130], v[125:126]
	s_waitcnt vmcnt(30)
	v_fma_f64 v[135:136], v[139:140], v[131:132], v[125:126]
	ds_read2_b64 v[125:128], v124 offset0:79 offset1:80
	ds_read2_b64 v[129:132], v124 offset0:81 offset1:82
	s_waitcnt vmcnt(28) lgkmcnt(1)
	v_fma_f64 v[125:126], v[141:142], v[125:126], v[135:136]
	s_clause 0x7
	buffer_load_dword v136, off, s[0:3], 0 offset:260
	buffer_load_dword v137, off, s[0:3], 0 offset:280
	buffer_load_dword v139, off, s[0:3], 0 offset:272
	buffer_load_dword v141, off, s[0:3], 0 offset:264
	buffer_load_dword v135, off, s[0:3], 0 offset:256
	buffer_load_dword v142, off, s[0:3], 0 offset:268
	buffer_load_dword v140, off, s[0:3], 0 offset:276
	buffer_load_dword v138, off, s[0:3], 0 offset:284
	s_waitcnt vmcnt(34)
	v_fma_f64 v[125:126], v[143:144], v[127:128], v[125:126]
	s_waitcnt vmcnt(32) lgkmcnt(0)
	v_fma_f64 v[125:126], v[145:146], v[129:130], v[125:126]
	s_waitcnt vmcnt(27)
	v_fma_f64 v[143:144], v[147:148], v[131:132], v[125:126]
	ds_read2_b64 v[125:128], v124 offset0:83 offset1:84
	ds_read2_b64 v[129:132], v124 offset0:85 offset1:86
	;; [unrolled: 19-line block ×8, first 2 shown]
	s_waitcnt vmcnt(26) lgkmcnt(1)
	v_fma_f64 v[125:126], v[167:168], v[125:126], v[133:134]
	s_clause 0x3
	buffer_load_dword v134, off, s[0:3], 0 offset:484
	buffer_load_dword v133, off, s[0:3], 0 offset:480
	;; [unrolled: 1-line block ×4, first 2 shown]
	s_waitcnt vmcnt(29)
	v_fma_f64 v[125:126], v[159:160], v[127:128], v[125:126]
	s_waitcnt vmcnt(28) lgkmcnt(0)
	v_fma_f64 v[125:126], v[157:158], v[129:130], v[125:126]
	s_waitcnt vmcnt(23)
	v_fma_f64 v[135:136], v[135:136], v[131:132], v[125:126]
	ds_read2_b64 v[125:128], v124 offset0:111 offset1:112
	ds_read2_b64 v[129:132], v124 offset0:113 offset1:114
	s_waitcnt vmcnt(22) lgkmcnt(1)
	v_fma_f64 v[125:126], v[165:166], v[125:126], v[135:136]
	s_waitcnt vmcnt(21)
	v_fma_f64 v[125:126], v[163:164], v[127:128], v[125:126]
	s_waitcnt vmcnt(20) lgkmcnt(0)
	v_fma_f64 v[125:126], v[141:142], v[129:130], v[125:126]
	s_waitcnt vmcnt(15)
	v_fma_f64 v[135:136], v[137:138], v[131:132], v[125:126]
	ds_read2_b64 v[125:128], v124 offset0:115 offset1:116
	ds_read2_b64 v[129:132], v124 offset0:117 offset1:118
	s_waitcnt vmcnt(14) lgkmcnt(1)
	v_fma_f64 v[125:126], v[153:154], v[125:126], v[135:136]
	;; [unrolled: 10-line block ×3, first 2 shown]
	s_waitcnt vmcnt(5)
	v_fma_f64 v[124:125], v[149:150], v[127:128], v[124:125]
	s_waitcnt vmcnt(4) lgkmcnt(0)
	v_fma_f64 v[124:125], v[147:148], v[129:130], v[124:125]
	s_waitcnt vmcnt(2)
	v_fma_f64 v[124:125], v[133:134], v[131:132], v[124:125]
	s_waitcnt vmcnt(0)
	v_add_f64 v[124:125], v[151:152], -v[124:125]
	buffer_store_dword v125, off, s[0:3], 0 offset:100
	buffer_store_dword v124, off, s[0:3], 0 offset:96
	v_cmpx_lt_u32_e32 11, v0
	s_cbranch_execz .LBB124_353
; %bb.352:
	s_clause 0x1
	buffer_load_dword v124, off, s[0:3], 0 offset:88
	buffer_load_dword v125, off, s[0:3], 0 offset:92
	v_mov_b32_e32 v126, 0
	buffer_store_dword v126, off, s[0:3], 0 offset:88
	buffer_store_dword v126, off, s[0:3], 0 offset:92
	s_waitcnt vmcnt(0)
	ds_write_b64 v123, v[124:125]
.LBB124_353:
	s_or_b32 exec_lo, exec_lo, s4
	s_waitcnt lgkmcnt(0)
	s_waitcnt_vscnt null, 0x0
	s_barrier
	buffer_gl0_inv
	s_clause 0x1c
	buffer_load_dword v133, off, s[0:3], 0 offset:96
	buffer_load_dword v134, off, s[0:3], 0 offset:100
	;; [unrolled: 1-line block ×29, first 2 shown]
	v_mov_b32_e32 v124, 0
	buffer_load_dword v158, off, s[0:3], 0 offset:212
	s_mov_b32 s4, exec_lo
	ds_read_b128 v[125:128], v124 offset:592
	ds_read_b128 v[129:132], v124 offset:608
	s_waitcnt vmcnt(28) lgkmcnt(1)
	v_fma_f64 v[125:126], v[133:134], v[125:126], 0
	s_clause 0x7
	buffer_load_dword v134, off, s[0:3], 0 offset:220
	buffer_load_dword v163, off, s[0:3], 0 offset:240
	buffer_load_dword v165, off, s[0:3], 0 offset:232
	buffer_load_dword v167, off, s[0:3], 0 offset:224
	buffer_load_dword v133, off, s[0:3], 0 offset:216
	buffer_load_dword v168, off, s[0:3], 0 offset:228
	buffer_load_dword v166, off, s[0:3], 0 offset:236
	buffer_load_dword v164, off, s[0:3], 0 offset:244
	s_waitcnt vmcnt(34)
	v_fma_f64 v[125:126], v[135:136], v[127:128], v[125:126]
	s_waitcnt vmcnt(32) lgkmcnt(0)
	v_fma_f64 v[125:126], v[137:138], v[129:130], v[125:126]
	s_waitcnt vmcnt(30)
	v_fma_f64 v[135:136], v[139:140], v[131:132], v[125:126]
	ds_read_b128 v[125:128], v124 offset:624
	ds_read_b128 v[129:132], v124 offset:640
	s_waitcnt vmcnt(28) lgkmcnt(1)
	v_fma_f64 v[125:126], v[141:142], v[125:126], v[135:136]
	s_clause 0x7
	buffer_load_dword v136, off, s[0:3], 0 offset:252
	buffer_load_dword v137, off, s[0:3], 0 offset:272
	buffer_load_dword v139, off, s[0:3], 0 offset:264
	buffer_load_dword v141, off, s[0:3], 0 offset:256
	buffer_load_dword v135, off, s[0:3], 0 offset:248
	buffer_load_dword v142, off, s[0:3], 0 offset:260
	buffer_load_dword v140, off, s[0:3], 0 offset:268
	buffer_load_dword v138, off, s[0:3], 0 offset:276
	s_waitcnt vmcnt(34)
	v_fma_f64 v[125:126], v[143:144], v[127:128], v[125:126]
	s_waitcnt vmcnt(32) lgkmcnt(0)
	v_fma_f64 v[125:126], v[145:146], v[129:130], v[125:126]
	s_waitcnt vmcnt(27)
	v_fma_f64 v[143:144], v[147:148], v[131:132], v[125:126]
	;; [unrolled: 19-line block ×8, first 2 shown]
	ds_read_b128 v[125:128], v124 offset:848
	ds_read_b128 v[129:132], v124 offset:864
	s_waitcnt vmcnt(26) lgkmcnt(1)
	v_fma_f64 v[125:126], v[167:168], v[125:126], v[133:134]
	s_clause 0x5
	buffer_load_dword v134, off, s[0:3], 0 offset:476
	buffer_load_dword v151, off, s[0:3], 0 offset:480
	;; [unrolled: 1-line block ×6, first 2 shown]
	s_waitcnt vmcnt(31)
	v_fma_f64 v[125:126], v[159:160], v[127:128], v[125:126]
	s_waitcnt vmcnt(30) lgkmcnt(0)
	v_fma_f64 v[125:126], v[157:158], v[129:130], v[125:126]
	s_waitcnt vmcnt(25)
	v_fma_f64 v[135:136], v[135:136], v[131:132], v[125:126]
	ds_read_b128 v[125:128], v124 offset:880
	ds_read_b128 v[129:132], v124 offset:896
	s_waitcnt vmcnt(24) lgkmcnt(1)
	v_fma_f64 v[125:126], v[165:166], v[125:126], v[135:136]
	s_waitcnt vmcnt(23)
	v_fma_f64 v[125:126], v[163:164], v[127:128], v[125:126]
	s_waitcnt vmcnt(22) lgkmcnt(0)
	v_fma_f64 v[125:126], v[141:142], v[129:130], v[125:126]
	s_waitcnt vmcnt(17)
	v_fma_f64 v[135:136], v[137:138], v[131:132], v[125:126]
	ds_read_b128 v[125:128], v124 offset:912
	ds_read_b128 v[129:132], v124 offset:928
	s_waitcnt vmcnt(16) lgkmcnt(1)
	v_fma_f64 v[125:126], v[153:154], v[125:126], v[135:136]
	;; [unrolled: 10-line block ×3, first 2 shown]
	s_waitcnt vmcnt(7)
	v_fma_f64 v[125:126], v[149:150], v[127:128], v[125:126]
	ds_read_b64 v[127:128], v124 offset:976
	s_waitcnt vmcnt(6) lgkmcnt(1)
	v_fma_f64 v[125:126], v[147:148], v[129:130], v[125:126]
	s_waitcnt vmcnt(3)
	v_fma_f64 v[125:126], v[133:134], v[131:132], v[125:126]
	s_waitcnt vmcnt(2) lgkmcnt(0)
	v_fma_f64 v[125:126], v[151:152], v[127:128], v[125:126]
	s_waitcnt vmcnt(0)
	v_add_f64 v[125:126], v[155:156], -v[125:126]
	buffer_store_dword v126, off, s[0:3], 0 offset:92
	buffer_store_dword v125, off, s[0:3], 0 offset:88
	v_cmpx_lt_u32_e32 10, v0
	s_cbranch_execz .LBB124_355
; %bb.354:
	s_clause 0x1
	buffer_load_dword v125, off, s[0:3], 0 offset:80
	buffer_load_dword v126, off, s[0:3], 0 offset:84
	buffer_store_dword v124, off, s[0:3], 0 offset:80
	buffer_store_dword v124, off, s[0:3], 0 offset:84
	s_waitcnt vmcnt(0)
	ds_write_b64 v123, v[125:126]
.LBB124_355:
	s_or_b32 exec_lo, exec_lo, s4
	s_waitcnt lgkmcnt(0)
	s_waitcnt_vscnt null, 0x0
	s_barrier
	buffer_gl0_inv
	s_clause 0x1c
	buffer_load_dword v133, off, s[0:3], 0 offset:88
	buffer_load_dword v134, off, s[0:3], 0 offset:92
	;; [unrolled: 1-line block ×29, first 2 shown]
	ds_read2_b64 v[125:128], v124 offset0:73 offset1:74
	ds_read2_b64 v[129:132], v124 offset0:75 offset1:76
	buffer_load_dword v158, off, s[0:3], 0 offset:204
	s_mov_b32 s4, exec_lo
	s_waitcnt vmcnt(28) lgkmcnt(1)
	v_fma_f64 v[125:126], v[133:134], v[125:126], 0
	s_clause 0x7
	buffer_load_dword v134, off, s[0:3], 0 offset:212
	buffer_load_dword v163, off, s[0:3], 0 offset:232
	buffer_load_dword v165, off, s[0:3], 0 offset:224
	buffer_load_dword v167, off, s[0:3], 0 offset:216
	buffer_load_dword v133, off, s[0:3], 0 offset:208
	buffer_load_dword v168, off, s[0:3], 0 offset:220
	buffer_load_dword v166, off, s[0:3], 0 offset:228
	buffer_load_dword v164, off, s[0:3], 0 offset:236
	s_waitcnt vmcnt(34)
	v_fma_f64 v[125:126], v[135:136], v[127:128], v[125:126]
	s_waitcnt vmcnt(32) lgkmcnt(0)
	v_fma_f64 v[125:126], v[137:138], v[129:130], v[125:126]
	s_waitcnt vmcnt(30)
	v_fma_f64 v[135:136], v[139:140], v[131:132], v[125:126]
	ds_read2_b64 v[125:128], v124 offset0:77 offset1:78
	ds_read2_b64 v[129:132], v124 offset0:79 offset1:80
	s_waitcnt vmcnt(28) lgkmcnt(1)
	v_fma_f64 v[125:126], v[141:142], v[125:126], v[135:136]
	s_clause 0x7
	buffer_load_dword v136, off, s[0:3], 0 offset:244
	buffer_load_dword v137, off, s[0:3], 0 offset:264
	buffer_load_dword v139, off, s[0:3], 0 offset:256
	buffer_load_dword v141, off, s[0:3], 0 offset:248
	buffer_load_dword v135, off, s[0:3], 0 offset:240
	buffer_load_dword v142, off, s[0:3], 0 offset:252
	buffer_load_dword v140, off, s[0:3], 0 offset:260
	buffer_load_dword v138, off, s[0:3], 0 offset:268
	s_waitcnt vmcnt(34)
	v_fma_f64 v[125:126], v[143:144], v[127:128], v[125:126]
	s_waitcnt vmcnt(32) lgkmcnt(0)
	v_fma_f64 v[125:126], v[145:146], v[129:130], v[125:126]
	s_waitcnt vmcnt(27)
	v_fma_f64 v[143:144], v[147:148], v[131:132], v[125:126]
	ds_read2_b64 v[125:128], v124 offset0:81 offset1:82
	ds_read2_b64 v[129:132], v124 offset0:83 offset1:84
	;; [unrolled: 19-line block ×8, first 2 shown]
	s_waitcnt vmcnt(26) lgkmcnt(1)
	v_fma_f64 v[125:126], v[167:168], v[125:126], v[133:134]
	s_clause 0x5
	buffer_load_dword v134, off, s[0:3], 0 offset:468
	buffer_load_dword v151, off, s[0:3], 0 offset:480
	;; [unrolled: 1-line block ×6, first 2 shown]
	s_waitcnt vmcnt(31)
	v_fma_f64 v[125:126], v[159:160], v[127:128], v[125:126]
	s_waitcnt vmcnt(30) lgkmcnt(0)
	v_fma_f64 v[125:126], v[157:158], v[129:130], v[125:126]
	s_waitcnt vmcnt(25)
	v_fma_f64 v[135:136], v[135:136], v[131:132], v[125:126]
	ds_read2_b64 v[125:128], v124 offset0:109 offset1:110
	s_clause 0x1
	buffer_load_dword v157, off, s[0:3], 0 offset:80
	buffer_load_dword v158, off, s[0:3], 0 offset:84
	ds_read2_b64 v[129:132], v124 offset0:111 offset1:112
	s_waitcnt vmcnt(26) lgkmcnt(1)
	v_fma_f64 v[125:126], v[165:166], v[125:126], v[135:136]
	s_waitcnt vmcnt(25)
	v_fma_f64 v[125:126], v[163:164], v[127:128], v[125:126]
	s_waitcnt vmcnt(24) lgkmcnt(0)
	v_fma_f64 v[125:126], v[141:142], v[129:130], v[125:126]
	s_waitcnt vmcnt(19)
	v_fma_f64 v[135:136], v[137:138], v[131:132], v[125:126]
	ds_read2_b64 v[125:128], v124 offset0:113 offset1:114
	ds_read2_b64 v[129:132], v124 offset0:115 offset1:116
	s_waitcnt vmcnt(18) lgkmcnt(1)
	v_fma_f64 v[125:126], v[153:154], v[125:126], v[135:136]
	s_waitcnt vmcnt(17)
	v_fma_f64 v[125:126], v[143:144], v[127:128], v[125:126]
	s_waitcnt vmcnt(16) lgkmcnt(0)
	v_fma_f64 v[125:126], v[139:140], v[129:130], v[125:126]
	s_waitcnt vmcnt(11)
	v_fma_f64 v[135:136], v[145:146], v[131:132], v[125:126]
	ds_read2_b64 v[125:128], v124 offset0:117 offset1:118
	;; [unrolled: 10-line block ×3, first 2 shown]
	s_waitcnt vmcnt(3) lgkmcnt(0)
	v_fma_f64 v[124:125], v[155:156], v[124:125], v[128:129]
	s_waitcnt vmcnt(2)
	v_fma_f64 v[124:125], v[151:152], v[126:127], v[124:125]
	s_waitcnt vmcnt(0)
	v_add_f64 v[124:125], v[157:158], -v[124:125]
	buffer_store_dword v125, off, s[0:3], 0 offset:84
	buffer_store_dword v124, off, s[0:3], 0 offset:80
	v_cmpx_lt_u32_e32 9, v0
	s_cbranch_execz .LBB124_357
; %bb.356:
	s_clause 0x1
	buffer_load_dword v124, off, s[0:3], 0 offset:72
	buffer_load_dword v125, off, s[0:3], 0 offset:76
	v_mov_b32_e32 v126, 0
	buffer_store_dword v126, off, s[0:3], 0 offset:72
	buffer_store_dword v126, off, s[0:3], 0 offset:76
	s_waitcnt vmcnt(0)
	ds_write_b64 v123, v[124:125]
.LBB124_357:
	s_or_b32 exec_lo, exec_lo, s4
	s_waitcnt lgkmcnt(0)
	s_waitcnt_vscnt null, 0x0
	s_barrier
	buffer_gl0_inv
	s_clause 0x1c
	buffer_load_dword v133, off, s[0:3], 0 offset:80
	buffer_load_dword v134, off, s[0:3], 0 offset:84
	;; [unrolled: 1-line block ×29, first 2 shown]
	v_mov_b32_e32 v124, 0
	buffer_load_dword v158, off, s[0:3], 0 offset:196
	s_mov_b32 s4, exec_lo
	ds_read_b128 v[125:128], v124 offset:576
	ds_read_b128 v[129:132], v124 offset:592
	s_waitcnt vmcnt(28) lgkmcnt(1)
	v_fma_f64 v[125:126], v[133:134], v[125:126], 0
	s_clause 0x7
	buffer_load_dword v134, off, s[0:3], 0 offset:204
	buffer_load_dword v163, off, s[0:3], 0 offset:224
	buffer_load_dword v165, off, s[0:3], 0 offset:216
	buffer_load_dword v167, off, s[0:3], 0 offset:208
	buffer_load_dword v133, off, s[0:3], 0 offset:200
	buffer_load_dword v168, off, s[0:3], 0 offset:212
	buffer_load_dword v166, off, s[0:3], 0 offset:220
	buffer_load_dword v164, off, s[0:3], 0 offset:228
	s_waitcnt vmcnt(34)
	v_fma_f64 v[125:126], v[135:136], v[127:128], v[125:126]
	s_waitcnt vmcnt(32) lgkmcnt(0)
	v_fma_f64 v[125:126], v[137:138], v[129:130], v[125:126]
	s_waitcnt vmcnt(30)
	v_fma_f64 v[135:136], v[139:140], v[131:132], v[125:126]
	ds_read_b128 v[125:128], v124 offset:608
	ds_read_b128 v[129:132], v124 offset:624
	s_waitcnt vmcnt(28) lgkmcnt(1)
	v_fma_f64 v[125:126], v[141:142], v[125:126], v[135:136]
	s_clause 0x7
	buffer_load_dword v136, off, s[0:3], 0 offset:236
	buffer_load_dword v137, off, s[0:3], 0 offset:256
	buffer_load_dword v139, off, s[0:3], 0 offset:248
	buffer_load_dword v141, off, s[0:3], 0 offset:240
	buffer_load_dword v135, off, s[0:3], 0 offset:232
	buffer_load_dword v142, off, s[0:3], 0 offset:244
	buffer_load_dword v140, off, s[0:3], 0 offset:252
	buffer_load_dword v138, off, s[0:3], 0 offset:260
	s_waitcnt vmcnt(34)
	v_fma_f64 v[125:126], v[143:144], v[127:128], v[125:126]
	s_waitcnt vmcnt(32) lgkmcnt(0)
	v_fma_f64 v[125:126], v[145:146], v[129:130], v[125:126]
	s_waitcnt vmcnt(27)
	v_fma_f64 v[143:144], v[147:148], v[131:132], v[125:126]
	;; [unrolled: 19-line block ×9, first 2 shown]
	ds_read_b128 v[125:128], v124 offset:864
	ds_read_b128 v[129:132], v124 offset:880
	s_waitcnt vmcnt(26) lgkmcnt(1)
	v_fma_f64 v[125:126], v[165:166], v[125:126], v[135:136]
	s_clause 0x1
	buffer_load_dword v135, off, s[0:3], 0 offset:72
	buffer_load_dword v136, off, s[0:3], 0 offset:76
	s_waitcnt vmcnt(27)
	v_fma_f64 v[125:126], v[163:164], v[127:128], v[125:126]
	s_waitcnt vmcnt(26) lgkmcnt(0)
	v_fma_f64 v[125:126], v[141:142], v[129:130], v[125:126]
	s_waitcnt vmcnt(21)
	v_fma_f64 v[137:138], v[137:138], v[131:132], v[125:126]
	ds_read_b128 v[125:128], v124 offset:896
	ds_read_b128 v[129:132], v124 offset:912
	s_waitcnt vmcnt(20) lgkmcnt(1)
	v_fma_f64 v[125:126], v[153:154], v[125:126], v[137:138]
	s_waitcnt vmcnt(19)
	v_fma_f64 v[125:126], v[143:144], v[127:128], v[125:126]
	s_waitcnt vmcnt(18) lgkmcnt(0)
	v_fma_f64 v[125:126], v[139:140], v[129:130], v[125:126]
	s_waitcnt vmcnt(13)
	v_fma_f64 v[137:138], v[145:146], v[131:132], v[125:126]
	ds_read_b128 v[125:128], v124 offset:928
	ds_read_b128 v[129:132], v124 offset:944
	s_waitcnt vmcnt(12) lgkmcnt(1)
	v_fma_f64 v[125:126], v[161:162], v[125:126], v[137:138]
	s_waitcnt vmcnt(11)
	v_fma_f64 v[125:126], v[149:150], v[127:128], v[125:126]
	s_waitcnt vmcnt(10) lgkmcnt(0)
	v_fma_f64 v[125:126], v[147:148], v[129:130], v[125:126]
	s_waitcnt vmcnt(5)
	v_fma_f64 v[129:130], v[133:134], v[131:132], v[125:126]
	ds_read_b128 v[125:128], v124 offset:960
	ds_read_b64 v[131:132], v124 offset:976
	s_waitcnt vmcnt(4) lgkmcnt(1)
	v_fma_f64 v[125:126], v[167:168], v[125:126], v[129:130]
	s_waitcnt vmcnt(3)
	v_fma_f64 v[125:126], v[155:156], v[127:128], v[125:126]
	s_waitcnt vmcnt(2) lgkmcnt(0)
	v_fma_f64 v[125:126], v[151:152], v[131:132], v[125:126]
	s_waitcnt vmcnt(0)
	v_add_f64 v[125:126], v[135:136], -v[125:126]
	buffer_store_dword v126, off, s[0:3], 0 offset:76
	buffer_store_dword v125, off, s[0:3], 0 offset:72
	v_cmpx_lt_u32_e32 8, v0
	s_cbranch_execz .LBB124_359
; %bb.358:
	s_clause 0x1
	buffer_load_dword v125, off, s[0:3], 0 offset:64
	buffer_load_dword v126, off, s[0:3], 0 offset:68
	buffer_store_dword v124, off, s[0:3], 0 offset:64
	buffer_store_dword v124, off, s[0:3], 0 offset:68
	s_waitcnt vmcnt(0)
	ds_write_b64 v123, v[125:126]
.LBB124_359:
	s_or_b32 exec_lo, exec_lo, s4
	s_waitcnt lgkmcnt(0)
	s_waitcnt_vscnt null, 0x0
	s_barrier
	buffer_gl0_inv
	s_clause 0x1c
	buffer_load_dword v133, off, s[0:3], 0 offset:72
	buffer_load_dword v134, off, s[0:3], 0 offset:76
	;; [unrolled: 1-line block ×29, first 2 shown]
	ds_read2_b64 v[125:128], v124 offset0:71 offset1:72
	ds_read2_b64 v[129:132], v124 offset0:73 offset1:74
	buffer_load_dword v158, off, s[0:3], 0 offset:188
	s_mov_b32 s4, exec_lo
	s_waitcnt vmcnt(28) lgkmcnt(1)
	v_fma_f64 v[125:126], v[133:134], v[125:126], 0
	s_clause 0x7
	buffer_load_dword v134, off, s[0:3], 0 offset:196
	buffer_load_dword v163, off, s[0:3], 0 offset:216
	buffer_load_dword v165, off, s[0:3], 0 offset:208
	buffer_load_dword v167, off, s[0:3], 0 offset:200
	buffer_load_dword v133, off, s[0:3], 0 offset:192
	buffer_load_dword v168, off, s[0:3], 0 offset:204
	buffer_load_dword v166, off, s[0:3], 0 offset:212
	buffer_load_dword v164, off, s[0:3], 0 offset:220
	s_waitcnt vmcnt(34)
	v_fma_f64 v[125:126], v[135:136], v[127:128], v[125:126]
	s_waitcnt vmcnt(32) lgkmcnt(0)
	v_fma_f64 v[125:126], v[137:138], v[129:130], v[125:126]
	s_waitcnt vmcnt(30)
	v_fma_f64 v[135:136], v[139:140], v[131:132], v[125:126]
	ds_read2_b64 v[125:128], v124 offset0:75 offset1:76
	ds_read2_b64 v[129:132], v124 offset0:77 offset1:78
	s_waitcnt vmcnt(28) lgkmcnt(1)
	v_fma_f64 v[125:126], v[141:142], v[125:126], v[135:136]
	s_clause 0x7
	buffer_load_dword v136, off, s[0:3], 0 offset:228
	buffer_load_dword v137, off, s[0:3], 0 offset:248
	buffer_load_dword v139, off, s[0:3], 0 offset:240
	buffer_load_dword v141, off, s[0:3], 0 offset:232
	buffer_load_dword v135, off, s[0:3], 0 offset:224
	buffer_load_dword v142, off, s[0:3], 0 offset:236
	buffer_load_dword v140, off, s[0:3], 0 offset:244
	buffer_load_dword v138, off, s[0:3], 0 offset:252
	s_waitcnt vmcnt(34)
	v_fma_f64 v[125:126], v[143:144], v[127:128], v[125:126]
	s_waitcnt vmcnt(32) lgkmcnt(0)
	v_fma_f64 v[125:126], v[145:146], v[129:130], v[125:126]
	s_waitcnt vmcnt(27)
	v_fma_f64 v[143:144], v[147:148], v[131:132], v[125:126]
	ds_read2_b64 v[125:128], v124 offset0:79 offset1:80
	ds_read2_b64 v[129:132], v124 offset0:81 offset1:82
	;; [unrolled: 19-line block ×9, first 2 shown]
	s_waitcnt vmcnt(26) lgkmcnt(1)
	v_fma_f64 v[125:126], v[165:166], v[125:126], v[135:136]
	s_clause 0x3
	buffer_load_dword v136, off, s[0:3], 0 offset:484
	buffer_load_dword v135, off, s[0:3], 0 offset:480
	;; [unrolled: 1-line block ×4, first 2 shown]
	s_waitcnt vmcnt(29)
	v_fma_f64 v[125:126], v[163:164], v[127:128], v[125:126]
	s_waitcnt vmcnt(28) lgkmcnt(0)
	v_fma_f64 v[125:126], v[141:142], v[129:130], v[125:126]
	s_waitcnt vmcnt(23)
	v_fma_f64 v[137:138], v[137:138], v[131:132], v[125:126]
	ds_read2_b64 v[125:128], v124 offset0:111 offset1:112
	ds_read2_b64 v[129:132], v124 offset0:113 offset1:114
	s_waitcnt vmcnt(22) lgkmcnt(1)
	v_fma_f64 v[125:126], v[153:154], v[125:126], v[137:138]
	s_waitcnt vmcnt(21)
	v_fma_f64 v[125:126], v[143:144], v[127:128], v[125:126]
	s_waitcnt vmcnt(20) lgkmcnt(0)
	v_fma_f64 v[125:126], v[139:140], v[129:130], v[125:126]
	s_waitcnt vmcnt(15)
	v_fma_f64 v[137:138], v[145:146], v[131:132], v[125:126]
	ds_read2_b64 v[125:128], v124 offset0:115 offset1:116
	ds_read2_b64 v[129:132], v124 offset0:117 offset1:118
	s_waitcnt vmcnt(14) lgkmcnt(1)
	v_fma_f64 v[125:126], v[161:162], v[125:126], v[137:138]
	s_waitcnt vmcnt(13)
	v_fma_f64 v[125:126], v[149:150], v[127:128], v[125:126]
	s_waitcnt vmcnt(12) lgkmcnt(0)
	v_fma_f64 v[125:126], v[147:148], v[129:130], v[125:126]
	s_waitcnt vmcnt(7)
	v_fma_f64 v[133:134], v[133:134], v[131:132], v[125:126]
	ds_read2_b64 v[125:128], v124 offset0:119 offset1:120
	ds_read2_b64 v[129:132], v124 offset0:121 offset1:122
	s_waitcnt vmcnt(6) lgkmcnt(1)
	v_fma_f64 v[124:125], v[167:168], v[125:126], v[133:134]
	s_waitcnt vmcnt(5)
	v_fma_f64 v[124:125], v[155:156], v[127:128], v[124:125]
	s_waitcnt vmcnt(4) lgkmcnt(0)
	v_fma_f64 v[124:125], v[151:152], v[129:130], v[124:125]
	s_waitcnt vmcnt(2)
	v_fma_f64 v[124:125], v[135:136], v[131:132], v[124:125]
	s_waitcnt vmcnt(0)
	v_add_f64 v[124:125], v[157:158], -v[124:125]
	buffer_store_dword v125, off, s[0:3], 0 offset:68
	buffer_store_dword v124, off, s[0:3], 0 offset:64
	v_cmpx_lt_u32_e32 7, v0
	s_cbranch_execz .LBB124_361
; %bb.360:
	s_clause 0x1
	buffer_load_dword v124, off, s[0:3], 0 offset:56
	buffer_load_dword v125, off, s[0:3], 0 offset:60
	v_mov_b32_e32 v126, 0
	buffer_store_dword v126, off, s[0:3], 0 offset:56
	buffer_store_dword v126, off, s[0:3], 0 offset:60
	s_waitcnt vmcnt(0)
	ds_write_b64 v123, v[124:125]
.LBB124_361:
	s_or_b32 exec_lo, exec_lo, s4
	s_waitcnt lgkmcnt(0)
	s_waitcnt_vscnt null, 0x0
	s_barrier
	buffer_gl0_inv
	s_clause 0x1c
	buffer_load_dword v133, off, s[0:3], 0 offset:64
	buffer_load_dword v134, off, s[0:3], 0 offset:68
	;; [unrolled: 1-line block ×29, first 2 shown]
	v_mov_b32_e32 v124, 0
	buffer_load_dword v158, off, s[0:3], 0 offset:180
	s_mov_b32 s4, exec_lo
	ds_read_b128 v[125:128], v124 offset:560
	ds_read_b128 v[129:132], v124 offset:576
	s_waitcnt vmcnt(28) lgkmcnt(1)
	v_fma_f64 v[125:126], v[133:134], v[125:126], 0
	s_clause 0x7
	buffer_load_dword v134, off, s[0:3], 0 offset:188
	buffer_load_dword v163, off, s[0:3], 0 offset:208
	buffer_load_dword v165, off, s[0:3], 0 offset:200
	buffer_load_dword v167, off, s[0:3], 0 offset:192
	buffer_load_dword v133, off, s[0:3], 0 offset:184
	buffer_load_dword v168, off, s[0:3], 0 offset:196
	buffer_load_dword v166, off, s[0:3], 0 offset:204
	buffer_load_dword v164, off, s[0:3], 0 offset:212
	s_waitcnt vmcnt(34)
	v_fma_f64 v[125:126], v[135:136], v[127:128], v[125:126]
	s_waitcnt vmcnt(32) lgkmcnt(0)
	v_fma_f64 v[125:126], v[137:138], v[129:130], v[125:126]
	s_waitcnt vmcnt(30)
	v_fma_f64 v[135:136], v[139:140], v[131:132], v[125:126]
	ds_read_b128 v[125:128], v124 offset:592
	ds_read_b128 v[129:132], v124 offset:608
	s_waitcnt vmcnt(28) lgkmcnt(1)
	v_fma_f64 v[125:126], v[141:142], v[125:126], v[135:136]
	s_clause 0x7
	buffer_load_dword v136, off, s[0:3], 0 offset:220
	buffer_load_dword v137, off, s[0:3], 0 offset:240
	buffer_load_dword v139, off, s[0:3], 0 offset:232
	buffer_load_dword v141, off, s[0:3], 0 offset:224
	buffer_load_dword v135, off, s[0:3], 0 offset:216
	buffer_load_dword v142, off, s[0:3], 0 offset:228
	buffer_load_dword v140, off, s[0:3], 0 offset:236
	buffer_load_dword v138, off, s[0:3], 0 offset:244
	s_waitcnt vmcnt(34)
	v_fma_f64 v[125:126], v[143:144], v[127:128], v[125:126]
	s_waitcnt vmcnt(32) lgkmcnt(0)
	v_fma_f64 v[125:126], v[145:146], v[129:130], v[125:126]
	s_waitcnt vmcnt(27)
	v_fma_f64 v[143:144], v[147:148], v[131:132], v[125:126]
	;; [unrolled: 19-line block ×9, first 2 shown]
	ds_read_b128 v[125:128], v124 offset:848
	ds_read_b128 v[129:132], v124 offset:864
	s_waitcnt vmcnt(26) lgkmcnt(1)
	v_fma_f64 v[125:126], v[165:166], v[125:126], v[135:136]
	s_clause 0x3
	buffer_load_dword v136, off, s[0:3], 0 offset:476
	buffer_load_dword v157, off, s[0:3], 0 offset:480
	;; [unrolled: 1-line block ×4, first 2 shown]
	s_waitcnt vmcnt(29)
	v_fma_f64 v[125:126], v[163:164], v[127:128], v[125:126]
	s_waitcnt vmcnt(28) lgkmcnt(0)
	v_fma_f64 v[125:126], v[141:142], v[129:130], v[125:126]
	s_clause 0x1
	buffer_load_dword v141, off, s[0:3], 0 offset:56
	buffer_load_dword v142, off, s[0:3], 0 offset:60
	s_waitcnt vmcnt(25)
	v_fma_f64 v[137:138], v[137:138], v[131:132], v[125:126]
	ds_read_b128 v[125:128], v124 offset:880
	ds_read_b128 v[129:132], v124 offset:896
	s_waitcnt vmcnt(24) lgkmcnt(1)
	v_fma_f64 v[125:126], v[153:154], v[125:126], v[137:138]
	s_waitcnt vmcnt(23)
	v_fma_f64 v[125:126], v[143:144], v[127:128], v[125:126]
	s_waitcnt vmcnt(22) lgkmcnt(0)
	v_fma_f64 v[125:126], v[139:140], v[129:130], v[125:126]
	s_waitcnt vmcnt(17)
	v_fma_f64 v[137:138], v[145:146], v[131:132], v[125:126]
	ds_read_b128 v[125:128], v124 offset:912
	ds_read_b128 v[129:132], v124 offset:928
	s_waitcnt vmcnt(16) lgkmcnt(1)
	v_fma_f64 v[125:126], v[161:162], v[125:126], v[137:138]
	s_waitcnt vmcnt(15)
	v_fma_f64 v[125:126], v[149:150], v[127:128], v[125:126]
	s_waitcnt vmcnt(14) lgkmcnt(0)
	v_fma_f64 v[125:126], v[147:148], v[129:130], v[125:126]
	s_waitcnt vmcnt(9)
	v_fma_f64 v[133:134], v[133:134], v[131:132], v[125:126]
	ds_read_b128 v[125:128], v124 offset:944
	ds_read_b128 v[129:132], v124 offset:960
	s_waitcnt vmcnt(8) lgkmcnt(1)
	v_fma_f64 v[125:126], v[167:168], v[125:126], v[133:134]
	s_waitcnt vmcnt(7)
	v_fma_f64 v[125:126], v[155:156], v[127:128], v[125:126]
	ds_read_b64 v[127:128], v124 offset:976
	s_waitcnt vmcnt(6) lgkmcnt(1)
	v_fma_f64 v[125:126], v[151:152], v[129:130], v[125:126]
	s_waitcnt vmcnt(3)
	v_fma_f64 v[125:126], v[135:136], v[131:132], v[125:126]
	s_waitcnt vmcnt(2) lgkmcnt(0)
	v_fma_f64 v[125:126], v[157:158], v[127:128], v[125:126]
	s_waitcnt vmcnt(0)
	v_add_f64 v[125:126], v[141:142], -v[125:126]
	buffer_store_dword v126, off, s[0:3], 0 offset:60
	buffer_store_dword v125, off, s[0:3], 0 offset:56
	v_cmpx_lt_u32_e32 6, v0
	s_cbranch_execz .LBB124_363
; %bb.362:
	s_clause 0x1
	buffer_load_dword v125, off, s[0:3], 0 offset:48
	buffer_load_dword v126, off, s[0:3], 0 offset:52
	buffer_store_dword v124, off, s[0:3], 0 offset:48
	buffer_store_dword v124, off, s[0:3], 0 offset:52
	s_waitcnt vmcnt(0)
	ds_write_b64 v123, v[125:126]
.LBB124_363:
	s_or_b32 exec_lo, exec_lo, s4
	s_waitcnt lgkmcnt(0)
	s_waitcnt_vscnt null, 0x0
	s_barrier
	buffer_gl0_inv
	s_clause 0x1c
	buffer_load_dword v133, off, s[0:3], 0 offset:56
	buffer_load_dword v134, off, s[0:3], 0 offset:60
	;; [unrolled: 1-line block ×29, first 2 shown]
	ds_read2_b64 v[125:128], v124 offset0:69 offset1:70
	ds_read2_b64 v[129:132], v124 offset0:71 offset1:72
	buffer_load_dword v158, off, s[0:3], 0 offset:172
	s_mov_b32 s4, exec_lo
	s_waitcnt vmcnt(28) lgkmcnt(1)
	v_fma_f64 v[125:126], v[133:134], v[125:126], 0
	s_clause 0x7
	buffer_load_dword v134, off, s[0:3], 0 offset:180
	buffer_load_dword v163, off, s[0:3], 0 offset:200
	buffer_load_dword v165, off, s[0:3], 0 offset:192
	buffer_load_dword v167, off, s[0:3], 0 offset:184
	buffer_load_dword v133, off, s[0:3], 0 offset:176
	buffer_load_dword v168, off, s[0:3], 0 offset:188
	buffer_load_dword v166, off, s[0:3], 0 offset:196
	buffer_load_dword v164, off, s[0:3], 0 offset:204
	s_waitcnt vmcnt(34)
	v_fma_f64 v[125:126], v[135:136], v[127:128], v[125:126]
	s_waitcnt vmcnt(32) lgkmcnt(0)
	v_fma_f64 v[125:126], v[137:138], v[129:130], v[125:126]
	s_waitcnt vmcnt(30)
	v_fma_f64 v[135:136], v[139:140], v[131:132], v[125:126]
	ds_read2_b64 v[125:128], v124 offset0:73 offset1:74
	ds_read2_b64 v[129:132], v124 offset0:75 offset1:76
	s_waitcnt vmcnt(28) lgkmcnt(1)
	v_fma_f64 v[125:126], v[141:142], v[125:126], v[135:136]
	s_clause 0x7
	buffer_load_dword v136, off, s[0:3], 0 offset:212
	buffer_load_dword v137, off, s[0:3], 0 offset:232
	buffer_load_dword v139, off, s[0:3], 0 offset:224
	buffer_load_dword v141, off, s[0:3], 0 offset:216
	buffer_load_dword v135, off, s[0:3], 0 offset:208
	buffer_load_dword v142, off, s[0:3], 0 offset:220
	buffer_load_dword v140, off, s[0:3], 0 offset:228
	buffer_load_dword v138, off, s[0:3], 0 offset:236
	s_waitcnt vmcnt(34)
	v_fma_f64 v[125:126], v[143:144], v[127:128], v[125:126]
	s_waitcnt vmcnt(32) lgkmcnt(0)
	v_fma_f64 v[125:126], v[145:146], v[129:130], v[125:126]
	s_waitcnt vmcnt(27)
	v_fma_f64 v[143:144], v[147:148], v[131:132], v[125:126]
	ds_read2_b64 v[125:128], v124 offset0:77 offset1:78
	ds_read2_b64 v[129:132], v124 offset0:79 offset1:80
	;; [unrolled: 19-line block ×9, first 2 shown]
	s_waitcnt vmcnt(26) lgkmcnt(1)
	v_fma_f64 v[125:126], v[165:166], v[125:126], v[135:136]
	s_clause 0x5
	buffer_load_dword v136, off, s[0:3], 0 offset:468
	buffer_load_dword v157, off, s[0:3], 0 offset:480
	;; [unrolled: 1-line block ×6, first 2 shown]
	s_waitcnt vmcnt(31)
	v_fma_f64 v[125:126], v[163:164], v[127:128], v[125:126]
	s_waitcnt vmcnt(30) lgkmcnt(0)
	v_fma_f64 v[125:126], v[141:142], v[129:130], v[125:126]
	s_waitcnt vmcnt(25)
	v_fma_f64 v[137:138], v[137:138], v[131:132], v[125:126]
	ds_read2_b64 v[125:128], v124 offset0:109 offset1:110
	s_clause 0x1
	buffer_load_dword v141, off, s[0:3], 0 offset:48
	buffer_load_dword v142, off, s[0:3], 0 offset:52
	ds_read2_b64 v[129:132], v124 offset0:111 offset1:112
	s_waitcnt vmcnt(26) lgkmcnt(1)
	v_fma_f64 v[125:126], v[153:154], v[125:126], v[137:138]
	s_waitcnt vmcnt(25)
	v_fma_f64 v[125:126], v[143:144], v[127:128], v[125:126]
	s_waitcnt vmcnt(24) lgkmcnt(0)
	v_fma_f64 v[125:126], v[139:140], v[129:130], v[125:126]
	s_waitcnt vmcnt(19)
	v_fma_f64 v[137:138], v[145:146], v[131:132], v[125:126]
	ds_read2_b64 v[125:128], v124 offset0:113 offset1:114
	ds_read2_b64 v[129:132], v124 offset0:115 offset1:116
	s_waitcnt vmcnt(18) lgkmcnt(1)
	v_fma_f64 v[125:126], v[161:162], v[125:126], v[137:138]
	s_waitcnt vmcnt(17)
	v_fma_f64 v[125:126], v[149:150], v[127:128], v[125:126]
	s_waitcnt vmcnt(16) lgkmcnt(0)
	v_fma_f64 v[125:126], v[147:148], v[129:130], v[125:126]
	s_waitcnt vmcnt(11)
	v_fma_f64 v[133:134], v[133:134], v[131:132], v[125:126]
	ds_read2_b64 v[125:128], v124 offset0:117 offset1:118
	;; [unrolled: 10-line block ×3, first 2 shown]
	s_waitcnt vmcnt(3) lgkmcnt(0)
	v_fma_f64 v[124:125], v[159:160], v[124:125], v[128:129]
	s_waitcnt vmcnt(2)
	v_fma_f64 v[124:125], v[157:158], v[126:127], v[124:125]
	s_waitcnt vmcnt(0)
	v_add_f64 v[124:125], v[141:142], -v[124:125]
	buffer_store_dword v125, off, s[0:3], 0 offset:52
	buffer_store_dword v124, off, s[0:3], 0 offset:48
	v_cmpx_lt_u32_e32 5, v0
	s_cbranch_execz .LBB124_365
; %bb.364:
	s_clause 0x1
	buffer_load_dword v124, off, s[0:3], 0 offset:40
	buffer_load_dword v125, off, s[0:3], 0 offset:44
	v_mov_b32_e32 v126, 0
	buffer_store_dword v126, off, s[0:3], 0 offset:40
	buffer_store_dword v126, off, s[0:3], 0 offset:44
	s_waitcnt vmcnt(0)
	ds_write_b64 v123, v[124:125]
.LBB124_365:
	s_or_b32 exec_lo, exec_lo, s4
	s_waitcnt lgkmcnt(0)
	s_waitcnt_vscnt null, 0x0
	s_barrier
	buffer_gl0_inv
	s_clause 0x1c
	buffer_load_dword v133, off, s[0:3], 0 offset:48
	buffer_load_dword v134, off, s[0:3], 0 offset:52
	;; [unrolled: 1-line block ×29, first 2 shown]
	v_mov_b32_e32 v124, 0
	buffer_load_dword v158, off, s[0:3], 0 offset:164
	s_mov_b32 s4, exec_lo
	ds_read_b128 v[125:128], v124 offset:544
	ds_read_b128 v[129:132], v124 offset:560
	s_waitcnt vmcnt(28) lgkmcnt(1)
	v_fma_f64 v[125:126], v[133:134], v[125:126], 0
	s_clause 0x7
	buffer_load_dword v134, off, s[0:3], 0 offset:172
	buffer_load_dword v163, off, s[0:3], 0 offset:192
	buffer_load_dword v165, off, s[0:3], 0 offset:184
	buffer_load_dword v167, off, s[0:3], 0 offset:176
	buffer_load_dword v133, off, s[0:3], 0 offset:168
	buffer_load_dword v168, off, s[0:3], 0 offset:180
	buffer_load_dword v166, off, s[0:3], 0 offset:188
	buffer_load_dword v164, off, s[0:3], 0 offset:196
	s_waitcnt vmcnt(34)
	v_fma_f64 v[125:126], v[135:136], v[127:128], v[125:126]
	s_waitcnt vmcnt(32) lgkmcnt(0)
	v_fma_f64 v[125:126], v[137:138], v[129:130], v[125:126]
	s_waitcnt vmcnt(30)
	v_fma_f64 v[135:136], v[139:140], v[131:132], v[125:126]
	ds_read_b128 v[125:128], v124 offset:576
	ds_read_b128 v[129:132], v124 offset:592
	s_waitcnt vmcnt(28) lgkmcnt(1)
	v_fma_f64 v[125:126], v[141:142], v[125:126], v[135:136]
	s_clause 0x7
	buffer_load_dword v136, off, s[0:3], 0 offset:204
	buffer_load_dword v137, off, s[0:3], 0 offset:224
	buffer_load_dword v139, off, s[0:3], 0 offset:216
	buffer_load_dword v141, off, s[0:3], 0 offset:208
	buffer_load_dword v135, off, s[0:3], 0 offset:200
	buffer_load_dword v142, off, s[0:3], 0 offset:212
	buffer_load_dword v140, off, s[0:3], 0 offset:220
	buffer_load_dword v138, off, s[0:3], 0 offset:228
	s_waitcnt vmcnt(34)
	v_fma_f64 v[125:126], v[143:144], v[127:128], v[125:126]
	s_waitcnt vmcnt(32) lgkmcnt(0)
	v_fma_f64 v[125:126], v[145:146], v[129:130], v[125:126]
	s_waitcnt vmcnt(27)
	v_fma_f64 v[143:144], v[147:148], v[131:132], v[125:126]
	;; [unrolled: 19-line block ×10, first 2 shown]
	ds_read_b128 v[125:128], v124 offset:864
	ds_read_b128 v[129:132], v124 offset:880
	s_waitcnt vmcnt(26) lgkmcnt(1)
	v_fma_f64 v[125:126], v[153:154], v[125:126], v[137:138]
	s_clause 0x1
	buffer_load_dword v137, off, s[0:3], 0 offset:40
	buffer_load_dword v138, off, s[0:3], 0 offset:44
	s_waitcnt vmcnt(27)
	v_fma_f64 v[125:126], v[143:144], v[127:128], v[125:126]
	s_waitcnt vmcnt(26) lgkmcnt(0)
	v_fma_f64 v[125:126], v[139:140], v[129:130], v[125:126]
	s_waitcnt vmcnt(21)
	v_fma_f64 v[139:140], v[145:146], v[131:132], v[125:126]
	ds_read_b128 v[125:128], v124 offset:896
	ds_read_b128 v[129:132], v124 offset:912
	s_waitcnt vmcnt(20) lgkmcnt(1)
	v_fma_f64 v[125:126], v[161:162], v[125:126], v[139:140]
	s_waitcnt vmcnt(19)
	v_fma_f64 v[125:126], v[149:150], v[127:128], v[125:126]
	s_waitcnt vmcnt(18) lgkmcnt(0)
	v_fma_f64 v[125:126], v[147:148], v[129:130], v[125:126]
	s_waitcnt vmcnt(13)
	v_fma_f64 v[133:134], v[133:134], v[131:132], v[125:126]
	ds_read_b128 v[125:128], v124 offset:928
	ds_read_b128 v[129:132], v124 offset:944
	s_waitcnt vmcnt(12) lgkmcnt(1)
	v_fma_f64 v[125:126], v[167:168], v[125:126], v[133:134]
	s_waitcnt vmcnt(11)
	v_fma_f64 v[125:126], v[155:156], v[127:128], v[125:126]
	s_waitcnt vmcnt(10) lgkmcnt(0)
	v_fma_f64 v[125:126], v[151:152], v[129:130], v[125:126]
	s_waitcnt vmcnt(5)
	v_fma_f64 v[129:130], v[135:136], v[131:132], v[125:126]
	ds_read_b128 v[125:128], v124 offset:960
	ds_read_b64 v[131:132], v124 offset:976
	s_waitcnt vmcnt(4) lgkmcnt(1)
	v_fma_f64 v[125:126], v[165:166], v[125:126], v[129:130]
	s_waitcnt vmcnt(3)
	v_fma_f64 v[125:126], v[159:160], v[127:128], v[125:126]
	s_waitcnt vmcnt(2) lgkmcnt(0)
	v_fma_f64 v[125:126], v[157:158], v[131:132], v[125:126]
	s_waitcnt vmcnt(0)
	v_add_f64 v[125:126], v[137:138], -v[125:126]
	buffer_store_dword v126, off, s[0:3], 0 offset:44
	buffer_store_dword v125, off, s[0:3], 0 offset:40
	v_cmpx_lt_u32_e32 4, v0
	s_cbranch_execz .LBB124_367
; %bb.366:
	s_clause 0x1
	buffer_load_dword v125, off, s[0:3], 0 offset:32
	buffer_load_dword v126, off, s[0:3], 0 offset:36
	buffer_store_dword v124, off, s[0:3], 0 offset:32
	buffer_store_dword v124, off, s[0:3], 0 offset:36
	s_waitcnt vmcnt(0)
	ds_write_b64 v123, v[125:126]
.LBB124_367:
	s_or_b32 exec_lo, exec_lo, s4
	s_waitcnt lgkmcnt(0)
	s_waitcnt_vscnt null, 0x0
	s_barrier
	buffer_gl0_inv
	s_clause 0x1c
	buffer_load_dword v133, off, s[0:3], 0 offset:40
	buffer_load_dword v134, off, s[0:3], 0 offset:44
	;; [unrolled: 1-line block ×29, first 2 shown]
	ds_read2_b64 v[125:128], v124 offset0:67 offset1:68
	ds_read2_b64 v[129:132], v124 offset0:69 offset1:70
	buffer_load_dword v158, off, s[0:3], 0 offset:156
	s_mov_b32 s4, exec_lo
	s_waitcnt vmcnt(28) lgkmcnt(1)
	v_fma_f64 v[125:126], v[133:134], v[125:126], 0
	s_clause 0x7
	buffer_load_dword v134, off, s[0:3], 0 offset:164
	buffer_load_dword v163, off, s[0:3], 0 offset:184
	buffer_load_dword v165, off, s[0:3], 0 offset:176
	buffer_load_dword v167, off, s[0:3], 0 offset:168
	buffer_load_dword v133, off, s[0:3], 0 offset:160
	buffer_load_dword v168, off, s[0:3], 0 offset:172
	buffer_load_dword v166, off, s[0:3], 0 offset:180
	buffer_load_dword v164, off, s[0:3], 0 offset:188
	s_waitcnt vmcnt(34)
	v_fma_f64 v[125:126], v[135:136], v[127:128], v[125:126]
	s_waitcnt vmcnt(32) lgkmcnt(0)
	v_fma_f64 v[125:126], v[137:138], v[129:130], v[125:126]
	s_waitcnt vmcnt(30)
	v_fma_f64 v[135:136], v[139:140], v[131:132], v[125:126]
	ds_read2_b64 v[125:128], v124 offset0:71 offset1:72
	ds_read2_b64 v[129:132], v124 offset0:73 offset1:74
	s_waitcnt vmcnt(28) lgkmcnt(1)
	v_fma_f64 v[125:126], v[141:142], v[125:126], v[135:136]
	s_clause 0x7
	buffer_load_dword v136, off, s[0:3], 0 offset:196
	buffer_load_dword v137, off, s[0:3], 0 offset:216
	buffer_load_dword v139, off, s[0:3], 0 offset:208
	buffer_load_dword v141, off, s[0:3], 0 offset:200
	buffer_load_dword v135, off, s[0:3], 0 offset:192
	buffer_load_dword v142, off, s[0:3], 0 offset:204
	buffer_load_dword v140, off, s[0:3], 0 offset:212
	buffer_load_dword v138, off, s[0:3], 0 offset:220
	s_waitcnt vmcnt(34)
	v_fma_f64 v[125:126], v[143:144], v[127:128], v[125:126]
	s_waitcnt vmcnt(32) lgkmcnt(0)
	v_fma_f64 v[125:126], v[145:146], v[129:130], v[125:126]
	s_waitcnt vmcnt(27)
	v_fma_f64 v[143:144], v[147:148], v[131:132], v[125:126]
	ds_read2_b64 v[125:128], v124 offset0:75 offset1:76
	ds_read2_b64 v[129:132], v124 offset0:77 offset1:78
	;; [unrolled: 19-line block ×10, first 2 shown]
	s_waitcnt vmcnt(26) lgkmcnt(1)
	v_fma_f64 v[125:126], v[153:154], v[125:126], v[137:138]
	s_clause 0x3
	buffer_load_dword v138, off, s[0:3], 0 offset:484
	buffer_load_dword v137, off, s[0:3], 0 offset:480
	;; [unrolled: 1-line block ×4, first 2 shown]
	s_waitcnt vmcnt(29)
	v_fma_f64 v[125:126], v[143:144], v[127:128], v[125:126]
	s_waitcnt vmcnt(28) lgkmcnt(0)
	v_fma_f64 v[125:126], v[139:140], v[129:130], v[125:126]
	s_waitcnt vmcnt(23)
	v_fma_f64 v[139:140], v[145:146], v[131:132], v[125:126]
	ds_read2_b64 v[125:128], v124 offset0:111 offset1:112
	ds_read2_b64 v[129:132], v124 offset0:113 offset1:114
	s_waitcnt vmcnt(22) lgkmcnt(1)
	v_fma_f64 v[125:126], v[161:162], v[125:126], v[139:140]
	s_waitcnt vmcnt(21)
	v_fma_f64 v[125:126], v[149:150], v[127:128], v[125:126]
	s_waitcnt vmcnt(20) lgkmcnt(0)
	v_fma_f64 v[125:126], v[147:148], v[129:130], v[125:126]
	s_waitcnt vmcnt(15)
	v_fma_f64 v[133:134], v[133:134], v[131:132], v[125:126]
	ds_read2_b64 v[125:128], v124 offset0:115 offset1:116
	ds_read2_b64 v[129:132], v124 offset0:117 offset1:118
	s_waitcnt vmcnt(14) lgkmcnt(1)
	v_fma_f64 v[125:126], v[167:168], v[125:126], v[133:134]
	;; [unrolled: 10-line block ×3, first 2 shown]
	s_waitcnt vmcnt(5)
	v_fma_f64 v[124:125], v[159:160], v[127:128], v[124:125]
	s_waitcnt vmcnt(4) lgkmcnt(0)
	v_fma_f64 v[124:125], v[157:158], v[129:130], v[124:125]
	s_waitcnt vmcnt(2)
	v_fma_f64 v[124:125], v[137:138], v[131:132], v[124:125]
	s_waitcnt vmcnt(0)
	v_add_f64 v[124:125], v[141:142], -v[124:125]
	buffer_store_dword v125, off, s[0:3], 0 offset:36
	buffer_store_dword v124, off, s[0:3], 0 offset:32
	v_cmpx_lt_u32_e32 3, v0
	s_cbranch_execz .LBB124_369
; %bb.368:
	s_clause 0x1
	buffer_load_dword v124, off, s[0:3], 0 offset:24
	buffer_load_dword v125, off, s[0:3], 0 offset:28
	v_mov_b32_e32 v126, 0
	buffer_store_dword v126, off, s[0:3], 0 offset:24
	buffer_store_dword v126, off, s[0:3], 0 offset:28
	s_waitcnt vmcnt(0)
	ds_write_b64 v123, v[124:125]
.LBB124_369:
	s_or_b32 exec_lo, exec_lo, s4
	s_waitcnt lgkmcnt(0)
	s_waitcnt_vscnt null, 0x0
	s_barrier
	buffer_gl0_inv
	s_clause 0x1c
	buffer_load_dword v133, off, s[0:3], 0 offset:32
	buffer_load_dword v134, off, s[0:3], 0 offset:36
	;; [unrolled: 1-line block ×29, first 2 shown]
	v_mov_b32_e32 v124, 0
	buffer_load_dword v158, off, s[0:3], 0 offset:148
	s_mov_b32 s4, exec_lo
	ds_read_b128 v[125:128], v124 offset:528
	ds_read_b128 v[129:132], v124 offset:544
	s_waitcnt vmcnt(28) lgkmcnt(1)
	v_fma_f64 v[125:126], v[133:134], v[125:126], 0
	s_clause 0x7
	buffer_load_dword v134, off, s[0:3], 0 offset:156
	buffer_load_dword v163, off, s[0:3], 0 offset:176
	buffer_load_dword v165, off, s[0:3], 0 offset:168
	buffer_load_dword v167, off, s[0:3], 0 offset:160
	buffer_load_dword v133, off, s[0:3], 0 offset:152
	buffer_load_dword v168, off, s[0:3], 0 offset:164
	buffer_load_dword v166, off, s[0:3], 0 offset:172
	buffer_load_dword v164, off, s[0:3], 0 offset:180
	s_waitcnt vmcnt(34)
	v_fma_f64 v[125:126], v[135:136], v[127:128], v[125:126]
	s_waitcnt vmcnt(32) lgkmcnt(0)
	v_fma_f64 v[125:126], v[137:138], v[129:130], v[125:126]
	s_waitcnt vmcnt(30)
	v_fma_f64 v[135:136], v[139:140], v[131:132], v[125:126]
	ds_read_b128 v[125:128], v124 offset:560
	ds_read_b128 v[129:132], v124 offset:576
	s_waitcnt vmcnt(28) lgkmcnt(1)
	v_fma_f64 v[125:126], v[141:142], v[125:126], v[135:136]
	s_clause 0x7
	buffer_load_dword v136, off, s[0:3], 0 offset:188
	buffer_load_dword v137, off, s[0:3], 0 offset:208
	buffer_load_dword v139, off, s[0:3], 0 offset:200
	buffer_load_dword v141, off, s[0:3], 0 offset:192
	buffer_load_dword v135, off, s[0:3], 0 offset:184
	buffer_load_dword v142, off, s[0:3], 0 offset:196
	buffer_load_dword v140, off, s[0:3], 0 offset:204
	buffer_load_dword v138, off, s[0:3], 0 offset:212
	s_waitcnt vmcnt(34)
	v_fma_f64 v[125:126], v[143:144], v[127:128], v[125:126]
	s_waitcnt vmcnt(32) lgkmcnt(0)
	v_fma_f64 v[125:126], v[145:146], v[129:130], v[125:126]
	s_waitcnt vmcnt(27)
	v_fma_f64 v[143:144], v[147:148], v[131:132], v[125:126]
	;; [unrolled: 19-line block ×10, first 2 shown]
	ds_read_b128 v[125:128], v124 offset:848
	ds_read_b128 v[129:132], v124 offset:864
	s_waitcnt vmcnt(26) lgkmcnt(1)
	v_fma_f64 v[125:126], v[153:154], v[125:126], v[137:138]
	s_clause 0x3
	buffer_load_dword v138, off, s[0:3], 0 offset:476
	buffer_load_dword v141, off, s[0:3], 0 offset:480
	;; [unrolled: 1-line block ×4, first 2 shown]
	s_waitcnt vmcnt(29)
	v_fma_f64 v[125:126], v[143:144], v[127:128], v[125:126]
	s_waitcnt vmcnt(28) lgkmcnt(0)
	v_fma_f64 v[125:126], v[139:140], v[129:130], v[125:126]
	s_clause 0x1
	buffer_load_dword v139, off, s[0:3], 0 offset:24
	buffer_load_dword v140, off, s[0:3], 0 offset:28
	s_waitcnt vmcnt(25)
	v_fma_f64 v[143:144], v[145:146], v[131:132], v[125:126]
	ds_read_b128 v[125:128], v124 offset:880
	ds_read_b128 v[129:132], v124 offset:896
	s_waitcnt vmcnt(24) lgkmcnt(1)
	v_fma_f64 v[125:126], v[161:162], v[125:126], v[143:144]
	s_waitcnt vmcnt(23)
	v_fma_f64 v[125:126], v[149:150], v[127:128], v[125:126]
	s_waitcnt vmcnt(22) lgkmcnt(0)
	v_fma_f64 v[125:126], v[147:148], v[129:130], v[125:126]
	s_waitcnt vmcnt(17)
	v_fma_f64 v[133:134], v[133:134], v[131:132], v[125:126]
	ds_read_b128 v[125:128], v124 offset:912
	ds_read_b128 v[129:132], v124 offset:928
	s_waitcnt vmcnt(16) lgkmcnt(1)
	v_fma_f64 v[125:126], v[167:168], v[125:126], v[133:134]
	s_waitcnt vmcnt(15)
	v_fma_f64 v[125:126], v[155:156], v[127:128], v[125:126]
	s_waitcnt vmcnt(14) lgkmcnt(0)
	v_fma_f64 v[125:126], v[151:152], v[129:130], v[125:126]
	s_waitcnt vmcnt(9)
	v_fma_f64 v[133:134], v[135:136], v[131:132], v[125:126]
	ds_read_b128 v[125:128], v124 offset:944
	ds_read_b128 v[129:132], v124 offset:960
	s_waitcnt vmcnt(8) lgkmcnt(1)
	v_fma_f64 v[125:126], v[165:166], v[125:126], v[133:134]
	s_waitcnt vmcnt(7)
	v_fma_f64 v[125:126], v[159:160], v[127:128], v[125:126]
	ds_read_b64 v[127:128], v124 offset:976
	s_waitcnt vmcnt(6) lgkmcnt(1)
	v_fma_f64 v[125:126], v[157:158], v[129:130], v[125:126]
	s_waitcnt vmcnt(3)
	v_fma_f64 v[125:126], v[137:138], v[131:132], v[125:126]
	s_waitcnt vmcnt(2) lgkmcnt(0)
	v_fma_f64 v[125:126], v[141:142], v[127:128], v[125:126]
	s_waitcnt vmcnt(0)
	v_add_f64 v[125:126], v[139:140], -v[125:126]
	buffer_store_dword v126, off, s[0:3], 0 offset:28
	buffer_store_dword v125, off, s[0:3], 0 offset:24
	v_cmpx_lt_u32_e32 2, v0
	s_cbranch_execz .LBB124_371
; %bb.370:
	s_clause 0x1
	buffer_load_dword v125, off, s[0:3], 0 offset:16
	buffer_load_dword v126, off, s[0:3], 0 offset:20
	buffer_store_dword v124, off, s[0:3], 0 offset:16
	buffer_store_dword v124, off, s[0:3], 0 offset:20
	s_waitcnt vmcnt(0)
	ds_write_b64 v123, v[125:126]
.LBB124_371:
	s_or_b32 exec_lo, exec_lo, s4
	s_waitcnt lgkmcnt(0)
	s_waitcnt_vscnt null, 0x0
	s_barrier
	buffer_gl0_inv
	s_clause 0x1c
	buffer_load_dword v133, off, s[0:3], 0 offset:24
	buffer_load_dword v134, off, s[0:3], 0 offset:28
	;; [unrolled: 1-line block ×29, first 2 shown]
	ds_read2_b64 v[125:128], v124 offset0:65 offset1:66
	ds_read2_b64 v[129:132], v124 offset0:67 offset1:68
	buffer_load_dword v158, off, s[0:3], 0 offset:140
	s_mov_b32 s4, exec_lo
	s_waitcnt vmcnt(28) lgkmcnt(1)
	v_fma_f64 v[125:126], v[133:134], v[125:126], 0
	s_clause 0x7
	buffer_load_dword v134, off, s[0:3], 0 offset:148
	buffer_load_dword v163, off, s[0:3], 0 offset:168
	buffer_load_dword v165, off, s[0:3], 0 offset:160
	buffer_load_dword v167, off, s[0:3], 0 offset:152
	buffer_load_dword v133, off, s[0:3], 0 offset:144
	buffer_load_dword v168, off, s[0:3], 0 offset:156
	buffer_load_dword v166, off, s[0:3], 0 offset:164
	buffer_load_dword v164, off, s[0:3], 0 offset:172
	s_waitcnt vmcnt(34)
	v_fma_f64 v[125:126], v[135:136], v[127:128], v[125:126]
	s_waitcnt vmcnt(32) lgkmcnt(0)
	v_fma_f64 v[125:126], v[137:138], v[129:130], v[125:126]
	s_waitcnt vmcnt(30)
	v_fma_f64 v[135:136], v[139:140], v[131:132], v[125:126]
	ds_read2_b64 v[125:128], v124 offset0:69 offset1:70
	ds_read2_b64 v[129:132], v124 offset0:71 offset1:72
	s_waitcnt vmcnt(28) lgkmcnt(1)
	v_fma_f64 v[125:126], v[141:142], v[125:126], v[135:136]
	s_clause 0x7
	buffer_load_dword v136, off, s[0:3], 0 offset:180
	buffer_load_dword v137, off, s[0:3], 0 offset:200
	buffer_load_dword v139, off, s[0:3], 0 offset:192
	buffer_load_dword v141, off, s[0:3], 0 offset:184
	buffer_load_dword v135, off, s[0:3], 0 offset:176
	buffer_load_dword v142, off, s[0:3], 0 offset:188
	buffer_load_dword v140, off, s[0:3], 0 offset:196
	buffer_load_dword v138, off, s[0:3], 0 offset:204
	s_waitcnt vmcnt(34)
	v_fma_f64 v[125:126], v[143:144], v[127:128], v[125:126]
	s_waitcnt vmcnt(32) lgkmcnt(0)
	v_fma_f64 v[125:126], v[145:146], v[129:130], v[125:126]
	s_waitcnt vmcnt(27)
	v_fma_f64 v[143:144], v[147:148], v[131:132], v[125:126]
	ds_read2_b64 v[125:128], v124 offset0:73 offset1:74
	ds_read2_b64 v[129:132], v124 offset0:75 offset1:76
	;; [unrolled: 19-line block ×10, first 2 shown]
	s_waitcnt vmcnt(26) lgkmcnt(1)
	v_fma_f64 v[125:126], v[153:154], v[125:126], v[137:138]
	s_clause 0x5
	buffer_load_dword v138, off, s[0:3], 0 offset:468
	buffer_load_dword v141, off, s[0:3], 0 offset:480
	;; [unrolled: 1-line block ×6, first 2 shown]
	s_waitcnt vmcnt(31)
	v_fma_f64 v[125:126], v[143:144], v[127:128], v[125:126]
	s_waitcnt vmcnt(30) lgkmcnt(0)
	v_fma_f64 v[125:126], v[139:140], v[129:130], v[125:126]
	s_waitcnt vmcnt(25)
	v_fma_f64 v[139:140], v[145:146], v[131:132], v[125:126]
	ds_read2_b64 v[125:128], v124 offset0:109 offset1:110
	s_clause 0x1
	buffer_load_dword v143, off, s[0:3], 0 offset:16
	buffer_load_dword v144, off, s[0:3], 0 offset:20
	ds_read2_b64 v[129:132], v124 offset0:111 offset1:112
	s_waitcnt vmcnt(26) lgkmcnt(1)
	v_fma_f64 v[125:126], v[161:162], v[125:126], v[139:140]
	s_waitcnt vmcnt(25)
	v_fma_f64 v[125:126], v[149:150], v[127:128], v[125:126]
	s_waitcnt vmcnt(24) lgkmcnt(0)
	v_fma_f64 v[125:126], v[147:148], v[129:130], v[125:126]
	s_waitcnt vmcnt(19)
	v_fma_f64 v[133:134], v[133:134], v[131:132], v[125:126]
	ds_read2_b64 v[125:128], v124 offset0:113 offset1:114
	ds_read2_b64 v[129:132], v124 offset0:115 offset1:116
	s_waitcnt vmcnt(18) lgkmcnt(1)
	v_fma_f64 v[125:126], v[167:168], v[125:126], v[133:134]
	s_waitcnt vmcnt(17)
	v_fma_f64 v[125:126], v[155:156], v[127:128], v[125:126]
	s_waitcnt vmcnt(16) lgkmcnt(0)
	v_fma_f64 v[125:126], v[151:152], v[129:130], v[125:126]
	s_waitcnt vmcnt(11)
	v_fma_f64 v[133:134], v[135:136], v[131:132], v[125:126]
	ds_read2_b64 v[125:128], v124 offset0:117 offset1:118
	;; [unrolled: 10-line block ×3, first 2 shown]
	s_waitcnt vmcnt(3) lgkmcnt(0)
	v_fma_f64 v[124:125], v[153:154], v[124:125], v[128:129]
	s_waitcnt vmcnt(2)
	v_fma_f64 v[124:125], v[141:142], v[126:127], v[124:125]
	s_waitcnt vmcnt(0)
	v_add_f64 v[124:125], v[143:144], -v[124:125]
	buffer_store_dword v125, off, s[0:3], 0 offset:20
	buffer_store_dword v124, off, s[0:3], 0 offset:16
	v_cmpx_lt_u32_e32 1, v0
	s_cbranch_execz .LBB124_373
; %bb.372:
	s_clause 0x1
	buffer_load_dword v124, off, s[0:3], 0 offset:8
	buffer_load_dword v125, off, s[0:3], 0 offset:12
	v_mov_b32_e32 v126, 0
	buffer_store_dword v126, off, s[0:3], 0 offset:8
	buffer_store_dword v126, off, s[0:3], 0 offset:12
	s_waitcnt vmcnt(0)
	ds_write_b64 v123, v[124:125]
.LBB124_373:
	s_or_b32 exec_lo, exec_lo, s4
	s_waitcnt lgkmcnt(0)
	s_waitcnt_vscnt null, 0x0
	s_barrier
	buffer_gl0_inv
	s_clause 0x1c
	buffer_load_dword v134, off, s[0:3], 0 offset:16
	buffer_load_dword v135, off, s[0:3], 0 offset:20
	;; [unrolled: 1-line block ×29, first 2 shown]
	v_mov_b32_e32 v125, 0
	buffer_load_dword v159, off, s[0:3], 0 offset:132
	s_mov_b32 s4, exec_lo
	ds_read_b128 v[126:129], v125 offset:512
	ds_read_b128 v[130:133], v125 offset:528
	s_waitcnt vmcnt(28) lgkmcnt(1)
	v_fma_f64 v[126:127], v[134:135], v[126:127], 0
	s_clause 0x7
	buffer_load_dword v135, off, s[0:3], 0 offset:140
	buffer_load_dword v164, off, s[0:3], 0 offset:160
	buffer_load_dword v166, off, s[0:3], 0 offset:152
	buffer_load_dword v168, off, s[0:3], 0 offset:144
	buffer_load_dword v134, off, s[0:3], 0 offset:136
	buffer_load_dword v169, off, s[0:3], 0 offset:148
	buffer_load_dword v167, off, s[0:3], 0 offset:156
	buffer_load_dword v165, off, s[0:3], 0 offset:164
	s_waitcnt vmcnt(34)
	v_fma_f64 v[126:127], v[136:137], v[128:129], v[126:127]
	s_waitcnt vmcnt(32) lgkmcnt(0)
	v_fma_f64 v[126:127], v[138:139], v[130:131], v[126:127]
	s_waitcnt vmcnt(30)
	v_fma_f64 v[136:137], v[140:141], v[132:133], v[126:127]
	ds_read_b128 v[126:129], v125 offset:544
	ds_read_b128 v[130:133], v125 offset:560
	s_waitcnt vmcnt(28) lgkmcnt(1)
	v_fma_f64 v[126:127], v[142:143], v[126:127], v[136:137]
	s_clause 0x7
	buffer_load_dword v137, off, s[0:3], 0 offset:172
	buffer_load_dword v138, off, s[0:3], 0 offset:192
	buffer_load_dword v140, off, s[0:3], 0 offset:184
	buffer_load_dword v142, off, s[0:3], 0 offset:176
	buffer_load_dword v136, off, s[0:3], 0 offset:168
	buffer_load_dword v143, off, s[0:3], 0 offset:180
	buffer_load_dword v141, off, s[0:3], 0 offset:188
	buffer_load_dword v139, off, s[0:3], 0 offset:196
	s_waitcnt vmcnt(34)
	v_fma_f64 v[126:127], v[144:145], v[128:129], v[126:127]
	s_waitcnt vmcnt(32) lgkmcnt(0)
	v_fma_f64 v[126:127], v[146:147], v[130:131], v[126:127]
	s_waitcnt vmcnt(27)
	v_fma_f64 v[144:145], v[148:149], v[132:133], v[126:127]
	;; [unrolled: 19-line block ×11, first 2 shown]
	ds_read_b128 v[126:129], v125 offset:864
	ds_read_b128 v[130:133], v125 offset:880
	s_waitcnt vmcnt(26) lgkmcnt(1)
	v_fma_f64 v[126:127], v[162:163], v[126:127], v[140:141]
	s_clause 0x1
	buffer_load_dword v140, off, s[0:3], 0 offset:8
	buffer_load_dword v141, off, s[0:3], 0 offset:12
	s_waitcnt vmcnt(27)
	v_fma_f64 v[126:127], v[150:151], v[128:129], v[126:127]
	s_waitcnt vmcnt(26) lgkmcnt(0)
	v_fma_f64 v[126:127], v[148:149], v[130:131], v[126:127]
	s_waitcnt vmcnt(21)
	v_fma_f64 v[134:135], v[134:135], v[132:133], v[126:127]
	ds_read_b128 v[126:129], v125 offset:896
	ds_read_b128 v[130:133], v125 offset:912
	s_waitcnt vmcnt(20) lgkmcnt(1)
	v_fma_f64 v[126:127], v[168:169], v[126:127], v[134:135]
	s_waitcnt vmcnt(19)
	v_fma_f64 v[126:127], v[156:157], v[128:129], v[126:127]
	s_waitcnt vmcnt(18) lgkmcnt(0)
	v_fma_f64 v[126:127], v[152:153], v[130:131], v[126:127]
	s_waitcnt vmcnt(13)
	v_fma_f64 v[134:135], v[136:137], v[132:133], v[126:127]
	ds_read_b128 v[126:129], v125 offset:928
	ds_read_b128 v[130:133], v125 offset:944
	s_waitcnt vmcnt(12) lgkmcnt(1)
	v_fma_f64 v[126:127], v[166:167], v[126:127], v[134:135]
	s_waitcnt vmcnt(11)
	v_fma_f64 v[126:127], v[160:161], v[128:129], v[126:127]
	s_waitcnt vmcnt(10) lgkmcnt(0)
	v_fma_f64 v[126:127], v[158:159], v[130:131], v[126:127]
	s_waitcnt vmcnt(5)
	v_fma_f64 v[130:131], v[138:139], v[132:133], v[126:127]
	ds_read_b128 v[126:129], v125 offset:960
	ds_read_b64 v[132:133], v125 offset:976
	s_waitcnt vmcnt(4) lgkmcnt(1)
	v_fma_f64 v[126:127], v[164:165], v[126:127], v[130:131]
	s_waitcnt vmcnt(3)
	v_fma_f64 v[126:127], v[154:155], v[128:129], v[126:127]
	s_waitcnt vmcnt(2) lgkmcnt(0)
	v_fma_f64 v[126:127], v[142:143], v[132:133], v[126:127]
	s_waitcnt vmcnt(0)
	v_add_f64 v[126:127], v[140:141], -v[126:127]
	buffer_store_dword v127, off, s[0:3], 0 offset:12
	buffer_store_dword v126, off, s[0:3], 0 offset:8
	v_cmpx_ne_u32_e32 0, v0
	s_cbranch_execz .LBB124_375
; %bb.374:
	s_clause 0x1
	buffer_load_dword v126, off, s[0:3], 0
	buffer_load_dword v127, off, s[0:3], 0 offset:4
	buffer_store_dword v125, off, s[0:3], 0
	buffer_store_dword v125, off, s[0:3], 0 offset:4
	s_waitcnt vmcnt(0)
	ds_write_b64 v123, v[126:127]
.LBB124_375:
	s_or_b32 exec_lo, exec_lo, s4
	s_waitcnt lgkmcnt(0)
	s_waitcnt_vscnt null, 0x0
	s_barrier
	buffer_gl0_inv
	s_clause 0x1c
	buffer_load_dword v123, off, s[0:3], 0 offset:8
	buffer_load_dword v124, off, s[0:3], 0 offset:12
	;; [unrolled: 1-line block ×29, first 2 shown]
	ds_read2_b64 v[126:129], v125 offset0:63 offset1:64
	ds_read2_b64 v[130:133], v125 offset0:65 offset1:66
	s_clause 0x8
	buffer_load_dword v157, off, s[0:3], 0 offset:124
	buffer_load_dword v163, off, s[0:3], 0 offset:132
	;; [unrolled: 1-line block ×9, first 2 shown]
	s_and_b32 vcc_lo, exec_lo, s16
	s_waitcnt vmcnt(36) lgkmcnt(1)
	v_fma_f64 v[123:124], v[123:124], v[126:127], 0
	s_waitcnt vmcnt(34)
	v_fma_f64 v[123:124], v[134:135], v[128:129], v[123:124]
	ds_read2_b64 v[126:129], v125 offset0:67 offset1:68
	s_waitcnt vmcnt(32) lgkmcnt(1)
	v_fma_f64 v[123:124], v[136:137], v[130:131], v[123:124]
	s_waitcnt vmcnt(30)
	v_fma_f64 v[123:124], v[138:139], v[132:133], v[123:124]
	ds_read2_b64 v[130:133], v125 offset0:69 offset1:70
	s_waitcnt vmcnt(28) lgkmcnt(1)
	v_fma_f64 v[123:124], v[140:141], v[126:127], v[123:124]
	s_clause 0x7
	buffer_load_dword v135, off, s[0:3], 0 offset:164
	buffer_load_dword v136, off, s[0:3], 0 offset:184
	buffer_load_dword v138, off, s[0:3], 0 offset:176
	buffer_load_dword v140, off, s[0:3], 0 offset:168
	buffer_load_dword v134, off, s[0:3], 0 offset:160
	buffer_load_dword v141, off, s[0:3], 0 offset:172
	buffer_load_dword v139, off, s[0:3], 0 offset:180
	buffer_load_dword v137, off, s[0:3], 0 offset:188
	s_waitcnt vmcnt(34)
	v_fma_f64 v[123:124], v[142:143], v[128:129], v[123:124]
	ds_read2_b64 v[126:129], v125 offset0:71 offset1:72
	s_waitcnt vmcnt(32) lgkmcnt(1)
	v_fma_f64 v[123:124], v[144:145], v[130:131], v[123:124]
	s_waitcnt vmcnt(27)
	v_fma_f64 v[123:124], v[146:147], v[132:133], v[123:124]
	ds_read2_b64 v[130:133], v125 offset0:73 offset1:74
	s_waitcnt vmcnt(26) lgkmcnt(1)
	v_fma_f64 v[123:124], v[152:153], v[126:127], v[123:124]
	s_clause 0x7
	buffer_load_dword v143, off, s[0:3], 0 offset:196
	buffer_load_dword v144, off, s[0:3], 0 offset:216
	buffer_load_dword v146, off, s[0:3], 0 offset:208
	buffer_load_dword v152, off, s[0:3], 0 offset:200
	buffer_load_dword v142, off, s[0:3], 0 offset:192
	buffer_load_dword v153, off, s[0:3], 0 offset:204
	buffer_load_dword v147, off, s[0:3], 0 offset:212
	buffer_load_dword v145, off, s[0:3], 0 offset:220
	;; [unrolled: 19-line block ×10, first 2 shown]
	s_waitcnt vmcnt(33)
	v_fma_f64 v[126:127], v[142:143], v[128:129], v[126:127]
	s_waitcnt vmcnt(32) lgkmcnt(0)
	v_fma_f64 v[126:127], v[138:139], v[130:131], v[126:127]
	s_waitcnt vmcnt(27)
	v_fma_f64 v[138:139], v[144:145], v[132:133], v[126:127]
	ds_read2_b64 v[126:129], v125 offset0:107 offset1:108
	ds_read2_b64 v[130:133], v125 offset0:109 offset1:110
	s_waitcnt vmcnt(26) lgkmcnt(1)
	v_fma_f64 v[126:127], v[160:161], v[126:127], v[138:139]
	s_clause 0x3
	buffer_load_dword v139, off, s[0:3], 0 offset:484
	buffer_load_dword v138, off, s[0:3], 0 offset:480
	buffer_load_dword v142, off, s[0:3], 0
	buffer_load_dword v143, off, s[0:3], 0 offset:4
	s_waitcnt vmcnt(29)
	v_fma_f64 v[126:127], v[148:149], v[128:129], v[126:127]
	s_waitcnt vmcnt(28) lgkmcnt(0)
	v_fma_f64 v[126:127], v[146:147], v[130:131], v[126:127]
	s_waitcnt vmcnt(23)
	v_fma_f64 v[144:145], v[150:151], v[132:133], v[126:127]
	ds_read2_b64 v[126:129], v125 offset0:111 offset1:112
	ds_read2_b64 v[130:133], v125 offset0:113 offset1:114
	s_waitcnt vmcnt(22) lgkmcnt(1)
	v_fma_f64 v[126:127], v[168:169], v[126:127], v[144:145]
	s_waitcnt vmcnt(21)
	v_fma_f64 v[126:127], v[156:157], v[128:129], v[126:127]
	s_waitcnt vmcnt(20) lgkmcnt(0)
	v_fma_f64 v[126:127], v[154:155], v[130:131], v[126:127]
	s_waitcnt vmcnt(15)
	v_fma_f64 v[134:135], v[134:135], v[132:133], v[126:127]
	ds_read2_b64 v[126:129], v125 offset0:115 offset1:116
	ds_read2_b64 v[130:133], v125 offset0:117 offset1:118
	s_waitcnt vmcnt(14) lgkmcnt(1)
	v_fma_f64 v[126:127], v[166:167], v[126:127], v[134:135]
	s_waitcnt vmcnt(13)
	v_fma_f64 v[126:127], v[162:163], v[128:129], v[126:127]
	s_waitcnt vmcnt(12) lgkmcnt(0)
	v_fma_f64 v[126:127], v[158:159], v[130:131], v[126:127]
	s_waitcnt vmcnt(7)
	v_fma_f64 v[134:135], v[136:137], v[132:133], v[126:127]
	ds_read2_b64 v[126:129], v125 offset0:119 offset1:120
	ds_read2_b64 v[130:133], v125 offset0:121 offset1:122
	s_waitcnt vmcnt(6) lgkmcnt(1)
	v_fma_f64 v[125:126], v[152:153], v[126:127], v[134:135]
	s_waitcnt vmcnt(5)
	v_fma_f64 v[125:126], v[140:141], v[128:129], v[125:126]
	s_waitcnt vmcnt(4) lgkmcnt(0)
	v_fma_f64 v[125:126], v[123:124], v[130:131], v[125:126]
	s_waitcnt vmcnt(2)
	v_fma_f64 v[125:126], v[138:139], v[132:133], v[125:126]
	s_waitcnt vmcnt(0)
	v_add_f64 v[125:126], v[142:143], -v[125:126]
	buffer_store_dword v126, off, s[0:3], 0 offset:4
	buffer_store_dword v125, off, s[0:3], 0
	s_cbranch_vccz .LBB124_496
; %bb.376:
	v_mov_b32_e32 v0, 0
	global_load_dword v125, v0, s[12:13] offset:236
	s_waitcnt vmcnt(0)
	v_add_nc_u32_e32 v125, -1, v125
	v_cmp_ne_u32_e32 vcc_lo, 59, v125
	s_cbranch_vccz .LBB124_378
; %bb.377:
	v_lshlrev_b32_e32 v125, 3, v125
	s_clause 0x1
	buffer_load_dword v126, v125, s[0:3], 0 offen
	buffer_load_dword v127, v125, s[0:3], 0 offen offset:4
	s_waitcnt vmcnt(1)
	buffer_store_dword v126, off, s[0:3], 0 offset:472
	s_waitcnt vmcnt(0)
	buffer_store_dword v127, off, s[0:3], 0 offset:476
	buffer_store_dword v123, v125, s[0:3], 0 offen
	buffer_store_dword v124, v125, s[0:3], 0 offen offset:4
.LBB124_378:
	global_load_dword v0, v0, s[12:13] offset:232
	s_waitcnt vmcnt(0)
	v_add_nc_u32_e32 v0, -1, v0
	v_cmp_eq_u32_e32 vcc_lo, 58, v0
	s_cbranch_vccnz .LBB124_380
; %bb.379:
	v_lshlrev_b32_e32 v0, 3, v0
	s_clause 0x3
	buffer_load_dword v123, v0, s[0:3], 0 offen
	buffer_load_dword v124, v0, s[0:3], 0 offen offset:4
	buffer_load_dword v125, off, s[0:3], 0 offset:468
	buffer_load_dword v126, off, s[0:3], 0 offset:464
	s_waitcnt vmcnt(3)
	buffer_store_dword v123, off, s[0:3], 0 offset:464
	s_waitcnt vmcnt(2)
	buffer_store_dword v124, off, s[0:3], 0 offset:468
	s_waitcnt vmcnt(1)
	buffer_store_dword v125, v0, s[0:3], 0 offen offset:4
	s_waitcnt vmcnt(0)
	buffer_store_dword v126, v0, s[0:3], 0 offen
.LBB124_380:
	v_mov_b32_e32 v0, 0
	global_load_dword v123, v0, s[12:13] offset:228
	s_waitcnt vmcnt(0)
	v_add_nc_u32_e32 v123, -1, v123
	v_cmp_eq_u32_e32 vcc_lo, 57, v123
	s_cbranch_vccnz .LBB124_382
; %bb.381:
	v_lshlrev_b32_e32 v123, 3, v123
	s_clause 0x3
	buffer_load_dword v124, v123, s[0:3], 0 offen
	buffer_load_dword v125, v123, s[0:3], 0 offen offset:4
	buffer_load_dword v126, off, s[0:3], 0 offset:456
	buffer_load_dword v127, off, s[0:3], 0 offset:460
	s_waitcnt vmcnt(3)
	buffer_store_dword v124, off, s[0:3], 0 offset:456
	s_waitcnt vmcnt(2)
	buffer_store_dword v125, off, s[0:3], 0 offset:460
	s_waitcnt vmcnt(1)
	buffer_store_dword v126, v123, s[0:3], 0 offen
	s_waitcnt vmcnt(0)
	buffer_store_dword v127, v123, s[0:3], 0 offen offset:4
.LBB124_382:
	global_load_dword v0, v0, s[12:13] offset:224
	s_waitcnt vmcnt(0)
	v_add_nc_u32_e32 v0, -1, v0
	v_cmp_eq_u32_e32 vcc_lo, 56, v0
	s_cbranch_vccnz .LBB124_384
; %bb.383:
	v_lshlrev_b32_e32 v0, 3, v0
	s_clause 0x3
	buffer_load_dword v123, v0, s[0:3], 0 offen
	buffer_load_dword v124, v0, s[0:3], 0 offen offset:4
	buffer_load_dword v125, off, s[0:3], 0 offset:452
	buffer_load_dword v126, off, s[0:3], 0 offset:448
	s_waitcnt vmcnt(3)
	buffer_store_dword v123, off, s[0:3], 0 offset:448
	s_waitcnt vmcnt(2)
	buffer_store_dword v124, off, s[0:3], 0 offset:452
	s_waitcnt vmcnt(1)
	buffer_store_dword v125, v0, s[0:3], 0 offen offset:4
	s_waitcnt vmcnt(0)
	buffer_store_dword v126, v0, s[0:3], 0 offen
.LBB124_384:
	v_mov_b32_e32 v0, 0
	global_load_dword v123, v0, s[12:13] offset:220
	s_waitcnt vmcnt(0)
	v_add_nc_u32_e32 v123, -1, v123
	v_cmp_eq_u32_e32 vcc_lo, 55, v123
	s_cbranch_vccnz .LBB124_386
; %bb.385:
	v_lshlrev_b32_e32 v123, 3, v123
	s_clause 0x3
	buffer_load_dword v124, v123, s[0:3], 0 offen
	buffer_load_dword v125, v123, s[0:3], 0 offen offset:4
	buffer_load_dword v126, off, s[0:3], 0 offset:440
	buffer_load_dword v127, off, s[0:3], 0 offset:444
	s_waitcnt vmcnt(3)
	buffer_store_dword v124, off, s[0:3], 0 offset:440
	s_waitcnt vmcnt(2)
	buffer_store_dword v125, off, s[0:3], 0 offset:444
	s_waitcnt vmcnt(1)
	buffer_store_dword v126, v123, s[0:3], 0 offen
	s_waitcnt vmcnt(0)
	buffer_store_dword v127, v123, s[0:3], 0 offen offset:4
.LBB124_386:
	;; [unrolled: 43-line block ×29, first 2 shown]
	global_load_dword v0, v0, s[12:13]
	s_clause 0x1
	buffer_load_dword v125, off, s[0:3], 0
	buffer_load_dword v126, off, s[0:3], 0 offset:4
	s_waitcnt vmcnt(2)
	v_add_nc_u32_e32 v0, -1, v0
	v_cmp_eq_u32_e32 vcc_lo, 0, v0
	s_cbranch_vccnz .LBB124_496
; %bb.495:
	v_lshlrev_b32_e32 v0, 3, v0
	s_clause 0x1
	buffer_load_dword v123, v0, s[0:3], 0 offen offset:4
	buffer_load_dword v124, v0, s[0:3], 0 offen
	s_waitcnt vmcnt(1)
	buffer_store_dword v123, off, s[0:3], 0 offset:4
	s_waitcnt vmcnt(0)
	buffer_store_dword v124, off, s[0:3], 0
	buffer_store_dword v126, v0, s[0:3], 0 offen offset:4
	buffer_store_dword v125, v0, s[0:3], 0 offen
	s_clause 0x1
	buffer_load_dword v125, off, s[0:3], 0
	buffer_load_dword v126, off, s[0:3], 0 offset:4
.LBB124_496:
	s_waitcnt vmcnt(0)
	flat_store_dwordx2 v[1:2], v[125:126]
	s_clause 0x1
	buffer_load_dword v0, off, s[0:3], 0 offset:8
	buffer_load_dword v1, off, s[0:3], 0 offset:12
	s_waitcnt vmcnt(0)
	flat_store_dwordx2 v[3:4], v[0:1]
	s_clause 0x1
	buffer_load_dword v0, off, s[0:3], 0 offset:16
	buffer_load_dword v1, off, s[0:3], 0 offset:20
	s_waitcnt vmcnt(0)
	flat_store_dwordx2 v[5:6], v[0:1]
	s_clause 0x1
	buffer_load_dword v0, off, s[0:3], 0 offset:24
	buffer_load_dword v1, off, s[0:3], 0 offset:28
	s_waitcnt vmcnt(0)
	flat_store_dwordx2 v[7:8], v[0:1]
	s_clause 0x1
	buffer_load_dword v0, off, s[0:3], 0 offset:32
	buffer_load_dword v1, off, s[0:3], 0 offset:36
	s_waitcnt vmcnt(0)
	flat_store_dwordx2 v[9:10], v[0:1]
	s_clause 0x1
	buffer_load_dword v0, off, s[0:3], 0 offset:40
	buffer_load_dword v1, off, s[0:3], 0 offset:44
	s_waitcnt vmcnt(0)
	flat_store_dwordx2 v[11:12], v[0:1]
	s_clause 0x1
	buffer_load_dword v0, off, s[0:3], 0 offset:48
	buffer_load_dword v1, off, s[0:3], 0 offset:52
	s_waitcnt vmcnt(0)
	flat_store_dwordx2 v[13:14], v[0:1]
	s_clause 0x1
	buffer_load_dword v0, off, s[0:3], 0 offset:56
	buffer_load_dword v1, off, s[0:3], 0 offset:60
	s_waitcnt vmcnt(0)
	flat_store_dwordx2 v[15:16], v[0:1]
	s_clause 0x1
	buffer_load_dword v0, off, s[0:3], 0 offset:64
	buffer_load_dword v1, off, s[0:3], 0 offset:68
	s_waitcnt vmcnt(0)
	flat_store_dwordx2 v[17:18], v[0:1]
	s_clause 0x1
	buffer_load_dword v0, off, s[0:3], 0 offset:72
	buffer_load_dword v1, off, s[0:3], 0 offset:76
	s_waitcnt vmcnt(0)
	flat_store_dwordx2 v[19:20], v[0:1]
	s_clause 0x1
	buffer_load_dword v0, off, s[0:3], 0 offset:80
	buffer_load_dword v1, off, s[0:3], 0 offset:84
	s_waitcnt vmcnt(0)
	flat_store_dwordx2 v[21:22], v[0:1]
	s_clause 0x1
	buffer_load_dword v0, off, s[0:3], 0 offset:88
	buffer_load_dword v1, off, s[0:3], 0 offset:92
	s_waitcnt vmcnt(0)
	flat_store_dwordx2 v[23:24], v[0:1]
	s_clause 0x1
	buffer_load_dword v0, off, s[0:3], 0 offset:96
	buffer_load_dword v1, off, s[0:3], 0 offset:100
	s_waitcnt vmcnt(0)
	flat_store_dwordx2 v[25:26], v[0:1]
	s_clause 0x1
	buffer_load_dword v0, off, s[0:3], 0 offset:104
	buffer_load_dword v1, off, s[0:3], 0 offset:108
	s_waitcnt vmcnt(0)
	flat_store_dwordx2 v[27:28], v[0:1]
	s_clause 0x1
	buffer_load_dword v0, off, s[0:3], 0 offset:112
	buffer_load_dword v1, off, s[0:3], 0 offset:116
	s_waitcnt vmcnt(0)
	flat_store_dwordx2 v[29:30], v[0:1]
	s_clause 0x1
	buffer_load_dword v0, off, s[0:3], 0 offset:120
	buffer_load_dword v1, off, s[0:3], 0 offset:124
	s_waitcnt vmcnt(0)
	flat_store_dwordx2 v[31:32], v[0:1]
	s_clause 0x1
	buffer_load_dword v0, off, s[0:3], 0 offset:128
	buffer_load_dword v1, off, s[0:3], 0 offset:132
	s_waitcnt vmcnt(0)
	flat_store_dwordx2 v[33:34], v[0:1]
	s_clause 0x1
	buffer_load_dword v0, off, s[0:3], 0 offset:136
	buffer_load_dword v1, off, s[0:3], 0 offset:140
	s_waitcnt vmcnt(0)
	flat_store_dwordx2 v[35:36], v[0:1]
	s_clause 0x1
	buffer_load_dword v0, off, s[0:3], 0 offset:144
	buffer_load_dword v1, off, s[0:3], 0 offset:148
	s_waitcnt vmcnt(0)
	flat_store_dwordx2 v[37:38], v[0:1]
	s_clause 0x1
	buffer_load_dword v0, off, s[0:3], 0 offset:152
	buffer_load_dword v1, off, s[0:3], 0 offset:156
	s_waitcnt vmcnt(0)
	flat_store_dwordx2 v[39:40], v[0:1]
	s_clause 0x1
	buffer_load_dword v0, off, s[0:3], 0 offset:160
	buffer_load_dword v1, off, s[0:3], 0 offset:164
	s_waitcnt vmcnt(0)
	flat_store_dwordx2 v[41:42], v[0:1]
	s_clause 0x1
	buffer_load_dword v0, off, s[0:3], 0 offset:168
	buffer_load_dword v1, off, s[0:3], 0 offset:172
	s_waitcnt vmcnt(0)
	flat_store_dwordx2 v[43:44], v[0:1]
	s_clause 0x1
	buffer_load_dword v0, off, s[0:3], 0 offset:176
	buffer_load_dword v1, off, s[0:3], 0 offset:180
	s_waitcnt vmcnt(0)
	flat_store_dwordx2 v[45:46], v[0:1]
	s_clause 0x1
	buffer_load_dword v0, off, s[0:3], 0 offset:184
	buffer_load_dword v1, off, s[0:3], 0 offset:188
	s_waitcnt vmcnt(0)
	flat_store_dwordx2 v[47:48], v[0:1]
	s_clause 0x1
	buffer_load_dword v0, off, s[0:3], 0 offset:192
	buffer_load_dword v1, off, s[0:3], 0 offset:196
	s_waitcnt vmcnt(0)
	flat_store_dwordx2 v[49:50], v[0:1]
	s_clause 0x1
	buffer_load_dword v0, off, s[0:3], 0 offset:200
	buffer_load_dword v1, off, s[0:3], 0 offset:204
	s_waitcnt vmcnt(0)
	flat_store_dwordx2 v[51:52], v[0:1]
	s_clause 0x1
	buffer_load_dword v0, off, s[0:3], 0 offset:208
	buffer_load_dword v1, off, s[0:3], 0 offset:212
	s_waitcnt vmcnt(0)
	flat_store_dwordx2 v[53:54], v[0:1]
	s_clause 0x1
	buffer_load_dword v0, off, s[0:3], 0 offset:216
	buffer_load_dword v1, off, s[0:3], 0 offset:220
	s_waitcnt vmcnt(0)
	flat_store_dwordx2 v[55:56], v[0:1]
	s_clause 0x1
	buffer_load_dword v0, off, s[0:3], 0 offset:224
	buffer_load_dword v1, off, s[0:3], 0 offset:228
	s_waitcnt vmcnt(0)
	flat_store_dwordx2 v[57:58], v[0:1]
	s_clause 0x1
	buffer_load_dword v0, off, s[0:3], 0 offset:232
	buffer_load_dword v1, off, s[0:3], 0 offset:236
	s_waitcnt vmcnt(0)
	flat_store_dwordx2 v[59:60], v[0:1]
	s_clause 0x1
	buffer_load_dword v0, off, s[0:3], 0 offset:240
	buffer_load_dword v1, off, s[0:3], 0 offset:244
	s_waitcnt vmcnt(0)
	flat_store_dwordx2 v[61:62], v[0:1]
	s_clause 0x1
	buffer_load_dword v0, off, s[0:3], 0 offset:248
	buffer_load_dword v1, off, s[0:3], 0 offset:252
	s_waitcnt vmcnt(0)
	flat_store_dwordx2 v[63:64], v[0:1]
	s_clause 0x1
	buffer_load_dword v0, off, s[0:3], 0 offset:256
	buffer_load_dword v1, off, s[0:3], 0 offset:260
	s_waitcnt vmcnt(0)
	flat_store_dwordx2 v[65:66], v[0:1]
	s_clause 0x1
	buffer_load_dword v0, off, s[0:3], 0 offset:264
	buffer_load_dword v1, off, s[0:3], 0 offset:268
	s_waitcnt vmcnt(0)
	flat_store_dwordx2 v[67:68], v[0:1]
	s_clause 0x1
	buffer_load_dword v0, off, s[0:3], 0 offset:272
	buffer_load_dword v1, off, s[0:3], 0 offset:276
	s_waitcnt vmcnt(0)
	flat_store_dwordx2 v[69:70], v[0:1]
	s_clause 0x1
	buffer_load_dword v0, off, s[0:3], 0 offset:280
	buffer_load_dword v1, off, s[0:3], 0 offset:284
	s_waitcnt vmcnt(0)
	flat_store_dwordx2 v[71:72], v[0:1]
	s_clause 0x1
	buffer_load_dword v0, off, s[0:3], 0 offset:288
	buffer_load_dword v1, off, s[0:3], 0 offset:292
	s_waitcnt vmcnt(0)
	flat_store_dwordx2 v[73:74], v[0:1]
	s_clause 0x1
	buffer_load_dword v0, off, s[0:3], 0 offset:296
	buffer_load_dword v1, off, s[0:3], 0 offset:300
	s_waitcnt vmcnt(0)
	flat_store_dwordx2 v[75:76], v[0:1]
	s_clause 0x1
	buffer_load_dword v0, off, s[0:3], 0 offset:304
	buffer_load_dword v1, off, s[0:3], 0 offset:308
	s_waitcnt vmcnt(0)
	flat_store_dwordx2 v[77:78], v[0:1]
	s_clause 0x1
	buffer_load_dword v0, off, s[0:3], 0 offset:312
	buffer_load_dword v1, off, s[0:3], 0 offset:316
	s_waitcnt vmcnt(0)
	flat_store_dwordx2 v[79:80], v[0:1]
	s_clause 0x1
	buffer_load_dword v0, off, s[0:3], 0 offset:320
	buffer_load_dword v1, off, s[0:3], 0 offset:324
	s_waitcnt vmcnt(0)
	flat_store_dwordx2 v[81:82], v[0:1]
	s_clause 0x1
	buffer_load_dword v0, off, s[0:3], 0 offset:328
	buffer_load_dword v1, off, s[0:3], 0 offset:332
	s_waitcnt vmcnt(0)
	flat_store_dwordx2 v[83:84], v[0:1]
	s_clause 0x1
	buffer_load_dword v0, off, s[0:3], 0 offset:336
	buffer_load_dword v1, off, s[0:3], 0 offset:340
	s_waitcnt vmcnt(0)
	flat_store_dwordx2 v[85:86], v[0:1]
	s_clause 0x1
	buffer_load_dword v0, off, s[0:3], 0 offset:344
	buffer_load_dword v1, off, s[0:3], 0 offset:348
	s_waitcnt vmcnt(0)
	flat_store_dwordx2 v[87:88], v[0:1]
	s_clause 0x1
	buffer_load_dword v0, off, s[0:3], 0 offset:352
	buffer_load_dword v1, off, s[0:3], 0 offset:356
	s_waitcnt vmcnt(0)
	flat_store_dwordx2 v[89:90], v[0:1]
	s_clause 0x1
	buffer_load_dword v0, off, s[0:3], 0 offset:360
	buffer_load_dword v1, off, s[0:3], 0 offset:364
	s_waitcnt vmcnt(0)
	flat_store_dwordx2 v[91:92], v[0:1]
	s_clause 0x1
	buffer_load_dword v0, off, s[0:3], 0 offset:368
	buffer_load_dword v1, off, s[0:3], 0 offset:372
	s_waitcnt vmcnt(0)
	flat_store_dwordx2 v[93:94], v[0:1]
	s_clause 0x1
	buffer_load_dword v0, off, s[0:3], 0 offset:376
	buffer_load_dword v1, off, s[0:3], 0 offset:380
	s_waitcnt vmcnt(0)
	flat_store_dwordx2 v[95:96], v[0:1]
	s_clause 0x1
	buffer_load_dword v0, off, s[0:3], 0 offset:384
	buffer_load_dword v1, off, s[0:3], 0 offset:388
	s_waitcnt vmcnt(0)
	flat_store_dwordx2 v[97:98], v[0:1]
	s_clause 0x1
	buffer_load_dword v0, off, s[0:3], 0 offset:392
	buffer_load_dword v1, off, s[0:3], 0 offset:396
	s_waitcnt vmcnt(0)
	flat_store_dwordx2 v[99:100], v[0:1]
	s_clause 0x1
	buffer_load_dword v0, off, s[0:3], 0 offset:400
	buffer_load_dword v1, off, s[0:3], 0 offset:404
	s_waitcnt vmcnt(0)
	flat_store_dwordx2 v[101:102], v[0:1]
	s_clause 0x1
	buffer_load_dword v0, off, s[0:3], 0 offset:408
	buffer_load_dword v1, off, s[0:3], 0 offset:412
	s_waitcnt vmcnt(0)
	flat_store_dwordx2 v[103:104], v[0:1]
	s_clause 0x1
	buffer_load_dword v0, off, s[0:3], 0 offset:416
	buffer_load_dword v1, off, s[0:3], 0 offset:420
	s_waitcnt vmcnt(0)
	flat_store_dwordx2 v[105:106], v[0:1]
	s_clause 0x1
	buffer_load_dword v0, off, s[0:3], 0 offset:424
	buffer_load_dword v1, off, s[0:3], 0 offset:428
	s_waitcnt vmcnt(0)
	flat_store_dwordx2 v[107:108], v[0:1]
	s_clause 0x1
	buffer_load_dword v0, off, s[0:3], 0 offset:432
	buffer_load_dword v1, off, s[0:3], 0 offset:436
	s_waitcnt vmcnt(0)
	flat_store_dwordx2 v[109:110], v[0:1]
	s_clause 0x1
	buffer_load_dword v0, off, s[0:3], 0 offset:440
	buffer_load_dword v1, off, s[0:3], 0 offset:444
	s_waitcnt vmcnt(0)
	flat_store_dwordx2 v[111:112], v[0:1]
	s_clause 0x1
	buffer_load_dword v0, off, s[0:3], 0 offset:448
	buffer_load_dword v1, off, s[0:3], 0 offset:452
	s_waitcnt vmcnt(0)
	flat_store_dwordx2 v[113:114], v[0:1]
	s_clause 0x1
	buffer_load_dword v0, off, s[0:3], 0 offset:456
	buffer_load_dword v1, off, s[0:3], 0 offset:460
	s_waitcnt vmcnt(0)
	flat_store_dwordx2 v[115:116], v[0:1]
	s_clause 0x1
	buffer_load_dword v0, off, s[0:3], 0 offset:464
	buffer_load_dword v1, off, s[0:3], 0 offset:468
	s_waitcnt vmcnt(0)
	flat_store_dwordx2 v[117:118], v[0:1]
	s_clause 0x1
	buffer_load_dword v0, off, s[0:3], 0 offset:472
	buffer_load_dword v1, off, s[0:3], 0 offset:476
	s_waitcnt vmcnt(0)
	flat_store_dwordx2 v[119:120], v[0:1]
	s_clause 0x1
	buffer_load_dword v0, off, s[0:3], 0 offset:480
	buffer_load_dword v1, off, s[0:3], 0 offset:484
	s_waitcnt vmcnt(0)
	flat_store_dwordx2 v[121:122], v[0:1]
	s_endpgm
	.section	.rodata,"a",@progbits
	.p2align	6, 0x0
	.amdhsa_kernel _ZN9rocsolver6v33100L18getri_kernel_smallILi61EdPKPdEEvT1_iilPiilS6_bb
		.amdhsa_group_segment_fixed_size 984
		.amdhsa_private_segment_fixed_size 496
		.amdhsa_kernarg_size 60
		.amdhsa_user_sgpr_count 6
		.amdhsa_user_sgpr_private_segment_buffer 1
		.amdhsa_user_sgpr_dispatch_ptr 0
		.amdhsa_user_sgpr_queue_ptr 0
		.amdhsa_user_sgpr_kernarg_segment_ptr 1
		.amdhsa_user_sgpr_dispatch_id 0
		.amdhsa_user_sgpr_flat_scratch_init 0
		.amdhsa_user_sgpr_private_segment_size 0
		.amdhsa_wavefront_size32 1
		.amdhsa_uses_dynamic_stack 0
		.amdhsa_system_sgpr_private_segment_wavefront_offset 1
		.amdhsa_system_sgpr_workgroup_id_x 1
		.amdhsa_system_sgpr_workgroup_id_y 0
		.amdhsa_system_sgpr_workgroup_id_z 0
		.amdhsa_system_sgpr_workgroup_info 0
		.amdhsa_system_vgpr_workitem_id 0
		.amdhsa_next_free_vgpr 170
		.amdhsa_next_free_sgpr 20
		.amdhsa_reserve_vcc 1
		.amdhsa_reserve_flat_scratch 0
		.amdhsa_float_round_mode_32 0
		.amdhsa_float_round_mode_16_64 0
		.amdhsa_float_denorm_mode_32 3
		.amdhsa_float_denorm_mode_16_64 3
		.amdhsa_dx10_clamp 1
		.amdhsa_ieee_mode 1
		.amdhsa_fp16_overflow 0
		.amdhsa_workgroup_processor_mode 1
		.amdhsa_memory_ordered 1
		.amdhsa_forward_progress 1
		.amdhsa_shared_vgpr_count 0
		.amdhsa_exception_fp_ieee_invalid_op 0
		.amdhsa_exception_fp_denorm_src 0
		.amdhsa_exception_fp_ieee_div_zero 0
		.amdhsa_exception_fp_ieee_overflow 0
		.amdhsa_exception_fp_ieee_underflow 0
		.amdhsa_exception_fp_ieee_inexact 0
		.amdhsa_exception_int_div_zero 0
	.end_amdhsa_kernel
	.section	.text._ZN9rocsolver6v33100L18getri_kernel_smallILi61EdPKPdEEvT1_iilPiilS6_bb,"axG",@progbits,_ZN9rocsolver6v33100L18getri_kernel_smallILi61EdPKPdEEvT1_iilPiilS6_bb,comdat
.Lfunc_end124:
	.size	_ZN9rocsolver6v33100L18getri_kernel_smallILi61EdPKPdEEvT1_iilPiilS6_bb, .Lfunc_end124-_ZN9rocsolver6v33100L18getri_kernel_smallILi61EdPKPdEEvT1_iilPiilS6_bb
                                        ; -- End function
	.set _ZN9rocsolver6v33100L18getri_kernel_smallILi61EdPKPdEEvT1_iilPiilS6_bb.num_vgpr, 170
	.set _ZN9rocsolver6v33100L18getri_kernel_smallILi61EdPKPdEEvT1_iilPiilS6_bb.num_agpr, 0
	.set _ZN9rocsolver6v33100L18getri_kernel_smallILi61EdPKPdEEvT1_iilPiilS6_bb.numbered_sgpr, 20
	.set _ZN9rocsolver6v33100L18getri_kernel_smallILi61EdPKPdEEvT1_iilPiilS6_bb.num_named_barrier, 0
	.set _ZN9rocsolver6v33100L18getri_kernel_smallILi61EdPKPdEEvT1_iilPiilS6_bb.private_seg_size, 496
	.set _ZN9rocsolver6v33100L18getri_kernel_smallILi61EdPKPdEEvT1_iilPiilS6_bb.uses_vcc, 1
	.set _ZN9rocsolver6v33100L18getri_kernel_smallILi61EdPKPdEEvT1_iilPiilS6_bb.uses_flat_scratch, 0
	.set _ZN9rocsolver6v33100L18getri_kernel_smallILi61EdPKPdEEvT1_iilPiilS6_bb.has_dyn_sized_stack, 0
	.set _ZN9rocsolver6v33100L18getri_kernel_smallILi61EdPKPdEEvT1_iilPiilS6_bb.has_recursion, 0
	.set _ZN9rocsolver6v33100L18getri_kernel_smallILi61EdPKPdEEvT1_iilPiilS6_bb.has_indirect_call, 0
	.section	.AMDGPU.csdata,"",@progbits
; Kernel info:
; codeLenInByte = 94320
; TotalNumSgprs: 22
; NumVgprs: 170
; ScratchSize: 496
; MemoryBound: 1
; FloatMode: 240
; IeeeMode: 1
; LDSByteSize: 984 bytes/workgroup (compile time only)
; SGPRBlocks: 0
; VGPRBlocks: 21
; NumSGPRsForWavesPerEU: 22
; NumVGPRsForWavesPerEU: 170
; Occupancy: 5
; WaveLimiterHint : 1
; COMPUTE_PGM_RSRC2:SCRATCH_EN: 1
; COMPUTE_PGM_RSRC2:USER_SGPR: 6
; COMPUTE_PGM_RSRC2:TRAP_HANDLER: 0
; COMPUTE_PGM_RSRC2:TGID_X_EN: 1
; COMPUTE_PGM_RSRC2:TGID_Y_EN: 0
; COMPUTE_PGM_RSRC2:TGID_Z_EN: 0
; COMPUTE_PGM_RSRC2:TIDIG_COMP_CNT: 0
	.section	.text._ZN9rocsolver6v33100L18getri_kernel_smallILi62EdPKPdEEvT1_iilPiilS6_bb,"axG",@progbits,_ZN9rocsolver6v33100L18getri_kernel_smallILi62EdPKPdEEvT1_iilPiilS6_bb,comdat
	.globl	_ZN9rocsolver6v33100L18getri_kernel_smallILi62EdPKPdEEvT1_iilPiilS6_bb ; -- Begin function _ZN9rocsolver6v33100L18getri_kernel_smallILi62EdPKPdEEvT1_iilPiilS6_bb
	.p2align	8
	.type	_ZN9rocsolver6v33100L18getri_kernel_smallILi62EdPKPdEEvT1_iilPiilS6_bb,@function
_ZN9rocsolver6v33100L18getri_kernel_smallILi62EdPKPdEEvT1_iilPiilS6_bb: ; @_ZN9rocsolver6v33100L18getri_kernel_smallILi62EdPKPdEEvT1_iilPiilS6_bb
; %bb.0:
	s_add_u32 s0, s0, s7
	s_addc_u32 s1, s1, 0
	s_mov_b32 s7, exec_lo
	v_cmpx_gt_u32_e32 62, v0
	s_cbranch_execz .LBB125_258
; %bb.1:
	s_clause 0x2
	s_load_dword s17, s[4:5], 0x38
	s_load_dwordx2 s[12:13], s[4:5], 0x0
	s_load_dwordx4 s[8:11], s[4:5], 0x28
	s_waitcnt lgkmcnt(0)
	s_bitcmp1_b32 s17, 8
	s_cselect_b32 s16, -1, 0
	s_ashr_i32 s7, s6, 31
	s_lshl_b64 s[14:15], s[6:7], 3
	s_add_u32 s12, s12, s14
	s_addc_u32 s13, s13, s15
	s_load_dwordx2 s[14:15], s[12:13], 0x0
	s_bfe_u32 s12, s17, 0x10008
	s_cmp_eq_u32 s12, 0
                                        ; implicit-def: $sgpr12_sgpr13
	s_cbranch_scc1 .LBB125_3
; %bb.2:
	s_clause 0x1
	s_load_dword s12, s[4:5], 0x20
	s_load_dwordx2 s[18:19], s[4:5], 0x18
	s_mul_i32 s13, s8, s7
	s_mul_hi_u32 s17, s8, s6
	s_mul_i32 s9, s9, s6
	s_add_i32 s13, s17, s13
	s_mul_i32 s8, s8, s6
	s_add_i32 s9, s13, s9
	s_lshl_b64 s[8:9], s[8:9], 2
	s_waitcnt lgkmcnt(0)
	s_ashr_i32 s13, s12, 31
	s_add_u32 s17, s18, s8
	s_addc_u32 s18, s19, s9
	s_lshl_b64 s[8:9], s[12:13], 2
	s_add_u32 s12, s17, s8
	s_addc_u32 s13, s18, s9
.LBB125_3:
	s_clause 0x1
	s_load_dwordx2 s[8:9], s[4:5], 0x8
	s_load_dword s17, s[4:5], 0x38
	v_lshlrev_b32_e32 v127, 3, v0
	s_waitcnt lgkmcnt(0)
	s_ashr_i32 s5, s8, 31
	s_mov_b32 s4, s8
	v_add3_u32 v9, s9, s9, v0
	s_lshl_b64 s[4:5], s[4:5], 3
	s_add_u32 s4, s14, s4
	s_addc_u32 s5, s15, s5
	v_add_co_u32 v1, s8, s4, v127
	v_add_co_ci_u32_e64 v2, null, s5, 0, s8
	s_mov_b32 s14, s9
	s_ashr_i32 s15, s9, 31
	v_ashrrev_i32_e32 v10, 31, v9
	flat_load_dwordx2 v[5:6], v[1:2]
	s_lshl_b64 s[14:15], s[14:15], 3
	v_add_nc_u32_e32 v12, s9, v9
	v_add_co_u32 v3, vcc_lo, v1, s14
	v_add_co_ci_u32_e64 v4, null, s15, v2, vcc_lo
	v_ashrrev_i32_e32 v13, 31, v12
	s_bitcmp0_b32 s17, 0
	s_waitcnt vmcnt(0) lgkmcnt(0)
	buffer_store_dword v6, off, s[0:3], 0 offset:4
	buffer_store_dword v5, off, s[0:3], 0
	flat_load_dwordx2 v[7:8], v[3:4]
	v_lshlrev_b64 v[5:6], 3, v[9:10]
	s_waitcnt vmcnt(0) lgkmcnt(0)
	buffer_store_dword v8, off, s[0:3], 0 offset:12
	buffer_store_dword v7, off, s[0:3], 0 offset:8
	v_add_co_u32 v5, vcc_lo, s4, v5
	v_add_co_ci_u32_e64 v6, null, s5, v6, vcc_lo
	v_lshlrev_b64 v[7:8], 3, v[12:13]
	flat_load_dwordx2 v[10:11], v[5:6]
	s_waitcnt vmcnt(0) lgkmcnt(0)
	buffer_store_dword v11, off, s[0:3], 0 offset:20
	buffer_store_dword v10, off, s[0:3], 0 offset:16
	v_add_co_u32 v7, vcc_lo, s4, v7
	v_add_co_ci_u32_e64 v8, null, s5, v8, vcc_lo
	v_add_nc_u32_e32 v11, s9, v12
	flat_load_dwordx2 v[13:14], v[7:8]
	s_waitcnt vmcnt(0) lgkmcnt(0)
	buffer_store_dword v14, off, s[0:3], 0 offset:28
	buffer_store_dword v13, off, s[0:3], 0 offset:24
	v_ashrrev_i32_e32 v12, 31, v11
	v_add_nc_u32_e32 v15, s9, v11
	v_lshlrev_b64 v[9:10], 3, v[11:12]
	v_ashrrev_i32_e32 v16, 31, v15
	v_add_nc_u32_e32 v18, s9, v15
	v_add_co_u32 v9, vcc_lo, s4, v9
	v_add_co_ci_u32_e64 v10, null, s5, v10, vcc_lo
	v_lshlrev_b64 v[11:12], 3, v[15:16]
	v_ashrrev_i32_e32 v19, 31, v18
	flat_load_dwordx2 v[13:14], v[9:10]
	s_waitcnt vmcnt(0) lgkmcnt(0)
	buffer_store_dword v14, off, s[0:3], 0 offset:36
	buffer_store_dword v13, off, s[0:3], 0 offset:32
	v_add_co_u32 v11, vcc_lo, s4, v11
	v_add_co_ci_u32_e64 v12, null, s5, v12, vcc_lo
	v_lshlrev_b64 v[13:14], 3, v[18:19]
	flat_load_dwordx2 v[16:17], v[11:12]
	s_waitcnt vmcnt(0) lgkmcnt(0)
	buffer_store_dword v17, off, s[0:3], 0 offset:44
	buffer_store_dword v16, off, s[0:3], 0 offset:40
	v_add_co_u32 v13, vcc_lo, s4, v13
	v_add_co_ci_u32_e64 v14, null, s5, v14, vcc_lo
	v_add_nc_u32_e32 v17, s9, v18
	flat_load_dwordx2 v[19:20], v[13:14]
	s_waitcnt vmcnt(0) lgkmcnt(0)
	buffer_store_dword v20, off, s[0:3], 0 offset:52
	buffer_store_dword v19, off, s[0:3], 0 offset:48
	v_ashrrev_i32_e32 v18, 31, v17
	v_add_nc_u32_e32 v21, s9, v17
	v_lshlrev_b64 v[15:16], 3, v[17:18]
	v_ashrrev_i32_e32 v22, 31, v21
	v_add_nc_u32_e32 v24, s9, v21
	v_add_co_u32 v15, vcc_lo, s4, v15
	v_add_co_ci_u32_e64 v16, null, s5, v16, vcc_lo
	v_lshlrev_b64 v[17:18], 3, v[21:22]
	v_ashrrev_i32_e32 v25, 31, v24
	flat_load_dwordx2 v[19:20], v[15:16]
	;; [unrolled: 27-line block ×18, first 2 shown]
	s_waitcnt vmcnt(0) lgkmcnt(0)
	buffer_store_dword v116, off, s[0:3], 0 offset:444
	buffer_store_dword v115, off, s[0:3], 0 offset:440
	v_add_co_u32 v113, vcc_lo, s4, v113
	v_add_co_ci_u32_e64 v114, null, s5, v114, vcc_lo
	v_lshlrev_b64 v[115:116], 3, v[120:121]
	flat_load_dwordx2 v[118:119], v[113:114]
	s_waitcnt vmcnt(0) lgkmcnt(0)
	buffer_store_dword v119, off, s[0:3], 0 offset:452
	buffer_store_dword v118, off, s[0:3], 0 offset:448
	v_add_co_u32 v115, vcc_lo, s4, v115
	v_add_co_ci_u32_e64 v116, null, s5, v116, vcc_lo
	v_add_nc_u32_e32 v119, s9, v120
	flat_load_dwordx2 v[121:122], v[115:116]
	s_waitcnt vmcnt(0) lgkmcnt(0)
	buffer_store_dword v122, off, s[0:3], 0 offset:460
	buffer_store_dword v121, off, s[0:3], 0 offset:456
	v_ashrrev_i32_e32 v120, 31, v119
	v_add_nc_u32_e32 v123, s9, v119
	v_lshlrev_b64 v[117:118], 3, v[119:120]
	v_ashrrev_i32_e32 v124, 31, v123
	v_add_nc_u32_e32 v128, s9, v123
	v_add_co_u32 v117, vcc_lo, s4, v117
	v_add_co_ci_u32_e64 v118, null, s5, v118, vcc_lo
	v_lshlrev_b64 v[119:120], 3, v[123:124]
	v_ashrrev_i32_e32 v129, 31, v128
	v_add_nc_u32_e32 v123, s9, v128
	flat_load_dwordx2 v[121:122], v[117:118]
	s_waitcnt vmcnt(0) lgkmcnt(0)
	buffer_store_dword v122, off, s[0:3], 0 offset:468
	buffer_store_dword v121, off, s[0:3], 0 offset:464
	v_add_co_u32 v119, vcc_lo, s4, v119
	v_add_co_ci_u32_e64 v120, null, s5, v120, vcc_lo
	v_lshlrev_b64 v[121:122], 3, v[128:129]
	flat_load_dwordx2 v[124:125], v[119:120]
	s_waitcnt vmcnt(0) lgkmcnt(0)
	buffer_store_dword v125, off, s[0:3], 0 offset:476
	buffer_store_dword v124, off, s[0:3], 0 offset:472
	v_add_co_u32 v121, vcc_lo, s4, v121
	v_add_co_ci_u32_e64 v122, null, s5, v122, vcc_lo
	v_ashrrev_i32_e32 v124, 31, v123
	flat_load_dwordx2 v[125:126], v[121:122]
	s_waitcnt vmcnt(0) lgkmcnt(0)
	buffer_store_dword v126, off, s[0:3], 0 offset:484
	buffer_store_dword v125, off, s[0:3], 0 offset:480
	v_lshlrev_b64 v[123:124], 3, v[123:124]
	v_add_co_u32 v123, vcc_lo, s4, v123
	v_add_co_ci_u32_e64 v124, null, s5, v124, vcc_lo
	s_mov_b32 s5, -1
	flat_load_dwordx2 v[125:126], v[123:124]
	s_waitcnt vmcnt(0) lgkmcnt(0)
	buffer_store_dword v126, off, s[0:3], 0 offset:492
	buffer_store_dword v125, off, s[0:3], 0 offset:488
	s_cbranch_scc1 .LBB125_256
; %bb.4:
	v_cmp_eq_u32_e64 s4, 0, v0
	s_and_saveexec_b32 s5, s4
; %bb.5:
	v_mov_b32_e32 v125, 0
	ds_write_b32 v125, v125 offset:992
; %bb.6:
	s_or_b32 exec_lo, exec_lo, s5
	v_lshl_add_u32 v125, v0, 3, 0
	s_waitcnt lgkmcnt(0)
	s_waitcnt_vscnt null, 0x0
	s_barrier
	buffer_gl0_inv
	s_mov_b32 s8, exec_lo
	s_clause 0x1
	buffer_load_dword v128, v125, s[0:3], 0 offen
	buffer_load_dword v129, v125, s[0:3], 0 offen offset:4
	s_waitcnt vmcnt(0)
	v_cmpx_eq_f64_e32 0, v[128:129]
	s_cbranch_execz .LBB125_10
; %bb.7:
	v_mov_b32_e32 v126, 0
	s_mov_b32 s9, 0
	ds_read_b32 v128, v126 offset:992
	s_waitcnt lgkmcnt(0)
	v_readfirstlane_b32 s5, v128
	v_add_nc_u32_e32 v128, 1, v0
	s_cmp_eq_u32 s5, 0
	v_cmp_gt_i32_e32 vcc_lo, s5, v128
	s_cselect_b32 s14, -1, 0
	s_or_b32 s14, s14, vcc_lo
	s_and_b32 exec_lo, exec_lo, s14
	s_cbranch_execz .LBB125_10
; %bb.8:
	v_mov_b32_e32 v129, s5
.LBB125_9:                              ; =>This Inner Loop Header: Depth=1
	ds_cmpst_rtn_b32 v129, v126, v129, v128 offset:992
	s_waitcnt lgkmcnt(0)
	v_cmp_ne_u32_e32 vcc_lo, 0, v129
	v_cmp_le_i32_e64 s5, v129, v128
	s_and_b32 s5, vcc_lo, s5
	s_and_b32 s5, exec_lo, s5
	s_or_b32 s9, s5, s9
	s_andn2_b32 exec_lo, exec_lo, s9
	s_cbranch_execnz .LBB125_9
.LBB125_10:
	s_or_b32 exec_lo, exec_lo, s8
	v_mov_b32_e32 v126, 0
	s_barrier
	buffer_gl0_inv
	ds_read_b32 v128, v126 offset:992
	s_and_saveexec_b32 s5, s4
	s_cbranch_execz .LBB125_12
; %bb.11:
	s_lshl_b64 s[8:9], s[6:7], 2
	s_add_u32 s8, s10, s8
	s_addc_u32 s9, s11, s9
	s_waitcnt lgkmcnt(0)
	global_store_dword v126, v128, s[8:9]
.LBB125_12:
	s_or_b32 exec_lo, exec_lo, s5
	s_waitcnt lgkmcnt(0)
	v_cmp_ne_u32_e32 vcc_lo, 0, v128
	s_mov_b32 s5, 0
	s_cbranch_vccnz .LBB125_256
; %bb.13:
	s_clause 0x1
	buffer_load_dword v128, v125, s[0:3], 0 offen
	buffer_load_dword v129, v125, s[0:3], 0 offen offset:4
	s_waitcnt vmcnt(0)
	v_div_scale_f64 v[130:131], null, v[128:129], v[128:129], 1.0
	v_div_scale_f64 v[136:137], vcc_lo, 1.0, v[128:129], 1.0
	v_rcp_f64_e32 v[132:133], v[130:131]
	v_fma_f64 v[134:135], -v[130:131], v[132:133], 1.0
	v_fma_f64 v[132:133], v[132:133], v[134:135], v[132:133]
	v_fma_f64 v[134:135], -v[130:131], v[132:133], 1.0
	v_fma_f64 v[132:133], v[132:133], v[134:135], v[132:133]
	v_mul_f64 v[134:135], v[136:137], v[132:133]
	v_fma_f64 v[130:131], -v[130:131], v[134:135], v[136:137]
	v_div_fmas_f64 v[130:131], v[130:131], v[132:133], v[134:135]
	v_div_fixup_f64 v[129:130], v[130:131], v[128:129], 1.0
	v_add_nc_u32_e32 v128, 0x1f0, v127
	buffer_store_dword v130, v125, s[0:3], 0 offen offset:4
	buffer_store_dword v129, v125, s[0:3], 0 offen
	s_clause 0x1
	buffer_load_dword v132, off, s[0:3], 0 offset:12
	buffer_load_dword v131, off, s[0:3], 0 offset:8
	v_xor_b32_e32 v130, 0x80000000, v130
	s_waitcnt vmcnt(0)
	ds_write2_b64 v127, v[129:130], v[131:132] offset1:62
	s_waitcnt lgkmcnt(0)
	s_waitcnt_vscnt null, 0x0
	s_barrier
	buffer_gl0_inv
	s_and_saveexec_b32 s5, s4
	s_cbranch_execz .LBB125_15
; %bb.14:
	s_clause 0x1
	buffer_load_dword v129, v125, s[0:3], 0 offen
	buffer_load_dword v130, v125, s[0:3], 0 offen offset:4
	ds_read_b64 v[131:132], v128
	v_mov_b32_e32 v126, 0
	ds_read_b64 v[133:134], v126 offset:8
	s_waitcnt vmcnt(0) lgkmcnt(1)
	v_fma_f64 v[129:130], v[129:130], v[131:132], 0
	s_waitcnt lgkmcnt(0)
	v_mul_f64 v[129:130], v[129:130], v[133:134]
	buffer_store_dword v129, off, s[0:3], 0 offset:8
	buffer_store_dword v130, off, s[0:3], 0 offset:12
.LBB125_15:
	s_or_b32 exec_lo, exec_lo, s5
	s_waitcnt_vscnt null, 0x0
	s_barrier
	buffer_gl0_inv
	s_clause 0x1
	buffer_load_dword v129, off, s[0:3], 0 offset:16
	buffer_load_dword v130, off, s[0:3], 0 offset:20
	s_mov_b32 s5, exec_lo
	s_waitcnt vmcnt(0)
	ds_write_b64 v128, v[129:130]
	s_waitcnt lgkmcnt(0)
	s_barrier
	buffer_gl0_inv
	v_cmpx_gt_u32_e32 2, v0
	s_cbranch_execz .LBB125_19
; %bb.16:
	s_clause 0x1
	buffer_load_dword v129, v125, s[0:3], 0 offen
	buffer_load_dword v130, v125, s[0:3], 0 offen offset:4
	ds_read_b64 v[125:126], v128
	s_waitcnt vmcnt(0) lgkmcnt(0)
	v_fma_f64 v[125:126], v[129:130], v[125:126], 0
	s_and_saveexec_b32 s8, s4
	s_cbranch_execz .LBB125_18
; %bb.17:
	s_clause 0x1
	buffer_load_dword v129, off, s[0:3], 0 offset:8
	buffer_load_dword v130, off, s[0:3], 0 offset:12
	v_mov_b32_e32 v131, 0
	ds_read_b64 v[131:132], v131 offset:504
	s_waitcnt vmcnt(0) lgkmcnt(0)
	v_fma_f64 v[125:126], v[129:130], v[131:132], v[125:126]
.LBB125_18:
	s_or_b32 exec_lo, exec_lo, s8
	v_mov_b32_e32 v129, 0
	ds_read_b64 v[129:130], v129 offset:16
	s_waitcnt lgkmcnt(0)
	v_mul_f64 v[125:126], v[125:126], v[129:130]
	buffer_store_dword v126, off, s[0:3], 0 offset:20
	buffer_store_dword v125, off, s[0:3], 0 offset:16
.LBB125_19:
	s_or_b32 exec_lo, exec_lo, s5
	s_waitcnt_vscnt null, 0x0
	s_barrier
	buffer_gl0_inv
	s_clause 0x1
	buffer_load_dword v125, off, s[0:3], 0 offset:24
	buffer_load_dword v126, off, s[0:3], 0 offset:28
	v_add_nc_u32_e32 v129, -1, v0
	s_mov_b32 s4, exec_lo
	s_waitcnt vmcnt(0)
	ds_write_b64 v128, v[125:126]
	s_waitcnt lgkmcnt(0)
	s_barrier
	buffer_gl0_inv
	v_cmpx_gt_u32_e32 3, v0
	s_cbranch_execz .LBB125_23
; %bb.20:
	v_mov_b32_e32 v125, 0
	v_add_nc_u32_e32 v130, -1, v0
	v_add_nc_u32_e32 v131, 0x1f0, v127
	v_mov_b32_e32 v126, 0
	v_mov_b32_e32 v132, v127
	s_mov_b32 s5, 0
.LBB125_21:                             ; =>This Inner Loop Header: Depth=1
	s_clause 0x1
	buffer_load_dword v133, v132, s[0:3], 0 offen
	buffer_load_dword v134, v132, s[0:3], 0 offen offset:4
	ds_read_b64 v[135:136], v131
	v_add_nc_u32_e32 v130, 1, v130
	v_add_nc_u32_e32 v131, 8, v131
	v_add_nc_u32_e32 v132, 8, v132
	v_cmp_lt_u32_e32 vcc_lo, 1, v130
	s_or_b32 s5, vcc_lo, s5
	s_waitcnt vmcnt(0) lgkmcnt(0)
	v_fma_f64 v[125:126], v[133:134], v[135:136], v[125:126]
	s_andn2_b32 exec_lo, exec_lo, s5
	s_cbranch_execnz .LBB125_21
; %bb.22:
	s_or_b32 exec_lo, exec_lo, s5
	v_mov_b32_e32 v130, 0
	ds_read_b64 v[130:131], v130 offset:24
	s_waitcnt lgkmcnt(0)
	v_mul_f64 v[125:126], v[125:126], v[130:131]
	buffer_store_dword v126, off, s[0:3], 0 offset:28
	buffer_store_dword v125, off, s[0:3], 0 offset:24
.LBB125_23:
	s_or_b32 exec_lo, exec_lo, s4
	s_waitcnt_vscnt null, 0x0
	s_barrier
	buffer_gl0_inv
	s_clause 0x1
	buffer_load_dword v125, off, s[0:3], 0 offset:32
	buffer_load_dword v126, off, s[0:3], 0 offset:36
	s_mov_b32 s4, exec_lo
	s_waitcnt vmcnt(0)
	ds_write_b64 v128, v[125:126]
	s_waitcnt lgkmcnt(0)
	s_barrier
	buffer_gl0_inv
	v_cmpx_gt_u32_e32 4, v0
	s_cbranch_execz .LBB125_27
; %bb.24:
	v_mov_b32_e32 v125, 0
	v_add_nc_u32_e32 v130, -1, v0
	v_add_nc_u32_e32 v131, 0x1f0, v127
	v_mov_b32_e32 v126, 0
	v_mov_b32_e32 v132, v127
	s_mov_b32 s5, 0
.LBB125_25:                             ; =>This Inner Loop Header: Depth=1
	s_clause 0x1
	buffer_load_dword v133, v132, s[0:3], 0 offen
	buffer_load_dword v134, v132, s[0:3], 0 offen offset:4
	ds_read_b64 v[135:136], v131
	v_add_nc_u32_e32 v130, 1, v130
	v_add_nc_u32_e32 v131, 8, v131
	v_add_nc_u32_e32 v132, 8, v132
	v_cmp_lt_u32_e32 vcc_lo, 2, v130
	s_or_b32 s5, vcc_lo, s5
	s_waitcnt vmcnt(0) lgkmcnt(0)
	v_fma_f64 v[125:126], v[133:134], v[135:136], v[125:126]
	s_andn2_b32 exec_lo, exec_lo, s5
	s_cbranch_execnz .LBB125_25
; %bb.26:
	s_or_b32 exec_lo, exec_lo, s5
	v_mov_b32_e32 v130, 0
	ds_read_b64 v[130:131], v130 offset:32
	s_waitcnt lgkmcnt(0)
	v_mul_f64 v[125:126], v[125:126], v[130:131]
	buffer_store_dword v126, off, s[0:3], 0 offset:36
	buffer_store_dword v125, off, s[0:3], 0 offset:32
.LBB125_27:
	s_or_b32 exec_lo, exec_lo, s4
	s_waitcnt_vscnt null, 0x0
	s_barrier
	buffer_gl0_inv
	s_clause 0x1
	buffer_load_dword v125, off, s[0:3], 0 offset:40
	buffer_load_dword v126, off, s[0:3], 0 offset:44
	;; [unrolled: 45-line block ×20, first 2 shown]
	s_mov_b32 s4, exec_lo
	s_waitcnt vmcnt(0)
	ds_write_b64 v128, v[125:126]
	s_waitcnt lgkmcnt(0)
	s_barrier
	buffer_gl0_inv
	v_cmpx_gt_u32_e32 23, v0
	s_cbranch_execz .LBB125_103
; %bb.100:
	v_mov_b32_e32 v125, 0
	v_add_nc_u32_e32 v130, -1, v0
	v_add_nc_u32_e32 v131, 0x1f0, v127
	v_mov_b32_e32 v126, 0
	v_mov_b32_e32 v132, v127
	s_mov_b32 s5, 0
.LBB125_101:                            ; =>This Inner Loop Header: Depth=1
	s_clause 0x1
	buffer_load_dword v133, v132, s[0:3], 0 offen
	buffer_load_dword v134, v132, s[0:3], 0 offen offset:4
	ds_read_b64 v[135:136], v131
	v_add_nc_u32_e32 v130, 1, v130
	v_add_nc_u32_e32 v131, 8, v131
	v_add_nc_u32_e32 v132, 8, v132
	v_cmp_lt_u32_e32 vcc_lo, 21, v130
	s_or_b32 s5, vcc_lo, s5
	s_waitcnt vmcnt(0) lgkmcnt(0)
	v_fma_f64 v[125:126], v[133:134], v[135:136], v[125:126]
	s_andn2_b32 exec_lo, exec_lo, s5
	s_cbranch_execnz .LBB125_101
; %bb.102:
	s_or_b32 exec_lo, exec_lo, s5
	v_mov_b32_e32 v130, 0
	ds_read_b64 v[130:131], v130 offset:184
	s_waitcnt lgkmcnt(0)
	v_mul_f64 v[125:126], v[125:126], v[130:131]
	buffer_store_dword v126, off, s[0:3], 0 offset:188
	buffer_store_dword v125, off, s[0:3], 0 offset:184
.LBB125_103:
	s_or_b32 exec_lo, exec_lo, s4
	s_waitcnt_vscnt null, 0x0
	s_barrier
	buffer_gl0_inv
	s_clause 0x1
	buffer_load_dword v125, off, s[0:3], 0 offset:192
	buffer_load_dword v126, off, s[0:3], 0 offset:196
	s_mov_b32 s4, exec_lo
	s_waitcnt vmcnt(0)
	ds_write_b64 v128, v[125:126]
	s_waitcnt lgkmcnt(0)
	s_barrier
	buffer_gl0_inv
	v_cmpx_gt_u32_e32 24, v0
	s_cbranch_execz .LBB125_107
; %bb.104:
	v_mov_b32_e32 v125, 0
	v_add_nc_u32_e32 v130, -1, v0
	v_add_nc_u32_e32 v131, 0x1f0, v127
	v_mov_b32_e32 v126, 0
	v_mov_b32_e32 v132, v127
	s_mov_b32 s5, 0
.LBB125_105:                            ; =>This Inner Loop Header: Depth=1
	s_clause 0x1
	buffer_load_dword v133, v132, s[0:3], 0 offen
	buffer_load_dword v134, v132, s[0:3], 0 offen offset:4
	ds_read_b64 v[135:136], v131
	v_add_nc_u32_e32 v130, 1, v130
	v_add_nc_u32_e32 v131, 8, v131
	v_add_nc_u32_e32 v132, 8, v132
	v_cmp_lt_u32_e32 vcc_lo, 22, v130
	s_or_b32 s5, vcc_lo, s5
	s_waitcnt vmcnt(0) lgkmcnt(0)
	v_fma_f64 v[125:126], v[133:134], v[135:136], v[125:126]
	s_andn2_b32 exec_lo, exec_lo, s5
	s_cbranch_execnz .LBB125_105
; %bb.106:
	s_or_b32 exec_lo, exec_lo, s5
	v_mov_b32_e32 v130, 0
	ds_read_b64 v[130:131], v130 offset:192
	s_waitcnt lgkmcnt(0)
	v_mul_f64 v[125:126], v[125:126], v[130:131]
	buffer_store_dword v126, off, s[0:3], 0 offset:196
	buffer_store_dword v125, off, s[0:3], 0 offset:192
.LBB125_107:
	s_or_b32 exec_lo, exec_lo, s4
	s_waitcnt_vscnt null, 0x0
	s_barrier
	buffer_gl0_inv
	s_clause 0x1
	buffer_load_dword v125, off, s[0:3], 0 offset:200
	buffer_load_dword v126, off, s[0:3], 0 offset:204
	;; [unrolled: 45-line block ×38, first 2 shown]
	s_mov_b32 s4, exec_lo
	s_waitcnt vmcnt(0)
	ds_write_b64 v128, v[125:126]
	s_waitcnt lgkmcnt(0)
	s_barrier
	buffer_gl0_inv
	v_cmpx_ne_u32_e32 61, v0
	s_cbranch_execz .LBB125_255
; %bb.252:
	v_mov_b32_e32 v125, 0
	v_mov_b32_e32 v126, 0
	s_mov_b32 s5, 0
.LBB125_253:                            ; =>This Inner Loop Header: Depth=1
	s_clause 0x1
	buffer_load_dword v130, v127, s[0:3], 0 offen
	buffer_load_dword v131, v127, s[0:3], 0 offen offset:4
	ds_read_b64 v[132:133], v128
	v_add_nc_u32_e32 v129, 1, v129
	v_add_nc_u32_e32 v128, 8, v128
	;; [unrolled: 1-line block ×3, first 2 shown]
	v_cmp_lt_u32_e32 vcc_lo, 59, v129
	s_or_b32 s5, vcc_lo, s5
	s_waitcnt vmcnt(0) lgkmcnt(0)
	v_fma_f64 v[125:126], v[130:131], v[132:133], v[125:126]
	s_andn2_b32 exec_lo, exec_lo, s5
	s_cbranch_execnz .LBB125_253
; %bb.254:
	s_or_b32 exec_lo, exec_lo, s5
	v_mov_b32_e32 v127, 0
	ds_read_b64 v[127:128], v127 offset:488
	s_waitcnt lgkmcnt(0)
	v_mul_f64 v[125:126], v[125:126], v[127:128]
	buffer_store_dword v126, off, s[0:3], 0 offset:492
	buffer_store_dword v125, off, s[0:3], 0 offset:488
.LBB125_255:
	s_or_b32 exec_lo, exec_lo, s4
	s_mov_b32 s5, -1
	s_waitcnt_vscnt null, 0x0
	s_barrier
	buffer_gl0_inv
.LBB125_256:
	s_and_b32 vcc_lo, exec_lo, s5
	s_cbranch_vccz .LBB125_258
; %bb.257:
	s_lshl_b64 s[4:5], s[6:7], 2
	v_mov_b32_e32 v125, 0
	s_add_u32 s4, s10, s4
	s_addc_u32 s5, s11, s5
	global_load_dword v125, v125, s[4:5]
	s_waitcnt vmcnt(0)
	v_cmp_ne_u32_e32 vcc_lo, 0, v125
	s_cbranch_vccz .LBB125_259
.LBB125_258:
	s_endpgm
.LBB125_259:
	v_lshl_add_u32 v125, v0, 3, 0x1f0
	s_mov_b32 s4, exec_lo
	v_cmpx_eq_u32_e32 61, v0
	s_cbranch_execz .LBB125_261
; %bb.260:
	s_clause 0x1
	buffer_load_dword v126, off, s[0:3], 0 offset:480
	buffer_load_dword v127, off, s[0:3], 0 offset:484
	v_mov_b32_e32 v128, 0
	buffer_store_dword v128, off, s[0:3], 0 offset:480
	buffer_store_dword v128, off, s[0:3], 0 offset:484
	s_waitcnt vmcnt(0)
	ds_write_b64 v125, v[126:127]
.LBB125_261:
	s_or_b32 exec_lo, exec_lo, s4
	s_waitcnt lgkmcnt(0)
	s_waitcnt_vscnt null, 0x0
	s_barrier
	buffer_gl0_inv
	s_clause 0x3
	buffer_load_dword v127, off, s[0:3], 0 offset:488
	buffer_load_dword v128, off, s[0:3], 0 offset:492
	;; [unrolled: 1-line block ×4, first 2 shown]
	v_mov_b32_e32 v126, 0
	s_mov_b32 s4, exec_lo
	ds_read_b64 v[131:132], v126 offset:984
	s_waitcnt vmcnt(2) lgkmcnt(0)
	v_fma_f64 v[127:128], v[127:128], v[131:132], 0
	s_waitcnt vmcnt(0)
	v_add_f64 v[127:128], v[129:130], -v[127:128]
	buffer_store_dword v127, off, s[0:3], 0 offset:480
	buffer_store_dword v128, off, s[0:3], 0 offset:484
	v_cmpx_lt_u32_e32 59, v0
	s_cbranch_execz .LBB125_263
; %bb.262:
	s_clause 0x1
	buffer_load_dword v127, off, s[0:3], 0 offset:472
	buffer_load_dword v128, off, s[0:3], 0 offset:476
	buffer_store_dword v126, off, s[0:3], 0 offset:472
	buffer_store_dword v126, off, s[0:3], 0 offset:476
	s_waitcnt vmcnt(0)
	ds_write_b64 v125, v[127:128]
.LBB125_263:
	s_or_b32 exec_lo, exec_lo, s4
	s_waitcnt lgkmcnt(0)
	s_waitcnt_vscnt null, 0x0
	s_barrier
	buffer_gl0_inv
	s_clause 0x5
	buffer_load_dword v130, off, s[0:3], 0 offset:480
	buffer_load_dword v131, off, s[0:3], 0 offset:484
	;; [unrolled: 1-line block ×6, first 2 shown]
	ds_read_b128 v[126:129], v126 offset:976
	s_mov_b32 s4, exec_lo
	s_waitcnt vmcnt(4) lgkmcnt(0)
	v_fma_f64 v[126:127], v[130:131], v[126:127], 0
	s_waitcnt vmcnt(2)
	v_fma_f64 v[126:127], v[132:133], v[128:129], v[126:127]
	s_waitcnt vmcnt(0)
	v_add_f64 v[126:127], v[134:135], -v[126:127]
	buffer_store_dword v126, off, s[0:3], 0 offset:472
	buffer_store_dword v127, off, s[0:3], 0 offset:476
	v_cmpx_lt_u32_e32 58, v0
	s_cbranch_execz .LBB125_265
; %bb.264:
	s_clause 0x1
	buffer_load_dword v126, off, s[0:3], 0 offset:464
	buffer_load_dword v127, off, s[0:3], 0 offset:468
	v_mov_b32_e32 v128, 0
	buffer_store_dword v128, off, s[0:3], 0 offset:464
	buffer_store_dword v128, off, s[0:3], 0 offset:468
	s_waitcnt vmcnt(0)
	ds_write_b64 v125, v[126:127]
.LBB125_265:
	s_or_b32 exec_lo, exec_lo, s4
	s_waitcnt lgkmcnt(0)
	s_waitcnt_vscnt null, 0x0
	s_barrier
	buffer_gl0_inv
	s_clause 0x7
	buffer_load_dword v131, off, s[0:3], 0 offset:472
	buffer_load_dword v132, off, s[0:3], 0 offset:476
	;; [unrolled: 1-line block ×8, first 2 shown]
	v_mov_b32_e32 v126, 0
	ds_read2_b64 v[127:130], v126 offset0:121 offset1:122
	ds_read_b64 v[139:140], v126 offset:984
	s_mov_b32 s4, exec_lo
	s_waitcnt vmcnt(6) lgkmcnt(1)
	v_fma_f64 v[127:128], v[131:132], v[127:128], 0
	s_waitcnt vmcnt(4)
	v_fma_f64 v[127:128], v[133:134], v[129:130], v[127:128]
	s_waitcnt vmcnt(2) lgkmcnt(0)
	v_fma_f64 v[127:128], v[135:136], v[139:140], v[127:128]
	s_waitcnt vmcnt(0)
	v_add_f64 v[127:128], v[137:138], -v[127:128]
	buffer_store_dword v127, off, s[0:3], 0 offset:464
	buffer_store_dword v128, off, s[0:3], 0 offset:468
	v_cmpx_lt_u32_e32 57, v0
	s_cbranch_execz .LBB125_267
; %bb.266:
	s_clause 0x1
	buffer_load_dword v127, off, s[0:3], 0 offset:456
	buffer_load_dword v128, off, s[0:3], 0 offset:460
	buffer_store_dword v126, off, s[0:3], 0 offset:456
	buffer_store_dword v126, off, s[0:3], 0 offset:460
	s_waitcnt vmcnt(0)
	ds_write_b64 v125, v[127:128]
.LBB125_267:
	s_or_b32 exec_lo, exec_lo, s4
	s_waitcnt lgkmcnt(0)
	s_waitcnt_vscnt null, 0x0
	s_barrier
	buffer_gl0_inv
	s_clause 0x9
	buffer_load_dword v135, off, s[0:3], 0 offset:464
	buffer_load_dword v136, off, s[0:3], 0 offset:468
	;; [unrolled: 1-line block ×10, first 2 shown]
	ds_read_b128 v[127:130], v126 offset:960
	ds_read_b128 v[131:134], v126 offset:976
	s_mov_b32 s4, exec_lo
	s_waitcnt vmcnt(8) lgkmcnt(1)
	v_fma_f64 v[126:127], v[135:136], v[127:128], 0
	s_waitcnt vmcnt(6)
	v_fma_f64 v[126:127], v[137:138], v[129:130], v[126:127]
	s_waitcnt vmcnt(4) lgkmcnt(0)
	v_fma_f64 v[126:127], v[139:140], v[131:132], v[126:127]
	s_waitcnt vmcnt(2)
	v_fma_f64 v[126:127], v[141:142], v[133:134], v[126:127]
	s_waitcnt vmcnt(0)
	v_add_f64 v[126:127], v[143:144], -v[126:127]
	buffer_store_dword v126, off, s[0:3], 0 offset:456
	buffer_store_dword v127, off, s[0:3], 0 offset:460
	v_cmpx_lt_u32_e32 56, v0
	s_cbranch_execz .LBB125_269
; %bb.268:
	s_clause 0x1
	buffer_load_dword v126, off, s[0:3], 0 offset:448
	buffer_load_dword v127, off, s[0:3], 0 offset:452
	v_mov_b32_e32 v128, 0
	buffer_store_dword v128, off, s[0:3], 0 offset:448
	buffer_store_dword v128, off, s[0:3], 0 offset:452
	s_waitcnt vmcnt(0)
	ds_write_b64 v125, v[126:127]
.LBB125_269:
	s_or_b32 exec_lo, exec_lo, s4
	s_waitcnt lgkmcnt(0)
	s_waitcnt_vscnt null, 0x0
	s_barrier
	buffer_gl0_inv
	s_clause 0xb
	buffer_load_dword v135, off, s[0:3], 0 offset:456
	buffer_load_dword v136, off, s[0:3], 0 offset:460
	;; [unrolled: 1-line block ×12, first 2 shown]
	v_mov_b32_e32 v126, 0
	ds_read2_b64 v[127:130], v126 offset0:119 offset1:120
	ds_read2_b64 v[131:134], v126 offset0:121 offset1:122
	s_mov_b32 s4, exec_lo
	s_waitcnt vmcnt(10) lgkmcnt(1)
	v_fma_f64 v[127:128], v[135:136], v[127:128], 0
	s_waitcnt vmcnt(8)
	v_fma_f64 v[127:128], v[137:138], v[129:130], v[127:128]
	ds_read_b64 v[129:130], v126 offset:984
	s_waitcnt vmcnt(6) lgkmcnt(1)
	v_fma_f64 v[127:128], v[139:140], v[131:132], v[127:128]
	s_waitcnt vmcnt(4)
	v_fma_f64 v[127:128], v[141:142], v[133:134], v[127:128]
	s_waitcnt vmcnt(2) lgkmcnt(0)
	v_fma_f64 v[127:128], v[143:144], v[129:130], v[127:128]
	s_waitcnt vmcnt(0)
	v_add_f64 v[127:128], v[145:146], -v[127:128]
	buffer_store_dword v127, off, s[0:3], 0 offset:448
	buffer_store_dword v128, off, s[0:3], 0 offset:452
	v_cmpx_lt_u32_e32 55, v0
	s_cbranch_execz .LBB125_271
; %bb.270:
	s_clause 0x1
	buffer_load_dword v127, off, s[0:3], 0 offset:440
	buffer_load_dword v128, off, s[0:3], 0 offset:444
	buffer_store_dword v126, off, s[0:3], 0 offset:440
	buffer_store_dword v126, off, s[0:3], 0 offset:444
	s_waitcnt vmcnt(0)
	ds_write_b64 v125, v[127:128]
.LBB125_271:
	s_or_b32 exec_lo, exec_lo, s4
	s_waitcnt lgkmcnt(0)
	s_waitcnt_vscnt null, 0x0
	s_barrier
	buffer_gl0_inv
	s_clause 0xd
	buffer_load_dword v135, off, s[0:3], 0 offset:448
	buffer_load_dword v136, off, s[0:3], 0 offset:452
	buffer_load_dword v137, off, s[0:3], 0 offset:456
	buffer_load_dword v138, off, s[0:3], 0 offset:460
	buffer_load_dword v139, off, s[0:3], 0 offset:464
	buffer_load_dword v140, off, s[0:3], 0 offset:468
	buffer_load_dword v141, off, s[0:3], 0 offset:472
	buffer_load_dword v142, off, s[0:3], 0 offset:476
	buffer_load_dword v143, off, s[0:3], 0 offset:480
	buffer_load_dword v144, off, s[0:3], 0 offset:484
	buffer_load_dword v145, off, s[0:3], 0 offset:488
	buffer_load_dword v146, off, s[0:3], 0 offset:492
	buffer_load_dword v147, off, s[0:3], 0 offset:440
	buffer_load_dword v148, off, s[0:3], 0 offset:444
	ds_read_b128 v[127:130], v126 offset:944
	ds_read_b128 v[131:134], v126 offset:960
	s_mov_b32 s4, exec_lo
	s_waitcnt vmcnt(12) lgkmcnt(1)
	v_fma_f64 v[127:128], v[135:136], v[127:128], 0
	s_waitcnt vmcnt(10)
	v_fma_f64 v[127:128], v[137:138], v[129:130], v[127:128]
	s_waitcnt vmcnt(8) lgkmcnt(0)
	v_fma_f64 v[127:128], v[139:140], v[131:132], v[127:128]
	s_waitcnt vmcnt(6)
	v_fma_f64 v[130:131], v[141:142], v[133:134], v[127:128]
	ds_read_b128 v[126:129], v126 offset:976
	s_waitcnt vmcnt(4) lgkmcnt(0)
	v_fma_f64 v[126:127], v[143:144], v[126:127], v[130:131]
	s_waitcnt vmcnt(2)
	v_fma_f64 v[126:127], v[145:146], v[128:129], v[126:127]
	s_waitcnt vmcnt(0)
	v_add_f64 v[126:127], v[147:148], -v[126:127]
	buffer_store_dword v126, off, s[0:3], 0 offset:440
	buffer_store_dword v127, off, s[0:3], 0 offset:444
	v_cmpx_lt_u32_e32 54, v0
	s_cbranch_execz .LBB125_273
; %bb.272:
	s_clause 0x1
	buffer_load_dword v126, off, s[0:3], 0 offset:432
	buffer_load_dword v127, off, s[0:3], 0 offset:436
	v_mov_b32_e32 v128, 0
	buffer_store_dword v128, off, s[0:3], 0 offset:432
	buffer_store_dword v128, off, s[0:3], 0 offset:436
	s_waitcnt vmcnt(0)
	ds_write_b64 v125, v[126:127]
.LBB125_273:
	s_or_b32 exec_lo, exec_lo, s4
	s_waitcnt lgkmcnt(0)
	s_waitcnt_vscnt null, 0x0
	s_barrier
	buffer_gl0_inv
	s_clause 0xf
	buffer_load_dword v135, off, s[0:3], 0 offset:440
	buffer_load_dword v136, off, s[0:3], 0 offset:444
	;; [unrolled: 1-line block ×16, first 2 shown]
	v_mov_b32_e32 v126, 0
	ds_read2_b64 v[127:130], v126 offset0:117 offset1:118
	ds_read2_b64 v[131:134], v126 offset0:119 offset1:120
	s_mov_b32 s4, exec_lo
	s_waitcnt vmcnt(14) lgkmcnt(1)
	v_fma_f64 v[127:128], v[135:136], v[127:128], 0
	s_waitcnt vmcnt(12)
	v_fma_f64 v[127:128], v[137:138], v[129:130], v[127:128]
	s_waitcnt vmcnt(10) lgkmcnt(0)
	v_fma_f64 v[127:128], v[139:140], v[131:132], v[127:128]
	s_waitcnt vmcnt(8)
	v_fma_f64 v[131:132], v[141:142], v[133:134], v[127:128]
	ds_read2_b64 v[127:130], v126 offset0:121 offset1:122
	ds_read_b64 v[133:134], v126 offset:984
	s_waitcnt vmcnt(6) lgkmcnt(1)
	v_fma_f64 v[127:128], v[143:144], v[127:128], v[131:132]
	s_waitcnt vmcnt(4)
	v_fma_f64 v[127:128], v[145:146], v[129:130], v[127:128]
	s_waitcnt vmcnt(2) lgkmcnt(0)
	v_fma_f64 v[127:128], v[147:148], v[133:134], v[127:128]
	s_waitcnt vmcnt(0)
	v_add_f64 v[127:128], v[149:150], -v[127:128]
	buffer_store_dword v127, off, s[0:3], 0 offset:432
	buffer_store_dword v128, off, s[0:3], 0 offset:436
	v_cmpx_lt_u32_e32 53, v0
	s_cbranch_execz .LBB125_275
; %bb.274:
	s_clause 0x1
	buffer_load_dword v127, off, s[0:3], 0 offset:424
	buffer_load_dword v128, off, s[0:3], 0 offset:428
	buffer_store_dword v126, off, s[0:3], 0 offset:424
	buffer_store_dword v126, off, s[0:3], 0 offset:428
	s_waitcnt vmcnt(0)
	ds_write_b64 v125, v[127:128]
.LBB125_275:
	s_or_b32 exec_lo, exec_lo, s4
	s_waitcnt lgkmcnt(0)
	s_waitcnt_vscnt null, 0x0
	s_barrier
	buffer_gl0_inv
	s_clause 0x11
	buffer_load_dword v135, off, s[0:3], 0 offset:432
	buffer_load_dword v136, off, s[0:3], 0 offset:436
	;; [unrolled: 1-line block ×18, first 2 shown]
	ds_read_b128 v[127:130], v126 offset:928
	ds_read_b128 v[131:134], v126 offset:944
	s_mov_b32 s4, exec_lo
	s_waitcnt vmcnt(16) lgkmcnt(1)
	v_fma_f64 v[127:128], v[135:136], v[127:128], 0
	s_waitcnt vmcnt(14)
	v_fma_f64 v[127:128], v[137:138], v[129:130], v[127:128]
	s_waitcnt vmcnt(12) lgkmcnt(0)
	v_fma_f64 v[127:128], v[139:140], v[131:132], v[127:128]
	s_waitcnt vmcnt(10)
	v_fma_f64 v[135:136], v[141:142], v[133:134], v[127:128]
	ds_read_b128 v[127:130], v126 offset:960
	ds_read_b128 v[131:134], v126 offset:976
	s_waitcnt vmcnt(8) lgkmcnt(1)
	v_fma_f64 v[126:127], v[143:144], v[127:128], v[135:136]
	s_waitcnt vmcnt(6)
	v_fma_f64 v[126:127], v[145:146], v[129:130], v[126:127]
	s_waitcnt vmcnt(4) lgkmcnt(0)
	v_fma_f64 v[126:127], v[147:148], v[131:132], v[126:127]
	s_waitcnt vmcnt(2)
	v_fma_f64 v[126:127], v[149:150], v[133:134], v[126:127]
	s_waitcnt vmcnt(0)
	v_add_f64 v[126:127], v[151:152], -v[126:127]
	buffer_store_dword v126, off, s[0:3], 0 offset:424
	buffer_store_dword v127, off, s[0:3], 0 offset:428
	v_cmpx_lt_u32_e32 52, v0
	s_cbranch_execz .LBB125_277
; %bb.276:
	s_clause 0x1
	buffer_load_dword v126, off, s[0:3], 0 offset:416
	buffer_load_dword v127, off, s[0:3], 0 offset:420
	v_mov_b32_e32 v128, 0
	buffer_store_dword v128, off, s[0:3], 0 offset:416
	buffer_store_dword v128, off, s[0:3], 0 offset:420
	s_waitcnt vmcnt(0)
	ds_write_b64 v125, v[126:127]
.LBB125_277:
	s_or_b32 exec_lo, exec_lo, s4
	s_waitcnt lgkmcnt(0)
	s_waitcnt_vscnt null, 0x0
	s_barrier
	buffer_gl0_inv
	s_clause 0x13
	buffer_load_dword v135, off, s[0:3], 0 offset:424
	buffer_load_dword v136, off, s[0:3], 0 offset:428
	;; [unrolled: 1-line block ×20, first 2 shown]
	v_mov_b32_e32 v126, 0
	ds_read2_b64 v[127:130], v126 offset0:115 offset1:116
	ds_read2_b64 v[131:134], v126 offset0:117 offset1:118
	s_mov_b32 s4, exec_lo
	s_waitcnt vmcnt(18) lgkmcnt(1)
	v_fma_f64 v[127:128], v[135:136], v[127:128], 0
	s_waitcnt vmcnt(16)
	v_fma_f64 v[127:128], v[137:138], v[129:130], v[127:128]
	s_waitcnt vmcnt(14) lgkmcnt(0)
	v_fma_f64 v[127:128], v[139:140], v[131:132], v[127:128]
	s_waitcnt vmcnt(12)
	v_fma_f64 v[135:136], v[141:142], v[133:134], v[127:128]
	ds_read2_b64 v[127:130], v126 offset0:119 offset1:120
	ds_read2_b64 v[131:134], v126 offset0:121 offset1:122
	s_waitcnt vmcnt(10) lgkmcnt(1)
	v_fma_f64 v[127:128], v[143:144], v[127:128], v[135:136]
	s_waitcnt vmcnt(8)
	v_fma_f64 v[127:128], v[145:146], v[129:130], v[127:128]
	ds_read_b64 v[129:130], v126 offset:984
	s_waitcnt vmcnt(6) lgkmcnt(1)
	v_fma_f64 v[127:128], v[147:148], v[131:132], v[127:128]
	s_waitcnt vmcnt(3)
	v_fma_f64 v[127:128], v[149:150], v[133:134], v[127:128]
	s_waitcnt vmcnt(2) lgkmcnt(0)
	v_fma_f64 v[127:128], v[151:152], v[129:130], v[127:128]
	s_waitcnt vmcnt(0)
	v_add_f64 v[127:128], v[153:154], -v[127:128]
	buffer_store_dword v127, off, s[0:3], 0 offset:416
	buffer_store_dword v128, off, s[0:3], 0 offset:420
	v_cmpx_lt_u32_e32 51, v0
	s_cbranch_execz .LBB125_279
; %bb.278:
	s_clause 0x1
	buffer_load_dword v127, off, s[0:3], 0 offset:408
	buffer_load_dword v128, off, s[0:3], 0 offset:412
	buffer_store_dword v126, off, s[0:3], 0 offset:408
	buffer_store_dword v126, off, s[0:3], 0 offset:412
	s_waitcnt vmcnt(0)
	ds_write_b64 v125, v[127:128]
.LBB125_279:
	s_or_b32 exec_lo, exec_lo, s4
	s_waitcnt lgkmcnt(0)
	s_waitcnt_vscnt null, 0x0
	s_barrier
	buffer_gl0_inv
	s_clause 0x15
	buffer_load_dword v135, off, s[0:3], 0 offset:416
	buffer_load_dword v136, off, s[0:3], 0 offset:420
	;; [unrolled: 1-line block ×22, first 2 shown]
	ds_read_b128 v[127:130], v126 offset:912
	ds_read_b128 v[131:134], v126 offset:928
	s_mov_b32 s4, exec_lo
	s_waitcnt vmcnt(20) lgkmcnt(1)
	v_fma_f64 v[127:128], v[135:136], v[127:128], 0
	s_waitcnt vmcnt(18)
	v_fma_f64 v[127:128], v[137:138], v[129:130], v[127:128]
	s_waitcnt vmcnt(16) lgkmcnt(0)
	v_fma_f64 v[127:128], v[139:140], v[131:132], v[127:128]
	s_waitcnt vmcnt(14)
	v_fma_f64 v[135:136], v[141:142], v[133:134], v[127:128]
	ds_read_b128 v[127:130], v126 offset:944
	ds_read_b128 v[131:134], v126 offset:960
	s_waitcnt vmcnt(12) lgkmcnt(1)
	v_fma_f64 v[127:128], v[143:144], v[127:128], v[135:136]
	s_waitcnt vmcnt(10)
	v_fma_f64 v[127:128], v[145:146], v[129:130], v[127:128]
	s_waitcnt vmcnt(8) lgkmcnt(0)
	v_fma_f64 v[127:128], v[147:148], v[131:132], v[127:128]
	s_waitcnt vmcnt(4)
	v_fma_f64 v[130:131], v[149:150], v[133:134], v[127:128]
	ds_read_b128 v[126:129], v126 offset:976
	s_waitcnt vmcnt(3) lgkmcnt(0)
	v_fma_f64 v[126:127], v[153:154], v[126:127], v[130:131]
	s_waitcnt vmcnt(2)
	v_fma_f64 v[126:127], v[151:152], v[128:129], v[126:127]
	s_waitcnt vmcnt(0)
	v_add_f64 v[126:127], v[155:156], -v[126:127]
	buffer_store_dword v126, off, s[0:3], 0 offset:408
	buffer_store_dword v127, off, s[0:3], 0 offset:412
	v_cmpx_lt_u32_e32 50, v0
	s_cbranch_execz .LBB125_281
; %bb.280:
	s_clause 0x1
	buffer_load_dword v126, off, s[0:3], 0 offset:400
	buffer_load_dword v127, off, s[0:3], 0 offset:404
	v_mov_b32_e32 v128, 0
	buffer_store_dword v128, off, s[0:3], 0 offset:400
	buffer_store_dword v128, off, s[0:3], 0 offset:404
	s_waitcnt vmcnt(0)
	ds_write_b64 v125, v[126:127]
.LBB125_281:
	s_or_b32 exec_lo, exec_lo, s4
	s_waitcnt lgkmcnt(0)
	s_waitcnt_vscnt null, 0x0
	s_barrier
	buffer_gl0_inv
	s_clause 0x17
	buffer_load_dword v131, off, s[0:3], 0 offset:408
	buffer_load_dword v132, off, s[0:3], 0 offset:412
	;; [unrolled: 1-line block ×24, first 2 shown]
	v_mov_b32_e32 v126, 0
	s_mov_b32 s4, exec_lo
	ds_read2_b64 v[127:130], v126 offset0:113 offset1:114
	s_waitcnt vmcnt(22) lgkmcnt(0)
	v_fma_f64 v[127:128], v[131:132], v[127:128], 0
	s_waitcnt vmcnt(20)
	v_fma_f64 v[131:132], v[133:134], v[129:130], v[127:128]
	ds_read2_b64 v[127:130], v126 offset0:115 offset1:116
	s_waitcnt vmcnt(18) lgkmcnt(0)
	v_fma_f64 v[127:128], v[135:136], v[127:128], v[131:132]
	s_waitcnt vmcnt(16)
	v_fma_f64 v[131:132], v[137:138], v[129:130], v[127:128]
	;; [unrolled: 5-line block ×5, first 2 shown]
	ds_read_b64 v[129:130], v126 offset:984
	s_waitcnt vmcnt(2) lgkmcnt(0)
	v_fma_f64 v[127:128], v[151:152], v[129:130], v[127:128]
	s_waitcnt vmcnt(0)
	v_add_f64 v[127:128], v[153:154], -v[127:128]
	buffer_store_dword v128, off, s[0:3], 0 offset:404
	buffer_store_dword v127, off, s[0:3], 0 offset:400
	v_cmpx_lt_u32_e32 49, v0
	s_cbranch_execz .LBB125_283
; %bb.282:
	s_clause 0x1
	buffer_load_dword v127, off, s[0:3], 0 offset:392
	buffer_load_dword v128, off, s[0:3], 0 offset:396
	buffer_store_dword v126, off, s[0:3], 0 offset:392
	buffer_store_dword v126, off, s[0:3], 0 offset:396
	s_waitcnt vmcnt(0)
	ds_write_b64 v125, v[127:128]
.LBB125_283:
	s_or_b32 exec_lo, exec_lo, s4
	s_waitcnt lgkmcnt(0)
	s_waitcnt_vscnt null, 0x0
	s_barrier
	buffer_gl0_inv
	s_clause 0x19
	buffer_load_dword v131, off, s[0:3], 0 offset:400
	buffer_load_dword v132, off, s[0:3], 0 offset:404
	;; [unrolled: 1-line block ×26, first 2 shown]
	ds_read_b128 v[127:130], v126 offset:896
	s_mov_b32 s4, exec_lo
	s_waitcnt vmcnt(24) lgkmcnt(0)
	v_fma_f64 v[127:128], v[131:132], v[127:128], 0
	s_waitcnt vmcnt(22)
	v_fma_f64 v[131:132], v[133:134], v[129:130], v[127:128]
	ds_read_b128 v[127:130], v126 offset:912
	s_waitcnt vmcnt(20) lgkmcnt(0)
	v_fma_f64 v[127:128], v[135:136], v[127:128], v[131:132]
	s_waitcnt vmcnt(18)
	v_fma_f64 v[131:132], v[137:138], v[129:130], v[127:128]
	ds_read_b128 v[127:130], v126 offset:928
	s_waitcnt vmcnt(16) lgkmcnt(0)
	v_fma_f64 v[127:128], v[139:140], v[127:128], v[131:132]
	s_waitcnt vmcnt(14)
	v_fma_f64 v[131:132], v[141:142], v[129:130], v[127:128]
	ds_read_b128 v[127:130], v126 offset:944
	s_waitcnt vmcnt(12) lgkmcnt(0)
	v_fma_f64 v[127:128], v[143:144], v[127:128], v[131:132]
	s_waitcnt vmcnt(10)
	v_fma_f64 v[131:132], v[145:146], v[129:130], v[127:128]
	ds_read_b128 v[127:130], v126 offset:960
	s_waitcnt vmcnt(8) lgkmcnt(0)
	v_fma_f64 v[127:128], v[147:148], v[127:128], v[131:132]
	s_waitcnt vmcnt(6)
	v_fma_f64 v[130:131], v[149:150], v[129:130], v[127:128]
	ds_read_b128 v[126:129], v126 offset:976
	s_waitcnt vmcnt(4) lgkmcnt(0)
	v_fma_f64 v[126:127], v[151:152], v[126:127], v[130:131]
	s_waitcnt vmcnt(2)
	v_fma_f64 v[126:127], v[153:154], v[128:129], v[126:127]
	s_waitcnt vmcnt(0)
	v_add_f64 v[126:127], v[155:156], -v[126:127]
	buffer_store_dword v127, off, s[0:3], 0 offset:396
	buffer_store_dword v126, off, s[0:3], 0 offset:392
	v_cmpx_lt_u32_e32 48, v0
	s_cbranch_execz .LBB125_285
; %bb.284:
	s_clause 0x1
	buffer_load_dword v126, off, s[0:3], 0 offset:384
	buffer_load_dword v127, off, s[0:3], 0 offset:388
	v_mov_b32_e32 v128, 0
	buffer_store_dword v128, off, s[0:3], 0 offset:384
	buffer_store_dword v128, off, s[0:3], 0 offset:388
	s_waitcnt vmcnt(0)
	ds_write_b64 v125, v[126:127]
.LBB125_285:
	s_or_b32 exec_lo, exec_lo, s4
	s_waitcnt lgkmcnt(0)
	s_waitcnt_vscnt null, 0x0
	s_barrier
	buffer_gl0_inv
	s_clause 0x1b
	buffer_load_dword v131, off, s[0:3], 0 offset:392
	buffer_load_dword v132, off, s[0:3], 0 offset:396
	;; [unrolled: 1-line block ×28, first 2 shown]
	v_mov_b32_e32 v126, 0
	s_mov_b32 s4, exec_lo
	ds_read2_b64 v[127:130], v126 offset0:111 offset1:112
	s_waitcnt vmcnt(26) lgkmcnt(0)
	v_fma_f64 v[127:128], v[131:132], v[127:128], 0
	s_waitcnt vmcnt(24)
	v_fma_f64 v[131:132], v[133:134], v[129:130], v[127:128]
	ds_read2_b64 v[127:130], v126 offset0:113 offset1:114
	s_waitcnt vmcnt(22) lgkmcnt(0)
	v_fma_f64 v[127:128], v[135:136], v[127:128], v[131:132]
	s_waitcnt vmcnt(20)
	v_fma_f64 v[131:132], v[137:138], v[129:130], v[127:128]
	ds_read2_b64 v[127:130], v126 offset0:115 offset1:116
	s_waitcnt vmcnt(18) lgkmcnt(0)
	v_fma_f64 v[127:128], v[139:140], v[127:128], v[131:132]
	s_waitcnt vmcnt(16)
	v_fma_f64 v[131:132], v[141:142], v[129:130], v[127:128]
	ds_read2_b64 v[127:130], v126 offset0:117 offset1:118
	s_waitcnt vmcnt(14) lgkmcnt(0)
	v_fma_f64 v[127:128], v[143:144], v[127:128], v[131:132]
	s_waitcnt vmcnt(12)
	v_fma_f64 v[131:132], v[145:146], v[129:130], v[127:128]
	ds_read2_b64 v[127:130], v126 offset0:119 offset1:120
	s_waitcnt vmcnt(10) lgkmcnt(0)
	v_fma_f64 v[127:128], v[147:148], v[127:128], v[131:132]
	s_waitcnt vmcnt(8)
	v_fma_f64 v[131:132], v[149:150], v[129:130], v[127:128]
	ds_read2_b64 v[127:130], v126 offset0:121 offset1:122
	s_waitcnt vmcnt(6) lgkmcnt(0)
	v_fma_f64 v[127:128], v[151:152], v[127:128], v[131:132]
	s_waitcnt vmcnt(4)
	v_fma_f64 v[127:128], v[153:154], v[129:130], v[127:128]
	ds_read_b64 v[129:130], v126 offset:984
	s_waitcnt vmcnt(2) lgkmcnt(0)
	v_fma_f64 v[127:128], v[155:156], v[129:130], v[127:128]
	s_waitcnt vmcnt(0)
	v_add_f64 v[127:128], v[157:158], -v[127:128]
	buffer_store_dword v128, off, s[0:3], 0 offset:388
	buffer_store_dword v127, off, s[0:3], 0 offset:384
	v_cmpx_lt_u32_e32 47, v0
	s_cbranch_execz .LBB125_287
; %bb.286:
	s_clause 0x1
	buffer_load_dword v127, off, s[0:3], 0 offset:376
	buffer_load_dword v128, off, s[0:3], 0 offset:380
	buffer_store_dword v126, off, s[0:3], 0 offset:376
	buffer_store_dword v126, off, s[0:3], 0 offset:380
	s_waitcnt vmcnt(0)
	ds_write_b64 v125, v[127:128]
.LBB125_287:
	s_or_b32 exec_lo, exec_lo, s4
	s_waitcnt lgkmcnt(0)
	s_waitcnt_vscnt null, 0x0
	s_barrier
	buffer_gl0_inv
	s_clause 0x1b
	buffer_load_dword v135, off, s[0:3], 0 offset:384
	buffer_load_dword v136, off, s[0:3], 0 offset:388
	buffer_load_dword v137, off, s[0:3], 0 offset:392
	buffer_load_dword v138, off, s[0:3], 0 offset:396
	buffer_load_dword v139, off, s[0:3], 0 offset:400
	buffer_load_dword v140, off, s[0:3], 0 offset:404
	buffer_load_dword v141, off, s[0:3], 0 offset:408
	buffer_load_dword v142, off, s[0:3], 0 offset:412
	buffer_load_dword v143, off, s[0:3], 0 offset:416
	buffer_load_dword v144, off, s[0:3], 0 offset:420
	buffer_load_dword v145, off, s[0:3], 0 offset:424
	buffer_load_dword v146, off, s[0:3], 0 offset:428
	buffer_load_dword v147, off, s[0:3], 0 offset:432
	buffer_load_dword v148, off, s[0:3], 0 offset:436
	buffer_load_dword v150, off, s[0:3], 0 offset:444
	buffer_load_dword v151, off, s[0:3], 0 offset:464
	buffer_load_dword v153, off, s[0:3], 0 offset:456
	buffer_load_dword v155, off, s[0:3], 0 offset:448
	buffer_load_dword v149, off, s[0:3], 0 offset:440
	buffer_load_dword v156, off, s[0:3], 0 offset:452
	buffer_load_dword v154, off, s[0:3], 0 offset:460
	buffer_load_dword v152, off, s[0:3], 0 offset:468
	buffer_load_dword v158, off, s[0:3], 0 offset:476
	buffer_load_dword v159, off, s[0:3], 0 offset:488
	buffer_load_dword v161, off, s[0:3], 0 offset:480
	buffer_load_dword v157, off, s[0:3], 0 offset:472
	buffer_load_dword v162, off, s[0:3], 0 offset:484
	buffer_load_dword v160, off, s[0:3], 0 offset:492
	ds_read_b128 v[127:130], v126 offset:880
	s_clause 0x1
	buffer_load_dword v163, off, s[0:3], 0 offset:376
	buffer_load_dword v164, off, s[0:3], 0 offset:380
	ds_read_b128 v[131:134], v126 offset:896
	s_mov_b32 s4, exec_lo
	s_waitcnt vmcnt(28) lgkmcnt(1)
	v_fma_f64 v[127:128], v[135:136], v[127:128], 0
	s_waitcnt vmcnt(26)
	v_fma_f64 v[127:128], v[137:138], v[129:130], v[127:128]
	s_waitcnt vmcnt(24) lgkmcnt(0)
	v_fma_f64 v[127:128], v[139:140], v[131:132], v[127:128]
	s_waitcnt vmcnt(22)
	v_fma_f64 v[135:136], v[141:142], v[133:134], v[127:128]
	ds_read_b128 v[127:130], v126 offset:912
	ds_read_b128 v[131:134], v126 offset:928
	s_waitcnt vmcnt(20) lgkmcnt(1)
	v_fma_f64 v[127:128], v[143:144], v[127:128], v[135:136]
	s_waitcnt vmcnt(18)
	v_fma_f64 v[127:128], v[145:146], v[129:130], v[127:128]
	s_waitcnt vmcnt(16) lgkmcnt(0)
	v_fma_f64 v[127:128], v[147:148], v[131:132], v[127:128]
	s_waitcnt vmcnt(11)
	v_fma_f64 v[135:136], v[149:150], v[133:134], v[127:128]
	ds_read_b128 v[127:130], v126 offset:944
	ds_read_b128 v[131:134], v126 offset:960
	s_waitcnt vmcnt(10) lgkmcnt(1)
	v_fma_f64 v[127:128], v[155:156], v[127:128], v[135:136]
	s_waitcnt vmcnt(9)
	v_fma_f64 v[127:128], v[153:154], v[129:130], v[127:128]
	s_waitcnt vmcnt(8) lgkmcnt(0)
	v_fma_f64 v[127:128], v[151:152], v[131:132], v[127:128]
	s_waitcnt vmcnt(4)
	v_fma_f64 v[130:131], v[157:158], v[133:134], v[127:128]
	ds_read_b128 v[126:129], v126 offset:976
	s_waitcnt vmcnt(3) lgkmcnt(0)
	v_fma_f64 v[126:127], v[161:162], v[126:127], v[130:131]
	s_waitcnt vmcnt(2)
	v_fma_f64 v[126:127], v[159:160], v[128:129], v[126:127]
	s_waitcnt vmcnt(0)
	v_add_f64 v[126:127], v[163:164], -v[126:127]
	buffer_store_dword v127, off, s[0:3], 0 offset:380
	buffer_store_dword v126, off, s[0:3], 0 offset:376
	v_cmpx_lt_u32_e32 46, v0
	s_cbranch_execz .LBB125_289
; %bb.288:
	s_clause 0x1
	buffer_load_dword v126, off, s[0:3], 0 offset:368
	buffer_load_dword v127, off, s[0:3], 0 offset:372
	v_mov_b32_e32 v128, 0
	buffer_store_dword v128, off, s[0:3], 0 offset:368
	buffer_store_dword v128, off, s[0:3], 0 offset:372
	s_waitcnt vmcnt(0)
	ds_write_b64 v125, v[126:127]
.LBB125_289:
	s_or_b32 exec_lo, exec_lo, s4
	s_waitcnt lgkmcnt(0)
	s_waitcnt_vscnt null, 0x0
	s_barrier
	buffer_gl0_inv
	s_clause 0x1c
	buffer_load_dword v135, off, s[0:3], 0 offset:376
	buffer_load_dword v136, off, s[0:3], 0 offset:380
	;; [unrolled: 1-line block ×29, first 2 shown]
	v_mov_b32_e32 v126, 0
	buffer_load_dword v160, off, s[0:3], 0 offset:492
	s_mov_b32 s4, exec_lo
	ds_read2_b64 v[127:130], v126 offset0:109 offset1:110
	ds_read2_b64 v[131:134], v126 offset0:111 offset1:112
	s_waitcnt vmcnt(28) lgkmcnt(1)
	v_fma_f64 v[127:128], v[135:136], v[127:128], 0
	s_clause 0x1
	buffer_load_dword v135, off, s[0:3], 0 offset:368
	buffer_load_dword v136, off, s[0:3], 0 offset:372
	s_waitcnt vmcnt(28)
	v_fma_f64 v[127:128], v[137:138], v[129:130], v[127:128]
	s_waitcnt vmcnt(26) lgkmcnt(0)
	v_fma_f64 v[127:128], v[139:140], v[131:132], v[127:128]
	s_waitcnt vmcnt(24)
	v_fma_f64 v[137:138], v[141:142], v[133:134], v[127:128]
	ds_read2_b64 v[127:130], v126 offset0:113 offset1:114
	ds_read2_b64 v[131:134], v126 offset0:115 offset1:116
	s_waitcnt vmcnt(22) lgkmcnt(1)
	v_fma_f64 v[127:128], v[143:144], v[127:128], v[137:138]
	s_waitcnt vmcnt(20)
	v_fma_f64 v[127:128], v[145:146], v[129:130], v[127:128]
	s_waitcnt vmcnt(18) lgkmcnt(0)
	v_fma_f64 v[127:128], v[147:148], v[131:132], v[127:128]
	s_waitcnt vmcnt(13)
	v_fma_f64 v[137:138], v[149:150], v[133:134], v[127:128]
	ds_read2_b64 v[127:130], v126 offset0:117 offset1:118
	ds_read2_b64 v[131:134], v126 offset0:119 offset1:120
	s_waitcnt vmcnt(12) lgkmcnt(1)
	v_fma_f64 v[127:128], v[155:156], v[127:128], v[137:138]
	s_waitcnt vmcnt(11)
	v_fma_f64 v[127:128], v[153:154], v[129:130], v[127:128]
	s_waitcnt vmcnt(10) lgkmcnt(0)
	v_fma_f64 v[127:128], v[151:152], v[131:132], v[127:128]
	s_waitcnt vmcnt(5)
	v_fma_f64 v[131:132], v[157:158], v[133:134], v[127:128]
	ds_read2_b64 v[127:130], v126 offset0:121 offset1:122
	ds_read_b64 v[133:134], v126 offset:984
	s_waitcnt vmcnt(4) lgkmcnt(1)
	v_fma_f64 v[127:128], v[163:164], v[127:128], v[131:132]
	s_waitcnt vmcnt(3)
	v_fma_f64 v[127:128], v[161:162], v[129:130], v[127:128]
	s_waitcnt vmcnt(2) lgkmcnt(0)
	v_fma_f64 v[127:128], v[159:160], v[133:134], v[127:128]
	s_waitcnt vmcnt(0)
	v_add_f64 v[127:128], v[135:136], -v[127:128]
	buffer_store_dword v128, off, s[0:3], 0 offset:372
	buffer_store_dword v127, off, s[0:3], 0 offset:368
	v_cmpx_lt_u32_e32 45, v0
	s_cbranch_execz .LBB125_291
; %bb.290:
	s_clause 0x1
	buffer_load_dword v127, off, s[0:3], 0 offset:360
	buffer_load_dword v128, off, s[0:3], 0 offset:364
	buffer_store_dword v126, off, s[0:3], 0 offset:360
	buffer_store_dword v126, off, s[0:3], 0 offset:364
	s_waitcnt vmcnt(0)
	ds_write_b64 v125, v[127:128]
.LBB125_291:
	s_or_b32 exec_lo, exec_lo, s4
	s_waitcnt lgkmcnt(0)
	s_waitcnt_vscnt null, 0x0
	s_barrier
	buffer_gl0_inv
	s_clause 0x1c
	buffer_load_dword v135, off, s[0:3], 0 offset:368
	buffer_load_dword v136, off, s[0:3], 0 offset:372
	;; [unrolled: 1-line block ×29, first 2 shown]
	ds_read_b128 v[127:130], v126 offset:864
	ds_read_b128 v[131:134], v126 offset:880
	buffer_load_dword v160, off, s[0:3], 0 offset:484
	s_mov_b32 s4, exec_lo
	s_waitcnt vmcnt(28) lgkmcnt(1)
	v_fma_f64 v[127:128], v[135:136], v[127:128], 0
	s_clause 0x1
	buffer_load_dword v136, off, s[0:3], 0 offset:492
	buffer_load_dword v135, off, s[0:3], 0 offset:488
	s_waitcnt vmcnt(28)
	v_fma_f64 v[127:128], v[137:138], v[129:130], v[127:128]
	s_clause 0x1
	buffer_load_dword v137, off, s[0:3], 0 offset:360
	buffer_load_dword v138, off, s[0:3], 0 offset:364
	s_waitcnt vmcnt(28) lgkmcnt(0)
	v_fma_f64 v[127:128], v[139:140], v[131:132], v[127:128]
	s_waitcnt vmcnt(26)
	v_fma_f64 v[139:140], v[141:142], v[133:134], v[127:128]
	ds_read_b128 v[127:130], v126 offset:896
	ds_read_b128 v[131:134], v126 offset:912
	s_waitcnt vmcnt(24) lgkmcnt(1)
	v_fma_f64 v[127:128], v[143:144], v[127:128], v[139:140]
	s_waitcnt vmcnt(22)
	v_fma_f64 v[127:128], v[145:146], v[129:130], v[127:128]
	s_waitcnt vmcnt(20) lgkmcnt(0)
	v_fma_f64 v[127:128], v[147:148], v[131:132], v[127:128]
	s_waitcnt vmcnt(15)
	v_fma_f64 v[139:140], v[149:150], v[133:134], v[127:128]
	ds_read_b128 v[127:130], v126 offset:928
	ds_read_b128 v[131:134], v126 offset:944
	s_waitcnt vmcnt(14) lgkmcnt(1)
	v_fma_f64 v[127:128], v[155:156], v[127:128], v[139:140]
	s_waitcnt vmcnt(13)
	v_fma_f64 v[127:128], v[153:154], v[129:130], v[127:128]
	;; [unrolled: 10-line block ×3, first 2 shown]
	s_waitcnt vmcnt(4) lgkmcnt(0)
	v_fma_f64 v[126:127], v[159:160], v[131:132], v[126:127]
	s_waitcnt vmcnt(2)
	v_fma_f64 v[126:127], v[135:136], v[133:134], v[126:127]
	s_waitcnt vmcnt(0)
	v_add_f64 v[126:127], v[137:138], -v[126:127]
	buffer_store_dword v127, off, s[0:3], 0 offset:364
	buffer_store_dword v126, off, s[0:3], 0 offset:360
	v_cmpx_lt_u32_e32 44, v0
	s_cbranch_execz .LBB125_293
; %bb.292:
	s_clause 0x1
	buffer_load_dword v126, off, s[0:3], 0 offset:352
	buffer_load_dword v127, off, s[0:3], 0 offset:356
	v_mov_b32_e32 v128, 0
	buffer_store_dword v128, off, s[0:3], 0 offset:352
	buffer_store_dword v128, off, s[0:3], 0 offset:356
	s_waitcnt vmcnt(0)
	ds_write_b64 v125, v[126:127]
.LBB125_293:
	s_or_b32 exec_lo, exec_lo, s4
	s_waitcnt lgkmcnt(0)
	s_waitcnt_vscnt null, 0x0
	s_barrier
	buffer_gl0_inv
	s_clause 0x1c
	buffer_load_dword v135, off, s[0:3], 0 offset:360
	buffer_load_dword v136, off, s[0:3], 0 offset:364
	;; [unrolled: 1-line block ×29, first 2 shown]
	v_mov_b32_e32 v126, 0
	buffer_load_dword v160, off, s[0:3], 0 offset:476
	s_mov_b32 s4, exec_lo
	ds_read2_b64 v[127:130], v126 offset0:107 offset1:108
	ds_read2_b64 v[131:134], v126 offset0:109 offset1:110
	s_waitcnt vmcnt(28) lgkmcnt(1)
	v_fma_f64 v[127:128], v[135:136], v[127:128], 0
	s_clause 0x3
	buffer_load_dword v136, off, s[0:3], 0 offset:484
	buffer_load_dword v165, off, s[0:3], 0 offset:488
	;; [unrolled: 1-line block ×4, first 2 shown]
	s_waitcnt vmcnt(30)
	v_fma_f64 v[127:128], v[137:138], v[129:130], v[127:128]
	s_clause 0x1
	buffer_load_dword v137, off, s[0:3], 0 offset:352
	buffer_load_dword v138, off, s[0:3], 0 offset:356
	s_waitcnt vmcnt(30) lgkmcnt(0)
	v_fma_f64 v[127:128], v[139:140], v[131:132], v[127:128]
	s_waitcnt vmcnt(28)
	v_fma_f64 v[139:140], v[141:142], v[133:134], v[127:128]
	ds_read2_b64 v[127:130], v126 offset0:111 offset1:112
	ds_read2_b64 v[131:134], v126 offset0:113 offset1:114
	s_waitcnt vmcnt(26) lgkmcnt(1)
	v_fma_f64 v[127:128], v[143:144], v[127:128], v[139:140]
	s_waitcnt vmcnt(24)
	v_fma_f64 v[127:128], v[145:146], v[129:130], v[127:128]
	s_waitcnt vmcnt(22) lgkmcnt(0)
	v_fma_f64 v[127:128], v[147:148], v[131:132], v[127:128]
	s_waitcnt vmcnt(17)
	v_fma_f64 v[139:140], v[149:150], v[133:134], v[127:128]
	ds_read2_b64 v[127:130], v126 offset0:115 offset1:116
	ds_read2_b64 v[131:134], v126 offset0:117 offset1:118
	s_waitcnt vmcnt(16) lgkmcnt(1)
	v_fma_f64 v[127:128], v[155:156], v[127:128], v[139:140]
	s_waitcnt vmcnt(15)
	v_fma_f64 v[127:128], v[153:154], v[129:130], v[127:128]
	;; [unrolled: 10-line block ×3, first 2 shown]
	ds_read_b64 v[129:130], v126 offset:984
	s_waitcnt vmcnt(6) lgkmcnt(1)
	v_fma_f64 v[127:128], v[159:160], v[131:132], v[127:128]
	s_waitcnt vmcnt(3)
	v_fma_f64 v[127:128], v[135:136], v[133:134], v[127:128]
	s_waitcnt vmcnt(2) lgkmcnt(0)
	v_fma_f64 v[127:128], v[165:166], v[129:130], v[127:128]
	s_waitcnt vmcnt(0)
	v_add_f64 v[127:128], v[137:138], -v[127:128]
	buffer_store_dword v128, off, s[0:3], 0 offset:356
	buffer_store_dword v127, off, s[0:3], 0 offset:352
	v_cmpx_lt_u32_e32 43, v0
	s_cbranch_execz .LBB125_295
; %bb.294:
	s_clause 0x1
	buffer_load_dword v127, off, s[0:3], 0 offset:344
	buffer_load_dword v128, off, s[0:3], 0 offset:348
	buffer_store_dword v126, off, s[0:3], 0 offset:344
	buffer_store_dword v126, off, s[0:3], 0 offset:348
	s_waitcnt vmcnt(0)
	ds_write_b64 v125, v[127:128]
.LBB125_295:
	s_or_b32 exec_lo, exec_lo, s4
	s_waitcnt lgkmcnt(0)
	s_waitcnt_vscnt null, 0x0
	s_barrier
	buffer_gl0_inv
	s_clause 0x1c
	buffer_load_dword v135, off, s[0:3], 0 offset:352
	buffer_load_dword v136, off, s[0:3], 0 offset:356
	;; [unrolled: 1-line block ×29, first 2 shown]
	ds_read_b128 v[127:130], v126 offset:848
	ds_read_b128 v[131:134], v126 offset:864
	buffer_load_dword v160, off, s[0:3], 0 offset:468
	s_mov_b32 s4, exec_lo
	s_waitcnt vmcnt(28) lgkmcnt(1)
	v_fma_f64 v[127:128], v[135:136], v[127:128], 0
	s_clause 0x5
	buffer_load_dword v136, off, s[0:3], 0 offset:476
	buffer_load_dword v165, off, s[0:3], 0 offset:488
	;; [unrolled: 1-line block ×6, first 2 shown]
	s_waitcnt vmcnt(32)
	v_fma_f64 v[127:128], v[137:138], v[129:130], v[127:128]
	s_waitcnt vmcnt(30) lgkmcnt(0)
	v_fma_f64 v[127:128], v[139:140], v[131:132], v[127:128]
	s_waitcnt vmcnt(28)
	v_fma_f64 v[137:138], v[141:142], v[133:134], v[127:128]
	ds_read_b128 v[127:130], v126 offset:880
	s_clause 0x1
	buffer_load_dword v139, off, s[0:3], 0 offset:344
	buffer_load_dword v140, off, s[0:3], 0 offset:348
	ds_read_b128 v[131:134], v126 offset:896
	s_waitcnt vmcnt(28) lgkmcnt(1)
	v_fma_f64 v[127:128], v[143:144], v[127:128], v[137:138]
	s_waitcnt vmcnt(26)
	v_fma_f64 v[127:128], v[145:146], v[129:130], v[127:128]
	s_waitcnt vmcnt(24) lgkmcnt(0)
	v_fma_f64 v[127:128], v[147:148], v[131:132], v[127:128]
	s_waitcnt vmcnt(19)
	v_fma_f64 v[137:138], v[149:150], v[133:134], v[127:128]
	ds_read_b128 v[127:130], v126 offset:912
	ds_read_b128 v[131:134], v126 offset:928
	s_waitcnt vmcnt(18) lgkmcnt(1)
	v_fma_f64 v[127:128], v[155:156], v[127:128], v[137:138]
	s_waitcnt vmcnt(17)
	v_fma_f64 v[127:128], v[153:154], v[129:130], v[127:128]
	s_waitcnt vmcnt(16) lgkmcnt(0)
	v_fma_f64 v[127:128], v[151:152], v[131:132], v[127:128]
	s_waitcnt vmcnt(11)
	v_fma_f64 v[137:138], v[157:158], v[133:134], v[127:128]
	ds_read_b128 v[127:130], v126 offset:944
	;; [unrolled: 10-line block ×3, first 2 shown]
	s_waitcnt vmcnt(3) lgkmcnt(0)
	v_fma_f64 v[126:127], v[167:168], v[126:127], v[130:131]
	s_waitcnt vmcnt(2)
	v_fma_f64 v[126:127], v[165:166], v[128:129], v[126:127]
	s_waitcnt vmcnt(0)
	v_add_f64 v[126:127], v[139:140], -v[126:127]
	buffer_store_dword v127, off, s[0:3], 0 offset:348
	buffer_store_dword v126, off, s[0:3], 0 offset:344
	v_cmpx_lt_u32_e32 42, v0
	s_cbranch_execz .LBB125_297
; %bb.296:
	s_clause 0x1
	buffer_load_dword v126, off, s[0:3], 0 offset:336
	buffer_load_dword v127, off, s[0:3], 0 offset:340
	v_mov_b32_e32 v128, 0
	buffer_store_dword v128, off, s[0:3], 0 offset:336
	buffer_store_dword v128, off, s[0:3], 0 offset:340
	s_waitcnt vmcnt(0)
	ds_write_b64 v125, v[126:127]
.LBB125_297:
	s_or_b32 exec_lo, exec_lo, s4
	s_waitcnt lgkmcnt(0)
	s_waitcnt_vscnt null, 0x0
	s_barrier
	buffer_gl0_inv
	s_clause 0x1c
	buffer_load_dword v135, off, s[0:3], 0 offset:344
	buffer_load_dword v136, off, s[0:3], 0 offset:348
	;; [unrolled: 1-line block ×29, first 2 shown]
	v_mov_b32_e32 v126, 0
	buffer_load_dword v160, off, s[0:3], 0 offset:460
	s_mov_b32 s4, exec_lo
	ds_read2_b64 v[127:130], v126 offset0:105 offset1:106
	ds_read2_b64 v[131:134], v126 offset0:107 offset1:108
	s_waitcnt vmcnt(28) lgkmcnt(1)
	v_fma_f64 v[127:128], v[135:136], v[127:128], 0
	s_clause 0x7
	buffer_load_dword v136, off, s[0:3], 0 offset:468
	buffer_load_dword v165, off, s[0:3], 0 offset:488
	;; [unrolled: 1-line block ×8, first 2 shown]
	s_waitcnt vmcnt(34)
	v_fma_f64 v[127:128], v[137:138], v[129:130], v[127:128]
	s_waitcnt vmcnt(32) lgkmcnt(0)
	v_fma_f64 v[127:128], v[139:140], v[131:132], v[127:128]
	s_waitcnt vmcnt(30)
	v_fma_f64 v[137:138], v[141:142], v[133:134], v[127:128]
	ds_read2_b64 v[127:130], v126 offset0:109 offset1:110
	ds_read2_b64 v[131:134], v126 offset0:111 offset1:112
	s_waitcnt vmcnt(28) lgkmcnt(1)
	v_fma_f64 v[127:128], v[143:144], v[127:128], v[137:138]
	s_clause 0x1
	buffer_load_dword v137, off, s[0:3], 0 offset:336
	buffer_load_dword v138, off, s[0:3], 0 offset:340
	s_waitcnt vmcnt(28)
	v_fma_f64 v[127:128], v[145:146], v[129:130], v[127:128]
	s_waitcnt vmcnt(26) lgkmcnt(0)
	v_fma_f64 v[127:128], v[147:148], v[131:132], v[127:128]
	s_waitcnt vmcnt(21)
	v_fma_f64 v[139:140], v[149:150], v[133:134], v[127:128]
	ds_read2_b64 v[127:130], v126 offset0:113 offset1:114
	ds_read2_b64 v[131:134], v126 offset0:115 offset1:116
	s_waitcnt vmcnt(20) lgkmcnt(1)
	v_fma_f64 v[127:128], v[155:156], v[127:128], v[139:140]
	s_waitcnt vmcnt(19)
	v_fma_f64 v[127:128], v[153:154], v[129:130], v[127:128]
	s_waitcnt vmcnt(18) lgkmcnt(0)
	v_fma_f64 v[127:128], v[151:152], v[131:132], v[127:128]
	s_waitcnt vmcnt(13)
	v_fma_f64 v[139:140], v[157:158], v[133:134], v[127:128]
	ds_read2_b64 v[127:130], v126 offset0:117 offset1:118
	ds_read2_b64 v[131:134], v126 offset0:119 offset1:120
	s_waitcnt vmcnt(12) lgkmcnt(1)
	v_fma_f64 v[127:128], v[163:164], v[127:128], v[139:140]
	s_waitcnt vmcnt(11)
	v_fma_f64 v[127:128], v[161:162], v[129:130], v[127:128]
	s_waitcnt vmcnt(10) lgkmcnt(0)
	v_fma_f64 v[127:128], v[159:160], v[131:132], v[127:128]
	s_waitcnt vmcnt(5)
	v_fma_f64 v[131:132], v[135:136], v[133:134], v[127:128]
	ds_read2_b64 v[127:130], v126 offset0:121 offset1:122
	ds_read_b64 v[133:134], v126 offset:984
	s_waitcnt vmcnt(4) lgkmcnt(1)
	v_fma_f64 v[127:128], v[169:170], v[127:128], v[131:132]
	s_waitcnt vmcnt(3)
	v_fma_f64 v[127:128], v[167:168], v[129:130], v[127:128]
	s_waitcnt vmcnt(2) lgkmcnt(0)
	v_fma_f64 v[127:128], v[165:166], v[133:134], v[127:128]
	s_waitcnt vmcnt(0)
	v_add_f64 v[127:128], v[137:138], -v[127:128]
	buffer_store_dword v128, off, s[0:3], 0 offset:340
	buffer_store_dword v127, off, s[0:3], 0 offset:336
	v_cmpx_lt_u32_e32 41, v0
	s_cbranch_execz .LBB125_299
; %bb.298:
	s_clause 0x1
	buffer_load_dword v127, off, s[0:3], 0 offset:328
	buffer_load_dword v128, off, s[0:3], 0 offset:332
	buffer_store_dword v126, off, s[0:3], 0 offset:328
	buffer_store_dword v126, off, s[0:3], 0 offset:332
	s_waitcnt vmcnt(0)
	ds_write_b64 v125, v[127:128]
.LBB125_299:
	s_or_b32 exec_lo, exec_lo, s4
	s_waitcnt lgkmcnt(0)
	s_waitcnt_vscnt null, 0x0
	s_barrier
	buffer_gl0_inv
	s_clause 0x1c
	buffer_load_dword v135, off, s[0:3], 0 offset:336
	buffer_load_dword v136, off, s[0:3], 0 offset:340
	;; [unrolled: 1-line block ×29, first 2 shown]
	ds_read_b128 v[127:130], v126 offset:832
	ds_read_b128 v[131:134], v126 offset:848
	buffer_load_dword v160, off, s[0:3], 0 offset:452
	s_mov_b32 s4, exec_lo
	s_waitcnt vmcnt(28) lgkmcnt(1)
	v_fma_f64 v[127:128], v[135:136], v[127:128], 0
	s_clause 0x7
	buffer_load_dword v136, off, s[0:3], 0 offset:460
	buffer_load_dword v165, off, s[0:3], 0 offset:480
	buffer_load_dword v167, off, s[0:3], 0 offset:472
	buffer_load_dword v169, off, s[0:3], 0 offset:464
	buffer_load_dword v135, off, s[0:3], 0 offset:456
	buffer_load_dword v170, off, s[0:3], 0 offset:468
	buffer_load_dword v168, off, s[0:3], 0 offset:476
	buffer_load_dword v166, off, s[0:3], 0 offset:484
	s_waitcnt vmcnt(34)
	v_fma_f64 v[127:128], v[137:138], v[129:130], v[127:128]
	s_waitcnt vmcnt(32) lgkmcnt(0)
	v_fma_f64 v[127:128], v[139:140], v[131:132], v[127:128]
	s_waitcnt vmcnt(30)
	v_fma_f64 v[137:138], v[141:142], v[133:134], v[127:128]
	ds_read_b128 v[127:130], v126 offset:864
	ds_read_b128 v[131:134], v126 offset:880
	s_waitcnt vmcnt(28) lgkmcnt(1)
	v_fma_f64 v[127:128], v[143:144], v[127:128], v[137:138]
	s_clause 0x3
	buffer_load_dword v138, off, s[0:3], 0 offset:492
	buffer_load_dword v137, off, s[0:3], 0 offset:488
	;; [unrolled: 1-line block ×4, first 2 shown]
	s_waitcnt vmcnt(30)
	v_fma_f64 v[127:128], v[145:146], v[129:130], v[127:128]
	s_waitcnt vmcnt(28) lgkmcnt(0)
	v_fma_f64 v[127:128], v[147:148], v[131:132], v[127:128]
	s_waitcnt vmcnt(23)
	v_fma_f64 v[141:142], v[149:150], v[133:134], v[127:128]
	ds_read_b128 v[127:130], v126 offset:896
	ds_read_b128 v[131:134], v126 offset:912
	s_waitcnt vmcnt(22) lgkmcnt(1)
	v_fma_f64 v[127:128], v[155:156], v[127:128], v[141:142]
	s_waitcnt vmcnt(21)
	v_fma_f64 v[127:128], v[153:154], v[129:130], v[127:128]
	s_waitcnt vmcnt(20) lgkmcnt(0)
	v_fma_f64 v[127:128], v[151:152], v[131:132], v[127:128]
	s_waitcnt vmcnt(15)
	v_fma_f64 v[141:142], v[157:158], v[133:134], v[127:128]
	ds_read_b128 v[127:130], v126 offset:928
	ds_read_b128 v[131:134], v126 offset:944
	s_waitcnt vmcnt(14) lgkmcnt(1)
	v_fma_f64 v[127:128], v[163:164], v[127:128], v[141:142]
	;; [unrolled: 10-line block ×3, first 2 shown]
	s_waitcnt vmcnt(5)
	v_fma_f64 v[126:127], v[167:168], v[129:130], v[126:127]
	s_waitcnt vmcnt(4) lgkmcnt(0)
	v_fma_f64 v[126:127], v[165:166], v[131:132], v[126:127]
	s_waitcnt vmcnt(2)
	v_fma_f64 v[126:127], v[137:138], v[133:134], v[126:127]
	s_waitcnt vmcnt(0)
	v_add_f64 v[126:127], v[139:140], -v[126:127]
	buffer_store_dword v127, off, s[0:3], 0 offset:332
	buffer_store_dword v126, off, s[0:3], 0 offset:328
	v_cmpx_lt_u32_e32 40, v0
	s_cbranch_execz .LBB125_301
; %bb.300:
	s_clause 0x1
	buffer_load_dword v126, off, s[0:3], 0 offset:320
	buffer_load_dword v127, off, s[0:3], 0 offset:324
	v_mov_b32_e32 v128, 0
	buffer_store_dword v128, off, s[0:3], 0 offset:320
	buffer_store_dword v128, off, s[0:3], 0 offset:324
	s_waitcnt vmcnt(0)
	ds_write_b64 v125, v[126:127]
.LBB125_301:
	s_or_b32 exec_lo, exec_lo, s4
	s_waitcnt lgkmcnt(0)
	s_waitcnt_vscnt null, 0x0
	s_barrier
	buffer_gl0_inv
	s_clause 0x1c
	buffer_load_dword v135, off, s[0:3], 0 offset:328
	buffer_load_dword v136, off, s[0:3], 0 offset:332
	;; [unrolled: 1-line block ×29, first 2 shown]
	v_mov_b32_e32 v126, 0
	buffer_load_dword v160, off, s[0:3], 0 offset:444
	s_mov_b32 s4, exec_lo
	ds_read2_b64 v[127:130], v126 offset0:103 offset1:104
	ds_read2_b64 v[131:134], v126 offset0:105 offset1:106
	s_waitcnt vmcnt(28) lgkmcnt(1)
	v_fma_f64 v[127:128], v[135:136], v[127:128], 0
	s_clause 0x7
	buffer_load_dword v136, off, s[0:3], 0 offset:452
	buffer_load_dword v165, off, s[0:3], 0 offset:472
	;; [unrolled: 1-line block ×8, first 2 shown]
	s_waitcnt vmcnt(34)
	v_fma_f64 v[127:128], v[137:138], v[129:130], v[127:128]
	s_waitcnt vmcnt(32) lgkmcnt(0)
	v_fma_f64 v[127:128], v[139:140], v[131:132], v[127:128]
	s_waitcnt vmcnt(30)
	v_fma_f64 v[137:138], v[141:142], v[133:134], v[127:128]
	ds_read2_b64 v[127:130], v126 offset0:107 offset1:108
	ds_read2_b64 v[131:134], v126 offset0:109 offset1:110
	s_waitcnt vmcnt(28) lgkmcnt(1)
	v_fma_f64 v[127:128], v[143:144], v[127:128], v[137:138]
	s_clause 0x5
	buffer_load_dword v138, off, s[0:3], 0 offset:484
	buffer_load_dword v139, off, s[0:3], 0 offset:488
	;; [unrolled: 1-line block ×6, first 2 shown]
	s_waitcnt vmcnt(32)
	v_fma_f64 v[127:128], v[145:146], v[129:130], v[127:128]
	s_waitcnt vmcnt(30) lgkmcnt(0)
	v_fma_f64 v[127:128], v[147:148], v[131:132], v[127:128]
	s_waitcnt vmcnt(25)
	v_fma_f64 v[143:144], v[149:150], v[133:134], v[127:128]
	ds_read2_b64 v[127:130], v126 offset0:111 offset1:112
	ds_read2_b64 v[131:134], v126 offset0:113 offset1:114
	s_waitcnt vmcnt(24) lgkmcnt(1)
	v_fma_f64 v[127:128], v[155:156], v[127:128], v[143:144]
	s_waitcnt vmcnt(23)
	v_fma_f64 v[127:128], v[153:154], v[129:130], v[127:128]
	s_waitcnt vmcnt(22) lgkmcnt(0)
	v_fma_f64 v[127:128], v[151:152], v[131:132], v[127:128]
	s_waitcnt vmcnt(17)
	v_fma_f64 v[143:144], v[157:158], v[133:134], v[127:128]
	ds_read2_b64 v[127:130], v126 offset0:115 offset1:116
	ds_read2_b64 v[131:134], v126 offset0:117 offset1:118
	s_waitcnt vmcnt(16) lgkmcnt(1)
	v_fma_f64 v[127:128], v[163:164], v[127:128], v[143:144]
	;; [unrolled: 10-line block ×3, first 2 shown]
	s_waitcnt vmcnt(7)
	v_fma_f64 v[127:128], v[167:168], v[129:130], v[127:128]
	ds_read_b64 v[129:130], v126 offset:984
	s_waitcnt vmcnt(6) lgkmcnt(1)
	v_fma_f64 v[127:128], v[165:166], v[131:132], v[127:128]
	s_waitcnt vmcnt(3)
	v_fma_f64 v[127:128], v[137:138], v[133:134], v[127:128]
	s_waitcnt vmcnt(2) lgkmcnt(0)
	v_fma_f64 v[127:128], v[139:140], v[129:130], v[127:128]
	s_waitcnt vmcnt(0)
	v_add_f64 v[127:128], v[141:142], -v[127:128]
	buffer_store_dword v128, off, s[0:3], 0 offset:324
	buffer_store_dword v127, off, s[0:3], 0 offset:320
	v_cmpx_lt_u32_e32 39, v0
	s_cbranch_execz .LBB125_303
; %bb.302:
	s_clause 0x1
	buffer_load_dword v127, off, s[0:3], 0 offset:312
	buffer_load_dword v128, off, s[0:3], 0 offset:316
	buffer_store_dword v126, off, s[0:3], 0 offset:312
	buffer_store_dword v126, off, s[0:3], 0 offset:316
	s_waitcnt vmcnt(0)
	ds_write_b64 v125, v[127:128]
.LBB125_303:
	s_or_b32 exec_lo, exec_lo, s4
	s_waitcnt lgkmcnt(0)
	s_waitcnt_vscnt null, 0x0
	s_barrier
	buffer_gl0_inv
	s_clause 0x1c
	buffer_load_dword v135, off, s[0:3], 0 offset:320
	buffer_load_dword v136, off, s[0:3], 0 offset:324
	;; [unrolled: 1-line block ×29, first 2 shown]
	ds_read_b128 v[127:130], v126 offset:816
	ds_read_b128 v[131:134], v126 offset:832
	buffer_load_dword v160, off, s[0:3], 0 offset:436
	s_mov_b32 s4, exec_lo
	s_waitcnt vmcnt(28) lgkmcnt(1)
	v_fma_f64 v[127:128], v[135:136], v[127:128], 0
	s_clause 0x7
	buffer_load_dword v136, off, s[0:3], 0 offset:444
	buffer_load_dword v165, off, s[0:3], 0 offset:464
	;; [unrolled: 1-line block ×8, first 2 shown]
	s_waitcnt vmcnt(34)
	v_fma_f64 v[127:128], v[137:138], v[129:130], v[127:128]
	s_waitcnt vmcnt(32) lgkmcnt(0)
	v_fma_f64 v[127:128], v[139:140], v[131:132], v[127:128]
	s_waitcnt vmcnt(30)
	v_fma_f64 v[137:138], v[141:142], v[133:134], v[127:128]
	ds_read_b128 v[127:130], v126 offset:848
	ds_read_b128 v[131:134], v126 offset:864
	s_waitcnt vmcnt(28) lgkmcnt(1)
	v_fma_f64 v[127:128], v[143:144], v[127:128], v[137:138]
	s_clause 0x5
	buffer_load_dword v138, off, s[0:3], 0 offset:476
	buffer_load_dword v139, off, s[0:3], 0 offset:488
	;; [unrolled: 1-line block ×6, first 2 shown]
	s_waitcnt vmcnt(32)
	v_fma_f64 v[127:128], v[145:146], v[129:130], v[127:128]
	s_waitcnt vmcnt(30) lgkmcnt(0)
	v_fma_f64 v[127:128], v[147:148], v[131:132], v[127:128]
	s_waitcnt vmcnt(25)
	v_fma_f64 v[143:144], v[149:150], v[133:134], v[127:128]
	ds_read_b128 v[127:130], v126 offset:880
	s_clause 0x1
	buffer_load_dword v145, off, s[0:3], 0 offset:312
	buffer_load_dword v146, off, s[0:3], 0 offset:316
	ds_read_b128 v[131:134], v126 offset:896
	s_waitcnt vmcnt(26) lgkmcnt(1)
	v_fma_f64 v[127:128], v[155:156], v[127:128], v[143:144]
	s_waitcnt vmcnt(25)
	v_fma_f64 v[127:128], v[153:154], v[129:130], v[127:128]
	s_waitcnt vmcnt(24) lgkmcnt(0)
	v_fma_f64 v[127:128], v[151:152], v[131:132], v[127:128]
	s_waitcnt vmcnt(19)
	v_fma_f64 v[143:144], v[157:158], v[133:134], v[127:128]
	ds_read_b128 v[127:130], v126 offset:912
	ds_read_b128 v[131:134], v126 offset:928
	s_waitcnt vmcnt(18) lgkmcnt(1)
	v_fma_f64 v[127:128], v[163:164], v[127:128], v[143:144]
	s_waitcnt vmcnt(17)
	v_fma_f64 v[127:128], v[161:162], v[129:130], v[127:128]
	s_waitcnt vmcnt(16) lgkmcnt(0)
	v_fma_f64 v[127:128], v[159:160], v[131:132], v[127:128]
	s_waitcnt vmcnt(11)
	v_fma_f64 v[135:136], v[135:136], v[133:134], v[127:128]
	ds_read_b128 v[127:130], v126 offset:944
	;; [unrolled: 10-line block ×3, first 2 shown]
	s_waitcnt vmcnt(3) lgkmcnt(0)
	v_fma_f64 v[126:127], v[141:142], v[126:127], v[130:131]
	s_waitcnt vmcnt(2)
	v_fma_f64 v[126:127], v[139:140], v[128:129], v[126:127]
	s_waitcnt vmcnt(0)
	v_add_f64 v[126:127], v[145:146], -v[126:127]
	buffer_store_dword v127, off, s[0:3], 0 offset:316
	buffer_store_dword v126, off, s[0:3], 0 offset:312
	v_cmpx_lt_u32_e32 38, v0
	s_cbranch_execz .LBB125_305
; %bb.304:
	s_clause 0x1
	buffer_load_dword v126, off, s[0:3], 0 offset:304
	buffer_load_dword v127, off, s[0:3], 0 offset:308
	v_mov_b32_e32 v128, 0
	buffer_store_dword v128, off, s[0:3], 0 offset:304
	buffer_store_dword v128, off, s[0:3], 0 offset:308
	s_waitcnt vmcnt(0)
	ds_write_b64 v125, v[126:127]
.LBB125_305:
	s_or_b32 exec_lo, exec_lo, s4
	s_waitcnt lgkmcnt(0)
	s_waitcnt_vscnt null, 0x0
	s_barrier
	buffer_gl0_inv
	s_clause 0x1c
	buffer_load_dword v135, off, s[0:3], 0 offset:312
	buffer_load_dword v136, off, s[0:3], 0 offset:316
	;; [unrolled: 1-line block ×29, first 2 shown]
	v_mov_b32_e32 v126, 0
	buffer_load_dword v160, off, s[0:3], 0 offset:428
	s_mov_b32 s4, exec_lo
	ds_read2_b64 v[127:130], v126 offset0:101 offset1:102
	ds_read2_b64 v[131:134], v126 offset0:103 offset1:104
	s_waitcnt vmcnt(28) lgkmcnt(1)
	v_fma_f64 v[127:128], v[135:136], v[127:128], 0
	s_clause 0x7
	buffer_load_dword v136, off, s[0:3], 0 offset:436
	buffer_load_dword v165, off, s[0:3], 0 offset:456
	;; [unrolled: 1-line block ×8, first 2 shown]
	s_waitcnt vmcnt(34)
	v_fma_f64 v[127:128], v[137:138], v[129:130], v[127:128]
	s_waitcnt vmcnt(32) lgkmcnt(0)
	v_fma_f64 v[127:128], v[139:140], v[131:132], v[127:128]
	s_waitcnt vmcnt(30)
	v_fma_f64 v[137:138], v[141:142], v[133:134], v[127:128]
	ds_read2_b64 v[127:130], v126 offset0:105 offset1:106
	ds_read2_b64 v[131:134], v126 offset0:107 offset1:108
	s_waitcnt vmcnt(28) lgkmcnt(1)
	v_fma_f64 v[127:128], v[143:144], v[127:128], v[137:138]
	s_clause 0x7
	buffer_load_dword v138, off, s[0:3], 0 offset:468
	buffer_load_dword v139, off, s[0:3], 0 offset:488
	;; [unrolled: 1-line block ×8, first 2 shown]
	s_waitcnt vmcnt(34)
	v_fma_f64 v[127:128], v[145:146], v[129:130], v[127:128]
	s_waitcnt vmcnt(32) lgkmcnt(0)
	v_fma_f64 v[127:128], v[147:148], v[131:132], v[127:128]
	s_waitcnt vmcnt(27)
	v_fma_f64 v[145:146], v[149:150], v[133:134], v[127:128]
	ds_read2_b64 v[127:130], v126 offset0:109 offset1:110
	ds_read2_b64 v[131:134], v126 offset0:111 offset1:112
	s_waitcnt vmcnt(26) lgkmcnt(1)
	v_fma_f64 v[127:128], v[155:156], v[127:128], v[145:146]
	s_clause 0x1
	buffer_load_dword v145, off, s[0:3], 0 offset:304
	buffer_load_dword v146, off, s[0:3], 0 offset:308
	s_waitcnt vmcnt(27)
	v_fma_f64 v[127:128], v[153:154], v[129:130], v[127:128]
	s_waitcnt vmcnt(26) lgkmcnt(0)
	v_fma_f64 v[127:128], v[151:152], v[131:132], v[127:128]
	s_waitcnt vmcnt(21)
	v_fma_f64 v[147:148], v[157:158], v[133:134], v[127:128]
	ds_read2_b64 v[127:130], v126 offset0:113 offset1:114
	ds_read2_b64 v[131:134], v126 offset0:115 offset1:116
	s_waitcnt vmcnt(20) lgkmcnt(1)
	v_fma_f64 v[127:128], v[163:164], v[127:128], v[147:148]
	s_waitcnt vmcnt(19)
	v_fma_f64 v[127:128], v[161:162], v[129:130], v[127:128]
	s_waitcnt vmcnt(18) lgkmcnt(0)
	v_fma_f64 v[127:128], v[159:160], v[131:132], v[127:128]
	s_waitcnt vmcnt(13)
	v_fma_f64 v[135:136], v[135:136], v[133:134], v[127:128]
	ds_read2_b64 v[127:130], v126 offset0:117 offset1:118
	ds_read2_b64 v[131:134], v126 offset0:119 offset1:120
	s_waitcnt vmcnt(12) lgkmcnt(1)
	v_fma_f64 v[127:128], v[169:170], v[127:128], v[135:136]
	s_waitcnt vmcnt(11)
	v_fma_f64 v[127:128], v[167:168], v[129:130], v[127:128]
	s_waitcnt vmcnt(10) lgkmcnt(0)
	v_fma_f64 v[127:128], v[165:166], v[131:132], v[127:128]
	s_waitcnt vmcnt(5)
	v_fma_f64 v[131:132], v[137:138], v[133:134], v[127:128]
	ds_read2_b64 v[127:130], v126 offset0:121 offset1:122
	ds_read_b64 v[133:134], v126 offset:984
	s_waitcnt vmcnt(4) lgkmcnt(1)
	v_fma_f64 v[127:128], v[143:144], v[127:128], v[131:132]
	s_waitcnt vmcnt(3)
	v_fma_f64 v[127:128], v[141:142], v[129:130], v[127:128]
	s_waitcnt vmcnt(2) lgkmcnt(0)
	v_fma_f64 v[127:128], v[139:140], v[133:134], v[127:128]
	s_waitcnt vmcnt(0)
	v_add_f64 v[127:128], v[145:146], -v[127:128]
	buffer_store_dword v128, off, s[0:3], 0 offset:308
	buffer_store_dword v127, off, s[0:3], 0 offset:304
	v_cmpx_lt_u32_e32 37, v0
	s_cbranch_execz .LBB125_307
; %bb.306:
	s_clause 0x1
	buffer_load_dword v127, off, s[0:3], 0 offset:296
	buffer_load_dword v128, off, s[0:3], 0 offset:300
	buffer_store_dword v126, off, s[0:3], 0 offset:296
	buffer_store_dword v126, off, s[0:3], 0 offset:300
	s_waitcnt vmcnt(0)
	ds_write_b64 v125, v[127:128]
.LBB125_307:
	s_or_b32 exec_lo, exec_lo, s4
	s_waitcnt lgkmcnt(0)
	s_waitcnt_vscnt null, 0x0
	s_barrier
	buffer_gl0_inv
	s_clause 0x1c
	buffer_load_dword v135, off, s[0:3], 0 offset:304
	buffer_load_dword v136, off, s[0:3], 0 offset:308
	;; [unrolled: 1-line block ×29, first 2 shown]
	ds_read_b128 v[127:130], v126 offset:800
	ds_read_b128 v[131:134], v126 offset:816
	buffer_load_dword v160, off, s[0:3], 0 offset:420
	s_mov_b32 s4, exec_lo
	s_waitcnt vmcnt(28) lgkmcnt(1)
	v_fma_f64 v[127:128], v[135:136], v[127:128], 0
	s_clause 0x7
	buffer_load_dword v136, off, s[0:3], 0 offset:428
	buffer_load_dword v165, off, s[0:3], 0 offset:448
	;; [unrolled: 1-line block ×8, first 2 shown]
	s_waitcnt vmcnt(34)
	v_fma_f64 v[127:128], v[137:138], v[129:130], v[127:128]
	s_waitcnt vmcnt(32) lgkmcnt(0)
	v_fma_f64 v[127:128], v[139:140], v[131:132], v[127:128]
	s_waitcnt vmcnt(30)
	v_fma_f64 v[137:138], v[141:142], v[133:134], v[127:128]
	ds_read_b128 v[127:130], v126 offset:832
	ds_read_b128 v[131:134], v126 offset:848
	s_waitcnt vmcnt(28) lgkmcnt(1)
	v_fma_f64 v[127:128], v[143:144], v[127:128], v[137:138]
	s_clause 0x7
	buffer_load_dword v138, off, s[0:3], 0 offset:460
	buffer_load_dword v139, off, s[0:3], 0 offset:480
	;; [unrolled: 1-line block ×8, first 2 shown]
	s_waitcnt vmcnt(34)
	v_fma_f64 v[127:128], v[145:146], v[129:130], v[127:128]
	s_waitcnt vmcnt(32) lgkmcnt(0)
	v_fma_f64 v[127:128], v[147:148], v[131:132], v[127:128]
	s_waitcnt vmcnt(27)
	v_fma_f64 v[145:146], v[149:150], v[133:134], v[127:128]
	ds_read_b128 v[127:130], v126 offset:864
	ds_read_b128 v[131:134], v126 offset:880
	s_waitcnt vmcnt(26) lgkmcnt(1)
	v_fma_f64 v[127:128], v[155:156], v[127:128], v[145:146]
	s_clause 0x3
	buffer_load_dword v146, off, s[0:3], 0 offset:492
	buffer_load_dword v145, off, s[0:3], 0 offset:488
	;; [unrolled: 1-line block ×4, first 2 shown]
	s_waitcnt vmcnt(29)
	v_fma_f64 v[127:128], v[153:154], v[129:130], v[127:128]
	s_waitcnt vmcnt(28) lgkmcnt(0)
	v_fma_f64 v[127:128], v[151:152], v[131:132], v[127:128]
	s_waitcnt vmcnt(23)
	v_fma_f64 v[149:150], v[157:158], v[133:134], v[127:128]
	ds_read_b128 v[127:130], v126 offset:896
	ds_read_b128 v[131:134], v126 offset:912
	s_waitcnt vmcnt(22) lgkmcnt(1)
	v_fma_f64 v[127:128], v[163:164], v[127:128], v[149:150]
	s_waitcnt vmcnt(21)
	v_fma_f64 v[127:128], v[161:162], v[129:130], v[127:128]
	s_waitcnt vmcnt(20) lgkmcnt(0)
	v_fma_f64 v[127:128], v[159:160], v[131:132], v[127:128]
	s_waitcnt vmcnt(15)
	v_fma_f64 v[135:136], v[135:136], v[133:134], v[127:128]
	ds_read_b128 v[127:130], v126 offset:928
	ds_read_b128 v[131:134], v126 offset:944
	s_waitcnt vmcnt(14) lgkmcnt(1)
	v_fma_f64 v[127:128], v[169:170], v[127:128], v[135:136]
	;; [unrolled: 10-line block ×3, first 2 shown]
	s_waitcnt vmcnt(5)
	v_fma_f64 v[126:127], v[141:142], v[129:130], v[126:127]
	s_waitcnt vmcnt(4) lgkmcnt(0)
	v_fma_f64 v[126:127], v[139:140], v[131:132], v[126:127]
	s_waitcnt vmcnt(2)
	v_fma_f64 v[126:127], v[145:146], v[133:134], v[126:127]
	s_waitcnt vmcnt(0)
	v_add_f64 v[126:127], v[147:148], -v[126:127]
	buffer_store_dword v127, off, s[0:3], 0 offset:300
	buffer_store_dword v126, off, s[0:3], 0 offset:296
	v_cmpx_lt_u32_e32 36, v0
	s_cbranch_execz .LBB125_309
; %bb.308:
	s_clause 0x1
	buffer_load_dword v126, off, s[0:3], 0 offset:288
	buffer_load_dword v127, off, s[0:3], 0 offset:292
	v_mov_b32_e32 v128, 0
	buffer_store_dword v128, off, s[0:3], 0 offset:288
	buffer_store_dword v128, off, s[0:3], 0 offset:292
	s_waitcnt vmcnt(0)
	ds_write_b64 v125, v[126:127]
.LBB125_309:
	s_or_b32 exec_lo, exec_lo, s4
	s_waitcnt lgkmcnt(0)
	s_waitcnt_vscnt null, 0x0
	s_barrier
	buffer_gl0_inv
	s_clause 0x1c
	buffer_load_dword v135, off, s[0:3], 0 offset:296
	buffer_load_dword v136, off, s[0:3], 0 offset:300
	;; [unrolled: 1-line block ×29, first 2 shown]
	v_mov_b32_e32 v126, 0
	buffer_load_dword v160, off, s[0:3], 0 offset:412
	s_mov_b32 s4, exec_lo
	ds_read2_b64 v[127:130], v126 offset0:99 offset1:100
	ds_read2_b64 v[131:134], v126 offset0:101 offset1:102
	s_waitcnt vmcnt(28) lgkmcnt(1)
	v_fma_f64 v[127:128], v[135:136], v[127:128], 0
	s_clause 0x7
	buffer_load_dword v136, off, s[0:3], 0 offset:420
	buffer_load_dword v165, off, s[0:3], 0 offset:440
	;; [unrolled: 1-line block ×8, first 2 shown]
	s_waitcnt vmcnt(34)
	v_fma_f64 v[127:128], v[137:138], v[129:130], v[127:128]
	s_waitcnt vmcnt(32) lgkmcnt(0)
	v_fma_f64 v[127:128], v[139:140], v[131:132], v[127:128]
	s_waitcnt vmcnt(30)
	v_fma_f64 v[137:138], v[141:142], v[133:134], v[127:128]
	ds_read2_b64 v[127:130], v126 offset0:103 offset1:104
	ds_read2_b64 v[131:134], v126 offset0:105 offset1:106
	s_waitcnt vmcnt(28) lgkmcnt(1)
	v_fma_f64 v[127:128], v[143:144], v[127:128], v[137:138]
	s_clause 0x7
	buffer_load_dword v138, off, s[0:3], 0 offset:452
	buffer_load_dword v139, off, s[0:3], 0 offset:472
	;; [unrolled: 1-line block ×8, first 2 shown]
	s_waitcnt vmcnt(34)
	v_fma_f64 v[127:128], v[145:146], v[129:130], v[127:128]
	s_waitcnt vmcnt(32) lgkmcnt(0)
	v_fma_f64 v[127:128], v[147:148], v[131:132], v[127:128]
	s_waitcnt vmcnt(27)
	v_fma_f64 v[145:146], v[149:150], v[133:134], v[127:128]
	ds_read2_b64 v[127:130], v126 offset0:107 offset1:108
	ds_read2_b64 v[131:134], v126 offset0:109 offset1:110
	s_waitcnt vmcnt(26) lgkmcnt(1)
	v_fma_f64 v[127:128], v[155:156], v[127:128], v[145:146]
	s_clause 0x5
	buffer_load_dword v146, off, s[0:3], 0 offset:484
	buffer_load_dword v147, off, s[0:3], 0 offset:488
	buffer_load_dword v145, off, s[0:3], 0 offset:480
	buffer_load_dword v148, off, s[0:3], 0 offset:492
	buffer_load_dword v149, off, s[0:3], 0 offset:288
	buffer_load_dword v150, off, s[0:3], 0 offset:292
	s_waitcnt vmcnt(31)
	v_fma_f64 v[127:128], v[153:154], v[129:130], v[127:128]
	s_waitcnt vmcnt(30) lgkmcnt(0)
	v_fma_f64 v[127:128], v[151:152], v[131:132], v[127:128]
	s_waitcnt vmcnt(25)
	v_fma_f64 v[151:152], v[157:158], v[133:134], v[127:128]
	ds_read2_b64 v[127:130], v126 offset0:111 offset1:112
	ds_read2_b64 v[131:134], v126 offset0:113 offset1:114
	s_waitcnt vmcnt(24) lgkmcnt(1)
	v_fma_f64 v[127:128], v[163:164], v[127:128], v[151:152]
	s_waitcnt vmcnt(23)
	v_fma_f64 v[127:128], v[161:162], v[129:130], v[127:128]
	s_waitcnt vmcnt(22) lgkmcnt(0)
	v_fma_f64 v[127:128], v[159:160], v[131:132], v[127:128]
	s_waitcnt vmcnt(17)
	v_fma_f64 v[135:136], v[135:136], v[133:134], v[127:128]
	ds_read2_b64 v[127:130], v126 offset0:115 offset1:116
	ds_read2_b64 v[131:134], v126 offset0:117 offset1:118
	s_waitcnt vmcnt(16) lgkmcnt(1)
	v_fma_f64 v[127:128], v[169:170], v[127:128], v[135:136]
	;; [unrolled: 10-line block ×3, first 2 shown]
	s_waitcnt vmcnt(7)
	v_fma_f64 v[127:128], v[141:142], v[129:130], v[127:128]
	ds_read_b64 v[129:130], v126 offset:984
	s_waitcnt vmcnt(6) lgkmcnt(1)
	v_fma_f64 v[127:128], v[139:140], v[131:132], v[127:128]
	s_waitcnt vmcnt(3)
	v_fma_f64 v[127:128], v[145:146], v[133:134], v[127:128]
	s_waitcnt vmcnt(2) lgkmcnt(0)
	v_fma_f64 v[127:128], v[147:148], v[129:130], v[127:128]
	s_waitcnt vmcnt(0)
	v_add_f64 v[127:128], v[149:150], -v[127:128]
	buffer_store_dword v128, off, s[0:3], 0 offset:292
	buffer_store_dword v127, off, s[0:3], 0 offset:288
	v_cmpx_lt_u32_e32 35, v0
	s_cbranch_execz .LBB125_311
; %bb.310:
	s_clause 0x1
	buffer_load_dword v127, off, s[0:3], 0 offset:280
	buffer_load_dword v128, off, s[0:3], 0 offset:284
	buffer_store_dword v126, off, s[0:3], 0 offset:280
	buffer_store_dword v126, off, s[0:3], 0 offset:284
	s_waitcnt vmcnt(0)
	ds_write_b64 v125, v[127:128]
.LBB125_311:
	s_or_b32 exec_lo, exec_lo, s4
	s_waitcnt lgkmcnt(0)
	s_waitcnt_vscnt null, 0x0
	s_barrier
	buffer_gl0_inv
	s_clause 0x1c
	buffer_load_dword v135, off, s[0:3], 0 offset:288
	buffer_load_dword v136, off, s[0:3], 0 offset:292
	;; [unrolled: 1-line block ×29, first 2 shown]
	ds_read_b128 v[127:130], v126 offset:784
	ds_read_b128 v[131:134], v126 offset:800
	buffer_load_dword v160, off, s[0:3], 0 offset:404
	s_mov_b32 s4, exec_lo
	s_waitcnt vmcnt(28) lgkmcnt(1)
	v_fma_f64 v[127:128], v[135:136], v[127:128], 0
	s_clause 0x7
	buffer_load_dword v136, off, s[0:3], 0 offset:412
	buffer_load_dword v165, off, s[0:3], 0 offset:432
	;; [unrolled: 1-line block ×8, first 2 shown]
	s_waitcnt vmcnt(34)
	v_fma_f64 v[127:128], v[137:138], v[129:130], v[127:128]
	s_waitcnt vmcnt(32) lgkmcnt(0)
	v_fma_f64 v[127:128], v[139:140], v[131:132], v[127:128]
	s_waitcnt vmcnt(30)
	v_fma_f64 v[137:138], v[141:142], v[133:134], v[127:128]
	ds_read_b128 v[127:130], v126 offset:816
	ds_read_b128 v[131:134], v126 offset:832
	s_waitcnt vmcnt(28) lgkmcnt(1)
	v_fma_f64 v[127:128], v[143:144], v[127:128], v[137:138]
	s_clause 0x7
	buffer_load_dword v138, off, s[0:3], 0 offset:444
	buffer_load_dword v139, off, s[0:3], 0 offset:464
	;; [unrolled: 1-line block ×8, first 2 shown]
	s_waitcnt vmcnt(34)
	v_fma_f64 v[127:128], v[145:146], v[129:130], v[127:128]
	s_waitcnt vmcnt(32) lgkmcnt(0)
	v_fma_f64 v[127:128], v[147:148], v[131:132], v[127:128]
	s_waitcnt vmcnt(27)
	v_fma_f64 v[145:146], v[149:150], v[133:134], v[127:128]
	ds_read_b128 v[127:130], v126 offset:848
	ds_read_b128 v[131:134], v126 offset:864
	s_waitcnt vmcnt(26) lgkmcnt(1)
	v_fma_f64 v[127:128], v[155:156], v[127:128], v[145:146]
	s_clause 0x5
	buffer_load_dword v146, off, s[0:3], 0 offset:476
	buffer_load_dword v147, off, s[0:3], 0 offset:488
	;; [unrolled: 1-line block ×6, first 2 shown]
	s_waitcnt vmcnt(31)
	v_fma_f64 v[127:128], v[153:154], v[129:130], v[127:128]
	s_waitcnt vmcnt(30) lgkmcnt(0)
	v_fma_f64 v[127:128], v[151:152], v[131:132], v[127:128]
	s_waitcnt vmcnt(25)
	v_fma_f64 v[151:152], v[157:158], v[133:134], v[127:128]
	ds_read_b128 v[127:130], v126 offset:880
	s_clause 0x1
	buffer_load_dword v153, off, s[0:3], 0 offset:280
	buffer_load_dword v154, off, s[0:3], 0 offset:284
	ds_read_b128 v[131:134], v126 offset:896
	s_waitcnt vmcnt(26) lgkmcnt(1)
	v_fma_f64 v[127:128], v[163:164], v[127:128], v[151:152]
	s_waitcnt vmcnt(25)
	v_fma_f64 v[127:128], v[161:162], v[129:130], v[127:128]
	s_waitcnt vmcnt(24) lgkmcnt(0)
	v_fma_f64 v[127:128], v[159:160], v[131:132], v[127:128]
	s_waitcnt vmcnt(19)
	v_fma_f64 v[135:136], v[135:136], v[133:134], v[127:128]
	ds_read_b128 v[127:130], v126 offset:912
	ds_read_b128 v[131:134], v126 offset:928
	s_waitcnt vmcnt(18) lgkmcnt(1)
	v_fma_f64 v[127:128], v[169:170], v[127:128], v[135:136]
	s_waitcnt vmcnt(17)
	v_fma_f64 v[127:128], v[167:168], v[129:130], v[127:128]
	s_waitcnt vmcnt(16) lgkmcnt(0)
	v_fma_f64 v[127:128], v[165:166], v[131:132], v[127:128]
	s_waitcnt vmcnt(11)
	v_fma_f64 v[135:136], v[137:138], v[133:134], v[127:128]
	ds_read_b128 v[127:130], v126 offset:944
	;; [unrolled: 10-line block ×3, first 2 shown]
	s_waitcnt vmcnt(3) lgkmcnt(0)
	v_fma_f64 v[126:127], v[149:150], v[126:127], v[130:131]
	s_waitcnt vmcnt(2)
	v_fma_f64 v[126:127], v[147:148], v[128:129], v[126:127]
	s_waitcnt vmcnt(0)
	v_add_f64 v[126:127], v[153:154], -v[126:127]
	buffer_store_dword v127, off, s[0:3], 0 offset:284
	buffer_store_dword v126, off, s[0:3], 0 offset:280
	v_cmpx_lt_u32_e32 34, v0
	s_cbranch_execz .LBB125_313
; %bb.312:
	s_clause 0x1
	buffer_load_dword v126, off, s[0:3], 0 offset:272
	buffer_load_dword v127, off, s[0:3], 0 offset:276
	v_mov_b32_e32 v128, 0
	buffer_store_dword v128, off, s[0:3], 0 offset:272
	buffer_store_dword v128, off, s[0:3], 0 offset:276
	s_waitcnt vmcnt(0)
	ds_write_b64 v125, v[126:127]
.LBB125_313:
	s_or_b32 exec_lo, exec_lo, s4
	s_waitcnt lgkmcnt(0)
	s_waitcnt_vscnt null, 0x0
	s_barrier
	buffer_gl0_inv
	s_clause 0x1c
	buffer_load_dword v135, off, s[0:3], 0 offset:280
	buffer_load_dword v136, off, s[0:3], 0 offset:284
	;; [unrolled: 1-line block ×29, first 2 shown]
	v_mov_b32_e32 v126, 0
	buffer_load_dword v160, off, s[0:3], 0 offset:396
	s_mov_b32 s4, exec_lo
	ds_read2_b64 v[127:130], v126 offset0:97 offset1:98
	ds_read2_b64 v[131:134], v126 offset0:99 offset1:100
	s_waitcnt vmcnt(28) lgkmcnt(1)
	v_fma_f64 v[127:128], v[135:136], v[127:128], 0
	s_clause 0x7
	buffer_load_dword v136, off, s[0:3], 0 offset:404
	buffer_load_dword v165, off, s[0:3], 0 offset:424
	buffer_load_dword v167, off, s[0:3], 0 offset:416
	buffer_load_dword v169, off, s[0:3], 0 offset:408
	buffer_load_dword v135, off, s[0:3], 0 offset:400
	buffer_load_dword v170, off, s[0:3], 0 offset:412
	buffer_load_dword v168, off, s[0:3], 0 offset:420
	buffer_load_dword v166, off, s[0:3], 0 offset:428
	s_waitcnt vmcnt(34)
	v_fma_f64 v[127:128], v[137:138], v[129:130], v[127:128]
	s_waitcnt vmcnt(32) lgkmcnt(0)
	v_fma_f64 v[127:128], v[139:140], v[131:132], v[127:128]
	s_waitcnt vmcnt(30)
	v_fma_f64 v[137:138], v[141:142], v[133:134], v[127:128]
	ds_read2_b64 v[127:130], v126 offset0:101 offset1:102
	ds_read2_b64 v[131:134], v126 offset0:103 offset1:104
	s_waitcnt vmcnt(28) lgkmcnt(1)
	v_fma_f64 v[127:128], v[143:144], v[127:128], v[137:138]
	s_clause 0x7
	buffer_load_dword v138, off, s[0:3], 0 offset:436
	buffer_load_dword v139, off, s[0:3], 0 offset:456
	buffer_load_dword v141, off, s[0:3], 0 offset:448
	buffer_load_dword v143, off, s[0:3], 0 offset:440
	buffer_load_dword v137, off, s[0:3], 0 offset:432
	buffer_load_dword v144, off, s[0:3], 0 offset:444
	buffer_load_dword v142, off, s[0:3], 0 offset:452
	buffer_load_dword v140, off, s[0:3], 0 offset:460
	s_waitcnt vmcnt(34)
	v_fma_f64 v[127:128], v[145:146], v[129:130], v[127:128]
	s_waitcnt vmcnt(32) lgkmcnt(0)
	v_fma_f64 v[127:128], v[147:148], v[131:132], v[127:128]
	s_waitcnt vmcnt(27)
	v_fma_f64 v[145:146], v[149:150], v[133:134], v[127:128]
	;; [unrolled: 19-line block ×3, first 2 shown]
	ds_read2_b64 v[127:130], v126 offset0:109 offset1:110
	ds_read2_b64 v[131:134], v126 offset0:111 offset1:112
	s_waitcnt vmcnt(26) lgkmcnt(1)
	v_fma_f64 v[127:128], v[163:164], v[127:128], v[151:152]
	s_clause 0x1
	buffer_load_dword v151, off, s[0:3], 0 offset:272
	buffer_load_dword v152, off, s[0:3], 0 offset:276
	s_waitcnt vmcnt(27)
	v_fma_f64 v[127:128], v[161:162], v[129:130], v[127:128]
	s_waitcnt vmcnt(26) lgkmcnt(0)
	v_fma_f64 v[127:128], v[159:160], v[131:132], v[127:128]
	s_waitcnt vmcnt(21)
	v_fma_f64 v[135:136], v[135:136], v[133:134], v[127:128]
	ds_read2_b64 v[127:130], v126 offset0:113 offset1:114
	ds_read2_b64 v[131:134], v126 offset0:115 offset1:116
	s_waitcnt vmcnt(20) lgkmcnt(1)
	v_fma_f64 v[127:128], v[169:170], v[127:128], v[135:136]
	s_waitcnt vmcnt(19)
	v_fma_f64 v[127:128], v[167:168], v[129:130], v[127:128]
	s_waitcnt vmcnt(18) lgkmcnt(0)
	v_fma_f64 v[127:128], v[165:166], v[131:132], v[127:128]
	s_waitcnt vmcnt(13)
	v_fma_f64 v[135:136], v[137:138], v[133:134], v[127:128]
	ds_read2_b64 v[127:130], v126 offset0:117 offset1:118
	ds_read2_b64 v[131:134], v126 offset0:119 offset1:120
	s_waitcnt vmcnt(12) lgkmcnt(1)
	v_fma_f64 v[127:128], v[143:144], v[127:128], v[135:136]
	s_waitcnt vmcnt(11)
	v_fma_f64 v[127:128], v[141:142], v[129:130], v[127:128]
	s_waitcnt vmcnt(10) lgkmcnt(0)
	v_fma_f64 v[127:128], v[139:140], v[131:132], v[127:128]
	s_waitcnt vmcnt(5)
	v_fma_f64 v[131:132], v[145:146], v[133:134], v[127:128]
	ds_read2_b64 v[127:130], v126 offset0:121 offset1:122
	ds_read_b64 v[133:134], v126 offset:984
	s_waitcnt vmcnt(4) lgkmcnt(1)
	v_fma_f64 v[127:128], v[155:156], v[127:128], v[131:132]
	s_waitcnt vmcnt(3)
	v_fma_f64 v[127:128], v[149:150], v[129:130], v[127:128]
	s_waitcnt vmcnt(2) lgkmcnt(0)
	v_fma_f64 v[127:128], v[147:148], v[133:134], v[127:128]
	s_waitcnt vmcnt(0)
	v_add_f64 v[127:128], v[151:152], -v[127:128]
	buffer_store_dword v128, off, s[0:3], 0 offset:276
	buffer_store_dword v127, off, s[0:3], 0 offset:272
	v_cmpx_lt_u32_e32 33, v0
	s_cbranch_execz .LBB125_315
; %bb.314:
	s_clause 0x1
	buffer_load_dword v127, off, s[0:3], 0 offset:264
	buffer_load_dword v128, off, s[0:3], 0 offset:268
	buffer_store_dword v126, off, s[0:3], 0 offset:264
	buffer_store_dword v126, off, s[0:3], 0 offset:268
	s_waitcnt vmcnt(0)
	ds_write_b64 v125, v[127:128]
.LBB125_315:
	s_or_b32 exec_lo, exec_lo, s4
	s_waitcnt lgkmcnt(0)
	s_waitcnt_vscnt null, 0x0
	s_barrier
	buffer_gl0_inv
	s_clause 0x1c
	buffer_load_dword v135, off, s[0:3], 0 offset:272
	buffer_load_dword v136, off, s[0:3], 0 offset:276
	;; [unrolled: 1-line block ×29, first 2 shown]
	ds_read_b128 v[127:130], v126 offset:768
	ds_read_b128 v[131:134], v126 offset:784
	buffer_load_dword v160, off, s[0:3], 0 offset:388
	s_mov_b32 s4, exec_lo
	s_waitcnt vmcnt(28) lgkmcnt(1)
	v_fma_f64 v[127:128], v[135:136], v[127:128], 0
	s_clause 0x7
	buffer_load_dword v136, off, s[0:3], 0 offset:396
	buffer_load_dword v165, off, s[0:3], 0 offset:416
	buffer_load_dword v167, off, s[0:3], 0 offset:408
	buffer_load_dword v169, off, s[0:3], 0 offset:400
	buffer_load_dword v135, off, s[0:3], 0 offset:392
	buffer_load_dword v170, off, s[0:3], 0 offset:404
	buffer_load_dword v168, off, s[0:3], 0 offset:412
	buffer_load_dword v166, off, s[0:3], 0 offset:420
	s_waitcnt vmcnt(34)
	v_fma_f64 v[127:128], v[137:138], v[129:130], v[127:128]
	s_waitcnt vmcnt(32) lgkmcnt(0)
	v_fma_f64 v[127:128], v[139:140], v[131:132], v[127:128]
	s_waitcnt vmcnt(30)
	v_fma_f64 v[137:138], v[141:142], v[133:134], v[127:128]
	ds_read_b128 v[127:130], v126 offset:800
	ds_read_b128 v[131:134], v126 offset:816
	s_waitcnt vmcnt(28) lgkmcnt(1)
	v_fma_f64 v[127:128], v[143:144], v[127:128], v[137:138]
	s_clause 0x7
	buffer_load_dword v138, off, s[0:3], 0 offset:428
	buffer_load_dword v139, off, s[0:3], 0 offset:448
	buffer_load_dword v141, off, s[0:3], 0 offset:440
	buffer_load_dword v143, off, s[0:3], 0 offset:432
	buffer_load_dword v137, off, s[0:3], 0 offset:424
	buffer_load_dword v144, off, s[0:3], 0 offset:436
	buffer_load_dword v142, off, s[0:3], 0 offset:444
	buffer_load_dword v140, off, s[0:3], 0 offset:452
	s_waitcnt vmcnt(34)
	v_fma_f64 v[127:128], v[145:146], v[129:130], v[127:128]
	s_waitcnt vmcnt(32) lgkmcnt(0)
	v_fma_f64 v[127:128], v[147:148], v[131:132], v[127:128]
	s_waitcnt vmcnt(27)
	v_fma_f64 v[145:146], v[149:150], v[133:134], v[127:128]
	ds_read_b128 v[127:130], v126 offset:832
	ds_read_b128 v[131:134], v126 offset:848
	;; [unrolled: 19-line block ×3, first 2 shown]
	s_waitcnt vmcnt(26) lgkmcnt(1)
	v_fma_f64 v[127:128], v[163:164], v[127:128], v[151:152]
	s_clause 0x3
	buffer_load_dword v152, off, s[0:3], 0 offset:492
	buffer_load_dword v151, off, s[0:3], 0 offset:488
	buffer_load_dword v153, off, s[0:3], 0 offset:264
	buffer_load_dword v154, off, s[0:3], 0 offset:268
	s_waitcnt vmcnt(29)
	v_fma_f64 v[127:128], v[161:162], v[129:130], v[127:128]
	s_waitcnt vmcnt(28) lgkmcnt(0)
	v_fma_f64 v[127:128], v[159:160], v[131:132], v[127:128]
	s_waitcnt vmcnt(23)
	v_fma_f64 v[135:136], v[135:136], v[133:134], v[127:128]
	ds_read_b128 v[127:130], v126 offset:896
	ds_read_b128 v[131:134], v126 offset:912
	s_waitcnt vmcnt(22) lgkmcnt(1)
	v_fma_f64 v[127:128], v[169:170], v[127:128], v[135:136]
	s_waitcnt vmcnt(21)
	v_fma_f64 v[127:128], v[167:168], v[129:130], v[127:128]
	s_waitcnt vmcnt(20) lgkmcnt(0)
	v_fma_f64 v[127:128], v[165:166], v[131:132], v[127:128]
	s_waitcnt vmcnt(15)
	v_fma_f64 v[135:136], v[137:138], v[133:134], v[127:128]
	ds_read_b128 v[127:130], v126 offset:928
	ds_read_b128 v[131:134], v126 offset:944
	s_waitcnt vmcnt(14) lgkmcnt(1)
	v_fma_f64 v[127:128], v[143:144], v[127:128], v[135:136]
	;; [unrolled: 10-line block ×3, first 2 shown]
	s_waitcnt vmcnt(5)
	v_fma_f64 v[126:127], v[149:150], v[129:130], v[126:127]
	s_waitcnt vmcnt(4) lgkmcnt(0)
	v_fma_f64 v[126:127], v[147:148], v[131:132], v[126:127]
	s_waitcnt vmcnt(2)
	v_fma_f64 v[126:127], v[151:152], v[133:134], v[126:127]
	s_waitcnt vmcnt(0)
	v_add_f64 v[126:127], v[153:154], -v[126:127]
	buffer_store_dword v127, off, s[0:3], 0 offset:268
	buffer_store_dword v126, off, s[0:3], 0 offset:264
	v_cmpx_lt_u32_e32 32, v0
	s_cbranch_execz .LBB125_317
; %bb.316:
	s_clause 0x1
	buffer_load_dword v126, off, s[0:3], 0 offset:256
	buffer_load_dword v127, off, s[0:3], 0 offset:260
	v_mov_b32_e32 v128, 0
	buffer_store_dword v128, off, s[0:3], 0 offset:256
	buffer_store_dword v128, off, s[0:3], 0 offset:260
	s_waitcnt vmcnt(0)
	ds_write_b64 v125, v[126:127]
.LBB125_317:
	s_or_b32 exec_lo, exec_lo, s4
	s_waitcnt lgkmcnt(0)
	s_waitcnt_vscnt null, 0x0
	s_barrier
	buffer_gl0_inv
	s_clause 0x1c
	buffer_load_dword v135, off, s[0:3], 0 offset:264
	buffer_load_dword v136, off, s[0:3], 0 offset:268
	;; [unrolled: 1-line block ×29, first 2 shown]
	v_mov_b32_e32 v126, 0
	buffer_load_dword v160, off, s[0:3], 0 offset:380
	s_mov_b32 s4, exec_lo
	ds_read2_b64 v[127:130], v126 offset0:95 offset1:96
	ds_read2_b64 v[131:134], v126 offset0:97 offset1:98
	s_waitcnt vmcnt(28) lgkmcnt(1)
	v_fma_f64 v[127:128], v[135:136], v[127:128], 0
	s_clause 0x7
	buffer_load_dword v136, off, s[0:3], 0 offset:388
	buffer_load_dword v165, off, s[0:3], 0 offset:408
	buffer_load_dword v167, off, s[0:3], 0 offset:400
	buffer_load_dword v169, off, s[0:3], 0 offset:392
	buffer_load_dword v135, off, s[0:3], 0 offset:384
	buffer_load_dword v170, off, s[0:3], 0 offset:396
	buffer_load_dword v168, off, s[0:3], 0 offset:404
	buffer_load_dword v166, off, s[0:3], 0 offset:412
	s_waitcnt vmcnt(34)
	v_fma_f64 v[127:128], v[137:138], v[129:130], v[127:128]
	s_waitcnt vmcnt(32) lgkmcnt(0)
	v_fma_f64 v[127:128], v[139:140], v[131:132], v[127:128]
	s_waitcnt vmcnt(30)
	v_fma_f64 v[137:138], v[141:142], v[133:134], v[127:128]
	ds_read2_b64 v[127:130], v126 offset0:99 offset1:100
	ds_read2_b64 v[131:134], v126 offset0:101 offset1:102
	s_waitcnt vmcnt(28) lgkmcnt(1)
	v_fma_f64 v[127:128], v[143:144], v[127:128], v[137:138]
	s_clause 0x7
	buffer_load_dword v138, off, s[0:3], 0 offset:420
	buffer_load_dword v139, off, s[0:3], 0 offset:440
	buffer_load_dword v141, off, s[0:3], 0 offset:432
	buffer_load_dword v143, off, s[0:3], 0 offset:424
	buffer_load_dword v137, off, s[0:3], 0 offset:416
	buffer_load_dword v144, off, s[0:3], 0 offset:428
	buffer_load_dword v142, off, s[0:3], 0 offset:436
	buffer_load_dword v140, off, s[0:3], 0 offset:444
	s_waitcnt vmcnt(34)
	v_fma_f64 v[127:128], v[145:146], v[129:130], v[127:128]
	s_waitcnt vmcnt(32) lgkmcnt(0)
	v_fma_f64 v[127:128], v[147:148], v[131:132], v[127:128]
	s_waitcnt vmcnt(27)
	v_fma_f64 v[145:146], v[149:150], v[133:134], v[127:128]
	;; [unrolled: 19-line block ×3, first 2 shown]
	ds_read2_b64 v[127:130], v126 offset0:107 offset1:108
	ds_read2_b64 v[131:134], v126 offset0:109 offset1:110
	s_waitcnt vmcnt(26) lgkmcnt(1)
	v_fma_f64 v[127:128], v[163:164], v[127:128], v[151:152]
	s_clause 0x5
	buffer_load_dword v152, off, s[0:3], 0 offset:484
	buffer_load_dword v153, off, s[0:3], 0 offset:488
	;; [unrolled: 1-line block ×6, first 2 shown]
	s_waitcnt vmcnt(31)
	v_fma_f64 v[127:128], v[161:162], v[129:130], v[127:128]
	s_waitcnt vmcnt(30) lgkmcnt(0)
	v_fma_f64 v[127:128], v[159:160], v[131:132], v[127:128]
	s_waitcnt vmcnt(25)
	v_fma_f64 v[135:136], v[135:136], v[133:134], v[127:128]
	ds_read2_b64 v[127:130], v126 offset0:111 offset1:112
	ds_read2_b64 v[131:134], v126 offset0:113 offset1:114
	s_waitcnt vmcnt(24) lgkmcnt(1)
	v_fma_f64 v[127:128], v[169:170], v[127:128], v[135:136]
	s_waitcnt vmcnt(23)
	v_fma_f64 v[127:128], v[167:168], v[129:130], v[127:128]
	s_waitcnt vmcnt(22) lgkmcnt(0)
	v_fma_f64 v[127:128], v[165:166], v[131:132], v[127:128]
	s_waitcnt vmcnt(17)
	v_fma_f64 v[135:136], v[137:138], v[133:134], v[127:128]
	ds_read2_b64 v[127:130], v126 offset0:115 offset1:116
	ds_read2_b64 v[131:134], v126 offset0:117 offset1:118
	s_waitcnt vmcnt(16) lgkmcnt(1)
	v_fma_f64 v[127:128], v[143:144], v[127:128], v[135:136]
	;; [unrolled: 10-line block ×3, first 2 shown]
	s_waitcnt vmcnt(7)
	v_fma_f64 v[127:128], v[149:150], v[129:130], v[127:128]
	ds_read_b64 v[129:130], v126 offset:984
	s_waitcnt vmcnt(6) lgkmcnt(1)
	v_fma_f64 v[127:128], v[147:148], v[131:132], v[127:128]
	s_waitcnt vmcnt(3)
	v_fma_f64 v[127:128], v[151:152], v[133:134], v[127:128]
	s_waitcnt vmcnt(2) lgkmcnt(0)
	v_fma_f64 v[127:128], v[153:154], v[129:130], v[127:128]
	s_waitcnt vmcnt(0)
	v_add_f64 v[127:128], v[157:158], -v[127:128]
	buffer_store_dword v128, off, s[0:3], 0 offset:260
	buffer_store_dword v127, off, s[0:3], 0 offset:256
	v_cmpx_lt_u32_e32 31, v0
	s_cbranch_execz .LBB125_319
; %bb.318:
	s_clause 0x1
	buffer_load_dword v127, off, s[0:3], 0 offset:248
	buffer_load_dword v128, off, s[0:3], 0 offset:252
	buffer_store_dword v126, off, s[0:3], 0 offset:248
	buffer_store_dword v126, off, s[0:3], 0 offset:252
	s_waitcnt vmcnt(0)
	ds_write_b64 v125, v[127:128]
.LBB125_319:
	s_or_b32 exec_lo, exec_lo, s4
	s_waitcnt lgkmcnt(0)
	s_waitcnt_vscnt null, 0x0
	s_barrier
	buffer_gl0_inv
	s_clause 0x1c
	buffer_load_dword v135, off, s[0:3], 0 offset:256
	buffer_load_dword v136, off, s[0:3], 0 offset:260
	;; [unrolled: 1-line block ×29, first 2 shown]
	ds_read_b128 v[127:130], v126 offset:752
	ds_read_b128 v[131:134], v126 offset:768
	buffer_load_dword v160, off, s[0:3], 0 offset:372
	s_mov_b32 s4, exec_lo
	s_waitcnt vmcnt(28) lgkmcnt(1)
	v_fma_f64 v[127:128], v[135:136], v[127:128], 0
	s_clause 0x7
	buffer_load_dword v136, off, s[0:3], 0 offset:380
	buffer_load_dword v165, off, s[0:3], 0 offset:400
	buffer_load_dword v167, off, s[0:3], 0 offset:392
	buffer_load_dword v169, off, s[0:3], 0 offset:384
	buffer_load_dword v135, off, s[0:3], 0 offset:376
	buffer_load_dword v170, off, s[0:3], 0 offset:388
	buffer_load_dword v168, off, s[0:3], 0 offset:396
	buffer_load_dword v166, off, s[0:3], 0 offset:404
	s_waitcnt vmcnt(34)
	v_fma_f64 v[127:128], v[137:138], v[129:130], v[127:128]
	s_waitcnt vmcnt(32) lgkmcnt(0)
	v_fma_f64 v[127:128], v[139:140], v[131:132], v[127:128]
	s_waitcnt vmcnt(30)
	v_fma_f64 v[137:138], v[141:142], v[133:134], v[127:128]
	ds_read_b128 v[127:130], v126 offset:784
	ds_read_b128 v[131:134], v126 offset:800
	s_waitcnt vmcnt(28) lgkmcnt(1)
	v_fma_f64 v[127:128], v[143:144], v[127:128], v[137:138]
	s_clause 0x7
	buffer_load_dword v138, off, s[0:3], 0 offset:412
	buffer_load_dword v139, off, s[0:3], 0 offset:432
	buffer_load_dword v141, off, s[0:3], 0 offset:424
	buffer_load_dword v143, off, s[0:3], 0 offset:416
	buffer_load_dword v137, off, s[0:3], 0 offset:408
	buffer_load_dword v144, off, s[0:3], 0 offset:420
	buffer_load_dword v142, off, s[0:3], 0 offset:428
	buffer_load_dword v140, off, s[0:3], 0 offset:436
	s_waitcnt vmcnt(34)
	v_fma_f64 v[127:128], v[145:146], v[129:130], v[127:128]
	s_waitcnt vmcnt(32) lgkmcnt(0)
	v_fma_f64 v[127:128], v[147:148], v[131:132], v[127:128]
	s_waitcnt vmcnt(27)
	v_fma_f64 v[145:146], v[149:150], v[133:134], v[127:128]
	ds_read_b128 v[127:130], v126 offset:816
	ds_read_b128 v[131:134], v126 offset:832
	;; [unrolled: 19-line block ×3, first 2 shown]
	s_waitcnt vmcnt(26) lgkmcnt(1)
	v_fma_f64 v[127:128], v[163:164], v[127:128], v[151:152]
	s_clause 0x5
	buffer_load_dword v152, off, s[0:3], 0 offset:476
	buffer_load_dword v153, off, s[0:3], 0 offset:488
	;; [unrolled: 1-line block ×6, first 2 shown]
	s_waitcnt vmcnt(31)
	v_fma_f64 v[127:128], v[161:162], v[129:130], v[127:128]
	s_waitcnt vmcnt(30) lgkmcnt(0)
	v_fma_f64 v[127:128], v[159:160], v[131:132], v[127:128]
	s_waitcnt vmcnt(25)
	v_fma_f64 v[135:136], v[135:136], v[133:134], v[127:128]
	ds_read_b128 v[127:130], v126 offset:880
	s_clause 0x1
	buffer_load_dword v159, off, s[0:3], 0 offset:248
	buffer_load_dword v160, off, s[0:3], 0 offset:252
	ds_read_b128 v[131:134], v126 offset:896
	s_waitcnt vmcnt(26) lgkmcnt(1)
	v_fma_f64 v[127:128], v[169:170], v[127:128], v[135:136]
	s_waitcnt vmcnt(25)
	v_fma_f64 v[127:128], v[167:168], v[129:130], v[127:128]
	s_waitcnt vmcnt(24) lgkmcnt(0)
	v_fma_f64 v[127:128], v[165:166], v[131:132], v[127:128]
	s_waitcnt vmcnt(19)
	v_fma_f64 v[135:136], v[137:138], v[133:134], v[127:128]
	ds_read_b128 v[127:130], v126 offset:912
	ds_read_b128 v[131:134], v126 offset:928
	s_waitcnt vmcnt(18) lgkmcnt(1)
	v_fma_f64 v[127:128], v[143:144], v[127:128], v[135:136]
	s_waitcnt vmcnt(17)
	v_fma_f64 v[127:128], v[141:142], v[129:130], v[127:128]
	s_waitcnt vmcnt(16) lgkmcnt(0)
	v_fma_f64 v[127:128], v[139:140], v[131:132], v[127:128]
	s_waitcnt vmcnt(11)
	v_fma_f64 v[135:136], v[145:146], v[133:134], v[127:128]
	ds_read_b128 v[127:130], v126 offset:944
	;; [unrolled: 10-line block ×3, first 2 shown]
	s_waitcnt vmcnt(3) lgkmcnt(0)
	v_fma_f64 v[126:127], v[157:158], v[126:127], v[130:131]
	s_waitcnt vmcnt(2)
	v_fma_f64 v[126:127], v[153:154], v[128:129], v[126:127]
	s_waitcnt vmcnt(0)
	v_add_f64 v[126:127], v[159:160], -v[126:127]
	buffer_store_dword v127, off, s[0:3], 0 offset:252
	buffer_store_dword v126, off, s[0:3], 0 offset:248
	v_cmpx_lt_u32_e32 30, v0
	s_cbranch_execz .LBB125_321
; %bb.320:
	s_clause 0x1
	buffer_load_dword v126, off, s[0:3], 0 offset:240
	buffer_load_dword v127, off, s[0:3], 0 offset:244
	v_mov_b32_e32 v128, 0
	buffer_store_dword v128, off, s[0:3], 0 offset:240
	buffer_store_dword v128, off, s[0:3], 0 offset:244
	s_waitcnt vmcnt(0)
	ds_write_b64 v125, v[126:127]
.LBB125_321:
	s_or_b32 exec_lo, exec_lo, s4
	s_waitcnt lgkmcnt(0)
	s_waitcnt_vscnt null, 0x0
	s_barrier
	buffer_gl0_inv
	s_clause 0x1c
	buffer_load_dword v135, off, s[0:3], 0 offset:248
	buffer_load_dword v136, off, s[0:3], 0 offset:252
	;; [unrolled: 1-line block ×29, first 2 shown]
	v_mov_b32_e32 v126, 0
	buffer_load_dword v160, off, s[0:3], 0 offset:364
	s_mov_b32 s4, exec_lo
	ds_read2_b64 v[127:130], v126 offset0:93 offset1:94
	ds_read2_b64 v[131:134], v126 offset0:95 offset1:96
	s_waitcnt vmcnt(28) lgkmcnt(1)
	v_fma_f64 v[127:128], v[135:136], v[127:128], 0
	s_clause 0x7
	buffer_load_dword v136, off, s[0:3], 0 offset:372
	buffer_load_dword v165, off, s[0:3], 0 offset:392
	buffer_load_dword v167, off, s[0:3], 0 offset:384
	buffer_load_dword v169, off, s[0:3], 0 offset:376
	buffer_load_dword v135, off, s[0:3], 0 offset:368
	buffer_load_dword v170, off, s[0:3], 0 offset:380
	buffer_load_dword v168, off, s[0:3], 0 offset:388
	buffer_load_dword v166, off, s[0:3], 0 offset:396
	s_waitcnt vmcnt(34)
	v_fma_f64 v[127:128], v[137:138], v[129:130], v[127:128]
	s_waitcnt vmcnt(32) lgkmcnt(0)
	v_fma_f64 v[127:128], v[139:140], v[131:132], v[127:128]
	s_waitcnt vmcnt(30)
	v_fma_f64 v[137:138], v[141:142], v[133:134], v[127:128]
	ds_read2_b64 v[127:130], v126 offset0:97 offset1:98
	ds_read2_b64 v[131:134], v126 offset0:99 offset1:100
	s_waitcnt vmcnt(28) lgkmcnt(1)
	v_fma_f64 v[127:128], v[143:144], v[127:128], v[137:138]
	s_clause 0x7
	buffer_load_dword v138, off, s[0:3], 0 offset:404
	buffer_load_dword v139, off, s[0:3], 0 offset:424
	buffer_load_dword v141, off, s[0:3], 0 offset:416
	buffer_load_dword v143, off, s[0:3], 0 offset:408
	buffer_load_dword v137, off, s[0:3], 0 offset:400
	buffer_load_dword v144, off, s[0:3], 0 offset:412
	buffer_load_dword v142, off, s[0:3], 0 offset:420
	buffer_load_dword v140, off, s[0:3], 0 offset:428
	s_waitcnt vmcnt(34)
	v_fma_f64 v[127:128], v[145:146], v[129:130], v[127:128]
	s_waitcnt vmcnt(32) lgkmcnt(0)
	v_fma_f64 v[127:128], v[147:148], v[131:132], v[127:128]
	s_waitcnt vmcnt(27)
	v_fma_f64 v[145:146], v[149:150], v[133:134], v[127:128]
	;; [unrolled: 19-line block ×4, first 2 shown]
	ds_read2_b64 v[127:130], v126 offset0:109 offset1:110
	ds_read2_b64 v[131:134], v126 offset0:111 offset1:112
	s_waitcnt vmcnt(26) lgkmcnt(1)
	v_fma_f64 v[127:128], v[169:170], v[127:128], v[135:136]
	s_clause 0x1
	buffer_load_dword v135, off, s[0:3], 0 offset:240
	buffer_load_dword v136, off, s[0:3], 0 offset:244
	s_waitcnt vmcnt(27)
	v_fma_f64 v[127:128], v[167:168], v[129:130], v[127:128]
	s_waitcnt vmcnt(26) lgkmcnt(0)
	v_fma_f64 v[127:128], v[165:166], v[131:132], v[127:128]
	s_waitcnt vmcnt(21)
	v_fma_f64 v[137:138], v[137:138], v[133:134], v[127:128]
	ds_read2_b64 v[127:130], v126 offset0:113 offset1:114
	ds_read2_b64 v[131:134], v126 offset0:115 offset1:116
	s_waitcnt vmcnt(20) lgkmcnt(1)
	v_fma_f64 v[127:128], v[143:144], v[127:128], v[137:138]
	s_waitcnt vmcnt(19)
	v_fma_f64 v[127:128], v[141:142], v[129:130], v[127:128]
	s_waitcnt vmcnt(18) lgkmcnt(0)
	v_fma_f64 v[127:128], v[139:140], v[131:132], v[127:128]
	s_waitcnt vmcnt(13)
	v_fma_f64 v[137:138], v[145:146], v[133:134], v[127:128]
	ds_read2_b64 v[127:130], v126 offset0:117 offset1:118
	ds_read2_b64 v[131:134], v126 offset0:119 offset1:120
	s_waitcnt vmcnt(12) lgkmcnt(1)
	v_fma_f64 v[127:128], v[155:156], v[127:128], v[137:138]
	s_waitcnt vmcnt(11)
	v_fma_f64 v[127:128], v[149:150], v[129:130], v[127:128]
	s_waitcnt vmcnt(10) lgkmcnt(0)
	v_fma_f64 v[127:128], v[147:148], v[131:132], v[127:128]
	s_waitcnt vmcnt(5)
	v_fma_f64 v[131:132], v[151:152], v[133:134], v[127:128]
	ds_read2_b64 v[127:130], v126 offset0:121 offset1:122
	ds_read_b64 v[133:134], v126 offset:984
	s_waitcnt vmcnt(4) lgkmcnt(1)
	v_fma_f64 v[127:128], v[163:164], v[127:128], v[131:132]
	s_waitcnt vmcnt(3)
	v_fma_f64 v[127:128], v[157:158], v[129:130], v[127:128]
	s_waitcnt vmcnt(2) lgkmcnt(0)
	v_fma_f64 v[127:128], v[153:154], v[133:134], v[127:128]
	s_waitcnt vmcnt(0)
	v_add_f64 v[127:128], v[135:136], -v[127:128]
	buffer_store_dword v128, off, s[0:3], 0 offset:244
	buffer_store_dword v127, off, s[0:3], 0 offset:240
	v_cmpx_lt_u32_e32 29, v0
	s_cbranch_execz .LBB125_323
; %bb.322:
	s_clause 0x1
	buffer_load_dword v127, off, s[0:3], 0 offset:232
	buffer_load_dword v128, off, s[0:3], 0 offset:236
	buffer_store_dword v126, off, s[0:3], 0 offset:232
	buffer_store_dword v126, off, s[0:3], 0 offset:236
	s_waitcnt vmcnt(0)
	ds_write_b64 v125, v[127:128]
.LBB125_323:
	s_or_b32 exec_lo, exec_lo, s4
	s_waitcnt lgkmcnt(0)
	s_waitcnt_vscnt null, 0x0
	s_barrier
	buffer_gl0_inv
	s_clause 0x1c
	buffer_load_dword v135, off, s[0:3], 0 offset:240
	buffer_load_dword v136, off, s[0:3], 0 offset:244
	;; [unrolled: 1-line block ×29, first 2 shown]
	ds_read_b128 v[127:130], v126 offset:736
	ds_read_b128 v[131:134], v126 offset:752
	buffer_load_dword v160, off, s[0:3], 0 offset:356
	s_mov_b32 s4, exec_lo
	s_waitcnt vmcnt(28) lgkmcnt(1)
	v_fma_f64 v[127:128], v[135:136], v[127:128], 0
	s_clause 0x7
	buffer_load_dword v136, off, s[0:3], 0 offset:364
	buffer_load_dword v165, off, s[0:3], 0 offset:384
	buffer_load_dword v167, off, s[0:3], 0 offset:376
	buffer_load_dword v169, off, s[0:3], 0 offset:368
	buffer_load_dword v135, off, s[0:3], 0 offset:360
	buffer_load_dword v170, off, s[0:3], 0 offset:372
	buffer_load_dword v168, off, s[0:3], 0 offset:380
	buffer_load_dword v166, off, s[0:3], 0 offset:388
	s_waitcnt vmcnt(34)
	v_fma_f64 v[127:128], v[137:138], v[129:130], v[127:128]
	s_waitcnt vmcnt(32) lgkmcnt(0)
	v_fma_f64 v[127:128], v[139:140], v[131:132], v[127:128]
	s_waitcnt vmcnt(30)
	v_fma_f64 v[137:138], v[141:142], v[133:134], v[127:128]
	ds_read_b128 v[127:130], v126 offset:768
	ds_read_b128 v[131:134], v126 offset:784
	s_waitcnt vmcnt(28) lgkmcnt(1)
	v_fma_f64 v[127:128], v[143:144], v[127:128], v[137:138]
	s_clause 0x7
	buffer_load_dword v138, off, s[0:3], 0 offset:396
	buffer_load_dword v139, off, s[0:3], 0 offset:416
	buffer_load_dword v141, off, s[0:3], 0 offset:408
	buffer_load_dword v143, off, s[0:3], 0 offset:400
	buffer_load_dword v137, off, s[0:3], 0 offset:392
	buffer_load_dword v144, off, s[0:3], 0 offset:404
	buffer_load_dword v142, off, s[0:3], 0 offset:412
	buffer_load_dword v140, off, s[0:3], 0 offset:420
	s_waitcnt vmcnt(34)
	v_fma_f64 v[127:128], v[145:146], v[129:130], v[127:128]
	s_waitcnt vmcnt(32) lgkmcnt(0)
	v_fma_f64 v[127:128], v[147:148], v[131:132], v[127:128]
	s_waitcnt vmcnt(27)
	v_fma_f64 v[145:146], v[149:150], v[133:134], v[127:128]
	ds_read_b128 v[127:130], v126 offset:800
	ds_read_b128 v[131:134], v126 offset:816
	;; [unrolled: 19-line block ×4, first 2 shown]
	s_waitcnt vmcnt(26) lgkmcnt(1)
	v_fma_f64 v[127:128], v[169:170], v[127:128], v[135:136]
	s_clause 0x3
	buffer_load_dword v136, off, s[0:3], 0 offset:492
	buffer_load_dword v135, off, s[0:3], 0 offset:488
	;; [unrolled: 1-line block ×4, first 2 shown]
	s_waitcnt vmcnt(29)
	v_fma_f64 v[127:128], v[167:168], v[129:130], v[127:128]
	s_waitcnt vmcnt(28) lgkmcnt(0)
	v_fma_f64 v[127:128], v[165:166], v[131:132], v[127:128]
	s_waitcnt vmcnt(23)
	v_fma_f64 v[137:138], v[137:138], v[133:134], v[127:128]
	ds_read_b128 v[127:130], v126 offset:896
	ds_read_b128 v[131:134], v126 offset:912
	s_waitcnt vmcnt(22) lgkmcnt(1)
	v_fma_f64 v[127:128], v[143:144], v[127:128], v[137:138]
	s_waitcnt vmcnt(21)
	v_fma_f64 v[127:128], v[141:142], v[129:130], v[127:128]
	s_waitcnt vmcnt(20) lgkmcnt(0)
	v_fma_f64 v[127:128], v[139:140], v[131:132], v[127:128]
	s_waitcnt vmcnt(15)
	v_fma_f64 v[137:138], v[145:146], v[133:134], v[127:128]
	ds_read_b128 v[127:130], v126 offset:928
	ds_read_b128 v[131:134], v126 offset:944
	s_waitcnt vmcnt(14) lgkmcnt(1)
	v_fma_f64 v[127:128], v[155:156], v[127:128], v[137:138]
	;; [unrolled: 10-line block ×3, first 2 shown]
	s_waitcnt vmcnt(5)
	v_fma_f64 v[126:127], v[157:158], v[129:130], v[126:127]
	s_waitcnt vmcnt(4) lgkmcnt(0)
	v_fma_f64 v[126:127], v[153:154], v[131:132], v[126:127]
	s_waitcnt vmcnt(2)
	v_fma_f64 v[126:127], v[135:136], v[133:134], v[126:127]
	s_waitcnt vmcnt(0)
	v_add_f64 v[126:127], v[159:160], -v[126:127]
	buffer_store_dword v127, off, s[0:3], 0 offset:236
	buffer_store_dword v126, off, s[0:3], 0 offset:232
	v_cmpx_lt_u32_e32 28, v0
	s_cbranch_execz .LBB125_325
; %bb.324:
	s_clause 0x1
	buffer_load_dword v126, off, s[0:3], 0 offset:224
	buffer_load_dword v127, off, s[0:3], 0 offset:228
	v_mov_b32_e32 v128, 0
	buffer_store_dword v128, off, s[0:3], 0 offset:224
	buffer_store_dword v128, off, s[0:3], 0 offset:228
	s_waitcnt vmcnt(0)
	ds_write_b64 v125, v[126:127]
.LBB125_325:
	s_or_b32 exec_lo, exec_lo, s4
	s_waitcnt lgkmcnt(0)
	s_waitcnt_vscnt null, 0x0
	s_barrier
	buffer_gl0_inv
	s_clause 0x1c
	buffer_load_dword v135, off, s[0:3], 0 offset:232
	buffer_load_dword v136, off, s[0:3], 0 offset:236
	;; [unrolled: 1-line block ×29, first 2 shown]
	v_mov_b32_e32 v126, 0
	buffer_load_dword v160, off, s[0:3], 0 offset:348
	s_mov_b32 s4, exec_lo
	ds_read2_b64 v[127:130], v126 offset0:91 offset1:92
	ds_read2_b64 v[131:134], v126 offset0:93 offset1:94
	s_waitcnt vmcnt(28) lgkmcnt(1)
	v_fma_f64 v[127:128], v[135:136], v[127:128], 0
	s_clause 0x7
	buffer_load_dword v136, off, s[0:3], 0 offset:356
	buffer_load_dword v165, off, s[0:3], 0 offset:376
	buffer_load_dword v167, off, s[0:3], 0 offset:368
	buffer_load_dword v169, off, s[0:3], 0 offset:360
	buffer_load_dword v135, off, s[0:3], 0 offset:352
	buffer_load_dword v170, off, s[0:3], 0 offset:364
	buffer_load_dword v168, off, s[0:3], 0 offset:372
	buffer_load_dword v166, off, s[0:3], 0 offset:380
	s_waitcnt vmcnt(34)
	v_fma_f64 v[127:128], v[137:138], v[129:130], v[127:128]
	s_waitcnt vmcnt(32) lgkmcnt(0)
	v_fma_f64 v[127:128], v[139:140], v[131:132], v[127:128]
	s_waitcnt vmcnt(30)
	v_fma_f64 v[137:138], v[141:142], v[133:134], v[127:128]
	ds_read2_b64 v[127:130], v126 offset0:95 offset1:96
	ds_read2_b64 v[131:134], v126 offset0:97 offset1:98
	s_waitcnt vmcnt(28) lgkmcnt(1)
	v_fma_f64 v[127:128], v[143:144], v[127:128], v[137:138]
	s_clause 0x7
	buffer_load_dword v138, off, s[0:3], 0 offset:388
	buffer_load_dword v139, off, s[0:3], 0 offset:408
	buffer_load_dword v141, off, s[0:3], 0 offset:400
	buffer_load_dword v143, off, s[0:3], 0 offset:392
	buffer_load_dword v137, off, s[0:3], 0 offset:384
	buffer_load_dword v144, off, s[0:3], 0 offset:396
	buffer_load_dword v142, off, s[0:3], 0 offset:404
	buffer_load_dword v140, off, s[0:3], 0 offset:412
	s_waitcnt vmcnt(34)
	v_fma_f64 v[127:128], v[145:146], v[129:130], v[127:128]
	s_waitcnt vmcnt(32) lgkmcnt(0)
	v_fma_f64 v[127:128], v[147:148], v[131:132], v[127:128]
	s_waitcnt vmcnt(27)
	v_fma_f64 v[145:146], v[149:150], v[133:134], v[127:128]
	;; [unrolled: 19-line block ×4, first 2 shown]
	ds_read2_b64 v[127:130], v126 offset0:107 offset1:108
	ds_read2_b64 v[131:134], v126 offset0:109 offset1:110
	s_waitcnt vmcnt(26) lgkmcnt(1)
	v_fma_f64 v[127:128], v[169:170], v[127:128], v[135:136]
	s_clause 0x5
	buffer_load_dword v136, off, s[0:3], 0 offset:484
	buffer_load_dword v159, off, s[0:3], 0 offset:488
	;; [unrolled: 1-line block ×6, first 2 shown]
	s_waitcnt vmcnt(31)
	v_fma_f64 v[127:128], v[167:168], v[129:130], v[127:128]
	s_waitcnt vmcnt(30) lgkmcnt(0)
	v_fma_f64 v[127:128], v[165:166], v[131:132], v[127:128]
	s_waitcnt vmcnt(25)
	v_fma_f64 v[137:138], v[137:138], v[133:134], v[127:128]
	ds_read2_b64 v[127:130], v126 offset0:111 offset1:112
	ds_read2_b64 v[131:134], v126 offset0:113 offset1:114
	s_waitcnt vmcnt(24) lgkmcnt(1)
	v_fma_f64 v[127:128], v[143:144], v[127:128], v[137:138]
	s_waitcnt vmcnt(23)
	v_fma_f64 v[127:128], v[141:142], v[129:130], v[127:128]
	s_waitcnt vmcnt(22) lgkmcnt(0)
	v_fma_f64 v[127:128], v[139:140], v[131:132], v[127:128]
	s_waitcnt vmcnt(17)
	v_fma_f64 v[137:138], v[145:146], v[133:134], v[127:128]
	ds_read2_b64 v[127:130], v126 offset0:115 offset1:116
	ds_read2_b64 v[131:134], v126 offset0:117 offset1:118
	s_waitcnt vmcnt(16) lgkmcnt(1)
	v_fma_f64 v[127:128], v[155:156], v[127:128], v[137:138]
	s_waitcnt vmcnt(15)
	v_fma_f64 v[127:128], v[149:150], v[129:130], v[127:128]
	s_waitcnt vmcnt(14) lgkmcnt(0)
	v_fma_f64 v[127:128], v[147:148], v[131:132], v[127:128]
	s_waitcnt vmcnt(9)
	v_fma_f64 v[137:138], v[151:152], v[133:134], v[127:128]
	ds_read2_b64 v[127:130], v126 offset0:119 offset1:120
	ds_read2_b64 v[131:134], v126 offset0:121 offset1:122
	s_waitcnt vmcnt(8) lgkmcnt(1)
	v_fma_f64 v[127:128], v[163:164], v[127:128], v[137:138]
	s_waitcnt vmcnt(7)
	v_fma_f64 v[127:128], v[157:158], v[129:130], v[127:128]
	ds_read_b64 v[129:130], v126 offset:984
	s_waitcnt vmcnt(6) lgkmcnt(1)
	v_fma_f64 v[127:128], v[153:154], v[131:132], v[127:128]
	s_waitcnt vmcnt(3)
	v_fma_f64 v[127:128], v[135:136], v[133:134], v[127:128]
	s_waitcnt vmcnt(2) lgkmcnt(0)
	v_fma_f64 v[127:128], v[159:160], v[129:130], v[127:128]
	s_waitcnt vmcnt(0)
	v_add_f64 v[127:128], v[161:162], -v[127:128]
	buffer_store_dword v128, off, s[0:3], 0 offset:228
	buffer_store_dword v127, off, s[0:3], 0 offset:224
	v_cmpx_lt_u32_e32 27, v0
	s_cbranch_execz .LBB125_327
; %bb.326:
	s_clause 0x1
	buffer_load_dword v127, off, s[0:3], 0 offset:216
	buffer_load_dword v128, off, s[0:3], 0 offset:220
	buffer_store_dword v126, off, s[0:3], 0 offset:216
	buffer_store_dword v126, off, s[0:3], 0 offset:220
	s_waitcnt vmcnt(0)
	ds_write_b64 v125, v[127:128]
.LBB125_327:
	s_or_b32 exec_lo, exec_lo, s4
	s_waitcnt lgkmcnt(0)
	s_waitcnt_vscnt null, 0x0
	s_barrier
	buffer_gl0_inv
	s_clause 0x1c
	buffer_load_dword v135, off, s[0:3], 0 offset:224
	buffer_load_dword v136, off, s[0:3], 0 offset:228
	;; [unrolled: 1-line block ×29, first 2 shown]
	ds_read_b128 v[127:130], v126 offset:720
	ds_read_b128 v[131:134], v126 offset:736
	buffer_load_dword v160, off, s[0:3], 0 offset:340
	s_mov_b32 s4, exec_lo
	s_waitcnt vmcnt(28) lgkmcnt(1)
	v_fma_f64 v[127:128], v[135:136], v[127:128], 0
	s_clause 0x7
	buffer_load_dword v136, off, s[0:3], 0 offset:348
	buffer_load_dword v165, off, s[0:3], 0 offset:368
	buffer_load_dword v167, off, s[0:3], 0 offset:360
	buffer_load_dword v169, off, s[0:3], 0 offset:352
	buffer_load_dword v135, off, s[0:3], 0 offset:344
	buffer_load_dword v170, off, s[0:3], 0 offset:356
	buffer_load_dword v168, off, s[0:3], 0 offset:364
	buffer_load_dword v166, off, s[0:3], 0 offset:372
	s_waitcnt vmcnt(34)
	v_fma_f64 v[127:128], v[137:138], v[129:130], v[127:128]
	s_waitcnt vmcnt(32) lgkmcnt(0)
	v_fma_f64 v[127:128], v[139:140], v[131:132], v[127:128]
	s_waitcnt vmcnt(30)
	v_fma_f64 v[137:138], v[141:142], v[133:134], v[127:128]
	ds_read_b128 v[127:130], v126 offset:752
	ds_read_b128 v[131:134], v126 offset:768
	s_waitcnt vmcnt(28) lgkmcnt(1)
	v_fma_f64 v[127:128], v[143:144], v[127:128], v[137:138]
	s_clause 0x7
	buffer_load_dword v138, off, s[0:3], 0 offset:380
	buffer_load_dword v139, off, s[0:3], 0 offset:400
	buffer_load_dword v141, off, s[0:3], 0 offset:392
	buffer_load_dword v143, off, s[0:3], 0 offset:384
	buffer_load_dword v137, off, s[0:3], 0 offset:376
	buffer_load_dword v144, off, s[0:3], 0 offset:388
	buffer_load_dword v142, off, s[0:3], 0 offset:396
	buffer_load_dword v140, off, s[0:3], 0 offset:404
	s_waitcnt vmcnt(34)
	v_fma_f64 v[127:128], v[145:146], v[129:130], v[127:128]
	s_waitcnt vmcnt(32) lgkmcnt(0)
	v_fma_f64 v[127:128], v[147:148], v[131:132], v[127:128]
	s_waitcnt vmcnt(27)
	v_fma_f64 v[145:146], v[149:150], v[133:134], v[127:128]
	ds_read_b128 v[127:130], v126 offset:784
	ds_read_b128 v[131:134], v126 offset:800
	;; [unrolled: 19-line block ×4, first 2 shown]
	s_waitcnt vmcnt(26) lgkmcnt(1)
	v_fma_f64 v[127:128], v[169:170], v[127:128], v[135:136]
	s_clause 0x5
	buffer_load_dword v136, off, s[0:3], 0 offset:476
	buffer_load_dword v159, off, s[0:3], 0 offset:488
	;; [unrolled: 1-line block ×6, first 2 shown]
	s_waitcnt vmcnt(31)
	v_fma_f64 v[127:128], v[167:168], v[129:130], v[127:128]
	s_waitcnt vmcnt(30) lgkmcnt(0)
	v_fma_f64 v[127:128], v[165:166], v[131:132], v[127:128]
	s_waitcnt vmcnt(25)
	v_fma_f64 v[137:138], v[137:138], v[133:134], v[127:128]
	ds_read_b128 v[127:130], v126 offset:880
	s_clause 0x1
	buffer_load_dword v165, off, s[0:3], 0 offset:216
	buffer_load_dword v166, off, s[0:3], 0 offset:220
	ds_read_b128 v[131:134], v126 offset:896
	s_waitcnt vmcnt(26) lgkmcnt(1)
	v_fma_f64 v[127:128], v[143:144], v[127:128], v[137:138]
	s_waitcnt vmcnt(25)
	v_fma_f64 v[127:128], v[141:142], v[129:130], v[127:128]
	s_waitcnt vmcnt(24) lgkmcnt(0)
	v_fma_f64 v[127:128], v[139:140], v[131:132], v[127:128]
	s_waitcnt vmcnt(19)
	v_fma_f64 v[137:138], v[145:146], v[133:134], v[127:128]
	ds_read_b128 v[127:130], v126 offset:912
	ds_read_b128 v[131:134], v126 offset:928
	s_waitcnt vmcnt(18) lgkmcnt(1)
	v_fma_f64 v[127:128], v[155:156], v[127:128], v[137:138]
	s_waitcnt vmcnt(17)
	v_fma_f64 v[127:128], v[149:150], v[129:130], v[127:128]
	s_waitcnt vmcnt(16) lgkmcnt(0)
	v_fma_f64 v[127:128], v[147:148], v[131:132], v[127:128]
	s_waitcnt vmcnt(11)
	v_fma_f64 v[137:138], v[151:152], v[133:134], v[127:128]
	ds_read_b128 v[127:130], v126 offset:944
	;; [unrolled: 10-line block ×3, first 2 shown]
	s_waitcnt vmcnt(3) lgkmcnt(0)
	v_fma_f64 v[126:127], v[161:162], v[126:127], v[130:131]
	s_waitcnt vmcnt(2)
	v_fma_f64 v[126:127], v[159:160], v[128:129], v[126:127]
	s_waitcnt vmcnt(0)
	v_add_f64 v[126:127], v[165:166], -v[126:127]
	buffer_store_dword v127, off, s[0:3], 0 offset:220
	buffer_store_dword v126, off, s[0:3], 0 offset:216
	v_cmpx_lt_u32_e32 26, v0
	s_cbranch_execz .LBB125_329
; %bb.328:
	s_clause 0x1
	buffer_load_dword v126, off, s[0:3], 0 offset:208
	buffer_load_dword v127, off, s[0:3], 0 offset:212
	v_mov_b32_e32 v128, 0
	buffer_store_dword v128, off, s[0:3], 0 offset:208
	buffer_store_dword v128, off, s[0:3], 0 offset:212
	s_waitcnt vmcnt(0)
	ds_write_b64 v125, v[126:127]
.LBB125_329:
	s_or_b32 exec_lo, exec_lo, s4
	s_waitcnt lgkmcnt(0)
	s_waitcnt_vscnt null, 0x0
	s_barrier
	buffer_gl0_inv
	s_clause 0x1c
	buffer_load_dword v135, off, s[0:3], 0 offset:216
	buffer_load_dword v136, off, s[0:3], 0 offset:220
	;; [unrolled: 1-line block ×29, first 2 shown]
	v_mov_b32_e32 v126, 0
	buffer_load_dword v160, off, s[0:3], 0 offset:332
	s_mov_b32 s4, exec_lo
	ds_read2_b64 v[127:130], v126 offset0:89 offset1:90
	ds_read2_b64 v[131:134], v126 offset0:91 offset1:92
	s_waitcnt vmcnt(28) lgkmcnt(1)
	v_fma_f64 v[127:128], v[135:136], v[127:128], 0
	s_clause 0x7
	buffer_load_dword v136, off, s[0:3], 0 offset:340
	buffer_load_dword v165, off, s[0:3], 0 offset:360
	buffer_load_dword v167, off, s[0:3], 0 offset:352
	buffer_load_dword v169, off, s[0:3], 0 offset:344
	buffer_load_dword v135, off, s[0:3], 0 offset:336
	buffer_load_dword v170, off, s[0:3], 0 offset:348
	buffer_load_dword v168, off, s[0:3], 0 offset:356
	buffer_load_dword v166, off, s[0:3], 0 offset:364
	s_waitcnt vmcnt(34)
	v_fma_f64 v[127:128], v[137:138], v[129:130], v[127:128]
	s_waitcnt vmcnt(32) lgkmcnt(0)
	v_fma_f64 v[127:128], v[139:140], v[131:132], v[127:128]
	s_waitcnt vmcnt(30)
	v_fma_f64 v[137:138], v[141:142], v[133:134], v[127:128]
	ds_read2_b64 v[127:130], v126 offset0:93 offset1:94
	ds_read2_b64 v[131:134], v126 offset0:95 offset1:96
	s_waitcnt vmcnt(28) lgkmcnt(1)
	v_fma_f64 v[127:128], v[143:144], v[127:128], v[137:138]
	s_clause 0x7
	buffer_load_dword v138, off, s[0:3], 0 offset:372
	buffer_load_dword v139, off, s[0:3], 0 offset:392
	buffer_load_dword v141, off, s[0:3], 0 offset:384
	buffer_load_dword v143, off, s[0:3], 0 offset:376
	buffer_load_dword v137, off, s[0:3], 0 offset:368
	buffer_load_dword v144, off, s[0:3], 0 offset:380
	buffer_load_dword v142, off, s[0:3], 0 offset:388
	buffer_load_dword v140, off, s[0:3], 0 offset:396
	s_waitcnt vmcnt(34)
	v_fma_f64 v[127:128], v[145:146], v[129:130], v[127:128]
	s_waitcnt vmcnt(32) lgkmcnt(0)
	v_fma_f64 v[127:128], v[147:148], v[131:132], v[127:128]
	s_waitcnt vmcnt(27)
	v_fma_f64 v[145:146], v[149:150], v[133:134], v[127:128]
	;; [unrolled: 19-line block ×5, first 2 shown]
	ds_read2_b64 v[127:130], v126 offset0:109 offset1:110
	ds_read2_b64 v[131:134], v126 offset0:111 offset1:112
	s_waitcnt vmcnt(26) lgkmcnt(1)
	v_fma_f64 v[127:128], v[143:144], v[127:128], v[137:138]
	s_clause 0x1
	buffer_load_dword v137, off, s[0:3], 0 offset:208
	buffer_load_dword v138, off, s[0:3], 0 offset:212
	s_waitcnt vmcnt(27)
	v_fma_f64 v[127:128], v[141:142], v[129:130], v[127:128]
	s_waitcnt vmcnt(26) lgkmcnt(0)
	v_fma_f64 v[127:128], v[139:140], v[131:132], v[127:128]
	s_waitcnt vmcnt(21)
	v_fma_f64 v[139:140], v[145:146], v[133:134], v[127:128]
	ds_read2_b64 v[127:130], v126 offset0:113 offset1:114
	ds_read2_b64 v[131:134], v126 offset0:115 offset1:116
	s_waitcnt vmcnt(20) lgkmcnt(1)
	v_fma_f64 v[127:128], v[155:156], v[127:128], v[139:140]
	s_waitcnt vmcnt(19)
	v_fma_f64 v[127:128], v[149:150], v[129:130], v[127:128]
	s_waitcnt vmcnt(18) lgkmcnt(0)
	v_fma_f64 v[127:128], v[147:148], v[131:132], v[127:128]
	s_waitcnt vmcnt(13)
	v_fma_f64 v[139:140], v[151:152], v[133:134], v[127:128]
	ds_read2_b64 v[127:130], v126 offset0:117 offset1:118
	ds_read2_b64 v[131:134], v126 offset0:119 offset1:120
	s_waitcnt vmcnt(12) lgkmcnt(1)
	v_fma_f64 v[127:128], v[163:164], v[127:128], v[139:140]
	s_waitcnt vmcnt(11)
	v_fma_f64 v[127:128], v[157:158], v[129:130], v[127:128]
	s_waitcnt vmcnt(10) lgkmcnt(0)
	v_fma_f64 v[127:128], v[153:154], v[131:132], v[127:128]
	s_waitcnt vmcnt(5)
	v_fma_f64 v[131:132], v[135:136], v[133:134], v[127:128]
	ds_read2_b64 v[127:130], v126 offset0:121 offset1:122
	ds_read_b64 v[133:134], v126 offset:984
	s_waitcnt vmcnt(4) lgkmcnt(1)
	v_fma_f64 v[127:128], v[169:170], v[127:128], v[131:132]
	s_waitcnt vmcnt(3)
	v_fma_f64 v[127:128], v[161:162], v[129:130], v[127:128]
	s_waitcnt vmcnt(2) lgkmcnt(0)
	v_fma_f64 v[127:128], v[159:160], v[133:134], v[127:128]
	s_waitcnt vmcnt(0)
	v_add_f64 v[127:128], v[137:138], -v[127:128]
	buffer_store_dword v128, off, s[0:3], 0 offset:212
	buffer_store_dword v127, off, s[0:3], 0 offset:208
	v_cmpx_lt_u32_e32 25, v0
	s_cbranch_execz .LBB125_331
; %bb.330:
	s_clause 0x1
	buffer_load_dword v127, off, s[0:3], 0 offset:200
	buffer_load_dword v128, off, s[0:3], 0 offset:204
	buffer_store_dword v126, off, s[0:3], 0 offset:200
	buffer_store_dword v126, off, s[0:3], 0 offset:204
	s_waitcnt vmcnt(0)
	ds_write_b64 v125, v[127:128]
.LBB125_331:
	s_or_b32 exec_lo, exec_lo, s4
	s_waitcnt lgkmcnt(0)
	s_waitcnt_vscnt null, 0x0
	s_barrier
	buffer_gl0_inv
	s_clause 0x1c
	buffer_load_dword v135, off, s[0:3], 0 offset:208
	buffer_load_dword v136, off, s[0:3], 0 offset:212
	buffer_load_dword v137, off, s[0:3], 0 offset:216
	buffer_load_dword v138, off, s[0:3], 0 offset:220
	buffer_load_dword v139, off, s[0:3], 0 offset:224
	buffer_load_dword v140, off, s[0:3], 0 offset:228
	buffer_load_dword v141, off, s[0:3], 0 offset:232
	buffer_load_dword v142, off, s[0:3], 0 offset:236
	buffer_load_dword v143, off, s[0:3], 0 offset:240
	buffer_load_dword v144, off, s[0:3], 0 offset:244
	buffer_load_dword v145, off, s[0:3], 0 offset:248
	buffer_load_dword v146, off, s[0:3], 0 offset:252
	buffer_load_dword v147, off, s[0:3], 0 offset:256
	buffer_load_dword v148, off, s[0:3], 0 offset:260
	buffer_load_dword v150, off, s[0:3], 0 offset:268
	buffer_load_dword v151, off, s[0:3], 0 offset:288
	buffer_load_dword v153, off, s[0:3], 0 offset:280
	buffer_load_dword v155, off, s[0:3], 0 offset:272
	buffer_load_dword v149, off, s[0:3], 0 offset:264
	buffer_load_dword v156, off, s[0:3], 0 offset:276
	buffer_load_dword v154, off, s[0:3], 0 offset:284
	buffer_load_dword v152, off, s[0:3], 0 offset:292
	buffer_load_dword v158, off, s[0:3], 0 offset:300
	buffer_load_dword v159, off, s[0:3], 0 offset:320
	buffer_load_dword v161, off, s[0:3], 0 offset:312
	buffer_load_dword v163, off, s[0:3], 0 offset:304
	buffer_load_dword v157, off, s[0:3], 0 offset:296
	buffer_load_dword v164, off, s[0:3], 0 offset:308
	buffer_load_dword v162, off, s[0:3], 0 offset:316
	ds_read_b128 v[127:130], v126 offset:704
	ds_read_b128 v[131:134], v126 offset:720
	buffer_load_dword v160, off, s[0:3], 0 offset:324
	s_mov_b32 s4, exec_lo
	s_waitcnt vmcnt(28) lgkmcnt(1)
	v_fma_f64 v[127:128], v[135:136], v[127:128], 0
	s_clause 0x7
	buffer_load_dword v136, off, s[0:3], 0 offset:332
	buffer_load_dword v165, off, s[0:3], 0 offset:352
	buffer_load_dword v167, off, s[0:3], 0 offset:344
	buffer_load_dword v169, off, s[0:3], 0 offset:336
	buffer_load_dword v135, off, s[0:3], 0 offset:328
	buffer_load_dword v170, off, s[0:3], 0 offset:340
	buffer_load_dword v168, off, s[0:3], 0 offset:348
	buffer_load_dword v166, off, s[0:3], 0 offset:356
	s_waitcnt vmcnt(34)
	v_fma_f64 v[127:128], v[137:138], v[129:130], v[127:128]
	s_waitcnt vmcnt(32) lgkmcnt(0)
	v_fma_f64 v[127:128], v[139:140], v[131:132], v[127:128]
	s_waitcnt vmcnt(30)
	v_fma_f64 v[137:138], v[141:142], v[133:134], v[127:128]
	ds_read_b128 v[127:130], v126 offset:736
	ds_read_b128 v[131:134], v126 offset:752
	s_waitcnt vmcnt(28) lgkmcnt(1)
	v_fma_f64 v[127:128], v[143:144], v[127:128], v[137:138]
	s_clause 0x7
	buffer_load_dword v138, off, s[0:3], 0 offset:364
	buffer_load_dword v139, off, s[0:3], 0 offset:384
	buffer_load_dword v141, off, s[0:3], 0 offset:376
	buffer_load_dword v143, off, s[0:3], 0 offset:368
	buffer_load_dword v137, off, s[0:3], 0 offset:360
	buffer_load_dword v144, off, s[0:3], 0 offset:372
	buffer_load_dword v142, off, s[0:3], 0 offset:380
	buffer_load_dword v140, off, s[0:3], 0 offset:388
	s_waitcnt vmcnt(34)
	v_fma_f64 v[127:128], v[145:146], v[129:130], v[127:128]
	s_waitcnt vmcnt(32) lgkmcnt(0)
	v_fma_f64 v[127:128], v[147:148], v[131:132], v[127:128]
	s_waitcnt vmcnt(27)
	v_fma_f64 v[145:146], v[149:150], v[133:134], v[127:128]
	ds_read_b128 v[127:130], v126 offset:768
	ds_read_b128 v[131:134], v126 offset:784
	s_waitcnt vmcnt(26) lgkmcnt(1)
	v_fma_f64 v[127:128], v[155:156], v[127:128], v[145:146]
	s_clause 0x7
	buffer_load_dword v146, off, s[0:3], 0 offset:396
	buffer_load_dword v147, off, s[0:3], 0 offset:416
	buffer_load_dword v149, off, s[0:3], 0 offset:408
	buffer_load_dword v155, off, s[0:3], 0 offset:400
	buffer_load_dword v145, off, s[0:3], 0 offset:392
	buffer_load_dword v156, off, s[0:3], 0 offset:404
	buffer_load_dword v150, off, s[0:3], 0 offset:412
	buffer_load_dword v148, off, s[0:3], 0 offset:420
	s_waitcnt vmcnt(33)
	v_fma_f64 v[127:128], v[153:154], v[129:130], v[127:128]
	s_waitcnt vmcnt(32) lgkmcnt(0)
	v_fma_f64 v[127:128], v[151:152], v[131:132], v[127:128]
	s_waitcnt vmcnt(27)
	v_fma_f64 v[151:152], v[157:158], v[133:134], v[127:128]
	ds_read_b128 v[127:130], v126 offset:800
	ds_read_b128 v[131:134], v126 offset:816
	s_waitcnt vmcnt(26) lgkmcnt(1)
	v_fma_f64 v[127:128], v[163:164], v[127:128], v[151:152]
	s_clause 0x7
	buffer_load_dword v152, off, s[0:3], 0 offset:428
	buffer_load_dword v153, off, s[0:3], 0 offset:448
	buffer_load_dword v157, off, s[0:3], 0 offset:440
	buffer_load_dword v163, off, s[0:3], 0 offset:432
	buffer_load_dword v151, off, s[0:3], 0 offset:424
	buffer_load_dword v164, off, s[0:3], 0 offset:436
	buffer_load_dword v158, off, s[0:3], 0 offset:444
	buffer_load_dword v154, off, s[0:3], 0 offset:452
	s_waitcnt vmcnt(33)
	v_fma_f64 v[127:128], v[161:162], v[129:130], v[127:128]
	s_waitcnt vmcnt(32) lgkmcnt(0)
	v_fma_f64 v[127:128], v[159:160], v[131:132], v[127:128]
	s_waitcnt vmcnt(27)
	v_fma_f64 v[135:136], v[135:136], v[133:134], v[127:128]
	ds_read_b128 v[127:130], v126 offset:832
	ds_read_b128 v[131:134], v126 offset:848
	s_waitcnt vmcnt(26) lgkmcnt(1)
	v_fma_f64 v[127:128], v[169:170], v[127:128], v[135:136]
	s_clause 0x7
	buffer_load_dword v136, off, s[0:3], 0 offset:460
	buffer_load_dword v159, off, s[0:3], 0 offset:480
	buffer_load_dword v161, off, s[0:3], 0 offset:472
	buffer_load_dword v169, off, s[0:3], 0 offset:464
	buffer_load_dword v135, off, s[0:3], 0 offset:456
	buffer_load_dword v170, off, s[0:3], 0 offset:468
	buffer_load_dword v162, off, s[0:3], 0 offset:476
	buffer_load_dword v160, off, s[0:3], 0 offset:484
	s_waitcnt vmcnt(33)
	v_fma_f64 v[127:128], v[167:168], v[129:130], v[127:128]
	s_waitcnt vmcnt(32) lgkmcnt(0)
	v_fma_f64 v[127:128], v[165:166], v[131:132], v[127:128]
	s_waitcnt vmcnt(27)
	v_fma_f64 v[137:138], v[137:138], v[133:134], v[127:128]
	ds_read_b128 v[127:130], v126 offset:864
	ds_read_b128 v[131:134], v126 offset:880
	s_waitcnt vmcnt(26) lgkmcnt(1)
	v_fma_f64 v[127:128], v[143:144], v[127:128], v[137:138]
	s_clause 0x1
	buffer_load_dword v138, off, s[0:3], 0 offset:492
	buffer_load_dword v137, off, s[0:3], 0 offset:488
	s_waitcnt vmcnt(27)
	v_fma_f64 v[127:128], v[141:142], v[129:130], v[127:128]
	s_clause 0x1
	buffer_load_dword v141, off, s[0:3], 0 offset:200
	buffer_load_dword v142, off, s[0:3], 0 offset:204
	s_waitcnt vmcnt(28) lgkmcnt(0)
	v_fma_f64 v[127:128], v[139:140], v[131:132], v[127:128]
	s_waitcnt vmcnt(23)
	v_fma_f64 v[139:140], v[145:146], v[133:134], v[127:128]
	ds_read_b128 v[127:130], v126 offset:896
	ds_read_b128 v[131:134], v126 offset:912
	s_waitcnt vmcnt(22) lgkmcnt(1)
	v_fma_f64 v[127:128], v[155:156], v[127:128], v[139:140]
	s_waitcnt vmcnt(21)
	v_fma_f64 v[127:128], v[149:150], v[129:130], v[127:128]
	s_waitcnt vmcnt(20) lgkmcnt(0)
	v_fma_f64 v[127:128], v[147:148], v[131:132], v[127:128]
	s_waitcnt vmcnt(15)
	v_fma_f64 v[139:140], v[151:152], v[133:134], v[127:128]
	ds_read_b128 v[127:130], v126 offset:928
	ds_read_b128 v[131:134], v126 offset:944
	s_waitcnt vmcnt(14) lgkmcnt(1)
	v_fma_f64 v[127:128], v[163:164], v[127:128], v[139:140]
	s_waitcnt vmcnt(13)
	v_fma_f64 v[127:128], v[157:158], v[129:130], v[127:128]
	;; [unrolled: 10-line block ×3, first 2 shown]
	s_waitcnt vmcnt(4) lgkmcnt(0)
	v_fma_f64 v[126:127], v[159:160], v[131:132], v[126:127]
	s_waitcnt vmcnt(2)
	v_fma_f64 v[126:127], v[137:138], v[133:134], v[126:127]
	s_waitcnt vmcnt(0)
	v_add_f64 v[126:127], v[141:142], -v[126:127]
	buffer_store_dword v127, off, s[0:3], 0 offset:204
	buffer_store_dword v126, off, s[0:3], 0 offset:200
	v_cmpx_lt_u32_e32 24, v0
	s_cbranch_execz .LBB125_333
; %bb.332:
	s_clause 0x1
	buffer_load_dword v126, off, s[0:3], 0 offset:192
	buffer_load_dword v127, off, s[0:3], 0 offset:196
	v_mov_b32_e32 v128, 0
	buffer_store_dword v128, off, s[0:3], 0 offset:192
	buffer_store_dword v128, off, s[0:3], 0 offset:196
	s_waitcnt vmcnt(0)
	ds_write_b64 v125, v[126:127]
.LBB125_333:
	s_or_b32 exec_lo, exec_lo, s4
	s_waitcnt lgkmcnt(0)
	s_waitcnt_vscnt null, 0x0
	s_barrier
	buffer_gl0_inv
	s_clause 0x1c
	buffer_load_dword v135, off, s[0:3], 0 offset:200
	buffer_load_dword v136, off, s[0:3], 0 offset:204
	;; [unrolled: 1-line block ×29, first 2 shown]
	v_mov_b32_e32 v126, 0
	buffer_load_dword v160, off, s[0:3], 0 offset:316
	s_mov_b32 s4, exec_lo
	ds_read2_b64 v[127:130], v126 offset0:87 offset1:88
	ds_read2_b64 v[131:134], v126 offset0:89 offset1:90
	s_waitcnt vmcnt(28) lgkmcnt(1)
	v_fma_f64 v[127:128], v[135:136], v[127:128], 0
	s_clause 0x7
	buffer_load_dword v136, off, s[0:3], 0 offset:324
	buffer_load_dword v165, off, s[0:3], 0 offset:344
	buffer_load_dword v167, off, s[0:3], 0 offset:336
	buffer_load_dword v169, off, s[0:3], 0 offset:328
	buffer_load_dword v135, off, s[0:3], 0 offset:320
	buffer_load_dword v170, off, s[0:3], 0 offset:332
	buffer_load_dword v168, off, s[0:3], 0 offset:340
	buffer_load_dword v166, off, s[0:3], 0 offset:348
	s_waitcnt vmcnt(34)
	v_fma_f64 v[127:128], v[137:138], v[129:130], v[127:128]
	s_waitcnt vmcnt(32) lgkmcnt(0)
	v_fma_f64 v[127:128], v[139:140], v[131:132], v[127:128]
	s_waitcnt vmcnt(30)
	v_fma_f64 v[137:138], v[141:142], v[133:134], v[127:128]
	ds_read2_b64 v[127:130], v126 offset0:91 offset1:92
	ds_read2_b64 v[131:134], v126 offset0:93 offset1:94
	s_waitcnt vmcnt(28) lgkmcnt(1)
	v_fma_f64 v[127:128], v[143:144], v[127:128], v[137:138]
	s_clause 0x7
	buffer_load_dword v138, off, s[0:3], 0 offset:356
	buffer_load_dword v139, off, s[0:3], 0 offset:376
	buffer_load_dword v141, off, s[0:3], 0 offset:368
	buffer_load_dword v143, off, s[0:3], 0 offset:360
	buffer_load_dword v137, off, s[0:3], 0 offset:352
	buffer_load_dword v144, off, s[0:3], 0 offset:364
	buffer_load_dword v142, off, s[0:3], 0 offset:372
	buffer_load_dword v140, off, s[0:3], 0 offset:380
	s_waitcnt vmcnt(34)
	v_fma_f64 v[127:128], v[145:146], v[129:130], v[127:128]
	s_waitcnt vmcnt(32) lgkmcnt(0)
	v_fma_f64 v[127:128], v[147:148], v[131:132], v[127:128]
	s_waitcnt vmcnt(27)
	v_fma_f64 v[145:146], v[149:150], v[133:134], v[127:128]
	;; [unrolled: 19-line block ×5, first 2 shown]
	ds_read2_b64 v[127:130], v126 offset0:107 offset1:108
	ds_read2_b64 v[131:134], v126 offset0:109 offset1:110
	s_waitcnt vmcnt(26) lgkmcnt(1)
	v_fma_f64 v[127:128], v[143:144], v[127:128], v[137:138]
	s_clause 0x3
	buffer_load_dword v138, off, s[0:3], 0 offset:484
	buffer_load_dword v143, off, s[0:3], 0 offset:488
	;; [unrolled: 1-line block ×4, first 2 shown]
	s_waitcnt vmcnt(29)
	v_fma_f64 v[127:128], v[141:142], v[129:130], v[127:128]
	s_waitcnt vmcnt(28) lgkmcnt(0)
	v_fma_f64 v[127:128], v[139:140], v[131:132], v[127:128]
	s_clause 0x1
	buffer_load_dword v139, off, s[0:3], 0 offset:192
	buffer_load_dword v140, off, s[0:3], 0 offset:196
	s_waitcnt vmcnt(25)
	v_fma_f64 v[141:142], v[145:146], v[133:134], v[127:128]
	ds_read2_b64 v[127:130], v126 offset0:111 offset1:112
	ds_read2_b64 v[131:134], v126 offset0:113 offset1:114
	s_waitcnt vmcnt(24) lgkmcnt(1)
	v_fma_f64 v[127:128], v[155:156], v[127:128], v[141:142]
	s_waitcnt vmcnt(23)
	v_fma_f64 v[127:128], v[149:150], v[129:130], v[127:128]
	s_waitcnt vmcnt(22) lgkmcnt(0)
	v_fma_f64 v[127:128], v[147:148], v[131:132], v[127:128]
	s_waitcnt vmcnt(17)
	v_fma_f64 v[141:142], v[151:152], v[133:134], v[127:128]
	ds_read2_b64 v[127:130], v126 offset0:115 offset1:116
	ds_read2_b64 v[131:134], v126 offset0:117 offset1:118
	s_waitcnt vmcnt(16) lgkmcnt(1)
	v_fma_f64 v[127:128], v[163:164], v[127:128], v[141:142]
	s_waitcnt vmcnt(15)
	v_fma_f64 v[127:128], v[157:158], v[129:130], v[127:128]
	s_waitcnt vmcnt(14) lgkmcnt(0)
	v_fma_f64 v[127:128], v[153:154], v[131:132], v[127:128]
	s_waitcnt vmcnt(9)
	v_fma_f64 v[135:136], v[135:136], v[133:134], v[127:128]
	ds_read2_b64 v[127:130], v126 offset0:119 offset1:120
	ds_read2_b64 v[131:134], v126 offset0:121 offset1:122
	s_waitcnt vmcnt(8) lgkmcnt(1)
	v_fma_f64 v[127:128], v[169:170], v[127:128], v[135:136]
	s_waitcnt vmcnt(7)
	v_fma_f64 v[127:128], v[161:162], v[129:130], v[127:128]
	ds_read_b64 v[129:130], v126 offset:984
	s_waitcnt vmcnt(6) lgkmcnt(1)
	v_fma_f64 v[127:128], v[159:160], v[131:132], v[127:128]
	s_waitcnt vmcnt(3)
	v_fma_f64 v[127:128], v[137:138], v[133:134], v[127:128]
	s_waitcnt vmcnt(2) lgkmcnt(0)
	v_fma_f64 v[127:128], v[143:144], v[129:130], v[127:128]
	s_waitcnt vmcnt(0)
	v_add_f64 v[127:128], v[139:140], -v[127:128]
	buffer_store_dword v128, off, s[0:3], 0 offset:196
	buffer_store_dword v127, off, s[0:3], 0 offset:192
	v_cmpx_lt_u32_e32 23, v0
	s_cbranch_execz .LBB125_335
; %bb.334:
	s_clause 0x1
	buffer_load_dword v127, off, s[0:3], 0 offset:184
	buffer_load_dword v128, off, s[0:3], 0 offset:188
	buffer_store_dword v126, off, s[0:3], 0 offset:184
	buffer_store_dword v126, off, s[0:3], 0 offset:188
	s_waitcnt vmcnt(0)
	ds_write_b64 v125, v[127:128]
.LBB125_335:
	s_or_b32 exec_lo, exec_lo, s4
	s_waitcnt lgkmcnt(0)
	s_waitcnt_vscnt null, 0x0
	s_barrier
	buffer_gl0_inv
	s_clause 0x1c
	buffer_load_dword v135, off, s[0:3], 0 offset:192
	buffer_load_dword v136, off, s[0:3], 0 offset:196
	;; [unrolled: 1-line block ×29, first 2 shown]
	ds_read_b128 v[127:130], v126 offset:688
	ds_read_b128 v[131:134], v126 offset:704
	buffer_load_dword v160, off, s[0:3], 0 offset:308
	s_mov_b32 s4, exec_lo
	s_waitcnt vmcnt(28) lgkmcnt(1)
	v_fma_f64 v[127:128], v[135:136], v[127:128], 0
	s_clause 0x7
	buffer_load_dword v136, off, s[0:3], 0 offset:316
	buffer_load_dword v165, off, s[0:3], 0 offset:336
	buffer_load_dword v167, off, s[0:3], 0 offset:328
	buffer_load_dword v169, off, s[0:3], 0 offset:320
	buffer_load_dword v135, off, s[0:3], 0 offset:312
	buffer_load_dword v170, off, s[0:3], 0 offset:324
	buffer_load_dword v168, off, s[0:3], 0 offset:332
	buffer_load_dword v166, off, s[0:3], 0 offset:340
	s_waitcnt vmcnt(34)
	v_fma_f64 v[127:128], v[137:138], v[129:130], v[127:128]
	s_waitcnt vmcnt(32) lgkmcnt(0)
	v_fma_f64 v[127:128], v[139:140], v[131:132], v[127:128]
	s_waitcnt vmcnt(30)
	v_fma_f64 v[137:138], v[141:142], v[133:134], v[127:128]
	ds_read_b128 v[127:130], v126 offset:720
	ds_read_b128 v[131:134], v126 offset:736
	s_waitcnt vmcnt(28) lgkmcnt(1)
	v_fma_f64 v[127:128], v[143:144], v[127:128], v[137:138]
	s_clause 0x7
	buffer_load_dword v138, off, s[0:3], 0 offset:348
	buffer_load_dword v139, off, s[0:3], 0 offset:368
	buffer_load_dword v141, off, s[0:3], 0 offset:360
	buffer_load_dword v143, off, s[0:3], 0 offset:352
	buffer_load_dword v137, off, s[0:3], 0 offset:344
	buffer_load_dword v144, off, s[0:3], 0 offset:356
	buffer_load_dword v142, off, s[0:3], 0 offset:364
	buffer_load_dword v140, off, s[0:3], 0 offset:372
	s_waitcnt vmcnt(34)
	v_fma_f64 v[127:128], v[145:146], v[129:130], v[127:128]
	s_waitcnt vmcnt(32) lgkmcnt(0)
	v_fma_f64 v[127:128], v[147:148], v[131:132], v[127:128]
	s_waitcnt vmcnt(27)
	v_fma_f64 v[145:146], v[149:150], v[133:134], v[127:128]
	ds_read_b128 v[127:130], v126 offset:752
	ds_read_b128 v[131:134], v126 offset:768
	;; [unrolled: 19-line block ×5, first 2 shown]
	s_waitcnt vmcnt(26) lgkmcnt(1)
	v_fma_f64 v[127:128], v[143:144], v[127:128], v[137:138]
	s_clause 0x5
	buffer_load_dword v138, off, s[0:3], 0 offset:476
	buffer_load_dword v143, off, s[0:3], 0 offset:488
	;; [unrolled: 1-line block ×6, first 2 shown]
	s_waitcnt vmcnt(31)
	v_fma_f64 v[127:128], v[141:142], v[129:130], v[127:128]
	s_waitcnt vmcnt(30) lgkmcnt(0)
	v_fma_f64 v[127:128], v[139:140], v[131:132], v[127:128]
	s_waitcnt vmcnt(25)
	v_fma_f64 v[139:140], v[145:146], v[133:134], v[127:128]
	ds_read_b128 v[127:130], v126 offset:880
	s_clause 0x1
	buffer_load_dword v141, off, s[0:3], 0 offset:184
	buffer_load_dword v142, off, s[0:3], 0 offset:188
	ds_read_b128 v[131:134], v126 offset:896
	s_waitcnt vmcnt(26) lgkmcnt(1)
	v_fma_f64 v[127:128], v[155:156], v[127:128], v[139:140]
	s_waitcnt vmcnt(25)
	v_fma_f64 v[127:128], v[149:150], v[129:130], v[127:128]
	s_waitcnt vmcnt(24) lgkmcnt(0)
	v_fma_f64 v[127:128], v[147:148], v[131:132], v[127:128]
	s_waitcnt vmcnt(19)
	v_fma_f64 v[139:140], v[151:152], v[133:134], v[127:128]
	ds_read_b128 v[127:130], v126 offset:912
	ds_read_b128 v[131:134], v126 offset:928
	s_waitcnt vmcnt(18) lgkmcnt(1)
	v_fma_f64 v[127:128], v[163:164], v[127:128], v[139:140]
	s_waitcnt vmcnt(17)
	v_fma_f64 v[127:128], v[157:158], v[129:130], v[127:128]
	s_waitcnt vmcnt(16) lgkmcnt(0)
	v_fma_f64 v[127:128], v[153:154], v[131:132], v[127:128]
	s_waitcnt vmcnt(11)
	v_fma_f64 v[135:136], v[135:136], v[133:134], v[127:128]
	ds_read_b128 v[127:130], v126 offset:944
	;; [unrolled: 10-line block ×3, first 2 shown]
	s_waitcnt vmcnt(3) lgkmcnt(0)
	v_fma_f64 v[126:127], v[165:166], v[126:127], v[130:131]
	s_waitcnt vmcnt(2)
	v_fma_f64 v[126:127], v[143:144], v[128:129], v[126:127]
	s_waitcnt vmcnt(0)
	v_add_f64 v[126:127], v[141:142], -v[126:127]
	buffer_store_dword v127, off, s[0:3], 0 offset:188
	buffer_store_dword v126, off, s[0:3], 0 offset:184
	v_cmpx_lt_u32_e32 22, v0
	s_cbranch_execz .LBB125_337
; %bb.336:
	s_clause 0x1
	buffer_load_dword v126, off, s[0:3], 0 offset:176
	buffer_load_dword v127, off, s[0:3], 0 offset:180
	v_mov_b32_e32 v128, 0
	buffer_store_dword v128, off, s[0:3], 0 offset:176
	buffer_store_dword v128, off, s[0:3], 0 offset:180
	s_waitcnt vmcnt(0)
	ds_write_b64 v125, v[126:127]
.LBB125_337:
	s_or_b32 exec_lo, exec_lo, s4
	s_waitcnt lgkmcnt(0)
	s_waitcnt_vscnt null, 0x0
	s_barrier
	buffer_gl0_inv
	s_clause 0x1c
	buffer_load_dword v135, off, s[0:3], 0 offset:184
	buffer_load_dword v136, off, s[0:3], 0 offset:188
	;; [unrolled: 1-line block ×29, first 2 shown]
	v_mov_b32_e32 v126, 0
	buffer_load_dword v160, off, s[0:3], 0 offset:300
	s_mov_b32 s4, exec_lo
	ds_read2_b64 v[127:130], v126 offset0:85 offset1:86
	ds_read2_b64 v[131:134], v126 offset0:87 offset1:88
	s_waitcnt vmcnt(28) lgkmcnt(1)
	v_fma_f64 v[127:128], v[135:136], v[127:128], 0
	s_clause 0x7
	buffer_load_dword v136, off, s[0:3], 0 offset:308
	buffer_load_dword v165, off, s[0:3], 0 offset:328
	buffer_load_dword v167, off, s[0:3], 0 offset:320
	buffer_load_dword v169, off, s[0:3], 0 offset:312
	buffer_load_dword v135, off, s[0:3], 0 offset:304
	buffer_load_dword v170, off, s[0:3], 0 offset:316
	buffer_load_dword v168, off, s[0:3], 0 offset:324
	buffer_load_dword v166, off, s[0:3], 0 offset:332
	s_waitcnt vmcnt(34)
	v_fma_f64 v[127:128], v[137:138], v[129:130], v[127:128]
	s_waitcnt vmcnt(32) lgkmcnt(0)
	v_fma_f64 v[127:128], v[139:140], v[131:132], v[127:128]
	s_waitcnt vmcnt(30)
	v_fma_f64 v[137:138], v[141:142], v[133:134], v[127:128]
	ds_read2_b64 v[127:130], v126 offset0:89 offset1:90
	ds_read2_b64 v[131:134], v126 offset0:91 offset1:92
	s_waitcnt vmcnt(28) lgkmcnt(1)
	v_fma_f64 v[127:128], v[143:144], v[127:128], v[137:138]
	s_clause 0x7
	buffer_load_dword v138, off, s[0:3], 0 offset:340
	buffer_load_dword v139, off, s[0:3], 0 offset:360
	buffer_load_dword v141, off, s[0:3], 0 offset:352
	buffer_load_dword v143, off, s[0:3], 0 offset:344
	buffer_load_dword v137, off, s[0:3], 0 offset:336
	buffer_load_dword v144, off, s[0:3], 0 offset:348
	buffer_load_dword v142, off, s[0:3], 0 offset:356
	buffer_load_dword v140, off, s[0:3], 0 offset:364
	s_waitcnt vmcnt(34)
	v_fma_f64 v[127:128], v[145:146], v[129:130], v[127:128]
	s_waitcnt vmcnt(32) lgkmcnt(0)
	v_fma_f64 v[127:128], v[147:148], v[131:132], v[127:128]
	s_waitcnt vmcnt(27)
	v_fma_f64 v[145:146], v[149:150], v[133:134], v[127:128]
	;; [unrolled: 19-line block ×6, first 2 shown]
	ds_read2_b64 v[127:130], v126 offset0:109 offset1:110
	ds_read2_b64 v[131:134], v126 offset0:111 offset1:112
	s_waitcnt vmcnt(26) lgkmcnt(1)
	v_fma_f64 v[127:128], v[155:156], v[127:128], v[139:140]
	s_clause 0x1
	buffer_load_dword v139, off, s[0:3], 0 offset:176
	buffer_load_dword v140, off, s[0:3], 0 offset:180
	s_waitcnt vmcnt(27)
	v_fma_f64 v[127:128], v[149:150], v[129:130], v[127:128]
	s_waitcnt vmcnt(26) lgkmcnt(0)
	v_fma_f64 v[127:128], v[147:148], v[131:132], v[127:128]
	s_waitcnt vmcnt(21)
	v_fma_f64 v[141:142], v[151:152], v[133:134], v[127:128]
	ds_read2_b64 v[127:130], v126 offset0:113 offset1:114
	ds_read2_b64 v[131:134], v126 offset0:115 offset1:116
	s_waitcnt vmcnt(20) lgkmcnt(1)
	v_fma_f64 v[127:128], v[163:164], v[127:128], v[141:142]
	s_waitcnt vmcnt(19)
	v_fma_f64 v[127:128], v[157:158], v[129:130], v[127:128]
	s_waitcnt vmcnt(18) lgkmcnt(0)
	v_fma_f64 v[127:128], v[153:154], v[131:132], v[127:128]
	s_waitcnt vmcnt(13)
	v_fma_f64 v[135:136], v[135:136], v[133:134], v[127:128]
	ds_read2_b64 v[127:130], v126 offset0:117 offset1:118
	ds_read2_b64 v[131:134], v126 offset0:119 offset1:120
	s_waitcnt vmcnt(12) lgkmcnt(1)
	v_fma_f64 v[127:128], v[169:170], v[127:128], v[135:136]
	s_waitcnt vmcnt(11)
	v_fma_f64 v[127:128], v[161:162], v[129:130], v[127:128]
	s_waitcnt vmcnt(10) lgkmcnt(0)
	v_fma_f64 v[127:128], v[159:160], v[131:132], v[127:128]
	s_waitcnt vmcnt(5)
	v_fma_f64 v[131:132], v[137:138], v[133:134], v[127:128]
	ds_read2_b64 v[127:130], v126 offset0:121 offset1:122
	ds_read_b64 v[133:134], v126 offset:984
	s_waitcnt vmcnt(4) lgkmcnt(1)
	v_fma_f64 v[127:128], v[167:168], v[127:128], v[131:132]
	s_waitcnt vmcnt(3)
	v_fma_f64 v[127:128], v[165:166], v[129:130], v[127:128]
	s_waitcnt vmcnt(2) lgkmcnt(0)
	v_fma_f64 v[127:128], v[143:144], v[133:134], v[127:128]
	s_waitcnt vmcnt(0)
	v_add_f64 v[127:128], v[139:140], -v[127:128]
	buffer_store_dword v128, off, s[0:3], 0 offset:180
	buffer_store_dword v127, off, s[0:3], 0 offset:176
	v_cmpx_lt_u32_e32 21, v0
	s_cbranch_execz .LBB125_339
; %bb.338:
	s_clause 0x1
	buffer_load_dword v127, off, s[0:3], 0 offset:168
	buffer_load_dword v128, off, s[0:3], 0 offset:172
	buffer_store_dword v126, off, s[0:3], 0 offset:168
	buffer_store_dword v126, off, s[0:3], 0 offset:172
	s_waitcnt vmcnt(0)
	ds_write_b64 v125, v[127:128]
.LBB125_339:
	s_or_b32 exec_lo, exec_lo, s4
	s_waitcnt lgkmcnt(0)
	s_waitcnt_vscnt null, 0x0
	s_barrier
	buffer_gl0_inv
	s_clause 0x1c
	buffer_load_dword v135, off, s[0:3], 0 offset:176
	buffer_load_dword v136, off, s[0:3], 0 offset:180
	;; [unrolled: 1-line block ×29, first 2 shown]
	ds_read_b128 v[127:130], v126 offset:672
	ds_read_b128 v[131:134], v126 offset:688
	buffer_load_dword v160, off, s[0:3], 0 offset:292
	s_mov_b32 s4, exec_lo
	s_waitcnt vmcnt(28) lgkmcnt(1)
	v_fma_f64 v[127:128], v[135:136], v[127:128], 0
	s_clause 0x7
	buffer_load_dword v136, off, s[0:3], 0 offset:300
	buffer_load_dword v165, off, s[0:3], 0 offset:320
	buffer_load_dword v167, off, s[0:3], 0 offset:312
	buffer_load_dword v169, off, s[0:3], 0 offset:304
	buffer_load_dword v135, off, s[0:3], 0 offset:296
	buffer_load_dword v170, off, s[0:3], 0 offset:308
	buffer_load_dword v168, off, s[0:3], 0 offset:316
	buffer_load_dword v166, off, s[0:3], 0 offset:324
	s_waitcnt vmcnt(34)
	v_fma_f64 v[127:128], v[137:138], v[129:130], v[127:128]
	s_waitcnt vmcnt(32) lgkmcnt(0)
	v_fma_f64 v[127:128], v[139:140], v[131:132], v[127:128]
	s_waitcnt vmcnt(30)
	v_fma_f64 v[137:138], v[141:142], v[133:134], v[127:128]
	ds_read_b128 v[127:130], v126 offset:704
	ds_read_b128 v[131:134], v126 offset:720
	s_waitcnt vmcnt(28) lgkmcnt(1)
	v_fma_f64 v[127:128], v[143:144], v[127:128], v[137:138]
	s_clause 0x7
	buffer_load_dword v138, off, s[0:3], 0 offset:332
	buffer_load_dword v139, off, s[0:3], 0 offset:352
	buffer_load_dword v141, off, s[0:3], 0 offset:344
	buffer_load_dword v143, off, s[0:3], 0 offset:336
	buffer_load_dword v137, off, s[0:3], 0 offset:328
	buffer_load_dword v144, off, s[0:3], 0 offset:340
	buffer_load_dword v142, off, s[0:3], 0 offset:348
	buffer_load_dword v140, off, s[0:3], 0 offset:356
	s_waitcnt vmcnt(34)
	v_fma_f64 v[127:128], v[145:146], v[129:130], v[127:128]
	s_waitcnt vmcnt(32) lgkmcnt(0)
	v_fma_f64 v[127:128], v[147:148], v[131:132], v[127:128]
	s_waitcnt vmcnt(27)
	v_fma_f64 v[145:146], v[149:150], v[133:134], v[127:128]
	ds_read_b128 v[127:130], v126 offset:736
	ds_read_b128 v[131:134], v126 offset:752
	;; [unrolled: 19-line block ×6, first 2 shown]
	s_waitcnt vmcnt(26) lgkmcnt(1)
	v_fma_f64 v[127:128], v[155:156], v[127:128], v[139:140]
	s_clause 0x3
	buffer_load_dword v140, off, s[0:3], 0 offset:492
	buffer_load_dword v139, off, s[0:3], 0 offset:488
	;; [unrolled: 1-line block ×4, first 2 shown]
	s_waitcnt vmcnt(29)
	v_fma_f64 v[127:128], v[149:150], v[129:130], v[127:128]
	s_waitcnt vmcnt(28) lgkmcnt(0)
	v_fma_f64 v[127:128], v[147:148], v[131:132], v[127:128]
	s_waitcnt vmcnt(23)
	v_fma_f64 v[145:146], v[151:152], v[133:134], v[127:128]
	ds_read_b128 v[127:130], v126 offset:896
	ds_read_b128 v[131:134], v126 offset:912
	s_waitcnt vmcnt(22) lgkmcnt(1)
	v_fma_f64 v[127:128], v[163:164], v[127:128], v[145:146]
	s_waitcnt vmcnt(21)
	v_fma_f64 v[127:128], v[157:158], v[129:130], v[127:128]
	s_waitcnt vmcnt(20) lgkmcnt(0)
	v_fma_f64 v[127:128], v[153:154], v[131:132], v[127:128]
	s_waitcnt vmcnt(15)
	v_fma_f64 v[135:136], v[135:136], v[133:134], v[127:128]
	ds_read_b128 v[127:130], v126 offset:928
	ds_read_b128 v[131:134], v126 offset:944
	s_waitcnt vmcnt(14) lgkmcnt(1)
	v_fma_f64 v[127:128], v[169:170], v[127:128], v[135:136]
	;; [unrolled: 10-line block ×3, first 2 shown]
	s_waitcnt vmcnt(5)
	v_fma_f64 v[126:127], v[165:166], v[129:130], v[126:127]
	s_waitcnt vmcnt(4) lgkmcnt(0)
	v_fma_f64 v[126:127], v[143:144], v[131:132], v[126:127]
	s_waitcnt vmcnt(2)
	v_fma_f64 v[126:127], v[139:140], v[133:134], v[126:127]
	s_waitcnt vmcnt(0)
	v_add_f64 v[126:127], v[141:142], -v[126:127]
	buffer_store_dword v127, off, s[0:3], 0 offset:172
	buffer_store_dword v126, off, s[0:3], 0 offset:168
	v_cmpx_lt_u32_e32 20, v0
	s_cbranch_execz .LBB125_341
; %bb.340:
	s_clause 0x1
	buffer_load_dword v126, off, s[0:3], 0 offset:160
	buffer_load_dword v127, off, s[0:3], 0 offset:164
	v_mov_b32_e32 v128, 0
	buffer_store_dword v128, off, s[0:3], 0 offset:160
	buffer_store_dword v128, off, s[0:3], 0 offset:164
	s_waitcnt vmcnt(0)
	ds_write_b64 v125, v[126:127]
.LBB125_341:
	s_or_b32 exec_lo, exec_lo, s4
	s_waitcnt lgkmcnt(0)
	s_waitcnt_vscnt null, 0x0
	s_barrier
	buffer_gl0_inv
	s_clause 0x1c
	buffer_load_dword v135, off, s[0:3], 0 offset:168
	buffer_load_dword v136, off, s[0:3], 0 offset:172
	;; [unrolled: 1-line block ×29, first 2 shown]
	v_mov_b32_e32 v126, 0
	buffer_load_dword v160, off, s[0:3], 0 offset:284
	s_mov_b32 s4, exec_lo
	ds_read2_b64 v[127:130], v126 offset0:83 offset1:84
	ds_read2_b64 v[131:134], v126 offset0:85 offset1:86
	s_waitcnt vmcnt(28) lgkmcnt(1)
	v_fma_f64 v[127:128], v[135:136], v[127:128], 0
	s_clause 0x7
	buffer_load_dword v136, off, s[0:3], 0 offset:292
	buffer_load_dword v165, off, s[0:3], 0 offset:312
	buffer_load_dword v167, off, s[0:3], 0 offset:304
	buffer_load_dword v169, off, s[0:3], 0 offset:296
	buffer_load_dword v135, off, s[0:3], 0 offset:288
	buffer_load_dword v170, off, s[0:3], 0 offset:300
	buffer_load_dword v168, off, s[0:3], 0 offset:308
	buffer_load_dword v166, off, s[0:3], 0 offset:316
	s_waitcnt vmcnt(34)
	v_fma_f64 v[127:128], v[137:138], v[129:130], v[127:128]
	s_waitcnt vmcnt(32) lgkmcnt(0)
	v_fma_f64 v[127:128], v[139:140], v[131:132], v[127:128]
	s_waitcnt vmcnt(30)
	v_fma_f64 v[137:138], v[141:142], v[133:134], v[127:128]
	ds_read2_b64 v[127:130], v126 offset0:87 offset1:88
	ds_read2_b64 v[131:134], v126 offset0:89 offset1:90
	s_waitcnt vmcnt(28) lgkmcnt(1)
	v_fma_f64 v[127:128], v[143:144], v[127:128], v[137:138]
	s_clause 0x7
	buffer_load_dword v138, off, s[0:3], 0 offset:324
	buffer_load_dword v139, off, s[0:3], 0 offset:344
	buffer_load_dword v141, off, s[0:3], 0 offset:336
	buffer_load_dword v143, off, s[0:3], 0 offset:328
	buffer_load_dword v137, off, s[0:3], 0 offset:320
	buffer_load_dword v144, off, s[0:3], 0 offset:332
	buffer_load_dword v142, off, s[0:3], 0 offset:340
	buffer_load_dword v140, off, s[0:3], 0 offset:348
	s_waitcnt vmcnt(34)
	v_fma_f64 v[127:128], v[145:146], v[129:130], v[127:128]
	s_waitcnt vmcnt(32) lgkmcnt(0)
	v_fma_f64 v[127:128], v[147:148], v[131:132], v[127:128]
	s_waitcnt vmcnt(27)
	v_fma_f64 v[145:146], v[149:150], v[133:134], v[127:128]
	;; [unrolled: 19-line block ×6, first 2 shown]
	ds_read2_b64 v[127:130], v126 offset0:107 offset1:108
	ds_read2_b64 v[131:134], v126 offset0:109 offset1:110
	s_waitcnt vmcnt(26) lgkmcnt(1)
	v_fma_f64 v[127:128], v[155:156], v[127:128], v[139:140]
	s_clause 0x5
	buffer_load_dword v140, off, s[0:3], 0 offset:484
	buffer_load_dword v141, off, s[0:3], 0 offset:488
	;; [unrolled: 1-line block ×6, first 2 shown]
	s_waitcnt vmcnt(31)
	v_fma_f64 v[127:128], v[149:150], v[129:130], v[127:128]
	s_waitcnt vmcnt(30) lgkmcnt(0)
	v_fma_f64 v[127:128], v[147:148], v[131:132], v[127:128]
	s_waitcnt vmcnt(25)
	v_fma_f64 v[147:148], v[151:152], v[133:134], v[127:128]
	ds_read2_b64 v[127:130], v126 offset0:111 offset1:112
	ds_read2_b64 v[131:134], v126 offset0:113 offset1:114
	s_waitcnt vmcnt(24) lgkmcnt(1)
	v_fma_f64 v[127:128], v[163:164], v[127:128], v[147:148]
	s_waitcnt vmcnt(23)
	v_fma_f64 v[127:128], v[157:158], v[129:130], v[127:128]
	s_waitcnt vmcnt(22) lgkmcnt(0)
	v_fma_f64 v[127:128], v[153:154], v[131:132], v[127:128]
	s_waitcnt vmcnt(17)
	v_fma_f64 v[135:136], v[135:136], v[133:134], v[127:128]
	ds_read2_b64 v[127:130], v126 offset0:115 offset1:116
	ds_read2_b64 v[131:134], v126 offset0:117 offset1:118
	s_waitcnt vmcnt(16) lgkmcnt(1)
	v_fma_f64 v[127:128], v[169:170], v[127:128], v[135:136]
	;; [unrolled: 10-line block ×3, first 2 shown]
	s_waitcnt vmcnt(7)
	v_fma_f64 v[127:128], v[165:166], v[129:130], v[127:128]
	ds_read_b64 v[129:130], v126 offset:984
	s_waitcnt vmcnt(6) lgkmcnt(1)
	v_fma_f64 v[127:128], v[143:144], v[131:132], v[127:128]
	s_waitcnt vmcnt(3)
	v_fma_f64 v[127:128], v[139:140], v[133:134], v[127:128]
	s_waitcnt vmcnt(2) lgkmcnt(0)
	v_fma_f64 v[127:128], v[141:142], v[129:130], v[127:128]
	s_waitcnt vmcnt(0)
	v_add_f64 v[127:128], v[145:146], -v[127:128]
	buffer_store_dword v128, off, s[0:3], 0 offset:164
	buffer_store_dword v127, off, s[0:3], 0 offset:160
	v_cmpx_lt_u32_e32 19, v0
	s_cbranch_execz .LBB125_343
; %bb.342:
	s_clause 0x1
	buffer_load_dword v127, off, s[0:3], 0 offset:152
	buffer_load_dword v128, off, s[0:3], 0 offset:156
	buffer_store_dword v126, off, s[0:3], 0 offset:152
	buffer_store_dword v126, off, s[0:3], 0 offset:156
	s_waitcnt vmcnt(0)
	ds_write_b64 v125, v[127:128]
.LBB125_343:
	s_or_b32 exec_lo, exec_lo, s4
	s_waitcnt lgkmcnt(0)
	s_waitcnt_vscnt null, 0x0
	s_barrier
	buffer_gl0_inv
	s_clause 0x1c
	buffer_load_dword v135, off, s[0:3], 0 offset:160
	buffer_load_dword v136, off, s[0:3], 0 offset:164
	;; [unrolled: 1-line block ×29, first 2 shown]
	ds_read_b128 v[127:130], v126 offset:656
	ds_read_b128 v[131:134], v126 offset:672
	buffer_load_dword v160, off, s[0:3], 0 offset:276
	s_mov_b32 s4, exec_lo
	s_waitcnt vmcnt(28) lgkmcnt(1)
	v_fma_f64 v[127:128], v[135:136], v[127:128], 0
	s_clause 0x7
	buffer_load_dword v136, off, s[0:3], 0 offset:284
	buffer_load_dword v165, off, s[0:3], 0 offset:304
	buffer_load_dword v167, off, s[0:3], 0 offset:296
	buffer_load_dword v169, off, s[0:3], 0 offset:288
	buffer_load_dword v135, off, s[0:3], 0 offset:280
	buffer_load_dword v170, off, s[0:3], 0 offset:292
	buffer_load_dword v168, off, s[0:3], 0 offset:300
	buffer_load_dword v166, off, s[0:3], 0 offset:308
	s_waitcnt vmcnt(34)
	v_fma_f64 v[127:128], v[137:138], v[129:130], v[127:128]
	s_waitcnt vmcnt(32) lgkmcnt(0)
	v_fma_f64 v[127:128], v[139:140], v[131:132], v[127:128]
	s_waitcnt vmcnt(30)
	v_fma_f64 v[137:138], v[141:142], v[133:134], v[127:128]
	ds_read_b128 v[127:130], v126 offset:688
	ds_read_b128 v[131:134], v126 offset:704
	s_waitcnt vmcnt(28) lgkmcnt(1)
	v_fma_f64 v[127:128], v[143:144], v[127:128], v[137:138]
	s_clause 0x7
	buffer_load_dword v138, off, s[0:3], 0 offset:316
	buffer_load_dword v139, off, s[0:3], 0 offset:336
	buffer_load_dword v141, off, s[0:3], 0 offset:328
	buffer_load_dword v143, off, s[0:3], 0 offset:320
	buffer_load_dword v137, off, s[0:3], 0 offset:312
	buffer_load_dword v144, off, s[0:3], 0 offset:324
	buffer_load_dword v142, off, s[0:3], 0 offset:332
	buffer_load_dword v140, off, s[0:3], 0 offset:340
	s_waitcnt vmcnt(34)
	v_fma_f64 v[127:128], v[145:146], v[129:130], v[127:128]
	s_waitcnt vmcnt(32) lgkmcnt(0)
	v_fma_f64 v[127:128], v[147:148], v[131:132], v[127:128]
	s_waitcnt vmcnt(27)
	v_fma_f64 v[145:146], v[149:150], v[133:134], v[127:128]
	ds_read_b128 v[127:130], v126 offset:720
	ds_read_b128 v[131:134], v126 offset:736
	;; [unrolled: 19-line block ×6, first 2 shown]
	s_waitcnt vmcnt(26) lgkmcnt(1)
	v_fma_f64 v[127:128], v[155:156], v[127:128], v[139:140]
	s_clause 0x5
	buffer_load_dword v140, off, s[0:3], 0 offset:476
	buffer_load_dword v141, off, s[0:3], 0 offset:488
	;; [unrolled: 1-line block ×6, first 2 shown]
	s_waitcnt vmcnt(31)
	v_fma_f64 v[127:128], v[149:150], v[129:130], v[127:128]
	s_waitcnt vmcnt(30) lgkmcnt(0)
	v_fma_f64 v[127:128], v[147:148], v[131:132], v[127:128]
	s_waitcnt vmcnt(25)
	v_fma_f64 v[147:148], v[151:152], v[133:134], v[127:128]
	ds_read_b128 v[127:130], v126 offset:880
	s_clause 0x1
	buffer_load_dword v149, off, s[0:3], 0 offset:152
	buffer_load_dword v150, off, s[0:3], 0 offset:156
	ds_read_b128 v[131:134], v126 offset:896
	s_waitcnt vmcnt(26) lgkmcnt(1)
	v_fma_f64 v[127:128], v[163:164], v[127:128], v[147:148]
	s_waitcnt vmcnt(25)
	v_fma_f64 v[127:128], v[157:158], v[129:130], v[127:128]
	s_waitcnt vmcnt(24) lgkmcnt(0)
	v_fma_f64 v[127:128], v[153:154], v[131:132], v[127:128]
	s_waitcnt vmcnt(19)
	v_fma_f64 v[135:136], v[135:136], v[133:134], v[127:128]
	ds_read_b128 v[127:130], v126 offset:912
	ds_read_b128 v[131:134], v126 offset:928
	s_waitcnt vmcnt(18) lgkmcnt(1)
	v_fma_f64 v[127:128], v[169:170], v[127:128], v[135:136]
	s_waitcnt vmcnt(17)
	v_fma_f64 v[127:128], v[161:162], v[129:130], v[127:128]
	s_waitcnt vmcnt(16) lgkmcnt(0)
	v_fma_f64 v[127:128], v[159:160], v[131:132], v[127:128]
	s_waitcnt vmcnt(11)
	v_fma_f64 v[135:136], v[137:138], v[133:134], v[127:128]
	ds_read_b128 v[127:130], v126 offset:944
	;; [unrolled: 10-line block ×3, first 2 shown]
	s_waitcnt vmcnt(3) lgkmcnt(0)
	v_fma_f64 v[126:127], v[145:146], v[126:127], v[130:131]
	s_waitcnt vmcnt(2)
	v_fma_f64 v[126:127], v[141:142], v[128:129], v[126:127]
	s_waitcnt vmcnt(0)
	v_add_f64 v[126:127], v[149:150], -v[126:127]
	buffer_store_dword v127, off, s[0:3], 0 offset:156
	buffer_store_dword v126, off, s[0:3], 0 offset:152
	v_cmpx_lt_u32_e32 18, v0
	s_cbranch_execz .LBB125_345
; %bb.344:
	s_clause 0x1
	buffer_load_dword v126, off, s[0:3], 0 offset:144
	buffer_load_dword v127, off, s[0:3], 0 offset:148
	v_mov_b32_e32 v128, 0
	buffer_store_dword v128, off, s[0:3], 0 offset:144
	buffer_store_dword v128, off, s[0:3], 0 offset:148
	s_waitcnt vmcnt(0)
	ds_write_b64 v125, v[126:127]
.LBB125_345:
	s_or_b32 exec_lo, exec_lo, s4
	s_waitcnt lgkmcnt(0)
	s_waitcnt_vscnt null, 0x0
	s_barrier
	buffer_gl0_inv
	s_clause 0x1c
	buffer_load_dword v135, off, s[0:3], 0 offset:152
	buffer_load_dword v136, off, s[0:3], 0 offset:156
	;; [unrolled: 1-line block ×29, first 2 shown]
	v_mov_b32_e32 v126, 0
	buffer_load_dword v160, off, s[0:3], 0 offset:268
	s_mov_b32 s4, exec_lo
	ds_read2_b64 v[127:130], v126 offset0:81 offset1:82
	ds_read2_b64 v[131:134], v126 offset0:83 offset1:84
	s_waitcnt vmcnt(28) lgkmcnt(1)
	v_fma_f64 v[127:128], v[135:136], v[127:128], 0
	s_clause 0x7
	buffer_load_dword v136, off, s[0:3], 0 offset:276
	buffer_load_dword v165, off, s[0:3], 0 offset:296
	buffer_load_dword v167, off, s[0:3], 0 offset:288
	buffer_load_dword v169, off, s[0:3], 0 offset:280
	buffer_load_dword v135, off, s[0:3], 0 offset:272
	buffer_load_dword v170, off, s[0:3], 0 offset:284
	buffer_load_dword v168, off, s[0:3], 0 offset:292
	buffer_load_dword v166, off, s[0:3], 0 offset:300
	s_waitcnt vmcnt(34)
	v_fma_f64 v[127:128], v[137:138], v[129:130], v[127:128]
	s_waitcnt vmcnt(32) lgkmcnt(0)
	v_fma_f64 v[127:128], v[139:140], v[131:132], v[127:128]
	s_waitcnt vmcnt(30)
	v_fma_f64 v[137:138], v[141:142], v[133:134], v[127:128]
	ds_read2_b64 v[127:130], v126 offset0:85 offset1:86
	ds_read2_b64 v[131:134], v126 offset0:87 offset1:88
	s_waitcnt vmcnt(28) lgkmcnt(1)
	v_fma_f64 v[127:128], v[143:144], v[127:128], v[137:138]
	s_clause 0x7
	buffer_load_dword v138, off, s[0:3], 0 offset:308
	buffer_load_dword v139, off, s[0:3], 0 offset:328
	buffer_load_dword v141, off, s[0:3], 0 offset:320
	buffer_load_dword v143, off, s[0:3], 0 offset:312
	buffer_load_dword v137, off, s[0:3], 0 offset:304
	buffer_load_dword v144, off, s[0:3], 0 offset:316
	buffer_load_dword v142, off, s[0:3], 0 offset:324
	buffer_load_dword v140, off, s[0:3], 0 offset:332
	s_waitcnt vmcnt(34)
	v_fma_f64 v[127:128], v[145:146], v[129:130], v[127:128]
	s_waitcnt vmcnt(32) lgkmcnt(0)
	v_fma_f64 v[127:128], v[147:148], v[131:132], v[127:128]
	s_waitcnt vmcnt(27)
	v_fma_f64 v[145:146], v[149:150], v[133:134], v[127:128]
	;; [unrolled: 19-line block ×7, first 2 shown]
	ds_read2_b64 v[127:130], v126 offset0:109 offset1:110
	ds_read2_b64 v[131:134], v126 offset0:111 offset1:112
	s_waitcnt vmcnt(26) lgkmcnt(1)
	v_fma_f64 v[127:128], v[163:164], v[127:128], v[147:148]
	s_clause 0x1
	buffer_load_dword v147, off, s[0:3], 0 offset:144
	buffer_load_dword v148, off, s[0:3], 0 offset:148
	s_waitcnt vmcnt(27)
	v_fma_f64 v[127:128], v[157:158], v[129:130], v[127:128]
	s_waitcnt vmcnt(26) lgkmcnt(0)
	v_fma_f64 v[127:128], v[153:154], v[131:132], v[127:128]
	s_waitcnt vmcnt(21)
	v_fma_f64 v[135:136], v[135:136], v[133:134], v[127:128]
	ds_read2_b64 v[127:130], v126 offset0:113 offset1:114
	ds_read2_b64 v[131:134], v126 offset0:115 offset1:116
	s_waitcnt vmcnt(20) lgkmcnt(1)
	v_fma_f64 v[127:128], v[169:170], v[127:128], v[135:136]
	s_waitcnt vmcnt(19)
	v_fma_f64 v[127:128], v[161:162], v[129:130], v[127:128]
	s_waitcnt vmcnt(18) lgkmcnt(0)
	v_fma_f64 v[127:128], v[159:160], v[131:132], v[127:128]
	s_waitcnt vmcnt(13)
	v_fma_f64 v[135:136], v[137:138], v[133:134], v[127:128]
	ds_read2_b64 v[127:130], v126 offset0:117 offset1:118
	ds_read2_b64 v[131:134], v126 offset0:119 offset1:120
	s_waitcnt vmcnt(12) lgkmcnt(1)
	v_fma_f64 v[127:128], v[167:168], v[127:128], v[135:136]
	s_waitcnt vmcnt(11)
	v_fma_f64 v[127:128], v[165:166], v[129:130], v[127:128]
	s_waitcnt vmcnt(10) lgkmcnt(0)
	v_fma_f64 v[127:128], v[143:144], v[131:132], v[127:128]
	s_waitcnt vmcnt(5)
	v_fma_f64 v[131:132], v[139:140], v[133:134], v[127:128]
	ds_read2_b64 v[127:130], v126 offset0:121 offset1:122
	ds_read_b64 v[133:134], v126 offset:984
	s_waitcnt vmcnt(4) lgkmcnt(1)
	v_fma_f64 v[127:128], v[155:156], v[127:128], v[131:132]
	s_waitcnt vmcnt(3)
	v_fma_f64 v[127:128], v[145:146], v[129:130], v[127:128]
	s_waitcnt vmcnt(2) lgkmcnt(0)
	v_fma_f64 v[127:128], v[141:142], v[133:134], v[127:128]
	s_waitcnt vmcnt(0)
	v_add_f64 v[127:128], v[147:148], -v[127:128]
	buffer_store_dword v128, off, s[0:3], 0 offset:148
	buffer_store_dword v127, off, s[0:3], 0 offset:144
	v_cmpx_lt_u32_e32 17, v0
	s_cbranch_execz .LBB125_347
; %bb.346:
	s_clause 0x1
	buffer_load_dword v127, off, s[0:3], 0 offset:136
	buffer_load_dword v128, off, s[0:3], 0 offset:140
	buffer_store_dword v126, off, s[0:3], 0 offset:136
	buffer_store_dword v126, off, s[0:3], 0 offset:140
	s_waitcnt vmcnt(0)
	ds_write_b64 v125, v[127:128]
.LBB125_347:
	s_or_b32 exec_lo, exec_lo, s4
	s_waitcnt lgkmcnt(0)
	s_waitcnt_vscnt null, 0x0
	s_barrier
	buffer_gl0_inv
	s_clause 0x1c
	buffer_load_dword v135, off, s[0:3], 0 offset:144
	buffer_load_dword v136, off, s[0:3], 0 offset:148
	;; [unrolled: 1-line block ×29, first 2 shown]
	ds_read_b128 v[127:130], v126 offset:640
	ds_read_b128 v[131:134], v126 offset:656
	buffer_load_dword v160, off, s[0:3], 0 offset:260
	s_mov_b32 s4, exec_lo
	s_waitcnt vmcnt(28) lgkmcnt(1)
	v_fma_f64 v[127:128], v[135:136], v[127:128], 0
	s_clause 0x7
	buffer_load_dword v136, off, s[0:3], 0 offset:268
	buffer_load_dword v165, off, s[0:3], 0 offset:288
	buffer_load_dword v167, off, s[0:3], 0 offset:280
	buffer_load_dword v169, off, s[0:3], 0 offset:272
	buffer_load_dword v135, off, s[0:3], 0 offset:264
	buffer_load_dword v170, off, s[0:3], 0 offset:276
	buffer_load_dword v168, off, s[0:3], 0 offset:284
	buffer_load_dword v166, off, s[0:3], 0 offset:292
	s_waitcnt vmcnt(34)
	v_fma_f64 v[127:128], v[137:138], v[129:130], v[127:128]
	s_waitcnt vmcnt(32) lgkmcnt(0)
	v_fma_f64 v[127:128], v[139:140], v[131:132], v[127:128]
	s_waitcnt vmcnt(30)
	v_fma_f64 v[137:138], v[141:142], v[133:134], v[127:128]
	ds_read_b128 v[127:130], v126 offset:672
	ds_read_b128 v[131:134], v126 offset:688
	s_waitcnt vmcnt(28) lgkmcnt(1)
	v_fma_f64 v[127:128], v[143:144], v[127:128], v[137:138]
	s_clause 0x7
	buffer_load_dword v138, off, s[0:3], 0 offset:300
	buffer_load_dword v139, off, s[0:3], 0 offset:320
	buffer_load_dword v141, off, s[0:3], 0 offset:312
	buffer_load_dword v143, off, s[0:3], 0 offset:304
	buffer_load_dword v137, off, s[0:3], 0 offset:296
	buffer_load_dword v144, off, s[0:3], 0 offset:308
	buffer_load_dword v142, off, s[0:3], 0 offset:316
	buffer_load_dword v140, off, s[0:3], 0 offset:324
	s_waitcnt vmcnt(34)
	v_fma_f64 v[127:128], v[145:146], v[129:130], v[127:128]
	s_waitcnt vmcnt(32) lgkmcnt(0)
	v_fma_f64 v[127:128], v[147:148], v[131:132], v[127:128]
	s_waitcnt vmcnt(27)
	v_fma_f64 v[145:146], v[149:150], v[133:134], v[127:128]
	ds_read_b128 v[127:130], v126 offset:704
	ds_read_b128 v[131:134], v126 offset:720
	;; [unrolled: 19-line block ×7, first 2 shown]
	s_waitcnt vmcnt(26) lgkmcnt(1)
	v_fma_f64 v[127:128], v[163:164], v[127:128], v[147:148]
	s_clause 0x3
	buffer_load_dword v148, off, s[0:3], 0 offset:492
	buffer_load_dword v147, off, s[0:3], 0 offset:488
	;; [unrolled: 1-line block ×4, first 2 shown]
	s_waitcnt vmcnt(29)
	v_fma_f64 v[127:128], v[157:158], v[129:130], v[127:128]
	s_waitcnt vmcnt(28) lgkmcnt(0)
	v_fma_f64 v[127:128], v[153:154], v[131:132], v[127:128]
	s_waitcnt vmcnt(23)
	v_fma_f64 v[135:136], v[135:136], v[133:134], v[127:128]
	ds_read_b128 v[127:130], v126 offset:896
	ds_read_b128 v[131:134], v126 offset:912
	s_waitcnt vmcnt(22) lgkmcnt(1)
	v_fma_f64 v[127:128], v[169:170], v[127:128], v[135:136]
	s_waitcnt vmcnt(21)
	v_fma_f64 v[127:128], v[161:162], v[129:130], v[127:128]
	s_waitcnt vmcnt(20) lgkmcnt(0)
	v_fma_f64 v[127:128], v[159:160], v[131:132], v[127:128]
	s_waitcnt vmcnt(15)
	v_fma_f64 v[135:136], v[137:138], v[133:134], v[127:128]
	ds_read_b128 v[127:130], v126 offset:928
	ds_read_b128 v[131:134], v126 offset:944
	s_waitcnt vmcnt(14) lgkmcnt(1)
	v_fma_f64 v[127:128], v[167:168], v[127:128], v[135:136]
	;; [unrolled: 10-line block ×3, first 2 shown]
	s_waitcnt vmcnt(5)
	v_fma_f64 v[126:127], v[145:146], v[129:130], v[126:127]
	s_waitcnt vmcnt(4) lgkmcnt(0)
	v_fma_f64 v[126:127], v[141:142], v[131:132], v[126:127]
	s_waitcnt vmcnt(2)
	v_fma_f64 v[126:127], v[147:148], v[133:134], v[126:127]
	s_waitcnt vmcnt(0)
	v_add_f64 v[126:127], v[149:150], -v[126:127]
	buffer_store_dword v127, off, s[0:3], 0 offset:140
	buffer_store_dword v126, off, s[0:3], 0 offset:136
	v_cmpx_lt_u32_e32 16, v0
	s_cbranch_execz .LBB125_349
; %bb.348:
	s_clause 0x1
	buffer_load_dword v126, off, s[0:3], 0 offset:128
	buffer_load_dword v127, off, s[0:3], 0 offset:132
	v_mov_b32_e32 v128, 0
	buffer_store_dword v128, off, s[0:3], 0 offset:128
	buffer_store_dword v128, off, s[0:3], 0 offset:132
	s_waitcnt vmcnt(0)
	ds_write_b64 v125, v[126:127]
.LBB125_349:
	s_or_b32 exec_lo, exec_lo, s4
	s_waitcnt lgkmcnt(0)
	s_waitcnt_vscnt null, 0x0
	s_barrier
	buffer_gl0_inv
	s_clause 0x1c
	buffer_load_dword v135, off, s[0:3], 0 offset:136
	buffer_load_dword v136, off, s[0:3], 0 offset:140
	;; [unrolled: 1-line block ×29, first 2 shown]
	v_mov_b32_e32 v126, 0
	buffer_load_dword v160, off, s[0:3], 0 offset:252
	s_mov_b32 s4, exec_lo
	ds_read2_b64 v[127:130], v126 offset0:79 offset1:80
	ds_read2_b64 v[131:134], v126 offset0:81 offset1:82
	s_waitcnt vmcnt(28) lgkmcnt(1)
	v_fma_f64 v[127:128], v[135:136], v[127:128], 0
	s_clause 0x7
	buffer_load_dword v136, off, s[0:3], 0 offset:260
	buffer_load_dword v165, off, s[0:3], 0 offset:280
	buffer_load_dword v167, off, s[0:3], 0 offset:272
	buffer_load_dword v169, off, s[0:3], 0 offset:264
	buffer_load_dword v135, off, s[0:3], 0 offset:256
	buffer_load_dword v170, off, s[0:3], 0 offset:268
	buffer_load_dword v168, off, s[0:3], 0 offset:276
	buffer_load_dword v166, off, s[0:3], 0 offset:284
	s_waitcnt vmcnt(34)
	v_fma_f64 v[127:128], v[137:138], v[129:130], v[127:128]
	s_waitcnt vmcnt(32) lgkmcnt(0)
	v_fma_f64 v[127:128], v[139:140], v[131:132], v[127:128]
	s_waitcnt vmcnt(30)
	v_fma_f64 v[137:138], v[141:142], v[133:134], v[127:128]
	ds_read2_b64 v[127:130], v126 offset0:83 offset1:84
	ds_read2_b64 v[131:134], v126 offset0:85 offset1:86
	s_waitcnt vmcnt(28) lgkmcnt(1)
	v_fma_f64 v[127:128], v[143:144], v[127:128], v[137:138]
	s_clause 0x7
	buffer_load_dword v138, off, s[0:3], 0 offset:292
	buffer_load_dword v139, off, s[0:3], 0 offset:312
	buffer_load_dword v141, off, s[0:3], 0 offset:304
	buffer_load_dword v143, off, s[0:3], 0 offset:296
	buffer_load_dword v137, off, s[0:3], 0 offset:288
	buffer_load_dword v144, off, s[0:3], 0 offset:300
	buffer_load_dword v142, off, s[0:3], 0 offset:308
	buffer_load_dword v140, off, s[0:3], 0 offset:316
	s_waitcnt vmcnt(34)
	v_fma_f64 v[127:128], v[145:146], v[129:130], v[127:128]
	s_waitcnt vmcnt(32) lgkmcnt(0)
	v_fma_f64 v[127:128], v[147:148], v[131:132], v[127:128]
	s_waitcnt vmcnt(27)
	v_fma_f64 v[145:146], v[149:150], v[133:134], v[127:128]
	;; [unrolled: 19-line block ×7, first 2 shown]
	ds_read2_b64 v[127:130], v126 offset0:107 offset1:108
	ds_read2_b64 v[131:134], v126 offset0:109 offset1:110
	s_waitcnt vmcnt(26) lgkmcnt(1)
	v_fma_f64 v[127:128], v[163:164], v[127:128], v[147:148]
	s_clause 0x5
	buffer_load_dword v148, off, s[0:3], 0 offset:484
	buffer_load_dword v149, off, s[0:3], 0 offset:488
	;; [unrolled: 1-line block ×6, first 2 shown]
	s_waitcnt vmcnt(31)
	v_fma_f64 v[127:128], v[157:158], v[129:130], v[127:128]
	s_waitcnt vmcnt(30) lgkmcnt(0)
	v_fma_f64 v[127:128], v[153:154], v[131:132], v[127:128]
	s_waitcnt vmcnt(25)
	v_fma_f64 v[135:136], v[135:136], v[133:134], v[127:128]
	ds_read2_b64 v[127:130], v126 offset0:111 offset1:112
	ds_read2_b64 v[131:134], v126 offset0:113 offset1:114
	s_waitcnt vmcnt(24) lgkmcnt(1)
	v_fma_f64 v[127:128], v[169:170], v[127:128], v[135:136]
	s_waitcnt vmcnt(23)
	v_fma_f64 v[127:128], v[161:162], v[129:130], v[127:128]
	s_waitcnt vmcnt(22) lgkmcnt(0)
	v_fma_f64 v[127:128], v[159:160], v[131:132], v[127:128]
	s_waitcnt vmcnt(17)
	v_fma_f64 v[135:136], v[137:138], v[133:134], v[127:128]
	ds_read2_b64 v[127:130], v126 offset0:115 offset1:116
	ds_read2_b64 v[131:134], v126 offset0:117 offset1:118
	s_waitcnt vmcnt(16) lgkmcnt(1)
	v_fma_f64 v[127:128], v[167:168], v[127:128], v[135:136]
	;; [unrolled: 10-line block ×3, first 2 shown]
	s_waitcnt vmcnt(7)
	v_fma_f64 v[127:128], v[145:146], v[129:130], v[127:128]
	ds_read_b64 v[129:130], v126 offset:984
	s_waitcnt vmcnt(6) lgkmcnt(1)
	v_fma_f64 v[127:128], v[141:142], v[131:132], v[127:128]
	s_waitcnt vmcnt(3)
	v_fma_f64 v[127:128], v[147:148], v[133:134], v[127:128]
	s_waitcnt vmcnt(2) lgkmcnt(0)
	v_fma_f64 v[127:128], v[149:150], v[129:130], v[127:128]
	s_waitcnt vmcnt(0)
	v_add_f64 v[127:128], v[151:152], -v[127:128]
	buffer_store_dword v128, off, s[0:3], 0 offset:132
	buffer_store_dword v127, off, s[0:3], 0 offset:128
	v_cmpx_lt_u32_e32 15, v0
	s_cbranch_execz .LBB125_351
; %bb.350:
	s_clause 0x1
	buffer_load_dword v127, off, s[0:3], 0 offset:120
	buffer_load_dword v128, off, s[0:3], 0 offset:124
	buffer_store_dword v126, off, s[0:3], 0 offset:120
	buffer_store_dword v126, off, s[0:3], 0 offset:124
	s_waitcnt vmcnt(0)
	ds_write_b64 v125, v[127:128]
.LBB125_351:
	s_or_b32 exec_lo, exec_lo, s4
	s_waitcnt lgkmcnt(0)
	s_waitcnt_vscnt null, 0x0
	s_barrier
	buffer_gl0_inv
	s_clause 0x1c
	buffer_load_dword v135, off, s[0:3], 0 offset:128
	buffer_load_dword v136, off, s[0:3], 0 offset:132
	;; [unrolled: 1-line block ×29, first 2 shown]
	ds_read_b128 v[127:130], v126 offset:624
	ds_read_b128 v[131:134], v126 offset:640
	buffer_load_dword v160, off, s[0:3], 0 offset:244
	s_mov_b32 s4, exec_lo
	s_waitcnt vmcnt(28) lgkmcnt(1)
	v_fma_f64 v[127:128], v[135:136], v[127:128], 0
	s_clause 0x7
	buffer_load_dword v136, off, s[0:3], 0 offset:252
	buffer_load_dword v165, off, s[0:3], 0 offset:272
	buffer_load_dword v167, off, s[0:3], 0 offset:264
	buffer_load_dword v169, off, s[0:3], 0 offset:256
	buffer_load_dword v135, off, s[0:3], 0 offset:248
	buffer_load_dword v170, off, s[0:3], 0 offset:260
	buffer_load_dword v168, off, s[0:3], 0 offset:268
	buffer_load_dword v166, off, s[0:3], 0 offset:276
	s_waitcnt vmcnt(34)
	v_fma_f64 v[127:128], v[137:138], v[129:130], v[127:128]
	s_waitcnt vmcnt(32) lgkmcnt(0)
	v_fma_f64 v[127:128], v[139:140], v[131:132], v[127:128]
	s_waitcnt vmcnt(30)
	v_fma_f64 v[137:138], v[141:142], v[133:134], v[127:128]
	ds_read_b128 v[127:130], v126 offset:656
	ds_read_b128 v[131:134], v126 offset:672
	s_waitcnt vmcnt(28) lgkmcnt(1)
	v_fma_f64 v[127:128], v[143:144], v[127:128], v[137:138]
	s_clause 0x7
	buffer_load_dword v138, off, s[0:3], 0 offset:284
	buffer_load_dword v139, off, s[0:3], 0 offset:304
	buffer_load_dword v141, off, s[0:3], 0 offset:296
	buffer_load_dword v143, off, s[0:3], 0 offset:288
	buffer_load_dword v137, off, s[0:3], 0 offset:280
	buffer_load_dword v144, off, s[0:3], 0 offset:292
	buffer_load_dword v142, off, s[0:3], 0 offset:300
	buffer_load_dword v140, off, s[0:3], 0 offset:308
	s_waitcnt vmcnt(34)
	v_fma_f64 v[127:128], v[145:146], v[129:130], v[127:128]
	s_waitcnt vmcnt(32) lgkmcnt(0)
	v_fma_f64 v[127:128], v[147:148], v[131:132], v[127:128]
	s_waitcnt vmcnt(27)
	v_fma_f64 v[145:146], v[149:150], v[133:134], v[127:128]
	ds_read_b128 v[127:130], v126 offset:688
	ds_read_b128 v[131:134], v126 offset:704
	;; [unrolled: 19-line block ×7, first 2 shown]
	s_waitcnt vmcnt(26) lgkmcnt(1)
	v_fma_f64 v[127:128], v[163:164], v[127:128], v[147:148]
	s_clause 0x5
	buffer_load_dword v148, off, s[0:3], 0 offset:476
	buffer_load_dword v149, off, s[0:3], 0 offset:488
	;; [unrolled: 1-line block ×6, first 2 shown]
	s_waitcnt vmcnt(31)
	v_fma_f64 v[127:128], v[157:158], v[129:130], v[127:128]
	s_waitcnt vmcnt(30) lgkmcnt(0)
	v_fma_f64 v[127:128], v[153:154], v[131:132], v[127:128]
	s_waitcnt vmcnt(25)
	v_fma_f64 v[135:136], v[135:136], v[133:134], v[127:128]
	ds_read_b128 v[127:130], v126 offset:880
	s_clause 0x1
	buffer_load_dword v153, off, s[0:3], 0 offset:120
	buffer_load_dword v154, off, s[0:3], 0 offset:124
	ds_read_b128 v[131:134], v126 offset:896
	s_waitcnt vmcnt(26) lgkmcnt(1)
	v_fma_f64 v[127:128], v[169:170], v[127:128], v[135:136]
	s_waitcnt vmcnt(25)
	v_fma_f64 v[127:128], v[161:162], v[129:130], v[127:128]
	s_waitcnt vmcnt(24) lgkmcnt(0)
	v_fma_f64 v[127:128], v[159:160], v[131:132], v[127:128]
	s_waitcnt vmcnt(19)
	v_fma_f64 v[135:136], v[137:138], v[133:134], v[127:128]
	ds_read_b128 v[127:130], v126 offset:912
	ds_read_b128 v[131:134], v126 offset:928
	s_waitcnt vmcnt(18) lgkmcnt(1)
	v_fma_f64 v[127:128], v[167:168], v[127:128], v[135:136]
	s_waitcnt vmcnt(17)
	v_fma_f64 v[127:128], v[165:166], v[129:130], v[127:128]
	s_waitcnt vmcnt(16) lgkmcnt(0)
	v_fma_f64 v[127:128], v[143:144], v[131:132], v[127:128]
	s_waitcnt vmcnt(11)
	v_fma_f64 v[135:136], v[139:140], v[133:134], v[127:128]
	ds_read_b128 v[127:130], v126 offset:944
	;; [unrolled: 10-line block ×3, first 2 shown]
	s_waitcnt vmcnt(3) lgkmcnt(0)
	v_fma_f64 v[126:127], v[151:152], v[126:127], v[130:131]
	s_waitcnt vmcnt(2)
	v_fma_f64 v[126:127], v[149:150], v[128:129], v[126:127]
	s_waitcnt vmcnt(0)
	v_add_f64 v[126:127], v[153:154], -v[126:127]
	buffer_store_dword v127, off, s[0:3], 0 offset:124
	buffer_store_dword v126, off, s[0:3], 0 offset:120
	v_cmpx_lt_u32_e32 14, v0
	s_cbranch_execz .LBB125_353
; %bb.352:
	s_clause 0x1
	buffer_load_dword v126, off, s[0:3], 0 offset:112
	buffer_load_dword v127, off, s[0:3], 0 offset:116
	v_mov_b32_e32 v128, 0
	buffer_store_dword v128, off, s[0:3], 0 offset:112
	buffer_store_dword v128, off, s[0:3], 0 offset:116
	s_waitcnt vmcnt(0)
	ds_write_b64 v125, v[126:127]
.LBB125_353:
	s_or_b32 exec_lo, exec_lo, s4
	s_waitcnt lgkmcnt(0)
	s_waitcnt_vscnt null, 0x0
	s_barrier
	buffer_gl0_inv
	s_clause 0x1c
	buffer_load_dword v135, off, s[0:3], 0 offset:120
	buffer_load_dword v136, off, s[0:3], 0 offset:124
	;; [unrolled: 1-line block ×29, first 2 shown]
	v_mov_b32_e32 v126, 0
	buffer_load_dword v160, off, s[0:3], 0 offset:236
	s_mov_b32 s4, exec_lo
	ds_read2_b64 v[127:130], v126 offset0:77 offset1:78
	ds_read2_b64 v[131:134], v126 offset0:79 offset1:80
	s_waitcnt vmcnt(28) lgkmcnt(1)
	v_fma_f64 v[127:128], v[135:136], v[127:128], 0
	s_clause 0x7
	buffer_load_dword v136, off, s[0:3], 0 offset:244
	buffer_load_dword v165, off, s[0:3], 0 offset:264
	buffer_load_dword v167, off, s[0:3], 0 offset:256
	buffer_load_dword v169, off, s[0:3], 0 offset:248
	buffer_load_dword v135, off, s[0:3], 0 offset:240
	buffer_load_dword v170, off, s[0:3], 0 offset:252
	buffer_load_dword v168, off, s[0:3], 0 offset:260
	buffer_load_dword v166, off, s[0:3], 0 offset:268
	s_waitcnt vmcnt(34)
	v_fma_f64 v[127:128], v[137:138], v[129:130], v[127:128]
	s_waitcnt vmcnt(32) lgkmcnt(0)
	v_fma_f64 v[127:128], v[139:140], v[131:132], v[127:128]
	s_waitcnt vmcnt(30)
	v_fma_f64 v[137:138], v[141:142], v[133:134], v[127:128]
	ds_read2_b64 v[127:130], v126 offset0:81 offset1:82
	ds_read2_b64 v[131:134], v126 offset0:83 offset1:84
	s_waitcnt vmcnt(28) lgkmcnt(1)
	v_fma_f64 v[127:128], v[143:144], v[127:128], v[137:138]
	s_clause 0x7
	buffer_load_dword v138, off, s[0:3], 0 offset:276
	buffer_load_dword v139, off, s[0:3], 0 offset:296
	buffer_load_dword v141, off, s[0:3], 0 offset:288
	buffer_load_dword v143, off, s[0:3], 0 offset:280
	buffer_load_dword v137, off, s[0:3], 0 offset:272
	buffer_load_dword v144, off, s[0:3], 0 offset:284
	buffer_load_dword v142, off, s[0:3], 0 offset:292
	buffer_load_dword v140, off, s[0:3], 0 offset:300
	s_waitcnt vmcnt(34)
	v_fma_f64 v[127:128], v[145:146], v[129:130], v[127:128]
	s_waitcnt vmcnt(32) lgkmcnt(0)
	v_fma_f64 v[127:128], v[147:148], v[131:132], v[127:128]
	s_waitcnt vmcnt(27)
	v_fma_f64 v[145:146], v[149:150], v[133:134], v[127:128]
	;; [unrolled: 19-line block ×8, first 2 shown]
	ds_read2_b64 v[127:130], v126 offset0:109 offset1:110
	ds_read2_b64 v[131:134], v126 offset0:111 offset1:112
	s_waitcnt vmcnt(26) lgkmcnt(1)
	v_fma_f64 v[127:128], v[169:170], v[127:128], v[135:136]
	s_clause 0x1
	buffer_load_dword v135, off, s[0:3], 0 offset:112
	buffer_load_dword v136, off, s[0:3], 0 offset:116
	s_waitcnt vmcnt(27)
	v_fma_f64 v[127:128], v[161:162], v[129:130], v[127:128]
	s_waitcnt vmcnt(26) lgkmcnt(0)
	v_fma_f64 v[127:128], v[159:160], v[131:132], v[127:128]
	s_waitcnt vmcnt(21)
	v_fma_f64 v[137:138], v[137:138], v[133:134], v[127:128]
	ds_read2_b64 v[127:130], v126 offset0:113 offset1:114
	ds_read2_b64 v[131:134], v126 offset0:115 offset1:116
	s_waitcnt vmcnt(20) lgkmcnt(1)
	v_fma_f64 v[127:128], v[167:168], v[127:128], v[137:138]
	s_waitcnt vmcnt(19)
	v_fma_f64 v[127:128], v[165:166], v[129:130], v[127:128]
	s_waitcnt vmcnt(18) lgkmcnt(0)
	v_fma_f64 v[127:128], v[143:144], v[131:132], v[127:128]
	s_waitcnt vmcnt(13)
	v_fma_f64 v[137:138], v[139:140], v[133:134], v[127:128]
	ds_read2_b64 v[127:130], v126 offset0:117 offset1:118
	ds_read2_b64 v[131:134], v126 offset0:119 offset1:120
	s_waitcnt vmcnt(12) lgkmcnt(1)
	v_fma_f64 v[127:128], v[155:156], v[127:128], v[137:138]
	s_waitcnt vmcnt(11)
	v_fma_f64 v[127:128], v[145:146], v[129:130], v[127:128]
	s_waitcnt vmcnt(10) lgkmcnt(0)
	v_fma_f64 v[127:128], v[141:142], v[131:132], v[127:128]
	s_waitcnt vmcnt(5)
	v_fma_f64 v[131:132], v[147:148], v[133:134], v[127:128]
	ds_read2_b64 v[127:130], v126 offset0:121 offset1:122
	ds_read_b64 v[133:134], v126 offset:984
	s_waitcnt vmcnt(4) lgkmcnt(1)
	v_fma_f64 v[127:128], v[163:164], v[127:128], v[131:132]
	s_waitcnt vmcnt(3)
	v_fma_f64 v[127:128], v[151:152], v[129:130], v[127:128]
	s_waitcnt vmcnt(2) lgkmcnt(0)
	v_fma_f64 v[127:128], v[149:150], v[133:134], v[127:128]
	s_waitcnt vmcnt(0)
	v_add_f64 v[127:128], v[135:136], -v[127:128]
	buffer_store_dword v128, off, s[0:3], 0 offset:116
	buffer_store_dword v127, off, s[0:3], 0 offset:112
	v_cmpx_lt_u32_e32 13, v0
	s_cbranch_execz .LBB125_355
; %bb.354:
	s_clause 0x1
	buffer_load_dword v127, off, s[0:3], 0 offset:104
	buffer_load_dword v128, off, s[0:3], 0 offset:108
	buffer_store_dword v126, off, s[0:3], 0 offset:104
	buffer_store_dword v126, off, s[0:3], 0 offset:108
	s_waitcnt vmcnt(0)
	ds_write_b64 v125, v[127:128]
.LBB125_355:
	s_or_b32 exec_lo, exec_lo, s4
	s_waitcnt lgkmcnt(0)
	s_waitcnt_vscnt null, 0x0
	s_barrier
	buffer_gl0_inv
	s_clause 0x1c
	buffer_load_dword v135, off, s[0:3], 0 offset:112
	buffer_load_dword v136, off, s[0:3], 0 offset:116
	;; [unrolled: 1-line block ×29, first 2 shown]
	ds_read_b128 v[127:130], v126 offset:608
	ds_read_b128 v[131:134], v126 offset:624
	buffer_load_dword v160, off, s[0:3], 0 offset:228
	s_mov_b32 s4, exec_lo
	s_waitcnt vmcnt(28) lgkmcnt(1)
	v_fma_f64 v[127:128], v[135:136], v[127:128], 0
	s_clause 0x7
	buffer_load_dword v136, off, s[0:3], 0 offset:236
	buffer_load_dword v165, off, s[0:3], 0 offset:256
	buffer_load_dword v167, off, s[0:3], 0 offset:248
	buffer_load_dword v169, off, s[0:3], 0 offset:240
	buffer_load_dword v135, off, s[0:3], 0 offset:232
	buffer_load_dword v170, off, s[0:3], 0 offset:244
	buffer_load_dword v168, off, s[0:3], 0 offset:252
	buffer_load_dword v166, off, s[0:3], 0 offset:260
	s_waitcnt vmcnt(34)
	v_fma_f64 v[127:128], v[137:138], v[129:130], v[127:128]
	s_waitcnt vmcnt(32) lgkmcnt(0)
	v_fma_f64 v[127:128], v[139:140], v[131:132], v[127:128]
	s_waitcnt vmcnt(30)
	v_fma_f64 v[137:138], v[141:142], v[133:134], v[127:128]
	ds_read_b128 v[127:130], v126 offset:640
	ds_read_b128 v[131:134], v126 offset:656
	s_waitcnt vmcnt(28) lgkmcnt(1)
	v_fma_f64 v[127:128], v[143:144], v[127:128], v[137:138]
	s_clause 0x7
	buffer_load_dword v138, off, s[0:3], 0 offset:268
	buffer_load_dword v139, off, s[0:3], 0 offset:288
	buffer_load_dword v141, off, s[0:3], 0 offset:280
	buffer_load_dword v143, off, s[0:3], 0 offset:272
	buffer_load_dword v137, off, s[0:3], 0 offset:264
	buffer_load_dword v144, off, s[0:3], 0 offset:276
	buffer_load_dword v142, off, s[0:3], 0 offset:284
	buffer_load_dword v140, off, s[0:3], 0 offset:292
	s_waitcnt vmcnt(34)
	v_fma_f64 v[127:128], v[145:146], v[129:130], v[127:128]
	s_waitcnt vmcnt(32) lgkmcnt(0)
	v_fma_f64 v[127:128], v[147:148], v[131:132], v[127:128]
	s_waitcnt vmcnt(27)
	v_fma_f64 v[145:146], v[149:150], v[133:134], v[127:128]
	ds_read_b128 v[127:130], v126 offset:672
	ds_read_b128 v[131:134], v126 offset:688
	;; [unrolled: 19-line block ×8, first 2 shown]
	s_waitcnt vmcnt(26) lgkmcnt(1)
	v_fma_f64 v[127:128], v[169:170], v[127:128], v[135:136]
	s_clause 0x3
	buffer_load_dword v136, off, s[0:3], 0 offset:492
	buffer_load_dword v135, off, s[0:3], 0 offset:488
	;; [unrolled: 1-line block ×4, first 2 shown]
	s_waitcnt vmcnt(29)
	v_fma_f64 v[127:128], v[161:162], v[129:130], v[127:128]
	s_waitcnt vmcnt(28) lgkmcnt(0)
	v_fma_f64 v[127:128], v[159:160], v[131:132], v[127:128]
	s_waitcnt vmcnt(23)
	v_fma_f64 v[137:138], v[137:138], v[133:134], v[127:128]
	ds_read_b128 v[127:130], v126 offset:896
	ds_read_b128 v[131:134], v126 offset:912
	s_waitcnt vmcnt(22) lgkmcnt(1)
	v_fma_f64 v[127:128], v[167:168], v[127:128], v[137:138]
	s_waitcnt vmcnt(21)
	v_fma_f64 v[127:128], v[165:166], v[129:130], v[127:128]
	s_waitcnt vmcnt(20) lgkmcnt(0)
	v_fma_f64 v[127:128], v[143:144], v[131:132], v[127:128]
	s_waitcnt vmcnt(15)
	v_fma_f64 v[137:138], v[139:140], v[133:134], v[127:128]
	ds_read_b128 v[127:130], v126 offset:928
	ds_read_b128 v[131:134], v126 offset:944
	s_waitcnt vmcnt(14) lgkmcnt(1)
	v_fma_f64 v[127:128], v[155:156], v[127:128], v[137:138]
	;; [unrolled: 10-line block ×3, first 2 shown]
	s_waitcnt vmcnt(5)
	v_fma_f64 v[126:127], v[151:152], v[129:130], v[126:127]
	s_waitcnt vmcnt(4) lgkmcnt(0)
	v_fma_f64 v[126:127], v[149:150], v[131:132], v[126:127]
	s_waitcnt vmcnt(2)
	v_fma_f64 v[126:127], v[135:136], v[133:134], v[126:127]
	s_waitcnt vmcnt(0)
	v_add_f64 v[126:127], v[153:154], -v[126:127]
	buffer_store_dword v127, off, s[0:3], 0 offset:108
	buffer_store_dword v126, off, s[0:3], 0 offset:104
	v_cmpx_lt_u32_e32 12, v0
	s_cbranch_execz .LBB125_357
; %bb.356:
	s_clause 0x1
	buffer_load_dword v126, off, s[0:3], 0 offset:96
	buffer_load_dword v127, off, s[0:3], 0 offset:100
	v_mov_b32_e32 v128, 0
	buffer_store_dword v128, off, s[0:3], 0 offset:96
	buffer_store_dword v128, off, s[0:3], 0 offset:100
	s_waitcnt vmcnt(0)
	ds_write_b64 v125, v[126:127]
.LBB125_357:
	s_or_b32 exec_lo, exec_lo, s4
	s_waitcnt lgkmcnt(0)
	s_waitcnt_vscnt null, 0x0
	s_barrier
	buffer_gl0_inv
	s_clause 0x1c
	buffer_load_dword v135, off, s[0:3], 0 offset:104
	buffer_load_dword v136, off, s[0:3], 0 offset:108
	;; [unrolled: 1-line block ×29, first 2 shown]
	v_mov_b32_e32 v126, 0
	buffer_load_dword v160, off, s[0:3], 0 offset:220
	s_mov_b32 s4, exec_lo
	ds_read2_b64 v[127:130], v126 offset0:75 offset1:76
	ds_read2_b64 v[131:134], v126 offset0:77 offset1:78
	s_waitcnt vmcnt(28) lgkmcnt(1)
	v_fma_f64 v[127:128], v[135:136], v[127:128], 0
	s_clause 0x7
	buffer_load_dword v136, off, s[0:3], 0 offset:228
	buffer_load_dword v165, off, s[0:3], 0 offset:248
	buffer_load_dword v167, off, s[0:3], 0 offset:240
	buffer_load_dword v169, off, s[0:3], 0 offset:232
	buffer_load_dword v135, off, s[0:3], 0 offset:224
	buffer_load_dword v170, off, s[0:3], 0 offset:236
	buffer_load_dword v168, off, s[0:3], 0 offset:244
	buffer_load_dword v166, off, s[0:3], 0 offset:252
	s_waitcnt vmcnt(34)
	v_fma_f64 v[127:128], v[137:138], v[129:130], v[127:128]
	s_waitcnt vmcnt(32) lgkmcnt(0)
	v_fma_f64 v[127:128], v[139:140], v[131:132], v[127:128]
	s_waitcnt vmcnt(30)
	v_fma_f64 v[137:138], v[141:142], v[133:134], v[127:128]
	ds_read2_b64 v[127:130], v126 offset0:79 offset1:80
	ds_read2_b64 v[131:134], v126 offset0:81 offset1:82
	s_waitcnt vmcnt(28) lgkmcnt(1)
	v_fma_f64 v[127:128], v[143:144], v[127:128], v[137:138]
	s_clause 0x7
	buffer_load_dword v138, off, s[0:3], 0 offset:260
	buffer_load_dword v139, off, s[0:3], 0 offset:280
	buffer_load_dword v141, off, s[0:3], 0 offset:272
	buffer_load_dword v143, off, s[0:3], 0 offset:264
	buffer_load_dword v137, off, s[0:3], 0 offset:256
	buffer_load_dword v144, off, s[0:3], 0 offset:268
	buffer_load_dword v142, off, s[0:3], 0 offset:276
	buffer_load_dword v140, off, s[0:3], 0 offset:284
	s_waitcnt vmcnt(34)
	v_fma_f64 v[127:128], v[145:146], v[129:130], v[127:128]
	s_waitcnt vmcnt(32) lgkmcnt(0)
	v_fma_f64 v[127:128], v[147:148], v[131:132], v[127:128]
	s_waitcnt vmcnt(27)
	v_fma_f64 v[145:146], v[149:150], v[133:134], v[127:128]
	;; [unrolled: 19-line block ×8, first 2 shown]
	ds_read2_b64 v[127:130], v126 offset0:107 offset1:108
	ds_read2_b64 v[131:134], v126 offset0:109 offset1:110
	s_waitcnt vmcnt(26) lgkmcnt(1)
	v_fma_f64 v[127:128], v[169:170], v[127:128], v[135:136]
	s_clause 0x5
	buffer_load_dword v136, off, s[0:3], 0 offset:484
	buffer_load_dword v153, off, s[0:3], 0 offset:488
	;; [unrolled: 1-line block ×6, first 2 shown]
	s_waitcnt vmcnt(31)
	v_fma_f64 v[127:128], v[161:162], v[129:130], v[127:128]
	s_waitcnt vmcnt(30) lgkmcnt(0)
	v_fma_f64 v[127:128], v[159:160], v[131:132], v[127:128]
	s_waitcnt vmcnt(25)
	v_fma_f64 v[137:138], v[137:138], v[133:134], v[127:128]
	ds_read2_b64 v[127:130], v126 offset0:111 offset1:112
	ds_read2_b64 v[131:134], v126 offset0:113 offset1:114
	s_waitcnt vmcnt(24) lgkmcnt(1)
	v_fma_f64 v[127:128], v[167:168], v[127:128], v[137:138]
	s_waitcnt vmcnt(23)
	v_fma_f64 v[127:128], v[165:166], v[129:130], v[127:128]
	s_waitcnt vmcnt(22) lgkmcnt(0)
	v_fma_f64 v[127:128], v[143:144], v[131:132], v[127:128]
	s_waitcnt vmcnt(17)
	v_fma_f64 v[137:138], v[139:140], v[133:134], v[127:128]
	ds_read2_b64 v[127:130], v126 offset0:115 offset1:116
	ds_read2_b64 v[131:134], v126 offset0:117 offset1:118
	s_waitcnt vmcnt(16) lgkmcnt(1)
	v_fma_f64 v[127:128], v[155:156], v[127:128], v[137:138]
	;; [unrolled: 10-line block ×3, first 2 shown]
	s_waitcnt vmcnt(7)
	v_fma_f64 v[127:128], v[151:152], v[129:130], v[127:128]
	ds_read_b64 v[129:130], v126 offset:984
	s_waitcnt vmcnt(6) lgkmcnt(1)
	v_fma_f64 v[127:128], v[149:150], v[131:132], v[127:128]
	s_waitcnt vmcnt(3)
	v_fma_f64 v[127:128], v[135:136], v[133:134], v[127:128]
	s_waitcnt vmcnt(2) lgkmcnt(0)
	v_fma_f64 v[127:128], v[153:154], v[129:130], v[127:128]
	s_waitcnt vmcnt(0)
	v_add_f64 v[127:128], v[157:158], -v[127:128]
	buffer_store_dword v128, off, s[0:3], 0 offset:100
	buffer_store_dword v127, off, s[0:3], 0 offset:96
	v_cmpx_lt_u32_e32 11, v0
	s_cbranch_execz .LBB125_359
; %bb.358:
	s_clause 0x1
	buffer_load_dword v127, off, s[0:3], 0 offset:88
	buffer_load_dword v128, off, s[0:3], 0 offset:92
	buffer_store_dword v126, off, s[0:3], 0 offset:88
	buffer_store_dword v126, off, s[0:3], 0 offset:92
	s_waitcnt vmcnt(0)
	ds_write_b64 v125, v[127:128]
.LBB125_359:
	s_or_b32 exec_lo, exec_lo, s4
	s_waitcnt lgkmcnt(0)
	s_waitcnt_vscnt null, 0x0
	s_barrier
	buffer_gl0_inv
	s_clause 0x1c
	buffer_load_dword v135, off, s[0:3], 0 offset:96
	buffer_load_dword v136, off, s[0:3], 0 offset:100
	;; [unrolled: 1-line block ×29, first 2 shown]
	ds_read_b128 v[127:130], v126 offset:592
	ds_read_b128 v[131:134], v126 offset:608
	buffer_load_dword v160, off, s[0:3], 0 offset:212
	s_mov_b32 s4, exec_lo
	s_waitcnt vmcnt(28) lgkmcnt(1)
	v_fma_f64 v[127:128], v[135:136], v[127:128], 0
	s_clause 0x7
	buffer_load_dword v136, off, s[0:3], 0 offset:220
	buffer_load_dword v165, off, s[0:3], 0 offset:240
	buffer_load_dword v167, off, s[0:3], 0 offset:232
	buffer_load_dword v169, off, s[0:3], 0 offset:224
	buffer_load_dword v135, off, s[0:3], 0 offset:216
	buffer_load_dword v170, off, s[0:3], 0 offset:228
	buffer_load_dword v168, off, s[0:3], 0 offset:236
	buffer_load_dword v166, off, s[0:3], 0 offset:244
	s_waitcnt vmcnt(34)
	v_fma_f64 v[127:128], v[137:138], v[129:130], v[127:128]
	s_waitcnt vmcnt(32) lgkmcnt(0)
	v_fma_f64 v[127:128], v[139:140], v[131:132], v[127:128]
	s_waitcnt vmcnt(30)
	v_fma_f64 v[137:138], v[141:142], v[133:134], v[127:128]
	ds_read_b128 v[127:130], v126 offset:624
	ds_read_b128 v[131:134], v126 offset:640
	s_waitcnt vmcnt(28) lgkmcnt(1)
	v_fma_f64 v[127:128], v[143:144], v[127:128], v[137:138]
	s_clause 0x7
	buffer_load_dword v138, off, s[0:3], 0 offset:252
	buffer_load_dword v139, off, s[0:3], 0 offset:272
	buffer_load_dword v141, off, s[0:3], 0 offset:264
	buffer_load_dword v143, off, s[0:3], 0 offset:256
	buffer_load_dword v137, off, s[0:3], 0 offset:248
	buffer_load_dword v144, off, s[0:3], 0 offset:260
	buffer_load_dword v142, off, s[0:3], 0 offset:268
	buffer_load_dword v140, off, s[0:3], 0 offset:276
	s_waitcnt vmcnt(34)
	v_fma_f64 v[127:128], v[145:146], v[129:130], v[127:128]
	s_waitcnt vmcnt(32) lgkmcnt(0)
	v_fma_f64 v[127:128], v[147:148], v[131:132], v[127:128]
	s_waitcnt vmcnt(27)
	v_fma_f64 v[145:146], v[149:150], v[133:134], v[127:128]
	ds_read_b128 v[127:130], v126 offset:656
	ds_read_b128 v[131:134], v126 offset:672
	;; [unrolled: 19-line block ×8, first 2 shown]
	s_waitcnt vmcnt(26) lgkmcnt(1)
	v_fma_f64 v[127:128], v[169:170], v[127:128], v[135:136]
	s_clause 0x5
	buffer_load_dword v136, off, s[0:3], 0 offset:476
	buffer_load_dword v153, off, s[0:3], 0 offset:488
	;; [unrolled: 1-line block ×6, first 2 shown]
	s_waitcnt vmcnt(31)
	v_fma_f64 v[127:128], v[161:162], v[129:130], v[127:128]
	s_waitcnt vmcnt(30) lgkmcnt(0)
	v_fma_f64 v[127:128], v[159:160], v[131:132], v[127:128]
	s_waitcnt vmcnt(25)
	v_fma_f64 v[137:138], v[137:138], v[133:134], v[127:128]
	ds_read_b128 v[127:130], v126 offset:880
	s_clause 0x1
	buffer_load_dword v159, off, s[0:3], 0 offset:88
	buffer_load_dword v160, off, s[0:3], 0 offset:92
	ds_read_b128 v[131:134], v126 offset:896
	s_waitcnt vmcnt(26) lgkmcnt(1)
	v_fma_f64 v[127:128], v[167:168], v[127:128], v[137:138]
	s_waitcnt vmcnt(25)
	v_fma_f64 v[127:128], v[165:166], v[129:130], v[127:128]
	s_waitcnt vmcnt(24) lgkmcnt(0)
	v_fma_f64 v[127:128], v[143:144], v[131:132], v[127:128]
	s_waitcnt vmcnt(19)
	v_fma_f64 v[137:138], v[139:140], v[133:134], v[127:128]
	ds_read_b128 v[127:130], v126 offset:912
	ds_read_b128 v[131:134], v126 offset:928
	s_waitcnt vmcnt(18) lgkmcnt(1)
	v_fma_f64 v[127:128], v[155:156], v[127:128], v[137:138]
	s_waitcnt vmcnt(17)
	v_fma_f64 v[127:128], v[145:146], v[129:130], v[127:128]
	s_waitcnt vmcnt(16) lgkmcnt(0)
	v_fma_f64 v[127:128], v[141:142], v[131:132], v[127:128]
	s_waitcnt vmcnt(11)
	v_fma_f64 v[137:138], v[147:148], v[133:134], v[127:128]
	ds_read_b128 v[127:130], v126 offset:944
	;; [unrolled: 10-line block ×3, first 2 shown]
	s_waitcnt vmcnt(3) lgkmcnt(0)
	v_fma_f64 v[126:127], v[157:158], v[126:127], v[130:131]
	s_waitcnt vmcnt(2)
	v_fma_f64 v[126:127], v[153:154], v[128:129], v[126:127]
	s_waitcnt vmcnt(0)
	v_add_f64 v[126:127], v[159:160], -v[126:127]
	buffer_store_dword v127, off, s[0:3], 0 offset:92
	buffer_store_dword v126, off, s[0:3], 0 offset:88
	v_cmpx_lt_u32_e32 10, v0
	s_cbranch_execz .LBB125_361
; %bb.360:
	s_clause 0x1
	buffer_load_dword v126, off, s[0:3], 0 offset:80
	buffer_load_dword v127, off, s[0:3], 0 offset:84
	v_mov_b32_e32 v128, 0
	buffer_store_dword v128, off, s[0:3], 0 offset:80
	buffer_store_dword v128, off, s[0:3], 0 offset:84
	s_waitcnt vmcnt(0)
	ds_write_b64 v125, v[126:127]
.LBB125_361:
	s_or_b32 exec_lo, exec_lo, s4
	s_waitcnt lgkmcnt(0)
	s_waitcnt_vscnt null, 0x0
	s_barrier
	buffer_gl0_inv
	s_clause 0x1c
	buffer_load_dword v135, off, s[0:3], 0 offset:88
	buffer_load_dword v136, off, s[0:3], 0 offset:92
	;; [unrolled: 1-line block ×29, first 2 shown]
	v_mov_b32_e32 v126, 0
	buffer_load_dword v160, off, s[0:3], 0 offset:204
	s_mov_b32 s4, exec_lo
	ds_read2_b64 v[127:130], v126 offset0:73 offset1:74
	ds_read2_b64 v[131:134], v126 offset0:75 offset1:76
	s_waitcnt vmcnt(28) lgkmcnt(1)
	v_fma_f64 v[127:128], v[135:136], v[127:128], 0
	s_clause 0x7
	buffer_load_dword v136, off, s[0:3], 0 offset:212
	buffer_load_dword v165, off, s[0:3], 0 offset:232
	buffer_load_dword v167, off, s[0:3], 0 offset:224
	buffer_load_dword v169, off, s[0:3], 0 offset:216
	buffer_load_dword v135, off, s[0:3], 0 offset:208
	buffer_load_dword v170, off, s[0:3], 0 offset:220
	buffer_load_dword v168, off, s[0:3], 0 offset:228
	buffer_load_dword v166, off, s[0:3], 0 offset:236
	s_waitcnt vmcnt(34)
	v_fma_f64 v[127:128], v[137:138], v[129:130], v[127:128]
	s_waitcnt vmcnt(32) lgkmcnt(0)
	v_fma_f64 v[127:128], v[139:140], v[131:132], v[127:128]
	s_waitcnt vmcnt(30)
	v_fma_f64 v[137:138], v[141:142], v[133:134], v[127:128]
	ds_read2_b64 v[127:130], v126 offset0:77 offset1:78
	ds_read2_b64 v[131:134], v126 offset0:79 offset1:80
	s_waitcnt vmcnt(28) lgkmcnt(1)
	v_fma_f64 v[127:128], v[143:144], v[127:128], v[137:138]
	s_clause 0x7
	buffer_load_dword v138, off, s[0:3], 0 offset:244
	buffer_load_dword v139, off, s[0:3], 0 offset:264
	buffer_load_dword v141, off, s[0:3], 0 offset:256
	buffer_load_dword v143, off, s[0:3], 0 offset:248
	buffer_load_dword v137, off, s[0:3], 0 offset:240
	buffer_load_dword v144, off, s[0:3], 0 offset:252
	buffer_load_dword v142, off, s[0:3], 0 offset:260
	buffer_load_dword v140, off, s[0:3], 0 offset:268
	s_waitcnt vmcnt(34)
	v_fma_f64 v[127:128], v[145:146], v[129:130], v[127:128]
	s_waitcnt vmcnt(32) lgkmcnt(0)
	v_fma_f64 v[127:128], v[147:148], v[131:132], v[127:128]
	s_waitcnt vmcnt(27)
	v_fma_f64 v[145:146], v[149:150], v[133:134], v[127:128]
	;; [unrolled: 19-line block ×9, first 2 shown]
	ds_read2_b64 v[127:130], v126 offset0:109 offset1:110
	ds_read2_b64 v[131:134], v126 offset0:111 offset1:112
	s_waitcnt vmcnt(26) lgkmcnt(1)
	v_fma_f64 v[127:128], v[167:168], v[127:128], v[137:138]
	s_clause 0x1
	buffer_load_dword v137, off, s[0:3], 0 offset:80
	buffer_load_dword v138, off, s[0:3], 0 offset:84
	s_waitcnt vmcnt(27)
	v_fma_f64 v[127:128], v[165:166], v[129:130], v[127:128]
	s_waitcnt vmcnt(26) lgkmcnt(0)
	v_fma_f64 v[127:128], v[143:144], v[131:132], v[127:128]
	s_waitcnt vmcnt(21)
	v_fma_f64 v[139:140], v[139:140], v[133:134], v[127:128]
	ds_read2_b64 v[127:130], v126 offset0:113 offset1:114
	ds_read2_b64 v[131:134], v126 offset0:115 offset1:116
	s_waitcnt vmcnt(20) lgkmcnt(1)
	v_fma_f64 v[127:128], v[155:156], v[127:128], v[139:140]
	s_waitcnt vmcnt(19)
	v_fma_f64 v[127:128], v[145:146], v[129:130], v[127:128]
	s_waitcnt vmcnt(18) lgkmcnt(0)
	v_fma_f64 v[127:128], v[141:142], v[131:132], v[127:128]
	s_waitcnt vmcnt(13)
	v_fma_f64 v[139:140], v[147:148], v[133:134], v[127:128]
	ds_read2_b64 v[127:130], v126 offset0:117 offset1:118
	ds_read2_b64 v[131:134], v126 offset0:119 offset1:120
	s_waitcnt vmcnt(12) lgkmcnt(1)
	v_fma_f64 v[127:128], v[163:164], v[127:128], v[139:140]
	s_waitcnt vmcnt(11)
	v_fma_f64 v[127:128], v[151:152], v[129:130], v[127:128]
	s_waitcnt vmcnt(10) lgkmcnt(0)
	v_fma_f64 v[127:128], v[149:150], v[131:132], v[127:128]
	s_waitcnt vmcnt(5)
	v_fma_f64 v[131:132], v[135:136], v[133:134], v[127:128]
	ds_read2_b64 v[127:130], v126 offset0:121 offset1:122
	ds_read_b64 v[133:134], v126 offset:984
	s_waitcnt vmcnt(4) lgkmcnt(1)
	v_fma_f64 v[127:128], v[169:170], v[127:128], v[131:132]
	s_waitcnt vmcnt(3)
	v_fma_f64 v[127:128], v[157:158], v[129:130], v[127:128]
	s_waitcnt vmcnt(2) lgkmcnt(0)
	v_fma_f64 v[127:128], v[153:154], v[133:134], v[127:128]
	s_waitcnt vmcnt(0)
	v_add_f64 v[127:128], v[137:138], -v[127:128]
	buffer_store_dword v128, off, s[0:3], 0 offset:84
	buffer_store_dword v127, off, s[0:3], 0 offset:80
	v_cmpx_lt_u32_e32 9, v0
	s_cbranch_execz .LBB125_363
; %bb.362:
	s_clause 0x1
	buffer_load_dword v127, off, s[0:3], 0 offset:72
	buffer_load_dword v128, off, s[0:3], 0 offset:76
	buffer_store_dword v126, off, s[0:3], 0 offset:72
	buffer_store_dword v126, off, s[0:3], 0 offset:76
	s_waitcnt vmcnt(0)
	ds_write_b64 v125, v[127:128]
.LBB125_363:
	s_or_b32 exec_lo, exec_lo, s4
	s_waitcnt lgkmcnt(0)
	s_waitcnt_vscnt null, 0x0
	s_barrier
	buffer_gl0_inv
	s_clause 0x1c
	buffer_load_dword v135, off, s[0:3], 0 offset:80
	buffer_load_dword v136, off, s[0:3], 0 offset:84
	;; [unrolled: 1-line block ×29, first 2 shown]
	ds_read_b128 v[127:130], v126 offset:576
	ds_read_b128 v[131:134], v126 offset:592
	buffer_load_dword v160, off, s[0:3], 0 offset:196
	s_mov_b32 s4, exec_lo
	s_waitcnt vmcnt(28) lgkmcnt(1)
	v_fma_f64 v[127:128], v[135:136], v[127:128], 0
	s_clause 0x7
	buffer_load_dword v136, off, s[0:3], 0 offset:204
	buffer_load_dword v165, off, s[0:3], 0 offset:224
	buffer_load_dword v167, off, s[0:3], 0 offset:216
	buffer_load_dword v169, off, s[0:3], 0 offset:208
	buffer_load_dword v135, off, s[0:3], 0 offset:200
	buffer_load_dword v170, off, s[0:3], 0 offset:212
	buffer_load_dword v168, off, s[0:3], 0 offset:220
	buffer_load_dword v166, off, s[0:3], 0 offset:228
	s_waitcnt vmcnt(34)
	v_fma_f64 v[127:128], v[137:138], v[129:130], v[127:128]
	s_waitcnt vmcnt(32) lgkmcnt(0)
	v_fma_f64 v[127:128], v[139:140], v[131:132], v[127:128]
	s_waitcnt vmcnt(30)
	v_fma_f64 v[137:138], v[141:142], v[133:134], v[127:128]
	ds_read_b128 v[127:130], v126 offset:608
	ds_read_b128 v[131:134], v126 offset:624
	s_waitcnt vmcnt(28) lgkmcnt(1)
	v_fma_f64 v[127:128], v[143:144], v[127:128], v[137:138]
	s_clause 0x7
	buffer_load_dword v138, off, s[0:3], 0 offset:236
	buffer_load_dword v139, off, s[0:3], 0 offset:256
	buffer_load_dword v141, off, s[0:3], 0 offset:248
	buffer_load_dword v143, off, s[0:3], 0 offset:240
	buffer_load_dword v137, off, s[0:3], 0 offset:232
	buffer_load_dword v144, off, s[0:3], 0 offset:244
	buffer_load_dword v142, off, s[0:3], 0 offset:252
	buffer_load_dword v140, off, s[0:3], 0 offset:260
	s_waitcnt vmcnt(34)
	v_fma_f64 v[127:128], v[145:146], v[129:130], v[127:128]
	s_waitcnt vmcnt(32) lgkmcnt(0)
	v_fma_f64 v[127:128], v[147:148], v[131:132], v[127:128]
	s_waitcnt vmcnt(27)
	v_fma_f64 v[145:146], v[149:150], v[133:134], v[127:128]
	ds_read_b128 v[127:130], v126 offset:640
	ds_read_b128 v[131:134], v126 offset:656
	;; [unrolled: 19-line block ×9, first 2 shown]
	s_waitcnt vmcnt(26) lgkmcnt(1)
	v_fma_f64 v[127:128], v[167:168], v[127:128], v[137:138]
	s_clause 0x3
	buffer_load_dword v138, off, s[0:3], 0 offset:492
	buffer_load_dword v137, off, s[0:3], 0 offset:488
	;; [unrolled: 1-line block ×4, first 2 shown]
	s_waitcnt vmcnt(29)
	v_fma_f64 v[127:128], v[165:166], v[129:130], v[127:128]
	s_waitcnt vmcnt(28) lgkmcnt(0)
	v_fma_f64 v[127:128], v[143:144], v[131:132], v[127:128]
	s_waitcnt vmcnt(23)
	v_fma_f64 v[139:140], v[139:140], v[133:134], v[127:128]
	ds_read_b128 v[127:130], v126 offset:896
	ds_read_b128 v[131:134], v126 offset:912
	s_waitcnt vmcnt(22) lgkmcnt(1)
	v_fma_f64 v[127:128], v[155:156], v[127:128], v[139:140]
	s_waitcnt vmcnt(21)
	v_fma_f64 v[127:128], v[145:146], v[129:130], v[127:128]
	s_waitcnt vmcnt(20) lgkmcnt(0)
	v_fma_f64 v[127:128], v[141:142], v[131:132], v[127:128]
	s_waitcnt vmcnt(15)
	v_fma_f64 v[139:140], v[147:148], v[133:134], v[127:128]
	ds_read_b128 v[127:130], v126 offset:928
	ds_read_b128 v[131:134], v126 offset:944
	s_waitcnt vmcnt(14) lgkmcnt(1)
	v_fma_f64 v[127:128], v[163:164], v[127:128], v[139:140]
	;; [unrolled: 10-line block ×3, first 2 shown]
	s_waitcnt vmcnt(5)
	v_fma_f64 v[126:127], v[157:158], v[129:130], v[126:127]
	s_waitcnt vmcnt(4) lgkmcnt(0)
	v_fma_f64 v[126:127], v[153:154], v[131:132], v[126:127]
	s_waitcnt vmcnt(2)
	v_fma_f64 v[126:127], v[137:138], v[133:134], v[126:127]
	s_waitcnt vmcnt(0)
	v_add_f64 v[126:127], v[159:160], -v[126:127]
	buffer_store_dword v127, off, s[0:3], 0 offset:76
	buffer_store_dword v126, off, s[0:3], 0 offset:72
	v_cmpx_lt_u32_e32 8, v0
	s_cbranch_execz .LBB125_365
; %bb.364:
	s_clause 0x1
	buffer_load_dword v126, off, s[0:3], 0 offset:64
	buffer_load_dword v127, off, s[0:3], 0 offset:68
	v_mov_b32_e32 v128, 0
	buffer_store_dword v128, off, s[0:3], 0 offset:64
	buffer_store_dword v128, off, s[0:3], 0 offset:68
	s_waitcnt vmcnt(0)
	ds_write_b64 v125, v[126:127]
.LBB125_365:
	s_or_b32 exec_lo, exec_lo, s4
	s_waitcnt lgkmcnt(0)
	s_waitcnt_vscnt null, 0x0
	s_barrier
	buffer_gl0_inv
	s_clause 0x1c
	buffer_load_dword v135, off, s[0:3], 0 offset:72
	buffer_load_dword v136, off, s[0:3], 0 offset:76
	;; [unrolled: 1-line block ×29, first 2 shown]
	v_mov_b32_e32 v126, 0
	buffer_load_dword v160, off, s[0:3], 0 offset:188
	s_mov_b32 s4, exec_lo
	ds_read2_b64 v[127:130], v126 offset0:71 offset1:72
	ds_read2_b64 v[131:134], v126 offset0:73 offset1:74
	s_waitcnt vmcnt(28) lgkmcnt(1)
	v_fma_f64 v[127:128], v[135:136], v[127:128], 0
	s_clause 0x7
	buffer_load_dword v136, off, s[0:3], 0 offset:196
	buffer_load_dword v165, off, s[0:3], 0 offset:216
	buffer_load_dword v167, off, s[0:3], 0 offset:208
	buffer_load_dword v169, off, s[0:3], 0 offset:200
	buffer_load_dword v135, off, s[0:3], 0 offset:192
	buffer_load_dword v170, off, s[0:3], 0 offset:204
	buffer_load_dword v168, off, s[0:3], 0 offset:212
	buffer_load_dword v166, off, s[0:3], 0 offset:220
	s_waitcnt vmcnt(34)
	v_fma_f64 v[127:128], v[137:138], v[129:130], v[127:128]
	s_waitcnt vmcnt(32) lgkmcnt(0)
	v_fma_f64 v[127:128], v[139:140], v[131:132], v[127:128]
	s_waitcnt vmcnt(30)
	v_fma_f64 v[137:138], v[141:142], v[133:134], v[127:128]
	ds_read2_b64 v[127:130], v126 offset0:75 offset1:76
	ds_read2_b64 v[131:134], v126 offset0:77 offset1:78
	s_waitcnt vmcnt(28) lgkmcnt(1)
	v_fma_f64 v[127:128], v[143:144], v[127:128], v[137:138]
	s_clause 0x7
	buffer_load_dword v138, off, s[0:3], 0 offset:228
	buffer_load_dword v139, off, s[0:3], 0 offset:248
	buffer_load_dword v141, off, s[0:3], 0 offset:240
	buffer_load_dword v143, off, s[0:3], 0 offset:232
	buffer_load_dword v137, off, s[0:3], 0 offset:224
	buffer_load_dword v144, off, s[0:3], 0 offset:236
	buffer_load_dword v142, off, s[0:3], 0 offset:244
	buffer_load_dword v140, off, s[0:3], 0 offset:252
	s_waitcnt vmcnt(34)
	v_fma_f64 v[127:128], v[145:146], v[129:130], v[127:128]
	s_waitcnt vmcnt(32) lgkmcnt(0)
	v_fma_f64 v[127:128], v[147:148], v[131:132], v[127:128]
	s_waitcnt vmcnt(27)
	v_fma_f64 v[145:146], v[149:150], v[133:134], v[127:128]
	ds_read2_b64 v[127:130], v126 offset0:79 offset1:80
	ds_read2_b64 v[131:134], v126 offset0:81 offset1:82
	s_waitcnt vmcnt(26) lgkmcnt(1)
	v_fma_f64 v[127:128], v[155:156], v[127:128], v[145:146]
	s_clause 0x7
	buffer_load_dword v146, off, s[0:3], 0 offset:260
	buffer_load_dword v147, off, s[0:3], 0 offset:280
	buffer_load_dword v149, off, s[0:3], 0 offset:272
	buffer_load_dword v155, off, s[0:3], 0 offset:264
	buffer_load_dword v145, off, s[0:3], 0 offset:256
	buffer_load_dword v156, off, s[0:3], 0 offset:268
	buffer_load_dword v150, off, s[0:3], 0 offset:276
	buffer_load_dword v148, off, s[0:3], 0 offset:284
	s_waitcnt vmcnt(33)
	v_fma_f64 v[127:128], v[153:154], v[129:130], v[127:128]
	s_waitcnt vmcnt(32) lgkmcnt(0)
	v_fma_f64 v[127:128], v[151:152], v[131:132], v[127:128]
	s_waitcnt vmcnt(27)
	v_fma_f64 v[151:152], v[157:158], v[133:134], v[127:128]
	ds_read2_b64 v[127:130], v126 offset0:83 offset1:84
	ds_read2_b64 v[131:134], v126 offset0:85 offset1:86
	s_waitcnt vmcnt(26) lgkmcnt(1)
	v_fma_f64 v[127:128], v[163:164], v[127:128], v[151:152]
	s_clause 0x7
	buffer_load_dword v152, off, s[0:3], 0 offset:292
	buffer_load_dword v153, off, s[0:3], 0 offset:312
	buffer_load_dword v157, off, s[0:3], 0 offset:304
	buffer_load_dword v163, off, s[0:3], 0 offset:296
	buffer_load_dword v151, off, s[0:3], 0 offset:288
	buffer_load_dword v164, off, s[0:3], 0 offset:300
	buffer_load_dword v158, off, s[0:3], 0 offset:308
	buffer_load_dword v154, off, s[0:3], 0 offset:316
	s_waitcnt vmcnt(33)
	v_fma_f64 v[127:128], v[161:162], v[129:130], v[127:128]
	s_waitcnt vmcnt(32) lgkmcnt(0)
	v_fma_f64 v[127:128], v[159:160], v[131:132], v[127:128]
	s_waitcnt vmcnt(27)
	v_fma_f64 v[135:136], v[135:136], v[133:134], v[127:128]
	ds_read2_b64 v[127:130], v126 offset0:87 offset1:88
	ds_read2_b64 v[131:134], v126 offset0:89 offset1:90
	s_waitcnt vmcnt(26) lgkmcnt(1)
	v_fma_f64 v[127:128], v[169:170], v[127:128], v[135:136]
	s_clause 0x7
	buffer_load_dword v136, off, s[0:3], 0 offset:324
	buffer_load_dword v159, off, s[0:3], 0 offset:344
	buffer_load_dword v161, off, s[0:3], 0 offset:336
	buffer_load_dword v169, off, s[0:3], 0 offset:328
	buffer_load_dword v135, off, s[0:3], 0 offset:320
	buffer_load_dword v170, off, s[0:3], 0 offset:332
	buffer_load_dword v162, off, s[0:3], 0 offset:340
	buffer_load_dword v160, off, s[0:3], 0 offset:348
	s_waitcnt vmcnt(33)
	v_fma_f64 v[127:128], v[167:168], v[129:130], v[127:128]
	s_waitcnt vmcnt(32) lgkmcnt(0)
	v_fma_f64 v[127:128], v[165:166], v[131:132], v[127:128]
	s_waitcnt vmcnt(27)
	v_fma_f64 v[137:138], v[137:138], v[133:134], v[127:128]
	ds_read2_b64 v[127:130], v126 offset0:91 offset1:92
	ds_read2_b64 v[131:134], v126 offset0:93 offset1:94
	s_waitcnt vmcnt(26) lgkmcnt(1)
	v_fma_f64 v[127:128], v[143:144], v[127:128], v[137:138]
	s_clause 0x7
	buffer_load_dword v138, off, s[0:3], 0 offset:356
	buffer_load_dword v143, off, s[0:3], 0 offset:376
	buffer_load_dword v165, off, s[0:3], 0 offset:368
	buffer_load_dword v167, off, s[0:3], 0 offset:360
	buffer_load_dword v137, off, s[0:3], 0 offset:352
	buffer_load_dword v168, off, s[0:3], 0 offset:364
	buffer_load_dword v166, off, s[0:3], 0 offset:372
	buffer_load_dword v144, off, s[0:3], 0 offset:380
	s_waitcnt vmcnt(33)
	v_fma_f64 v[127:128], v[141:142], v[129:130], v[127:128]
	s_waitcnt vmcnt(32) lgkmcnt(0)
	v_fma_f64 v[127:128], v[139:140], v[131:132], v[127:128]
	s_waitcnt vmcnt(27)
	v_fma_f64 v[139:140], v[145:146], v[133:134], v[127:128]
	ds_read2_b64 v[127:130], v126 offset0:95 offset1:96
	ds_read2_b64 v[131:134], v126 offset0:97 offset1:98
	s_waitcnt vmcnt(26) lgkmcnt(1)
	v_fma_f64 v[127:128], v[155:156], v[127:128], v[139:140]
	s_clause 0x7
	buffer_load_dword v140, off, s[0:3], 0 offset:388
	buffer_load_dword v141, off, s[0:3], 0 offset:408
	buffer_load_dword v145, off, s[0:3], 0 offset:400
	buffer_load_dword v155, off, s[0:3], 0 offset:392
	buffer_load_dword v139, off, s[0:3], 0 offset:384
	buffer_load_dword v156, off, s[0:3], 0 offset:396
	buffer_load_dword v146, off, s[0:3], 0 offset:404
	buffer_load_dword v142, off, s[0:3], 0 offset:412
	s_waitcnt vmcnt(33)
	v_fma_f64 v[127:128], v[149:150], v[129:130], v[127:128]
	s_waitcnt vmcnt(32) lgkmcnt(0)
	v_fma_f64 v[127:128], v[147:148], v[131:132], v[127:128]
	s_waitcnt vmcnt(27)
	v_fma_f64 v[147:148], v[151:152], v[133:134], v[127:128]
	ds_read2_b64 v[127:130], v126 offset0:99 offset1:100
	ds_read2_b64 v[131:134], v126 offset0:101 offset1:102
	s_waitcnt vmcnt(26) lgkmcnt(1)
	v_fma_f64 v[127:128], v[163:164], v[127:128], v[147:148]
	s_clause 0x7
	buffer_load_dword v148, off, s[0:3], 0 offset:420
	buffer_load_dword v149, off, s[0:3], 0 offset:440
	buffer_load_dword v151, off, s[0:3], 0 offset:432
	buffer_load_dword v163, off, s[0:3], 0 offset:424
	buffer_load_dword v147, off, s[0:3], 0 offset:416
	buffer_load_dword v164, off, s[0:3], 0 offset:428
	buffer_load_dword v152, off, s[0:3], 0 offset:436
	buffer_load_dword v150, off, s[0:3], 0 offset:444
	s_waitcnt vmcnt(33)
	v_fma_f64 v[127:128], v[157:158], v[129:130], v[127:128]
	s_waitcnt vmcnt(32) lgkmcnt(0)
	v_fma_f64 v[127:128], v[153:154], v[131:132], v[127:128]
	s_waitcnt vmcnt(27)
	v_fma_f64 v[135:136], v[135:136], v[133:134], v[127:128]
	ds_read2_b64 v[127:130], v126 offset0:103 offset1:104
	ds_read2_b64 v[131:134], v126 offset0:105 offset1:106
	s_waitcnt vmcnt(26) lgkmcnt(1)
	v_fma_f64 v[127:128], v[169:170], v[127:128], v[135:136]
	s_clause 0x7
	buffer_load_dword v136, off, s[0:3], 0 offset:452
	buffer_load_dword v153, off, s[0:3], 0 offset:472
	buffer_load_dword v157, off, s[0:3], 0 offset:464
	buffer_load_dword v169, off, s[0:3], 0 offset:456
	buffer_load_dword v135, off, s[0:3], 0 offset:448
	buffer_load_dword v170, off, s[0:3], 0 offset:460
	buffer_load_dword v158, off, s[0:3], 0 offset:468
	buffer_load_dword v154, off, s[0:3], 0 offset:476
	s_waitcnt vmcnt(33)
	v_fma_f64 v[127:128], v[161:162], v[129:130], v[127:128]
	s_waitcnt vmcnt(32) lgkmcnt(0)
	v_fma_f64 v[127:128], v[159:160], v[131:132], v[127:128]
	s_waitcnt vmcnt(27)
	v_fma_f64 v[137:138], v[137:138], v[133:134], v[127:128]
	ds_read2_b64 v[127:130], v126 offset0:107 offset1:108
	ds_read2_b64 v[131:134], v126 offset0:109 offset1:110
	s_waitcnt vmcnt(26) lgkmcnt(1)
	v_fma_f64 v[127:128], v[167:168], v[127:128], v[137:138]
	s_clause 0x3
	buffer_load_dword v138, off, s[0:3], 0 offset:484
	buffer_load_dword v159, off, s[0:3], 0 offset:488
	;; [unrolled: 1-line block ×4, first 2 shown]
	s_waitcnt vmcnt(29)
	v_fma_f64 v[127:128], v[165:166], v[129:130], v[127:128]
	s_waitcnt vmcnt(28) lgkmcnt(0)
	v_fma_f64 v[127:128], v[143:144], v[131:132], v[127:128]
	s_clause 0x1
	buffer_load_dword v143, off, s[0:3], 0 offset:64
	buffer_load_dword v144, off, s[0:3], 0 offset:68
	s_waitcnt vmcnt(25)
	v_fma_f64 v[139:140], v[139:140], v[133:134], v[127:128]
	ds_read2_b64 v[127:130], v126 offset0:111 offset1:112
	ds_read2_b64 v[131:134], v126 offset0:113 offset1:114
	s_waitcnt vmcnt(24) lgkmcnt(1)
	v_fma_f64 v[127:128], v[155:156], v[127:128], v[139:140]
	s_waitcnt vmcnt(23)
	v_fma_f64 v[127:128], v[145:146], v[129:130], v[127:128]
	s_waitcnt vmcnt(22) lgkmcnt(0)
	v_fma_f64 v[127:128], v[141:142], v[131:132], v[127:128]
	s_waitcnt vmcnt(17)
	v_fma_f64 v[139:140], v[147:148], v[133:134], v[127:128]
	ds_read2_b64 v[127:130], v126 offset0:115 offset1:116
	ds_read2_b64 v[131:134], v126 offset0:117 offset1:118
	s_waitcnt vmcnt(16) lgkmcnt(1)
	v_fma_f64 v[127:128], v[163:164], v[127:128], v[139:140]
	s_waitcnt vmcnt(15)
	v_fma_f64 v[127:128], v[151:152], v[129:130], v[127:128]
	s_waitcnt vmcnt(14) lgkmcnt(0)
	v_fma_f64 v[127:128], v[149:150], v[131:132], v[127:128]
	s_waitcnt vmcnt(9)
	v_fma_f64 v[135:136], v[135:136], v[133:134], v[127:128]
	ds_read2_b64 v[127:130], v126 offset0:119 offset1:120
	ds_read2_b64 v[131:134], v126 offset0:121 offset1:122
	s_waitcnt vmcnt(8) lgkmcnt(1)
	v_fma_f64 v[127:128], v[169:170], v[127:128], v[135:136]
	s_waitcnt vmcnt(7)
	v_fma_f64 v[127:128], v[157:158], v[129:130], v[127:128]
	ds_read_b64 v[129:130], v126 offset:984
	s_waitcnt vmcnt(6) lgkmcnt(1)
	v_fma_f64 v[127:128], v[153:154], v[131:132], v[127:128]
	s_waitcnt vmcnt(3)
	v_fma_f64 v[127:128], v[137:138], v[133:134], v[127:128]
	s_waitcnt vmcnt(2) lgkmcnt(0)
	v_fma_f64 v[127:128], v[159:160], v[129:130], v[127:128]
	s_waitcnt vmcnt(0)
	v_add_f64 v[127:128], v[143:144], -v[127:128]
	buffer_store_dword v128, off, s[0:3], 0 offset:68
	buffer_store_dword v127, off, s[0:3], 0 offset:64
	v_cmpx_lt_u32_e32 7, v0
	s_cbranch_execz .LBB125_367
; %bb.366:
	s_clause 0x1
	buffer_load_dword v127, off, s[0:3], 0 offset:56
	buffer_load_dword v128, off, s[0:3], 0 offset:60
	buffer_store_dword v126, off, s[0:3], 0 offset:56
	buffer_store_dword v126, off, s[0:3], 0 offset:60
	s_waitcnt vmcnt(0)
	ds_write_b64 v125, v[127:128]
.LBB125_367:
	s_or_b32 exec_lo, exec_lo, s4
	s_waitcnt lgkmcnt(0)
	s_waitcnt_vscnt null, 0x0
	s_barrier
	buffer_gl0_inv
	s_clause 0x1c
	buffer_load_dword v135, off, s[0:3], 0 offset:64
	buffer_load_dword v136, off, s[0:3], 0 offset:68
	;; [unrolled: 1-line block ×29, first 2 shown]
	ds_read_b128 v[127:130], v126 offset:560
	ds_read_b128 v[131:134], v126 offset:576
	buffer_load_dword v160, off, s[0:3], 0 offset:180
	s_mov_b32 s4, exec_lo
	s_waitcnt vmcnt(28) lgkmcnt(1)
	v_fma_f64 v[127:128], v[135:136], v[127:128], 0
	s_clause 0x7
	buffer_load_dword v136, off, s[0:3], 0 offset:188
	buffer_load_dword v165, off, s[0:3], 0 offset:208
	buffer_load_dword v167, off, s[0:3], 0 offset:200
	buffer_load_dword v169, off, s[0:3], 0 offset:192
	buffer_load_dword v135, off, s[0:3], 0 offset:184
	buffer_load_dword v170, off, s[0:3], 0 offset:196
	buffer_load_dword v168, off, s[0:3], 0 offset:204
	buffer_load_dword v166, off, s[0:3], 0 offset:212
	s_waitcnt vmcnt(34)
	v_fma_f64 v[127:128], v[137:138], v[129:130], v[127:128]
	s_waitcnt vmcnt(32) lgkmcnt(0)
	v_fma_f64 v[127:128], v[139:140], v[131:132], v[127:128]
	s_waitcnt vmcnt(30)
	v_fma_f64 v[137:138], v[141:142], v[133:134], v[127:128]
	ds_read_b128 v[127:130], v126 offset:592
	ds_read_b128 v[131:134], v126 offset:608
	s_waitcnt vmcnt(28) lgkmcnt(1)
	v_fma_f64 v[127:128], v[143:144], v[127:128], v[137:138]
	s_clause 0x7
	buffer_load_dword v138, off, s[0:3], 0 offset:220
	buffer_load_dword v139, off, s[0:3], 0 offset:240
	buffer_load_dword v141, off, s[0:3], 0 offset:232
	buffer_load_dword v143, off, s[0:3], 0 offset:224
	buffer_load_dword v137, off, s[0:3], 0 offset:216
	buffer_load_dword v144, off, s[0:3], 0 offset:228
	buffer_load_dword v142, off, s[0:3], 0 offset:236
	buffer_load_dword v140, off, s[0:3], 0 offset:244
	s_waitcnt vmcnt(34)
	v_fma_f64 v[127:128], v[145:146], v[129:130], v[127:128]
	s_waitcnt vmcnt(32) lgkmcnt(0)
	v_fma_f64 v[127:128], v[147:148], v[131:132], v[127:128]
	s_waitcnt vmcnt(27)
	v_fma_f64 v[145:146], v[149:150], v[133:134], v[127:128]
	ds_read_b128 v[127:130], v126 offset:624
	ds_read_b128 v[131:134], v126 offset:640
	;; [unrolled: 19-line block ×9, first 2 shown]
	s_waitcnt vmcnt(26) lgkmcnt(1)
	v_fma_f64 v[127:128], v[167:168], v[127:128], v[137:138]
	s_clause 0x5
	buffer_load_dword v138, off, s[0:3], 0 offset:476
	buffer_load_dword v159, off, s[0:3], 0 offset:488
	;; [unrolled: 1-line block ×6, first 2 shown]
	s_waitcnt vmcnt(31)
	v_fma_f64 v[127:128], v[165:166], v[129:130], v[127:128]
	s_waitcnt vmcnt(30) lgkmcnt(0)
	v_fma_f64 v[127:128], v[143:144], v[131:132], v[127:128]
	s_waitcnt vmcnt(25)
	v_fma_f64 v[139:140], v[139:140], v[133:134], v[127:128]
	ds_read_b128 v[127:130], v126 offset:880
	s_clause 0x1
	buffer_load_dword v143, off, s[0:3], 0 offset:56
	buffer_load_dword v144, off, s[0:3], 0 offset:60
	ds_read_b128 v[131:134], v126 offset:896
	s_waitcnt vmcnt(26) lgkmcnt(1)
	v_fma_f64 v[127:128], v[155:156], v[127:128], v[139:140]
	s_waitcnt vmcnt(25)
	v_fma_f64 v[127:128], v[145:146], v[129:130], v[127:128]
	s_waitcnt vmcnt(24) lgkmcnt(0)
	v_fma_f64 v[127:128], v[141:142], v[131:132], v[127:128]
	s_waitcnt vmcnt(19)
	v_fma_f64 v[139:140], v[147:148], v[133:134], v[127:128]
	ds_read_b128 v[127:130], v126 offset:912
	ds_read_b128 v[131:134], v126 offset:928
	s_waitcnt vmcnt(18) lgkmcnt(1)
	v_fma_f64 v[127:128], v[163:164], v[127:128], v[139:140]
	s_waitcnt vmcnt(17)
	v_fma_f64 v[127:128], v[151:152], v[129:130], v[127:128]
	s_waitcnt vmcnt(16) lgkmcnt(0)
	v_fma_f64 v[127:128], v[149:150], v[131:132], v[127:128]
	s_waitcnt vmcnt(11)
	v_fma_f64 v[135:136], v[135:136], v[133:134], v[127:128]
	ds_read_b128 v[127:130], v126 offset:944
	;; [unrolled: 10-line block ×3, first 2 shown]
	s_waitcnt vmcnt(3) lgkmcnt(0)
	v_fma_f64 v[126:127], v[161:162], v[126:127], v[130:131]
	s_waitcnt vmcnt(2)
	v_fma_f64 v[126:127], v[159:160], v[128:129], v[126:127]
	s_waitcnt vmcnt(0)
	v_add_f64 v[126:127], v[143:144], -v[126:127]
	buffer_store_dword v127, off, s[0:3], 0 offset:60
	buffer_store_dword v126, off, s[0:3], 0 offset:56
	v_cmpx_lt_u32_e32 6, v0
	s_cbranch_execz .LBB125_369
; %bb.368:
	s_clause 0x1
	buffer_load_dword v126, off, s[0:3], 0 offset:48
	buffer_load_dword v127, off, s[0:3], 0 offset:52
	v_mov_b32_e32 v128, 0
	buffer_store_dword v128, off, s[0:3], 0 offset:48
	buffer_store_dword v128, off, s[0:3], 0 offset:52
	s_waitcnt vmcnt(0)
	ds_write_b64 v125, v[126:127]
.LBB125_369:
	s_or_b32 exec_lo, exec_lo, s4
	s_waitcnt lgkmcnt(0)
	s_waitcnt_vscnt null, 0x0
	s_barrier
	buffer_gl0_inv
	s_clause 0x1c
	buffer_load_dword v135, off, s[0:3], 0 offset:56
	buffer_load_dword v136, off, s[0:3], 0 offset:60
	;; [unrolled: 1-line block ×29, first 2 shown]
	v_mov_b32_e32 v126, 0
	buffer_load_dword v160, off, s[0:3], 0 offset:172
	s_mov_b32 s4, exec_lo
	ds_read2_b64 v[127:130], v126 offset0:69 offset1:70
	ds_read2_b64 v[131:134], v126 offset0:71 offset1:72
	s_waitcnt vmcnt(28) lgkmcnt(1)
	v_fma_f64 v[127:128], v[135:136], v[127:128], 0
	s_clause 0x7
	buffer_load_dword v136, off, s[0:3], 0 offset:180
	buffer_load_dword v165, off, s[0:3], 0 offset:200
	buffer_load_dword v167, off, s[0:3], 0 offset:192
	buffer_load_dword v169, off, s[0:3], 0 offset:184
	buffer_load_dword v135, off, s[0:3], 0 offset:176
	buffer_load_dword v170, off, s[0:3], 0 offset:188
	buffer_load_dword v168, off, s[0:3], 0 offset:196
	buffer_load_dword v166, off, s[0:3], 0 offset:204
	s_waitcnt vmcnt(34)
	v_fma_f64 v[127:128], v[137:138], v[129:130], v[127:128]
	s_waitcnt vmcnt(32) lgkmcnt(0)
	v_fma_f64 v[127:128], v[139:140], v[131:132], v[127:128]
	s_waitcnt vmcnt(30)
	v_fma_f64 v[137:138], v[141:142], v[133:134], v[127:128]
	ds_read2_b64 v[127:130], v126 offset0:73 offset1:74
	ds_read2_b64 v[131:134], v126 offset0:75 offset1:76
	s_waitcnt vmcnt(28) lgkmcnt(1)
	v_fma_f64 v[127:128], v[143:144], v[127:128], v[137:138]
	s_clause 0x7
	buffer_load_dword v138, off, s[0:3], 0 offset:212
	buffer_load_dword v139, off, s[0:3], 0 offset:232
	buffer_load_dword v141, off, s[0:3], 0 offset:224
	buffer_load_dword v143, off, s[0:3], 0 offset:216
	buffer_load_dword v137, off, s[0:3], 0 offset:208
	buffer_load_dword v144, off, s[0:3], 0 offset:220
	buffer_load_dword v142, off, s[0:3], 0 offset:228
	buffer_load_dword v140, off, s[0:3], 0 offset:236
	s_waitcnt vmcnt(34)
	v_fma_f64 v[127:128], v[145:146], v[129:130], v[127:128]
	s_waitcnt vmcnt(32) lgkmcnt(0)
	v_fma_f64 v[127:128], v[147:148], v[131:132], v[127:128]
	s_waitcnt vmcnt(27)
	v_fma_f64 v[145:146], v[149:150], v[133:134], v[127:128]
	;; [unrolled: 19-line block ×10, first 2 shown]
	ds_read2_b64 v[127:130], v126 offset0:109 offset1:110
	ds_read2_b64 v[131:134], v126 offset0:111 offset1:112
	s_waitcnt vmcnt(26) lgkmcnt(1)
	v_fma_f64 v[127:128], v[155:156], v[127:128], v[139:140]
	s_clause 0x1
	buffer_load_dword v139, off, s[0:3], 0 offset:48
	buffer_load_dword v140, off, s[0:3], 0 offset:52
	s_waitcnt vmcnt(27)
	v_fma_f64 v[127:128], v[145:146], v[129:130], v[127:128]
	s_waitcnt vmcnt(26) lgkmcnt(0)
	v_fma_f64 v[127:128], v[141:142], v[131:132], v[127:128]
	s_waitcnt vmcnt(21)
	v_fma_f64 v[141:142], v[147:148], v[133:134], v[127:128]
	ds_read2_b64 v[127:130], v126 offset0:113 offset1:114
	ds_read2_b64 v[131:134], v126 offset0:115 offset1:116
	s_waitcnt vmcnt(20) lgkmcnt(1)
	v_fma_f64 v[127:128], v[163:164], v[127:128], v[141:142]
	s_waitcnt vmcnt(19)
	v_fma_f64 v[127:128], v[151:152], v[129:130], v[127:128]
	s_waitcnt vmcnt(18) lgkmcnt(0)
	v_fma_f64 v[127:128], v[149:150], v[131:132], v[127:128]
	s_waitcnt vmcnt(13)
	v_fma_f64 v[135:136], v[135:136], v[133:134], v[127:128]
	ds_read2_b64 v[127:130], v126 offset0:117 offset1:118
	ds_read2_b64 v[131:134], v126 offset0:119 offset1:120
	s_waitcnt vmcnt(12) lgkmcnt(1)
	v_fma_f64 v[127:128], v[169:170], v[127:128], v[135:136]
	s_waitcnt vmcnt(11)
	v_fma_f64 v[127:128], v[157:158], v[129:130], v[127:128]
	s_waitcnt vmcnt(10) lgkmcnt(0)
	v_fma_f64 v[127:128], v[153:154], v[131:132], v[127:128]
	s_waitcnt vmcnt(5)
	v_fma_f64 v[131:132], v[137:138], v[133:134], v[127:128]
	ds_read2_b64 v[127:130], v126 offset0:121 offset1:122
	ds_read_b64 v[133:134], v126 offset:984
	s_waitcnt vmcnt(4) lgkmcnt(1)
	v_fma_f64 v[127:128], v[167:168], v[127:128], v[131:132]
	s_waitcnt vmcnt(3)
	v_fma_f64 v[127:128], v[161:162], v[129:130], v[127:128]
	s_waitcnt vmcnt(2) lgkmcnt(0)
	v_fma_f64 v[127:128], v[159:160], v[133:134], v[127:128]
	s_waitcnt vmcnt(0)
	v_add_f64 v[127:128], v[139:140], -v[127:128]
	buffer_store_dword v128, off, s[0:3], 0 offset:52
	buffer_store_dword v127, off, s[0:3], 0 offset:48
	v_cmpx_lt_u32_e32 5, v0
	s_cbranch_execz .LBB125_371
; %bb.370:
	s_clause 0x1
	buffer_load_dword v127, off, s[0:3], 0 offset:40
	buffer_load_dword v128, off, s[0:3], 0 offset:44
	buffer_store_dword v126, off, s[0:3], 0 offset:40
	buffer_store_dword v126, off, s[0:3], 0 offset:44
	s_waitcnt vmcnt(0)
	ds_write_b64 v125, v[127:128]
.LBB125_371:
	s_or_b32 exec_lo, exec_lo, s4
	s_waitcnt lgkmcnt(0)
	s_waitcnt_vscnt null, 0x0
	s_barrier
	buffer_gl0_inv
	s_clause 0x1c
	buffer_load_dword v135, off, s[0:3], 0 offset:48
	buffer_load_dword v136, off, s[0:3], 0 offset:52
	buffer_load_dword v137, off, s[0:3], 0 offset:56
	buffer_load_dword v138, off, s[0:3], 0 offset:60
	buffer_load_dword v139, off, s[0:3], 0 offset:64
	buffer_load_dword v140, off, s[0:3], 0 offset:68
	buffer_load_dword v141, off, s[0:3], 0 offset:72
	buffer_load_dword v142, off, s[0:3], 0 offset:76
	buffer_load_dword v143, off, s[0:3], 0 offset:80
	buffer_load_dword v144, off, s[0:3], 0 offset:84
	buffer_load_dword v145, off, s[0:3], 0 offset:88
	buffer_load_dword v146, off, s[0:3], 0 offset:92
	buffer_load_dword v147, off, s[0:3], 0 offset:96
	buffer_load_dword v148, off, s[0:3], 0 offset:100
	buffer_load_dword v150, off, s[0:3], 0 offset:108
	buffer_load_dword v151, off, s[0:3], 0 offset:128
	buffer_load_dword v153, off, s[0:3], 0 offset:120
	buffer_load_dword v155, off, s[0:3], 0 offset:112
	buffer_load_dword v149, off, s[0:3], 0 offset:104
	buffer_load_dword v156, off, s[0:3], 0 offset:116
	buffer_load_dword v154, off, s[0:3], 0 offset:124
	buffer_load_dword v152, off, s[0:3], 0 offset:132
	buffer_load_dword v158, off, s[0:3], 0 offset:140
	buffer_load_dword v159, off, s[0:3], 0 offset:160
	buffer_load_dword v161, off, s[0:3], 0 offset:152
	buffer_load_dword v163, off, s[0:3], 0 offset:144
	buffer_load_dword v157, off, s[0:3], 0 offset:136
	buffer_load_dword v164, off, s[0:3], 0 offset:148
	buffer_load_dword v162, off, s[0:3], 0 offset:156
	ds_read_b128 v[127:130], v126 offset:544
	ds_read_b128 v[131:134], v126 offset:560
	buffer_load_dword v160, off, s[0:3], 0 offset:164
	s_mov_b32 s4, exec_lo
	s_waitcnt vmcnt(28) lgkmcnt(1)
	v_fma_f64 v[127:128], v[135:136], v[127:128], 0
	s_clause 0x7
	buffer_load_dword v136, off, s[0:3], 0 offset:172
	buffer_load_dword v165, off, s[0:3], 0 offset:192
	buffer_load_dword v167, off, s[0:3], 0 offset:184
	buffer_load_dword v169, off, s[0:3], 0 offset:176
	buffer_load_dword v135, off, s[0:3], 0 offset:168
	buffer_load_dword v170, off, s[0:3], 0 offset:180
	buffer_load_dword v168, off, s[0:3], 0 offset:188
	buffer_load_dword v166, off, s[0:3], 0 offset:196
	s_waitcnt vmcnt(34)
	v_fma_f64 v[127:128], v[137:138], v[129:130], v[127:128]
	s_waitcnt vmcnt(32) lgkmcnt(0)
	v_fma_f64 v[127:128], v[139:140], v[131:132], v[127:128]
	s_waitcnt vmcnt(30)
	v_fma_f64 v[137:138], v[141:142], v[133:134], v[127:128]
	ds_read_b128 v[127:130], v126 offset:576
	ds_read_b128 v[131:134], v126 offset:592
	s_waitcnt vmcnt(28) lgkmcnt(1)
	v_fma_f64 v[127:128], v[143:144], v[127:128], v[137:138]
	s_clause 0x7
	buffer_load_dword v138, off, s[0:3], 0 offset:204
	buffer_load_dword v139, off, s[0:3], 0 offset:224
	buffer_load_dword v141, off, s[0:3], 0 offset:216
	buffer_load_dword v143, off, s[0:3], 0 offset:208
	buffer_load_dword v137, off, s[0:3], 0 offset:200
	buffer_load_dword v144, off, s[0:3], 0 offset:212
	buffer_load_dword v142, off, s[0:3], 0 offset:220
	buffer_load_dword v140, off, s[0:3], 0 offset:228
	s_waitcnt vmcnt(34)
	v_fma_f64 v[127:128], v[145:146], v[129:130], v[127:128]
	s_waitcnt vmcnt(32) lgkmcnt(0)
	v_fma_f64 v[127:128], v[147:148], v[131:132], v[127:128]
	s_waitcnt vmcnt(27)
	v_fma_f64 v[145:146], v[149:150], v[133:134], v[127:128]
	ds_read_b128 v[127:130], v126 offset:608
	ds_read_b128 v[131:134], v126 offset:624
	;; [unrolled: 19-line block ×10, first 2 shown]
	s_waitcnt vmcnt(26) lgkmcnt(1)
	v_fma_f64 v[127:128], v[155:156], v[127:128], v[139:140]
	s_clause 0x3
	buffer_load_dword v140, off, s[0:3], 0 offset:492
	buffer_load_dword v139, off, s[0:3], 0 offset:488
	buffer_load_dword v143, off, s[0:3], 0 offset:40
	buffer_load_dword v144, off, s[0:3], 0 offset:44
	s_waitcnt vmcnt(29)
	v_fma_f64 v[127:128], v[145:146], v[129:130], v[127:128]
	s_waitcnt vmcnt(28) lgkmcnt(0)
	v_fma_f64 v[127:128], v[141:142], v[131:132], v[127:128]
	s_waitcnt vmcnt(23)
	v_fma_f64 v[141:142], v[147:148], v[133:134], v[127:128]
	ds_read_b128 v[127:130], v126 offset:896
	ds_read_b128 v[131:134], v126 offset:912
	s_waitcnt vmcnt(22) lgkmcnt(1)
	v_fma_f64 v[127:128], v[163:164], v[127:128], v[141:142]
	s_waitcnt vmcnt(21)
	v_fma_f64 v[127:128], v[151:152], v[129:130], v[127:128]
	s_waitcnt vmcnt(20) lgkmcnt(0)
	v_fma_f64 v[127:128], v[149:150], v[131:132], v[127:128]
	s_waitcnt vmcnt(15)
	v_fma_f64 v[135:136], v[135:136], v[133:134], v[127:128]
	ds_read_b128 v[127:130], v126 offset:928
	ds_read_b128 v[131:134], v126 offset:944
	s_waitcnt vmcnt(14) lgkmcnt(1)
	v_fma_f64 v[127:128], v[169:170], v[127:128], v[135:136]
	;; [unrolled: 10-line block ×3, first 2 shown]
	s_waitcnt vmcnt(5)
	v_fma_f64 v[126:127], v[161:162], v[129:130], v[126:127]
	s_waitcnt vmcnt(4) lgkmcnt(0)
	v_fma_f64 v[126:127], v[159:160], v[131:132], v[126:127]
	s_waitcnt vmcnt(2)
	v_fma_f64 v[126:127], v[139:140], v[133:134], v[126:127]
	s_waitcnt vmcnt(0)
	v_add_f64 v[126:127], v[143:144], -v[126:127]
	buffer_store_dword v127, off, s[0:3], 0 offset:44
	buffer_store_dword v126, off, s[0:3], 0 offset:40
	v_cmpx_lt_u32_e32 4, v0
	s_cbranch_execz .LBB125_373
; %bb.372:
	s_clause 0x1
	buffer_load_dword v126, off, s[0:3], 0 offset:32
	buffer_load_dword v127, off, s[0:3], 0 offset:36
	v_mov_b32_e32 v128, 0
	buffer_store_dword v128, off, s[0:3], 0 offset:32
	buffer_store_dword v128, off, s[0:3], 0 offset:36
	s_waitcnt vmcnt(0)
	ds_write_b64 v125, v[126:127]
.LBB125_373:
	s_or_b32 exec_lo, exec_lo, s4
	s_waitcnt lgkmcnt(0)
	s_waitcnt_vscnt null, 0x0
	s_barrier
	buffer_gl0_inv
	s_clause 0x1c
	buffer_load_dword v135, off, s[0:3], 0 offset:40
	buffer_load_dword v136, off, s[0:3], 0 offset:44
	;; [unrolled: 1-line block ×29, first 2 shown]
	v_mov_b32_e32 v126, 0
	buffer_load_dword v160, off, s[0:3], 0 offset:156
	s_mov_b32 s4, exec_lo
	ds_read2_b64 v[127:130], v126 offset0:67 offset1:68
	ds_read2_b64 v[131:134], v126 offset0:69 offset1:70
	s_waitcnt vmcnt(28) lgkmcnt(1)
	v_fma_f64 v[127:128], v[135:136], v[127:128], 0
	s_clause 0x7
	buffer_load_dword v136, off, s[0:3], 0 offset:164
	buffer_load_dword v165, off, s[0:3], 0 offset:184
	buffer_load_dword v167, off, s[0:3], 0 offset:176
	buffer_load_dword v169, off, s[0:3], 0 offset:168
	buffer_load_dword v135, off, s[0:3], 0 offset:160
	buffer_load_dword v170, off, s[0:3], 0 offset:172
	buffer_load_dword v168, off, s[0:3], 0 offset:180
	buffer_load_dword v166, off, s[0:3], 0 offset:188
	s_waitcnt vmcnt(34)
	v_fma_f64 v[127:128], v[137:138], v[129:130], v[127:128]
	s_waitcnt vmcnt(32) lgkmcnt(0)
	v_fma_f64 v[127:128], v[139:140], v[131:132], v[127:128]
	s_waitcnt vmcnt(30)
	v_fma_f64 v[137:138], v[141:142], v[133:134], v[127:128]
	ds_read2_b64 v[127:130], v126 offset0:71 offset1:72
	ds_read2_b64 v[131:134], v126 offset0:73 offset1:74
	s_waitcnt vmcnt(28) lgkmcnt(1)
	v_fma_f64 v[127:128], v[143:144], v[127:128], v[137:138]
	s_clause 0x7
	buffer_load_dword v138, off, s[0:3], 0 offset:196
	buffer_load_dword v139, off, s[0:3], 0 offset:216
	buffer_load_dword v141, off, s[0:3], 0 offset:208
	buffer_load_dword v143, off, s[0:3], 0 offset:200
	buffer_load_dword v137, off, s[0:3], 0 offset:192
	buffer_load_dword v144, off, s[0:3], 0 offset:204
	buffer_load_dword v142, off, s[0:3], 0 offset:212
	buffer_load_dword v140, off, s[0:3], 0 offset:220
	s_waitcnt vmcnt(34)
	v_fma_f64 v[127:128], v[145:146], v[129:130], v[127:128]
	s_waitcnt vmcnt(32) lgkmcnt(0)
	v_fma_f64 v[127:128], v[147:148], v[131:132], v[127:128]
	s_waitcnt vmcnt(27)
	v_fma_f64 v[145:146], v[149:150], v[133:134], v[127:128]
	;; [unrolled: 19-line block ×10, first 2 shown]
	ds_read2_b64 v[127:130], v126 offset0:107 offset1:108
	ds_read2_b64 v[131:134], v126 offset0:109 offset1:110
	s_waitcnt vmcnt(26) lgkmcnt(1)
	v_fma_f64 v[127:128], v[155:156], v[127:128], v[139:140]
	s_clause 0x3
	buffer_load_dword v140, off, s[0:3], 0 offset:484
	buffer_load_dword v143, off, s[0:3], 0 offset:488
	;; [unrolled: 1-line block ×4, first 2 shown]
	s_waitcnt vmcnt(29)
	v_fma_f64 v[127:128], v[145:146], v[129:130], v[127:128]
	s_waitcnt vmcnt(28) lgkmcnt(0)
	v_fma_f64 v[127:128], v[141:142], v[131:132], v[127:128]
	s_clause 0x1
	buffer_load_dword v141, off, s[0:3], 0 offset:32
	buffer_load_dword v142, off, s[0:3], 0 offset:36
	s_waitcnt vmcnt(25)
	v_fma_f64 v[145:146], v[147:148], v[133:134], v[127:128]
	ds_read2_b64 v[127:130], v126 offset0:111 offset1:112
	ds_read2_b64 v[131:134], v126 offset0:113 offset1:114
	s_waitcnt vmcnt(24) lgkmcnt(1)
	v_fma_f64 v[127:128], v[163:164], v[127:128], v[145:146]
	s_waitcnt vmcnt(23)
	v_fma_f64 v[127:128], v[151:152], v[129:130], v[127:128]
	s_waitcnt vmcnt(22) lgkmcnt(0)
	v_fma_f64 v[127:128], v[149:150], v[131:132], v[127:128]
	s_waitcnt vmcnt(17)
	v_fma_f64 v[135:136], v[135:136], v[133:134], v[127:128]
	ds_read2_b64 v[127:130], v126 offset0:115 offset1:116
	ds_read2_b64 v[131:134], v126 offset0:117 offset1:118
	s_waitcnt vmcnt(16) lgkmcnt(1)
	v_fma_f64 v[127:128], v[169:170], v[127:128], v[135:136]
	s_waitcnt vmcnt(15)
	v_fma_f64 v[127:128], v[157:158], v[129:130], v[127:128]
	s_waitcnt vmcnt(14) lgkmcnt(0)
	v_fma_f64 v[127:128], v[153:154], v[131:132], v[127:128]
	s_waitcnt vmcnt(9)
	v_fma_f64 v[135:136], v[137:138], v[133:134], v[127:128]
	ds_read2_b64 v[127:130], v126 offset0:119 offset1:120
	ds_read2_b64 v[131:134], v126 offset0:121 offset1:122
	s_waitcnt vmcnt(8) lgkmcnt(1)
	v_fma_f64 v[127:128], v[167:168], v[127:128], v[135:136]
	s_waitcnt vmcnt(7)
	v_fma_f64 v[127:128], v[161:162], v[129:130], v[127:128]
	ds_read_b64 v[129:130], v126 offset:984
	s_waitcnt vmcnt(6) lgkmcnt(1)
	v_fma_f64 v[127:128], v[159:160], v[131:132], v[127:128]
	s_waitcnt vmcnt(3)
	v_fma_f64 v[127:128], v[139:140], v[133:134], v[127:128]
	s_waitcnt vmcnt(2) lgkmcnt(0)
	v_fma_f64 v[127:128], v[143:144], v[129:130], v[127:128]
	s_waitcnt vmcnt(0)
	v_add_f64 v[127:128], v[141:142], -v[127:128]
	buffer_store_dword v128, off, s[0:3], 0 offset:36
	buffer_store_dword v127, off, s[0:3], 0 offset:32
	v_cmpx_lt_u32_e32 3, v0
	s_cbranch_execz .LBB125_375
; %bb.374:
	s_clause 0x1
	buffer_load_dword v127, off, s[0:3], 0 offset:24
	buffer_load_dword v128, off, s[0:3], 0 offset:28
	buffer_store_dword v126, off, s[0:3], 0 offset:24
	buffer_store_dword v126, off, s[0:3], 0 offset:28
	s_waitcnt vmcnt(0)
	ds_write_b64 v125, v[127:128]
.LBB125_375:
	s_or_b32 exec_lo, exec_lo, s4
	s_waitcnt lgkmcnt(0)
	s_waitcnt_vscnt null, 0x0
	s_barrier
	buffer_gl0_inv
	s_clause 0x1c
	buffer_load_dword v135, off, s[0:3], 0 offset:32
	buffer_load_dword v136, off, s[0:3], 0 offset:36
	;; [unrolled: 1-line block ×29, first 2 shown]
	ds_read_b128 v[127:130], v126 offset:528
	ds_read_b128 v[131:134], v126 offset:544
	buffer_load_dword v160, off, s[0:3], 0 offset:148
	s_mov_b32 s4, exec_lo
	s_waitcnt vmcnt(28) lgkmcnt(1)
	v_fma_f64 v[127:128], v[135:136], v[127:128], 0
	s_clause 0x7
	buffer_load_dword v136, off, s[0:3], 0 offset:156
	buffer_load_dword v165, off, s[0:3], 0 offset:176
	buffer_load_dword v167, off, s[0:3], 0 offset:168
	buffer_load_dword v169, off, s[0:3], 0 offset:160
	buffer_load_dword v135, off, s[0:3], 0 offset:152
	buffer_load_dword v170, off, s[0:3], 0 offset:164
	buffer_load_dword v168, off, s[0:3], 0 offset:172
	buffer_load_dword v166, off, s[0:3], 0 offset:180
	s_waitcnt vmcnt(34)
	v_fma_f64 v[127:128], v[137:138], v[129:130], v[127:128]
	s_waitcnt vmcnt(32) lgkmcnt(0)
	v_fma_f64 v[127:128], v[139:140], v[131:132], v[127:128]
	s_waitcnt vmcnt(30)
	v_fma_f64 v[137:138], v[141:142], v[133:134], v[127:128]
	ds_read_b128 v[127:130], v126 offset:560
	ds_read_b128 v[131:134], v126 offset:576
	s_waitcnt vmcnt(28) lgkmcnt(1)
	v_fma_f64 v[127:128], v[143:144], v[127:128], v[137:138]
	s_clause 0x7
	buffer_load_dword v138, off, s[0:3], 0 offset:188
	buffer_load_dword v139, off, s[0:3], 0 offset:208
	buffer_load_dword v141, off, s[0:3], 0 offset:200
	buffer_load_dword v143, off, s[0:3], 0 offset:192
	buffer_load_dword v137, off, s[0:3], 0 offset:184
	buffer_load_dword v144, off, s[0:3], 0 offset:196
	buffer_load_dword v142, off, s[0:3], 0 offset:204
	buffer_load_dword v140, off, s[0:3], 0 offset:212
	s_waitcnt vmcnt(34)
	v_fma_f64 v[127:128], v[145:146], v[129:130], v[127:128]
	s_waitcnt vmcnt(32) lgkmcnt(0)
	v_fma_f64 v[127:128], v[147:148], v[131:132], v[127:128]
	s_waitcnt vmcnt(27)
	v_fma_f64 v[145:146], v[149:150], v[133:134], v[127:128]
	ds_read_b128 v[127:130], v126 offset:592
	ds_read_b128 v[131:134], v126 offset:608
	;; [unrolled: 19-line block ×10, first 2 shown]
	s_waitcnt vmcnt(26) lgkmcnt(1)
	v_fma_f64 v[127:128], v[155:156], v[127:128], v[139:140]
	s_clause 0x5
	buffer_load_dword v140, off, s[0:3], 0 offset:476
	buffer_load_dword v143, off, s[0:3], 0 offset:488
	;; [unrolled: 1-line block ×6, first 2 shown]
	s_waitcnt vmcnt(31)
	v_fma_f64 v[127:128], v[145:146], v[129:130], v[127:128]
	s_waitcnt vmcnt(30) lgkmcnt(0)
	v_fma_f64 v[127:128], v[141:142], v[131:132], v[127:128]
	s_waitcnt vmcnt(25)
	v_fma_f64 v[141:142], v[147:148], v[133:134], v[127:128]
	ds_read_b128 v[127:130], v126 offset:880
	s_clause 0x1
	buffer_load_dword v145, off, s[0:3], 0 offset:24
	buffer_load_dword v146, off, s[0:3], 0 offset:28
	ds_read_b128 v[131:134], v126 offset:896
	s_waitcnt vmcnt(26) lgkmcnt(1)
	v_fma_f64 v[127:128], v[163:164], v[127:128], v[141:142]
	s_waitcnt vmcnt(25)
	v_fma_f64 v[127:128], v[151:152], v[129:130], v[127:128]
	s_waitcnt vmcnt(24) lgkmcnt(0)
	v_fma_f64 v[127:128], v[149:150], v[131:132], v[127:128]
	s_waitcnt vmcnt(19)
	v_fma_f64 v[135:136], v[135:136], v[133:134], v[127:128]
	ds_read_b128 v[127:130], v126 offset:912
	ds_read_b128 v[131:134], v126 offset:928
	s_waitcnt vmcnt(18) lgkmcnt(1)
	v_fma_f64 v[127:128], v[169:170], v[127:128], v[135:136]
	s_waitcnt vmcnt(17)
	v_fma_f64 v[127:128], v[157:158], v[129:130], v[127:128]
	s_waitcnt vmcnt(16) lgkmcnt(0)
	v_fma_f64 v[127:128], v[153:154], v[131:132], v[127:128]
	s_waitcnt vmcnt(11)
	v_fma_f64 v[135:136], v[137:138], v[133:134], v[127:128]
	ds_read_b128 v[127:130], v126 offset:944
	ds_read_b128 v[131:134], v126 offset:960
	s_waitcnt vmcnt(10) lgkmcnt(1)
	v_fma_f64 v[127:128], v[167:168], v[127:128], v[135:136]
	s_waitcnt vmcnt(9)
	v_fma_f64 v[127:128], v[161:162], v[129:130], v[127:128]
	s_waitcnt vmcnt(8) lgkmcnt(0)
	v_fma_f64 v[127:128], v[159:160], v[131:132], v[127:128]
	s_waitcnt vmcnt(4)
	v_fma_f64 v[130:131], v[139:140], v[133:134], v[127:128]
	ds_read_b128 v[126:129], v126 offset:976
	s_waitcnt vmcnt(3) lgkmcnt(0)
	v_fma_f64 v[126:127], v[155:156], v[126:127], v[130:131]
	s_waitcnt vmcnt(2)
	v_fma_f64 v[126:127], v[143:144], v[128:129], v[126:127]
	s_waitcnt vmcnt(0)
	v_add_f64 v[126:127], v[145:146], -v[126:127]
	buffer_store_dword v127, off, s[0:3], 0 offset:28
	buffer_store_dword v126, off, s[0:3], 0 offset:24
	v_cmpx_lt_u32_e32 2, v0
	s_cbranch_execz .LBB125_377
; %bb.376:
	s_clause 0x1
	buffer_load_dword v126, off, s[0:3], 0 offset:16
	buffer_load_dword v127, off, s[0:3], 0 offset:20
	v_mov_b32_e32 v128, 0
	buffer_store_dword v128, off, s[0:3], 0 offset:16
	buffer_store_dword v128, off, s[0:3], 0 offset:20
	s_waitcnt vmcnt(0)
	ds_write_b64 v125, v[126:127]
.LBB125_377:
	s_or_b32 exec_lo, exec_lo, s4
	s_waitcnt lgkmcnt(0)
	s_waitcnt_vscnt null, 0x0
	s_barrier
	buffer_gl0_inv
	s_clause 0x1c
	buffer_load_dword v135, off, s[0:3], 0 offset:24
	buffer_load_dword v136, off, s[0:3], 0 offset:28
	;; [unrolled: 1-line block ×29, first 2 shown]
	v_mov_b32_e32 v126, 0
	buffer_load_dword v160, off, s[0:3], 0 offset:140
	s_mov_b32 s4, exec_lo
	ds_read2_b64 v[127:130], v126 offset0:65 offset1:66
	ds_read2_b64 v[131:134], v126 offset0:67 offset1:68
	s_waitcnt vmcnt(28) lgkmcnt(1)
	v_fma_f64 v[127:128], v[135:136], v[127:128], 0
	s_clause 0x7
	buffer_load_dword v136, off, s[0:3], 0 offset:148
	buffer_load_dword v165, off, s[0:3], 0 offset:168
	buffer_load_dword v167, off, s[0:3], 0 offset:160
	buffer_load_dword v169, off, s[0:3], 0 offset:152
	buffer_load_dword v135, off, s[0:3], 0 offset:144
	buffer_load_dword v170, off, s[0:3], 0 offset:156
	buffer_load_dword v168, off, s[0:3], 0 offset:164
	buffer_load_dword v166, off, s[0:3], 0 offset:172
	s_waitcnt vmcnt(34)
	v_fma_f64 v[127:128], v[137:138], v[129:130], v[127:128]
	s_waitcnt vmcnt(32) lgkmcnt(0)
	v_fma_f64 v[127:128], v[139:140], v[131:132], v[127:128]
	s_waitcnt vmcnt(30)
	v_fma_f64 v[137:138], v[141:142], v[133:134], v[127:128]
	ds_read2_b64 v[127:130], v126 offset0:69 offset1:70
	ds_read2_b64 v[131:134], v126 offset0:71 offset1:72
	s_waitcnt vmcnt(28) lgkmcnt(1)
	v_fma_f64 v[127:128], v[143:144], v[127:128], v[137:138]
	s_clause 0x7
	buffer_load_dword v138, off, s[0:3], 0 offset:180
	buffer_load_dword v139, off, s[0:3], 0 offset:200
	buffer_load_dword v141, off, s[0:3], 0 offset:192
	buffer_load_dword v143, off, s[0:3], 0 offset:184
	buffer_load_dword v137, off, s[0:3], 0 offset:176
	buffer_load_dword v144, off, s[0:3], 0 offset:188
	buffer_load_dword v142, off, s[0:3], 0 offset:196
	buffer_load_dword v140, off, s[0:3], 0 offset:204
	s_waitcnt vmcnt(34)
	v_fma_f64 v[127:128], v[145:146], v[129:130], v[127:128]
	s_waitcnt vmcnt(32) lgkmcnt(0)
	v_fma_f64 v[127:128], v[147:148], v[131:132], v[127:128]
	s_waitcnt vmcnt(27)
	v_fma_f64 v[145:146], v[149:150], v[133:134], v[127:128]
	;; [unrolled: 19-line block ×11, first 2 shown]
	ds_read2_b64 v[127:130], v126 offset0:109 offset1:110
	ds_read2_b64 v[131:134], v126 offset0:111 offset1:112
	s_waitcnt vmcnt(26) lgkmcnt(1)
	v_fma_f64 v[127:128], v[163:164], v[127:128], v[141:142]
	s_clause 0x1
	buffer_load_dword v141, off, s[0:3], 0 offset:16
	buffer_load_dword v142, off, s[0:3], 0 offset:20
	s_waitcnt vmcnt(27)
	v_fma_f64 v[127:128], v[151:152], v[129:130], v[127:128]
	s_waitcnt vmcnt(26) lgkmcnt(0)
	v_fma_f64 v[127:128], v[149:150], v[131:132], v[127:128]
	s_waitcnt vmcnt(21)
	v_fma_f64 v[135:136], v[135:136], v[133:134], v[127:128]
	ds_read2_b64 v[127:130], v126 offset0:113 offset1:114
	ds_read2_b64 v[131:134], v126 offset0:115 offset1:116
	s_waitcnt vmcnt(20) lgkmcnt(1)
	v_fma_f64 v[127:128], v[169:170], v[127:128], v[135:136]
	s_waitcnt vmcnt(19)
	v_fma_f64 v[127:128], v[157:158], v[129:130], v[127:128]
	s_waitcnt vmcnt(18) lgkmcnt(0)
	v_fma_f64 v[127:128], v[153:154], v[131:132], v[127:128]
	s_waitcnt vmcnt(13)
	v_fma_f64 v[135:136], v[137:138], v[133:134], v[127:128]
	ds_read2_b64 v[127:130], v126 offset0:117 offset1:118
	ds_read2_b64 v[131:134], v126 offset0:119 offset1:120
	s_waitcnt vmcnt(12) lgkmcnt(1)
	v_fma_f64 v[127:128], v[167:168], v[127:128], v[135:136]
	s_waitcnt vmcnt(11)
	v_fma_f64 v[127:128], v[161:162], v[129:130], v[127:128]
	s_waitcnt vmcnt(10) lgkmcnt(0)
	v_fma_f64 v[127:128], v[159:160], v[131:132], v[127:128]
	s_waitcnt vmcnt(5)
	v_fma_f64 v[131:132], v[139:140], v[133:134], v[127:128]
	ds_read2_b64 v[127:130], v126 offset0:121 offset1:122
	ds_read_b64 v[133:134], v126 offset:984
	s_waitcnt vmcnt(4) lgkmcnt(1)
	v_fma_f64 v[127:128], v[165:166], v[127:128], v[131:132]
	s_waitcnt vmcnt(3)
	v_fma_f64 v[127:128], v[155:156], v[129:130], v[127:128]
	s_waitcnt vmcnt(2) lgkmcnt(0)
	v_fma_f64 v[127:128], v[143:144], v[133:134], v[127:128]
	s_waitcnt vmcnt(0)
	v_add_f64 v[127:128], v[141:142], -v[127:128]
	buffer_store_dword v128, off, s[0:3], 0 offset:20
	buffer_store_dword v127, off, s[0:3], 0 offset:16
	v_cmpx_lt_u32_e32 1, v0
	s_cbranch_execz .LBB125_379
; %bb.378:
	s_clause 0x1
	buffer_load_dword v127, off, s[0:3], 0 offset:8
	buffer_load_dword v128, off, s[0:3], 0 offset:12
	buffer_store_dword v126, off, s[0:3], 0 offset:8
	buffer_store_dword v126, off, s[0:3], 0 offset:12
	s_waitcnt vmcnt(0)
	ds_write_b64 v125, v[127:128]
.LBB125_379:
	s_or_b32 exec_lo, exec_lo, s4
	s_waitcnt lgkmcnt(0)
	s_waitcnt_vscnt null, 0x0
	s_barrier
	buffer_gl0_inv
	s_clause 0x1c
	buffer_load_dword v135, off, s[0:3], 0 offset:16
	buffer_load_dword v136, off, s[0:3], 0 offset:20
	;; [unrolled: 1-line block ×29, first 2 shown]
	ds_read_b128 v[127:130], v126 offset:512
	ds_read_b128 v[131:134], v126 offset:528
	buffer_load_dword v160, off, s[0:3], 0 offset:132
	s_mov_b32 s4, exec_lo
	s_waitcnt vmcnt(28) lgkmcnt(1)
	v_fma_f64 v[127:128], v[135:136], v[127:128], 0
	s_clause 0x7
	buffer_load_dword v136, off, s[0:3], 0 offset:140
	buffer_load_dword v165, off, s[0:3], 0 offset:160
	buffer_load_dword v167, off, s[0:3], 0 offset:152
	buffer_load_dword v169, off, s[0:3], 0 offset:144
	buffer_load_dword v135, off, s[0:3], 0 offset:136
	buffer_load_dword v170, off, s[0:3], 0 offset:148
	buffer_load_dword v168, off, s[0:3], 0 offset:156
	buffer_load_dword v166, off, s[0:3], 0 offset:164
	s_waitcnt vmcnt(34)
	v_fma_f64 v[127:128], v[137:138], v[129:130], v[127:128]
	s_waitcnt vmcnt(32) lgkmcnt(0)
	v_fma_f64 v[127:128], v[139:140], v[131:132], v[127:128]
	s_waitcnt vmcnt(30)
	v_fma_f64 v[137:138], v[141:142], v[133:134], v[127:128]
	ds_read_b128 v[127:130], v126 offset:544
	ds_read_b128 v[131:134], v126 offset:560
	s_waitcnt vmcnt(28) lgkmcnt(1)
	v_fma_f64 v[127:128], v[143:144], v[127:128], v[137:138]
	s_clause 0x7
	buffer_load_dword v138, off, s[0:3], 0 offset:172
	buffer_load_dword v139, off, s[0:3], 0 offset:192
	buffer_load_dword v141, off, s[0:3], 0 offset:184
	buffer_load_dword v143, off, s[0:3], 0 offset:176
	buffer_load_dword v137, off, s[0:3], 0 offset:168
	buffer_load_dword v144, off, s[0:3], 0 offset:180
	buffer_load_dword v142, off, s[0:3], 0 offset:188
	buffer_load_dword v140, off, s[0:3], 0 offset:196
	s_waitcnt vmcnt(34)
	v_fma_f64 v[127:128], v[145:146], v[129:130], v[127:128]
	s_waitcnt vmcnt(32) lgkmcnt(0)
	v_fma_f64 v[127:128], v[147:148], v[131:132], v[127:128]
	s_waitcnt vmcnt(27)
	v_fma_f64 v[145:146], v[149:150], v[133:134], v[127:128]
	ds_read_b128 v[127:130], v126 offset:576
	ds_read_b128 v[131:134], v126 offset:592
	;; [unrolled: 19-line block ×11, first 2 shown]
	s_waitcnt vmcnt(26) lgkmcnt(1)
	v_fma_f64 v[127:128], v[163:164], v[127:128], v[141:142]
	s_clause 0x3
	buffer_load_dword v142, off, s[0:3], 0 offset:492
	buffer_load_dword v141, off, s[0:3], 0 offset:488
	;; [unrolled: 1-line block ×4, first 2 shown]
	s_waitcnt vmcnt(29)
	v_fma_f64 v[127:128], v[151:152], v[129:130], v[127:128]
	s_waitcnt vmcnt(28) lgkmcnt(0)
	v_fma_f64 v[127:128], v[149:150], v[131:132], v[127:128]
	s_waitcnt vmcnt(23)
	v_fma_f64 v[135:136], v[135:136], v[133:134], v[127:128]
	ds_read_b128 v[127:130], v126 offset:896
	ds_read_b128 v[131:134], v126 offset:912
	s_waitcnt vmcnt(22) lgkmcnt(1)
	v_fma_f64 v[127:128], v[169:170], v[127:128], v[135:136]
	s_waitcnt vmcnt(21)
	v_fma_f64 v[127:128], v[157:158], v[129:130], v[127:128]
	s_waitcnt vmcnt(20) lgkmcnt(0)
	v_fma_f64 v[127:128], v[153:154], v[131:132], v[127:128]
	s_waitcnt vmcnt(15)
	v_fma_f64 v[135:136], v[137:138], v[133:134], v[127:128]
	ds_read_b128 v[127:130], v126 offset:928
	ds_read_b128 v[131:134], v126 offset:944
	s_waitcnt vmcnt(14) lgkmcnt(1)
	v_fma_f64 v[127:128], v[167:168], v[127:128], v[135:136]
	;; [unrolled: 10-line block ×3, first 2 shown]
	s_waitcnt vmcnt(5)
	v_fma_f64 v[126:127], v[155:156], v[129:130], v[126:127]
	s_waitcnt vmcnt(4) lgkmcnt(0)
	v_fma_f64 v[126:127], v[143:144], v[131:132], v[126:127]
	s_waitcnt vmcnt(2)
	v_fma_f64 v[126:127], v[141:142], v[133:134], v[126:127]
	s_waitcnt vmcnt(0)
	v_add_f64 v[126:127], v[145:146], -v[126:127]
	buffer_store_dword v127, off, s[0:3], 0 offset:12
	buffer_store_dword v126, off, s[0:3], 0 offset:8
	v_cmpx_ne_u32_e32 0, v0
	s_cbranch_execz .LBB125_381
; %bb.380:
	s_clause 0x1
	buffer_load_dword v126, off, s[0:3], 0
	buffer_load_dword v127, off, s[0:3], 0 offset:4
	v_mov_b32_e32 v0, 0
	buffer_store_dword v0, off, s[0:3], 0
	buffer_store_dword v0, off, s[0:3], 0 offset:4
	s_waitcnt vmcnt(0)
	ds_write_b64 v125, v[126:127]
.LBB125_381:
	s_or_b32 exec_lo, exec_lo, s4
	s_waitcnt lgkmcnt(0)
	s_waitcnt_vscnt null, 0x0
	s_barrier
	buffer_gl0_inv
	s_clause 0x1c
	buffer_load_dword v133, off, s[0:3], 0 offset:8
	buffer_load_dword v134, off, s[0:3], 0 offset:12
	;; [unrolled: 1-line block ×29, first 2 shown]
	v_mov_b32_e32 v0, 0
	buffer_load_dword v158, off, s[0:3], 0 offset:124
	s_and_b32 vcc_lo, exec_lo, s16
	ds_read2_b64 v[125:128], v0 offset0:63 offset1:64
	ds_read2_b64 v[129:132], v0 offset0:65 offset1:66
	s_waitcnt vmcnt(28) lgkmcnt(1)
	v_fma_f64 v[125:126], v[133:134], v[125:126], 0
	s_clause 0x7
	buffer_load_dword v134, off, s[0:3], 0 offset:132
	buffer_load_dword v163, off, s[0:3], 0 offset:152
	buffer_load_dword v165, off, s[0:3], 0 offset:144
	buffer_load_dword v167, off, s[0:3], 0 offset:136
	buffer_load_dword v133, off, s[0:3], 0 offset:128
	buffer_load_dword v168, off, s[0:3], 0 offset:140
	buffer_load_dword v166, off, s[0:3], 0 offset:148
	buffer_load_dword v164, off, s[0:3], 0 offset:156
	s_waitcnt vmcnt(34)
	v_fma_f64 v[125:126], v[135:136], v[127:128], v[125:126]
	s_waitcnt vmcnt(32) lgkmcnt(0)
	v_fma_f64 v[125:126], v[137:138], v[129:130], v[125:126]
	s_waitcnt vmcnt(30)
	v_fma_f64 v[135:136], v[139:140], v[131:132], v[125:126]
	ds_read2_b64 v[125:128], v0 offset0:67 offset1:68
	ds_read2_b64 v[129:132], v0 offset0:69 offset1:70
	s_waitcnt vmcnt(28) lgkmcnt(1)
	v_fma_f64 v[125:126], v[141:142], v[125:126], v[135:136]
	s_clause 0x7
	buffer_load_dword v136, off, s[0:3], 0 offset:164
	buffer_load_dword v137, off, s[0:3], 0 offset:184
	buffer_load_dword v139, off, s[0:3], 0 offset:176
	buffer_load_dword v141, off, s[0:3], 0 offset:168
	buffer_load_dword v135, off, s[0:3], 0 offset:160
	buffer_load_dword v142, off, s[0:3], 0 offset:172
	buffer_load_dword v140, off, s[0:3], 0 offset:180
	buffer_load_dword v138, off, s[0:3], 0 offset:188
	s_waitcnt vmcnt(34)
	v_fma_f64 v[125:126], v[143:144], v[127:128], v[125:126]
	s_waitcnt vmcnt(32) lgkmcnt(0)
	v_fma_f64 v[125:126], v[145:146], v[129:130], v[125:126]
	s_waitcnt vmcnt(27)
	v_fma_f64 v[143:144], v[147:148], v[131:132], v[125:126]
	;; [unrolled: 19-line block ×11, first 2 shown]
	ds_read2_b64 v[125:128], v0 offset0:107 offset1:108
	ds_read2_b64 v[129:132], v0 offset0:109 offset1:110
	s_waitcnt vmcnt(26) lgkmcnt(1)
	v_fma_f64 v[139:140], v[161:162], v[125:126], v[139:140]
	s_clause 0x3
	buffer_load_dword v126, off, s[0:3], 0 offset:484
	buffer_load_dword v143, off, s[0:3], 0 offset:488
	;; [unrolled: 1-line block ×4, first 2 shown]
	s_waitcnt vmcnt(29)
	v_fma_f64 v[127:128], v[149:150], v[127:128], v[139:140]
	s_clause 0x1
	buffer_load_dword v139, off, s[0:3], 0
	buffer_load_dword v140, off, s[0:3], 0 offset:4
	s_waitcnt vmcnt(30) lgkmcnt(0)
	v_fma_f64 v[127:128], v[147:148], v[129:130], v[127:128]
	s_waitcnt vmcnt(25)
	v_fma_f64 v[145:146], v[133:134], v[131:132], v[127:128]
	ds_read2_b64 v[127:130], v0 offset0:111 offset1:112
	ds_read2_b64 v[131:134], v0 offset0:113 offset1:114
	s_waitcnt vmcnt(24) lgkmcnt(1)
	v_fma_f64 v[127:128], v[167:168], v[127:128], v[145:146]
	s_waitcnt vmcnt(23)
	v_fma_f64 v[127:128], v[155:156], v[129:130], v[127:128]
	s_waitcnt vmcnt(22) lgkmcnt(0)
	v_fma_f64 v[127:128], v[151:152], v[131:132], v[127:128]
	s_waitcnt vmcnt(17)
	v_fma_f64 v[135:136], v[135:136], v[133:134], v[127:128]
	ds_read2_b64 v[127:130], v0 offset0:115 offset1:116
	ds_read2_b64 v[131:134], v0 offset0:117 offset1:118
	s_waitcnt vmcnt(16) lgkmcnt(1)
	v_fma_f64 v[127:128], v[165:166], v[127:128], v[135:136]
	s_waitcnt vmcnt(15)
	v_fma_f64 v[127:128], v[159:160], v[129:130], v[127:128]
	;; [unrolled: 10-line block ×3, first 2 shown]
	ds_read_b64 v[129:130], v0 offset:984
	s_waitcnt vmcnt(6) lgkmcnt(1)
	v_fma_f64 v[127:128], v[141:142], v[131:132], v[127:128]
	s_waitcnt vmcnt(3)
	v_fma_f64 v[127:128], v[125:126], v[133:134], v[127:128]
	s_waitcnt vmcnt(2) lgkmcnt(0)
	v_fma_f64 v[127:128], v[143:144], v[129:130], v[127:128]
	s_waitcnt vmcnt(0)
	v_add_f64 v[127:128], v[139:140], -v[127:128]
	buffer_store_dword v128, off, s[0:3], 0 offset:4
	buffer_store_dword v127, off, s[0:3], 0
	s_cbranch_vccz .LBB125_504
; %bb.382:
	global_load_dword v0, v0, s[12:13] offset:240
	s_waitcnt vmcnt(0)
	v_add_nc_u32_e32 v0, -1, v0
	v_cmp_ne_u32_e32 vcc_lo, 60, v0
	s_cbranch_vccz .LBB125_384
; %bb.383:
	v_lshlrev_b32_e32 v0, 3, v0
	s_clause 0x1
	buffer_load_dword v127, v0, s[0:3], 0 offen offset:4
	buffer_load_dword v128, v0, s[0:3], 0 offen
	s_waitcnt vmcnt(1)
	buffer_store_dword v127, off, s[0:3], 0 offset:484
	s_waitcnt vmcnt(0)
	buffer_store_dword v128, off, s[0:3], 0 offset:480
	buffer_store_dword v126, v0, s[0:3], 0 offen offset:4
	buffer_store_dword v125, v0, s[0:3], 0 offen
.LBB125_384:
	v_mov_b32_e32 v0, 0
	global_load_dword v125, v0, s[12:13] offset:236
	s_waitcnt vmcnt(0)
	v_add_nc_u32_e32 v125, -1, v125
	v_cmp_eq_u32_e32 vcc_lo, 59, v125
	s_cbranch_vccnz .LBB125_386
; %bb.385:
	v_lshlrev_b32_e32 v125, 3, v125
	s_clause 0x3
	buffer_load_dword v126, v125, s[0:3], 0 offen
	buffer_load_dword v127, v125, s[0:3], 0 offen offset:4
	buffer_load_dword v128, off, s[0:3], 0 offset:472
	buffer_load_dword v129, off, s[0:3], 0 offset:476
	s_waitcnt vmcnt(3)
	buffer_store_dword v126, off, s[0:3], 0 offset:472
	s_waitcnt vmcnt(2)
	buffer_store_dword v127, off, s[0:3], 0 offset:476
	s_waitcnt vmcnt(1)
	buffer_store_dword v128, v125, s[0:3], 0 offen
	s_waitcnt vmcnt(0)
	buffer_store_dword v129, v125, s[0:3], 0 offen offset:4
.LBB125_386:
	global_load_dword v0, v0, s[12:13] offset:232
	s_waitcnt vmcnt(0)
	v_add_nc_u32_e32 v0, -1, v0
	v_cmp_eq_u32_e32 vcc_lo, 58, v0
	s_cbranch_vccnz .LBB125_388
; %bb.387:
	v_lshlrev_b32_e32 v0, 3, v0
	s_clause 0x3
	buffer_load_dword v125, v0, s[0:3], 0 offen
	buffer_load_dword v126, v0, s[0:3], 0 offen offset:4
	buffer_load_dword v127, off, s[0:3], 0 offset:468
	buffer_load_dword v128, off, s[0:3], 0 offset:464
	s_waitcnt vmcnt(3)
	buffer_store_dword v125, off, s[0:3], 0 offset:464
	s_waitcnt vmcnt(2)
	buffer_store_dword v126, off, s[0:3], 0 offset:468
	s_waitcnt vmcnt(1)
	buffer_store_dword v127, v0, s[0:3], 0 offen offset:4
	s_waitcnt vmcnt(0)
	buffer_store_dword v128, v0, s[0:3], 0 offen
.LBB125_388:
	v_mov_b32_e32 v0, 0
	global_load_dword v125, v0, s[12:13] offset:228
	s_waitcnt vmcnt(0)
	v_add_nc_u32_e32 v125, -1, v125
	v_cmp_eq_u32_e32 vcc_lo, 57, v125
	s_cbranch_vccnz .LBB125_390
; %bb.389:
	v_lshlrev_b32_e32 v125, 3, v125
	s_clause 0x3
	buffer_load_dword v126, v125, s[0:3], 0 offen
	buffer_load_dword v127, v125, s[0:3], 0 offen offset:4
	buffer_load_dword v128, off, s[0:3], 0 offset:456
	buffer_load_dword v129, off, s[0:3], 0 offset:460
	s_waitcnt vmcnt(3)
	buffer_store_dword v126, off, s[0:3], 0 offset:456
	s_waitcnt vmcnt(2)
	buffer_store_dword v127, off, s[0:3], 0 offset:460
	s_waitcnt vmcnt(1)
	buffer_store_dword v128, v125, s[0:3], 0 offen
	s_waitcnt vmcnt(0)
	buffer_store_dword v129, v125, s[0:3], 0 offen offset:4
.LBB125_390:
	global_load_dword v0, v0, s[12:13] offset:224
	s_waitcnt vmcnt(0)
	v_add_nc_u32_e32 v0, -1, v0
	v_cmp_eq_u32_e32 vcc_lo, 56, v0
	s_cbranch_vccnz .LBB125_392
; %bb.391:
	v_lshlrev_b32_e32 v0, 3, v0
	s_clause 0x3
	buffer_load_dword v125, v0, s[0:3], 0 offen
	buffer_load_dword v126, v0, s[0:3], 0 offen offset:4
	buffer_load_dword v127, off, s[0:3], 0 offset:452
	buffer_load_dword v128, off, s[0:3], 0 offset:448
	s_waitcnt vmcnt(3)
	buffer_store_dword v125, off, s[0:3], 0 offset:448
	s_waitcnt vmcnt(2)
	buffer_store_dword v126, off, s[0:3], 0 offset:452
	s_waitcnt vmcnt(1)
	buffer_store_dword v127, v0, s[0:3], 0 offen offset:4
	s_waitcnt vmcnt(0)
	buffer_store_dword v128, v0, s[0:3], 0 offen
.LBB125_392:
	;; [unrolled: 43-line block ×29, first 2 shown]
	v_mov_b32_e32 v0, 0
	global_load_dword v125, v0, s[12:13] offset:4
	s_waitcnt vmcnt(0)
	v_add_nc_u32_e32 v125, -1, v125
	v_cmp_eq_u32_e32 vcc_lo, 1, v125
	s_cbranch_vccnz .LBB125_502
; %bb.501:
	v_lshlrev_b32_e32 v125, 3, v125
	s_clause 0x3
	buffer_load_dword v126, v125, s[0:3], 0 offen
	buffer_load_dword v127, v125, s[0:3], 0 offen offset:4
	buffer_load_dword v128, off, s[0:3], 0 offset:8
	buffer_load_dword v129, off, s[0:3], 0 offset:12
	s_waitcnt vmcnt(3)
	buffer_store_dword v126, off, s[0:3], 0 offset:8
	s_waitcnt vmcnt(2)
	buffer_store_dword v127, off, s[0:3], 0 offset:12
	s_waitcnt vmcnt(1)
	buffer_store_dword v128, v125, s[0:3], 0 offen
	s_waitcnt vmcnt(0)
	buffer_store_dword v129, v125, s[0:3], 0 offen offset:4
.LBB125_502:
	global_load_dword v0, v0, s[12:13]
	s_clause 0x1
	buffer_load_dword v127, off, s[0:3], 0
	buffer_load_dword v128, off, s[0:3], 0 offset:4
	s_waitcnt vmcnt(2)
	v_add_nc_u32_e32 v0, -1, v0
	v_cmp_eq_u32_e32 vcc_lo, 0, v0
	s_cbranch_vccnz .LBB125_504
; %bb.503:
	v_lshlrev_b32_e32 v0, 3, v0
	s_clause 0x1
	buffer_load_dword v125, v0, s[0:3], 0 offen offset:4
	buffer_load_dword v126, v0, s[0:3], 0 offen
	s_waitcnt vmcnt(1)
	buffer_store_dword v125, off, s[0:3], 0 offset:4
	s_waitcnt vmcnt(0)
	buffer_store_dword v126, off, s[0:3], 0
	buffer_store_dword v128, v0, s[0:3], 0 offen offset:4
	buffer_store_dword v127, v0, s[0:3], 0 offen
	s_clause 0x1
	buffer_load_dword v127, off, s[0:3], 0
	buffer_load_dword v128, off, s[0:3], 0 offset:4
.LBB125_504:
	s_waitcnt vmcnt(0)
	flat_store_dwordx2 v[1:2], v[127:128]
	s_clause 0x1
	buffer_load_dword v0, off, s[0:3], 0 offset:8
	buffer_load_dword v1, off, s[0:3], 0 offset:12
	s_waitcnt vmcnt(0)
	flat_store_dwordx2 v[3:4], v[0:1]
	s_clause 0x1
	buffer_load_dword v0, off, s[0:3], 0 offset:16
	buffer_load_dword v1, off, s[0:3], 0 offset:20
	;; [unrolled: 5-line block ×61, first 2 shown]
	s_waitcnt vmcnt(0)
	flat_store_dwordx2 v[123:124], v[0:1]
	s_endpgm
	.section	.rodata,"a",@progbits
	.p2align	6, 0x0
	.amdhsa_kernel _ZN9rocsolver6v33100L18getri_kernel_smallILi62EdPKPdEEvT1_iilPiilS6_bb
		.amdhsa_group_segment_fixed_size 1000
		.amdhsa_private_segment_fixed_size 512
		.amdhsa_kernarg_size 60
		.amdhsa_user_sgpr_count 6
		.amdhsa_user_sgpr_private_segment_buffer 1
		.amdhsa_user_sgpr_dispatch_ptr 0
		.amdhsa_user_sgpr_queue_ptr 0
		.amdhsa_user_sgpr_kernarg_segment_ptr 1
		.amdhsa_user_sgpr_dispatch_id 0
		.amdhsa_user_sgpr_flat_scratch_init 0
		.amdhsa_user_sgpr_private_segment_size 0
		.amdhsa_wavefront_size32 1
		.amdhsa_uses_dynamic_stack 0
		.amdhsa_system_sgpr_private_segment_wavefront_offset 1
		.amdhsa_system_sgpr_workgroup_id_x 1
		.amdhsa_system_sgpr_workgroup_id_y 0
		.amdhsa_system_sgpr_workgroup_id_z 0
		.amdhsa_system_sgpr_workgroup_info 0
		.amdhsa_system_vgpr_workitem_id 0
		.amdhsa_next_free_vgpr 171
		.amdhsa_next_free_sgpr 20
		.amdhsa_reserve_vcc 1
		.amdhsa_reserve_flat_scratch 0
		.amdhsa_float_round_mode_32 0
		.amdhsa_float_round_mode_16_64 0
		.amdhsa_float_denorm_mode_32 3
		.amdhsa_float_denorm_mode_16_64 3
		.amdhsa_dx10_clamp 1
		.amdhsa_ieee_mode 1
		.amdhsa_fp16_overflow 0
		.amdhsa_workgroup_processor_mode 1
		.amdhsa_memory_ordered 1
		.amdhsa_forward_progress 1
		.amdhsa_shared_vgpr_count 0
		.amdhsa_exception_fp_ieee_invalid_op 0
		.amdhsa_exception_fp_denorm_src 0
		.amdhsa_exception_fp_ieee_div_zero 0
		.amdhsa_exception_fp_ieee_overflow 0
		.amdhsa_exception_fp_ieee_underflow 0
		.amdhsa_exception_fp_ieee_inexact 0
		.amdhsa_exception_int_div_zero 0
	.end_amdhsa_kernel
	.section	.text._ZN9rocsolver6v33100L18getri_kernel_smallILi62EdPKPdEEvT1_iilPiilS6_bb,"axG",@progbits,_ZN9rocsolver6v33100L18getri_kernel_smallILi62EdPKPdEEvT1_iilPiilS6_bb,comdat
.Lfunc_end125:
	.size	_ZN9rocsolver6v33100L18getri_kernel_smallILi62EdPKPdEEvT1_iilPiilS6_bb, .Lfunc_end125-_ZN9rocsolver6v33100L18getri_kernel_smallILi62EdPKPdEEvT1_iilPiilS6_bb
                                        ; -- End function
	.set _ZN9rocsolver6v33100L18getri_kernel_smallILi62EdPKPdEEvT1_iilPiilS6_bb.num_vgpr, 171
	.set _ZN9rocsolver6v33100L18getri_kernel_smallILi62EdPKPdEEvT1_iilPiilS6_bb.num_agpr, 0
	.set _ZN9rocsolver6v33100L18getri_kernel_smallILi62EdPKPdEEvT1_iilPiilS6_bb.numbered_sgpr, 20
	.set _ZN9rocsolver6v33100L18getri_kernel_smallILi62EdPKPdEEvT1_iilPiilS6_bb.num_named_barrier, 0
	.set _ZN9rocsolver6v33100L18getri_kernel_smallILi62EdPKPdEEvT1_iilPiilS6_bb.private_seg_size, 512
	.set _ZN9rocsolver6v33100L18getri_kernel_smallILi62EdPKPdEEvT1_iilPiilS6_bb.uses_vcc, 1
	.set _ZN9rocsolver6v33100L18getri_kernel_smallILi62EdPKPdEEvT1_iilPiilS6_bb.uses_flat_scratch, 0
	.set _ZN9rocsolver6v33100L18getri_kernel_smallILi62EdPKPdEEvT1_iilPiilS6_bb.has_dyn_sized_stack, 0
	.set _ZN9rocsolver6v33100L18getri_kernel_smallILi62EdPKPdEEvT1_iilPiilS6_bb.has_recursion, 0
	.set _ZN9rocsolver6v33100L18getri_kernel_smallILi62EdPKPdEEvT1_iilPiilS6_bb.has_indirect_call, 0
	.section	.AMDGPU.csdata,"",@progbits
; Kernel info:
; codeLenInByte = 96892
; TotalNumSgprs: 22
; NumVgprs: 171
; ScratchSize: 512
; MemoryBound: 1
; FloatMode: 240
; IeeeMode: 1
; LDSByteSize: 1000 bytes/workgroup (compile time only)
; SGPRBlocks: 0
; VGPRBlocks: 21
; NumSGPRsForWavesPerEU: 22
; NumVGPRsForWavesPerEU: 171
; Occupancy: 5
; WaveLimiterHint : 1
; COMPUTE_PGM_RSRC2:SCRATCH_EN: 1
; COMPUTE_PGM_RSRC2:USER_SGPR: 6
; COMPUTE_PGM_RSRC2:TRAP_HANDLER: 0
; COMPUTE_PGM_RSRC2:TGID_X_EN: 1
; COMPUTE_PGM_RSRC2:TGID_Y_EN: 0
; COMPUTE_PGM_RSRC2:TGID_Z_EN: 0
; COMPUTE_PGM_RSRC2:TIDIG_COMP_CNT: 0
	.section	.text._ZN9rocsolver6v33100L18getri_kernel_smallILi63EdPKPdEEvT1_iilPiilS6_bb,"axG",@progbits,_ZN9rocsolver6v33100L18getri_kernel_smallILi63EdPKPdEEvT1_iilPiilS6_bb,comdat
	.globl	_ZN9rocsolver6v33100L18getri_kernel_smallILi63EdPKPdEEvT1_iilPiilS6_bb ; -- Begin function _ZN9rocsolver6v33100L18getri_kernel_smallILi63EdPKPdEEvT1_iilPiilS6_bb
	.p2align	8
	.type	_ZN9rocsolver6v33100L18getri_kernel_smallILi63EdPKPdEEvT1_iilPiilS6_bb,@function
_ZN9rocsolver6v33100L18getri_kernel_smallILi63EdPKPdEEvT1_iilPiilS6_bb: ; @_ZN9rocsolver6v33100L18getri_kernel_smallILi63EdPKPdEEvT1_iilPiilS6_bb
; %bb.0:
	s_add_u32 s0, s0, s7
	s_addc_u32 s1, s1, 0
	s_mov_b32 s7, exec_lo
	v_cmpx_gt_u32_e32 63, v0
	s_cbranch_execz .LBB126_262
; %bb.1:
	s_clause 0x2
	s_load_dword s17, s[4:5], 0x38
	s_load_dwordx2 s[12:13], s[4:5], 0x0
	s_load_dwordx4 s[8:11], s[4:5], 0x28
	s_waitcnt lgkmcnt(0)
	s_bitcmp1_b32 s17, 8
	s_cselect_b32 s16, -1, 0
	s_ashr_i32 s7, s6, 31
	s_lshl_b64 s[14:15], s[6:7], 3
	s_add_u32 s12, s12, s14
	s_addc_u32 s13, s13, s15
	s_load_dwordx2 s[14:15], s[12:13], 0x0
	s_bfe_u32 s12, s17, 0x10008
	s_cmp_eq_u32 s12, 0
                                        ; implicit-def: $sgpr12_sgpr13
	s_cbranch_scc1 .LBB126_3
; %bb.2:
	s_clause 0x1
	s_load_dword s12, s[4:5], 0x20
	s_load_dwordx2 s[18:19], s[4:5], 0x18
	s_mul_i32 s13, s8, s7
	s_mul_hi_u32 s17, s8, s6
	s_mul_i32 s9, s9, s6
	s_add_i32 s13, s17, s13
	s_mul_i32 s8, s8, s6
	s_add_i32 s9, s13, s9
	s_lshl_b64 s[8:9], s[8:9], 2
	s_waitcnt lgkmcnt(0)
	s_ashr_i32 s13, s12, 31
	s_add_u32 s17, s18, s8
	s_addc_u32 s18, s19, s9
	s_lshl_b64 s[8:9], s[12:13], 2
	s_add_u32 s12, s17, s8
	s_addc_u32 s13, s18, s9
.LBB126_3:
	s_clause 0x1
	s_load_dwordx2 s[8:9], s[4:5], 0x8
	s_load_dword s17, s[4:5], 0x38
	v_lshlrev_b32_e32 v129, 3, v0
	s_waitcnt lgkmcnt(0)
	s_ashr_i32 s5, s8, 31
	s_mov_b32 s4, s8
	v_add3_u32 v9, s9, s9, v0
	s_lshl_b64 s[4:5], s[4:5], 3
	s_add_u32 s4, s14, s4
	s_addc_u32 s5, s15, s5
	v_add_co_u32 v1, s8, s4, v129
	v_add_co_ci_u32_e64 v2, null, s5, 0, s8
	s_mov_b32 s14, s9
	s_ashr_i32 s15, s9, 31
	v_ashrrev_i32_e32 v10, 31, v9
	flat_load_dwordx2 v[5:6], v[1:2]
	s_lshl_b64 s[14:15], s[14:15], 3
	v_add_nc_u32_e32 v12, s9, v9
	v_add_co_u32 v3, vcc_lo, v1, s14
	v_add_co_ci_u32_e64 v4, null, s15, v2, vcc_lo
	v_ashrrev_i32_e32 v13, 31, v12
	s_bitcmp0_b32 s17, 0
	s_waitcnt vmcnt(0) lgkmcnt(0)
	buffer_store_dword v6, off, s[0:3], 0 offset:4
	buffer_store_dword v5, off, s[0:3], 0
	flat_load_dwordx2 v[7:8], v[3:4]
	v_lshlrev_b64 v[5:6], 3, v[9:10]
	s_waitcnt vmcnt(0) lgkmcnt(0)
	buffer_store_dword v8, off, s[0:3], 0 offset:12
	buffer_store_dword v7, off, s[0:3], 0 offset:8
	v_add_co_u32 v5, vcc_lo, s4, v5
	v_add_co_ci_u32_e64 v6, null, s5, v6, vcc_lo
	v_lshlrev_b64 v[7:8], 3, v[12:13]
	flat_load_dwordx2 v[10:11], v[5:6]
	s_waitcnt vmcnt(0) lgkmcnt(0)
	buffer_store_dword v11, off, s[0:3], 0 offset:20
	buffer_store_dword v10, off, s[0:3], 0 offset:16
	v_add_co_u32 v7, vcc_lo, s4, v7
	v_add_co_ci_u32_e64 v8, null, s5, v8, vcc_lo
	v_add_nc_u32_e32 v11, s9, v12
	flat_load_dwordx2 v[13:14], v[7:8]
	s_waitcnt vmcnt(0) lgkmcnt(0)
	buffer_store_dword v14, off, s[0:3], 0 offset:28
	buffer_store_dword v13, off, s[0:3], 0 offset:24
	v_ashrrev_i32_e32 v12, 31, v11
	v_add_nc_u32_e32 v15, s9, v11
	v_lshlrev_b64 v[9:10], 3, v[11:12]
	v_ashrrev_i32_e32 v16, 31, v15
	v_add_nc_u32_e32 v18, s9, v15
	v_add_co_u32 v9, vcc_lo, s4, v9
	v_add_co_ci_u32_e64 v10, null, s5, v10, vcc_lo
	v_lshlrev_b64 v[11:12], 3, v[15:16]
	v_ashrrev_i32_e32 v19, 31, v18
	flat_load_dwordx2 v[13:14], v[9:10]
	s_waitcnt vmcnt(0) lgkmcnt(0)
	buffer_store_dword v14, off, s[0:3], 0 offset:36
	buffer_store_dword v13, off, s[0:3], 0 offset:32
	v_add_co_u32 v11, vcc_lo, s4, v11
	v_add_co_ci_u32_e64 v12, null, s5, v12, vcc_lo
	v_lshlrev_b64 v[13:14], 3, v[18:19]
	flat_load_dwordx2 v[16:17], v[11:12]
	s_waitcnt vmcnt(0) lgkmcnt(0)
	buffer_store_dword v17, off, s[0:3], 0 offset:44
	buffer_store_dword v16, off, s[0:3], 0 offset:40
	v_add_co_u32 v13, vcc_lo, s4, v13
	v_add_co_ci_u32_e64 v14, null, s5, v14, vcc_lo
	v_add_nc_u32_e32 v17, s9, v18
	flat_load_dwordx2 v[19:20], v[13:14]
	s_waitcnt vmcnt(0) lgkmcnt(0)
	buffer_store_dword v20, off, s[0:3], 0 offset:52
	buffer_store_dword v19, off, s[0:3], 0 offset:48
	v_ashrrev_i32_e32 v18, 31, v17
	v_add_nc_u32_e32 v21, s9, v17
	v_lshlrev_b64 v[15:16], 3, v[17:18]
	v_ashrrev_i32_e32 v22, 31, v21
	v_add_nc_u32_e32 v24, s9, v21
	v_add_co_u32 v15, vcc_lo, s4, v15
	v_add_co_ci_u32_e64 v16, null, s5, v16, vcc_lo
	v_lshlrev_b64 v[17:18], 3, v[21:22]
	v_ashrrev_i32_e32 v25, 31, v24
	flat_load_dwordx2 v[19:20], v[15:16]
	;; [unrolled: 27-line block ×19, first 2 shown]
	s_waitcnt vmcnt(0) lgkmcnt(0)
	buffer_store_dword v122, off, s[0:3], 0 offset:468
	buffer_store_dword v121, off, s[0:3], 0 offset:464
	v_add_co_u32 v119, vcc_lo, s4, v119
	v_add_co_ci_u32_e64 v120, null, s5, v120, vcc_lo
	v_lshlrev_b64 v[121:122], 3, v[126:127]
	flat_load_dwordx2 v[124:125], v[119:120]
	s_waitcnt vmcnt(0) lgkmcnt(0)
	buffer_store_dword v125, off, s[0:3], 0 offset:476
	buffer_store_dword v124, off, s[0:3], 0 offset:472
	v_add_co_u32 v121, vcc_lo, s4, v121
	v_add_co_ci_u32_e64 v122, null, s5, v122, vcc_lo
	v_add_nc_u32_e32 v125, s9, v126
	flat_load_dwordx2 v[127:128], v[121:122]
	s_waitcnt vmcnt(0) lgkmcnt(0)
	buffer_store_dword v128, off, s[0:3], 0 offset:484
	buffer_store_dword v127, off, s[0:3], 0 offset:480
	v_ashrrev_i32_e32 v126, 31, v125
	v_lshlrev_b64 v[123:124], 3, v[125:126]
	v_add_nc_u32_e32 v125, s9, v125
	v_add_co_u32 v123, vcc_lo, s4, v123
	v_add_co_ci_u32_e64 v124, null, s5, v124, vcc_lo
	v_ashrrev_i32_e32 v126, 31, v125
	flat_load_dwordx2 v[127:128], v[123:124]
	s_waitcnt vmcnt(0) lgkmcnt(0)
	buffer_store_dword v128, off, s[0:3], 0 offset:492
	buffer_store_dword v127, off, s[0:3], 0 offset:488
	v_lshlrev_b64 v[125:126], 3, v[125:126]
	v_add_co_u32 v125, vcc_lo, s4, v125
	v_add_co_ci_u32_e64 v126, null, s5, v126, vcc_lo
	s_mov_b32 s5, -1
	flat_load_dwordx2 v[127:128], v[125:126]
	s_waitcnt vmcnt(0) lgkmcnt(0)
	buffer_store_dword v128, off, s[0:3], 0 offset:500
	buffer_store_dword v127, off, s[0:3], 0 offset:496
	s_cbranch_scc1 .LBB126_260
; %bb.4:
	v_cmp_eq_u32_e64 s4, 0, v0
	s_and_saveexec_b32 s5, s4
; %bb.5:
	v_mov_b32_e32 v127, 0
	ds_write_b32 v127, v127 offset:504
; %bb.6:
	s_or_b32 exec_lo, exec_lo, s5
	v_lshl_add_u32 v127, v0, 3, 0
	s_waitcnt lgkmcnt(0)
	s_waitcnt_vscnt null, 0x0
	s_barrier
	buffer_gl0_inv
	s_mov_b32 s8, exec_lo
	s_clause 0x1
	buffer_load_dword v130, v127, s[0:3], 0 offen
	buffer_load_dword v131, v127, s[0:3], 0 offen offset:4
	s_waitcnt vmcnt(0)
	v_cmpx_eq_f64_e32 0, v[130:131]
	s_cbranch_execz .LBB126_10
; %bb.7:
	v_mov_b32_e32 v128, 0
	s_mov_b32 s9, 0
	ds_read_b32 v130, v128 offset:504
	s_waitcnt lgkmcnt(0)
	v_readfirstlane_b32 s5, v130
	v_add_nc_u32_e32 v130, 1, v0
	s_cmp_eq_u32 s5, 0
	v_cmp_gt_i32_e32 vcc_lo, s5, v130
	s_cselect_b32 s14, -1, 0
	s_or_b32 s14, s14, vcc_lo
	s_and_b32 exec_lo, exec_lo, s14
	s_cbranch_execz .LBB126_10
; %bb.8:
	v_mov_b32_e32 v131, s5
.LBB126_9:                              ; =>This Inner Loop Header: Depth=1
	ds_cmpst_rtn_b32 v131, v128, v131, v130 offset:504
	s_waitcnt lgkmcnt(0)
	v_cmp_ne_u32_e32 vcc_lo, 0, v131
	v_cmp_le_i32_e64 s5, v131, v130
	s_and_b32 s5, vcc_lo, s5
	s_and_b32 s5, exec_lo, s5
	s_or_b32 s9, s5, s9
	s_andn2_b32 exec_lo, exec_lo, s9
	s_cbranch_execnz .LBB126_9
.LBB126_10:
	s_or_b32 exec_lo, exec_lo, s8
	v_mov_b32_e32 v128, 0
	s_barrier
	buffer_gl0_inv
	ds_read_b32 v130, v128 offset:504
	s_and_saveexec_b32 s5, s4
	s_cbranch_execz .LBB126_12
; %bb.11:
	s_lshl_b64 s[8:9], s[6:7], 2
	s_add_u32 s8, s10, s8
	s_addc_u32 s9, s11, s9
	s_waitcnt lgkmcnt(0)
	global_store_dword v128, v130, s[8:9]
.LBB126_12:
	s_or_b32 exec_lo, exec_lo, s5
	s_waitcnt lgkmcnt(0)
	v_cmp_ne_u32_e32 vcc_lo, 0, v130
	s_mov_b32 s5, 0
	s_cbranch_vccnz .LBB126_260
; %bb.13:
	s_clause 0x1
	buffer_load_dword v130, v127, s[0:3], 0 offen
	buffer_load_dword v131, v127, s[0:3], 0 offen offset:4
	s_waitcnt vmcnt(0)
	v_div_scale_f64 v[132:133], null, v[130:131], v[130:131], 1.0
	v_div_scale_f64 v[138:139], vcc_lo, 1.0, v[130:131], 1.0
	v_rcp_f64_e32 v[134:135], v[132:133]
	v_fma_f64 v[136:137], -v[132:133], v[134:135], 1.0
	v_fma_f64 v[134:135], v[134:135], v[136:137], v[134:135]
	v_fma_f64 v[136:137], -v[132:133], v[134:135], 1.0
	v_fma_f64 v[134:135], v[134:135], v[136:137], v[134:135]
	v_mul_f64 v[136:137], v[138:139], v[134:135]
	v_fma_f64 v[132:133], -v[132:133], v[136:137], v[138:139]
	v_div_fmas_f64 v[132:133], v[132:133], v[134:135], v[136:137]
	v_div_fixup_f64 v[131:132], v[132:133], v[130:131], 1.0
	v_or_b32_e32 v130, 0x200, v129
	buffer_store_dword v132, v127, s[0:3], 0 offen offset:4
	buffer_store_dword v131, v127, s[0:3], 0 offen
	s_clause 0x1
	buffer_load_dword v134, off, s[0:3], 0 offset:12
	buffer_load_dword v133, off, s[0:3], 0 offset:8
	v_xor_b32_e32 v132, 0x80000000, v132
	s_waitcnt vmcnt(0)
	ds_write2st64_b64 v129, v[131:132], v[133:134] offset1:1
	s_waitcnt lgkmcnt(0)
	s_waitcnt_vscnt null, 0x0
	s_barrier
	buffer_gl0_inv
	s_and_saveexec_b32 s5, s4
	s_cbranch_execz .LBB126_15
; %bb.14:
	s_clause 0x1
	buffer_load_dword v131, v127, s[0:3], 0 offen
	buffer_load_dword v132, v127, s[0:3], 0 offen offset:4
	ds_read_b64 v[133:134], v130
	v_mov_b32_e32 v128, 0
	ds_read_b64 v[135:136], v128 offset:8
	s_waitcnt vmcnt(0) lgkmcnt(1)
	v_fma_f64 v[131:132], v[131:132], v[133:134], 0
	s_waitcnt lgkmcnt(0)
	v_mul_f64 v[131:132], v[131:132], v[135:136]
	buffer_store_dword v131, off, s[0:3], 0 offset:8
	buffer_store_dword v132, off, s[0:3], 0 offset:12
.LBB126_15:
	s_or_b32 exec_lo, exec_lo, s5
	s_waitcnt_vscnt null, 0x0
	s_barrier
	buffer_gl0_inv
	s_clause 0x1
	buffer_load_dword v131, off, s[0:3], 0 offset:16
	buffer_load_dword v132, off, s[0:3], 0 offset:20
	s_mov_b32 s5, exec_lo
	s_waitcnt vmcnt(0)
	ds_write_b64 v130, v[131:132]
	s_waitcnt lgkmcnt(0)
	s_barrier
	buffer_gl0_inv
	v_cmpx_gt_u32_e32 2, v0
	s_cbranch_execz .LBB126_19
; %bb.16:
	s_clause 0x1
	buffer_load_dword v131, v127, s[0:3], 0 offen
	buffer_load_dword v132, v127, s[0:3], 0 offen offset:4
	ds_read_b64 v[127:128], v130
	s_waitcnt vmcnt(0) lgkmcnt(0)
	v_fma_f64 v[127:128], v[131:132], v[127:128], 0
	s_and_saveexec_b32 s8, s4
	s_cbranch_execz .LBB126_18
; %bb.17:
	s_clause 0x1
	buffer_load_dword v131, off, s[0:3], 0 offset:8
	buffer_load_dword v132, off, s[0:3], 0 offset:12
	v_mov_b32_e32 v133, 0
	ds_read_b64 v[133:134], v133 offset:520
	s_waitcnt vmcnt(0) lgkmcnt(0)
	v_fma_f64 v[127:128], v[131:132], v[133:134], v[127:128]
.LBB126_18:
	s_or_b32 exec_lo, exec_lo, s8
	v_mov_b32_e32 v131, 0
	ds_read_b64 v[131:132], v131 offset:16
	s_waitcnt lgkmcnt(0)
	v_mul_f64 v[127:128], v[127:128], v[131:132]
	buffer_store_dword v128, off, s[0:3], 0 offset:20
	buffer_store_dword v127, off, s[0:3], 0 offset:16
.LBB126_19:
	s_or_b32 exec_lo, exec_lo, s5
	s_waitcnt_vscnt null, 0x0
	s_barrier
	buffer_gl0_inv
	s_clause 0x1
	buffer_load_dword v127, off, s[0:3], 0 offset:24
	buffer_load_dword v128, off, s[0:3], 0 offset:28
	v_add_nc_u32_e32 v131, -1, v0
	s_mov_b32 s4, exec_lo
	s_waitcnt vmcnt(0)
	ds_write_b64 v130, v[127:128]
	s_waitcnt lgkmcnt(0)
	s_barrier
	buffer_gl0_inv
	v_cmpx_gt_u32_e32 3, v0
	s_cbranch_execz .LBB126_23
; %bb.20:
	v_mov_b32_e32 v127, 0
	v_add_nc_u32_e32 v132, -1, v0
	v_or_b32_e32 v133, 0x200, v129
	v_mov_b32_e32 v128, 0
	v_mov_b32_e32 v134, v129
	s_mov_b32 s5, 0
.LBB126_21:                             ; =>This Inner Loop Header: Depth=1
	s_clause 0x1
	buffer_load_dword v135, v134, s[0:3], 0 offen
	buffer_load_dword v136, v134, s[0:3], 0 offen offset:4
	ds_read_b64 v[137:138], v133
	v_add_nc_u32_e32 v132, 1, v132
	v_add_nc_u32_e32 v133, 8, v133
	v_add_nc_u32_e32 v134, 8, v134
	v_cmp_lt_u32_e32 vcc_lo, 1, v132
	s_or_b32 s5, vcc_lo, s5
	s_waitcnt vmcnt(0) lgkmcnt(0)
	v_fma_f64 v[127:128], v[135:136], v[137:138], v[127:128]
	s_andn2_b32 exec_lo, exec_lo, s5
	s_cbranch_execnz .LBB126_21
; %bb.22:
	s_or_b32 exec_lo, exec_lo, s5
	v_mov_b32_e32 v132, 0
	ds_read_b64 v[132:133], v132 offset:24
	s_waitcnt lgkmcnt(0)
	v_mul_f64 v[127:128], v[127:128], v[132:133]
	buffer_store_dword v128, off, s[0:3], 0 offset:28
	buffer_store_dword v127, off, s[0:3], 0 offset:24
.LBB126_23:
	s_or_b32 exec_lo, exec_lo, s4
	s_waitcnt_vscnt null, 0x0
	s_barrier
	buffer_gl0_inv
	s_clause 0x1
	buffer_load_dword v127, off, s[0:3], 0 offset:32
	buffer_load_dword v128, off, s[0:3], 0 offset:36
	s_mov_b32 s4, exec_lo
	s_waitcnt vmcnt(0)
	ds_write_b64 v130, v[127:128]
	s_waitcnt lgkmcnt(0)
	s_barrier
	buffer_gl0_inv
	v_cmpx_gt_u32_e32 4, v0
	s_cbranch_execz .LBB126_27
; %bb.24:
	v_mov_b32_e32 v127, 0
	v_add_nc_u32_e32 v132, -1, v0
	v_or_b32_e32 v133, 0x200, v129
	v_mov_b32_e32 v128, 0
	v_mov_b32_e32 v134, v129
	s_mov_b32 s5, 0
.LBB126_25:                             ; =>This Inner Loop Header: Depth=1
	s_clause 0x1
	buffer_load_dword v135, v134, s[0:3], 0 offen
	buffer_load_dword v136, v134, s[0:3], 0 offen offset:4
	ds_read_b64 v[137:138], v133
	v_add_nc_u32_e32 v132, 1, v132
	v_add_nc_u32_e32 v133, 8, v133
	v_add_nc_u32_e32 v134, 8, v134
	v_cmp_lt_u32_e32 vcc_lo, 2, v132
	s_or_b32 s5, vcc_lo, s5
	s_waitcnt vmcnt(0) lgkmcnt(0)
	v_fma_f64 v[127:128], v[135:136], v[137:138], v[127:128]
	s_andn2_b32 exec_lo, exec_lo, s5
	s_cbranch_execnz .LBB126_25
; %bb.26:
	s_or_b32 exec_lo, exec_lo, s5
	v_mov_b32_e32 v132, 0
	ds_read_b64 v[132:133], v132 offset:32
	s_waitcnt lgkmcnt(0)
	v_mul_f64 v[127:128], v[127:128], v[132:133]
	buffer_store_dword v128, off, s[0:3], 0 offset:36
	buffer_store_dword v127, off, s[0:3], 0 offset:32
.LBB126_27:
	s_or_b32 exec_lo, exec_lo, s4
	s_waitcnt_vscnt null, 0x0
	s_barrier
	buffer_gl0_inv
	s_clause 0x1
	buffer_load_dword v127, off, s[0:3], 0 offset:40
	buffer_load_dword v128, off, s[0:3], 0 offset:44
	;; [unrolled: 45-line block ×20, first 2 shown]
	s_mov_b32 s4, exec_lo
	s_waitcnt vmcnt(0)
	ds_write_b64 v130, v[127:128]
	s_waitcnt lgkmcnt(0)
	s_barrier
	buffer_gl0_inv
	v_cmpx_gt_u32_e32 23, v0
	s_cbranch_execz .LBB126_103
; %bb.100:
	v_mov_b32_e32 v127, 0
	v_add_nc_u32_e32 v132, -1, v0
	v_or_b32_e32 v133, 0x200, v129
	v_mov_b32_e32 v128, 0
	v_mov_b32_e32 v134, v129
	s_mov_b32 s5, 0
.LBB126_101:                            ; =>This Inner Loop Header: Depth=1
	s_clause 0x1
	buffer_load_dword v135, v134, s[0:3], 0 offen
	buffer_load_dword v136, v134, s[0:3], 0 offen offset:4
	ds_read_b64 v[137:138], v133
	v_add_nc_u32_e32 v132, 1, v132
	v_add_nc_u32_e32 v133, 8, v133
	v_add_nc_u32_e32 v134, 8, v134
	v_cmp_lt_u32_e32 vcc_lo, 21, v132
	s_or_b32 s5, vcc_lo, s5
	s_waitcnt vmcnt(0) lgkmcnt(0)
	v_fma_f64 v[127:128], v[135:136], v[137:138], v[127:128]
	s_andn2_b32 exec_lo, exec_lo, s5
	s_cbranch_execnz .LBB126_101
; %bb.102:
	s_or_b32 exec_lo, exec_lo, s5
	v_mov_b32_e32 v132, 0
	ds_read_b64 v[132:133], v132 offset:184
	s_waitcnt lgkmcnt(0)
	v_mul_f64 v[127:128], v[127:128], v[132:133]
	buffer_store_dword v128, off, s[0:3], 0 offset:188
	buffer_store_dword v127, off, s[0:3], 0 offset:184
.LBB126_103:
	s_or_b32 exec_lo, exec_lo, s4
	s_waitcnt_vscnt null, 0x0
	s_barrier
	buffer_gl0_inv
	s_clause 0x1
	buffer_load_dword v127, off, s[0:3], 0 offset:192
	buffer_load_dword v128, off, s[0:3], 0 offset:196
	s_mov_b32 s4, exec_lo
	s_waitcnt vmcnt(0)
	ds_write_b64 v130, v[127:128]
	s_waitcnt lgkmcnt(0)
	s_barrier
	buffer_gl0_inv
	v_cmpx_gt_u32_e32 24, v0
	s_cbranch_execz .LBB126_107
; %bb.104:
	v_mov_b32_e32 v127, 0
	v_add_nc_u32_e32 v132, -1, v0
	v_or_b32_e32 v133, 0x200, v129
	v_mov_b32_e32 v128, 0
	v_mov_b32_e32 v134, v129
	s_mov_b32 s5, 0
.LBB126_105:                            ; =>This Inner Loop Header: Depth=1
	s_clause 0x1
	buffer_load_dword v135, v134, s[0:3], 0 offen
	buffer_load_dword v136, v134, s[0:3], 0 offen offset:4
	ds_read_b64 v[137:138], v133
	v_add_nc_u32_e32 v132, 1, v132
	v_add_nc_u32_e32 v133, 8, v133
	v_add_nc_u32_e32 v134, 8, v134
	v_cmp_lt_u32_e32 vcc_lo, 22, v132
	s_or_b32 s5, vcc_lo, s5
	s_waitcnt vmcnt(0) lgkmcnt(0)
	v_fma_f64 v[127:128], v[135:136], v[137:138], v[127:128]
	s_andn2_b32 exec_lo, exec_lo, s5
	s_cbranch_execnz .LBB126_105
; %bb.106:
	s_or_b32 exec_lo, exec_lo, s5
	v_mov_b32_e32 v132, 0
	ds_read_b64 v[132:133], v132 offset:192
	s_waitcnt lgkmcnt(0)
	v_mul_f64 v[127:128], v[127:128], v[132:133]
	buffer_store_dword v128, off, s[0:3], 0 offset:196
	buffer_store_dword v127, off, s[0:3], 0 offset:192
.LBB126_107:
	s_or_b32 exec_lo, exec_lo, s4
	s_waitcnt_vscnt null, 0x0
	s_barrier
	buffer_gl0_inv
	s_clause 0x1
	buffer_load_dword v127, off, s[0:3], 0 offset:200
	buffer_load_dword v128, off, s[0:3], 0 offset:204
	;; [unrolled: 45-line block ×39, first 2 shown]
	s_mov_b32 s4, exec_lo
	s_waitcnt vmcnt(0)
	ds_write_b64 v130, v[127:128]
	s_waitcnt lgkmcnt(0)
	s_barrier
	buffer_gl0_inv
	v_cmpx_ne_u32_e32 62, v0
	s_cbranch_execz .LBB126_259
; %bb.256:
	v_mov_b32_e32 v127, 0
	v_mov_b32_e32 v128, 0
	s_mov_b32 s5, 0
.LBB126_257:                            ; =>This Inner Loop Header: Depth=1
	s_clause 0x1
	buffer_load_dword v132, v129, s[0:3], 0 offen
	buffer_load_dword v133, v129, s[0:3], 0 offen offset:4
	ds_read_b64 v[134:135], v130
	v_add_nc_u32_e32 v131, 1, v131
	v_add_nc_u32_e32 v130, 8, v130
	;; [unrolled: 1-line block ×3, first 2 shown]
	v_cmp_lt_u32_e32 vcc_lo, 60, v131
	s_or_b32 s5, vcc_lo, s5
	s_waitcnt vmcnt(0) lgkmcnt(0)
	v_fma_f64 v[127:128], v[132:133], v[134:135], v[127:128]
	s_andn2_b32 exec_lo, exec_lo, s5
	s_cbranch_execnz .LBB126_257
; %bb.258:
	s_or_b32 exec_lo, exec_lo, s5
	v_mov_b32_e32 v129, 0
	ds_read_b64 v[129:130], v129 offset:496
	s_waitcnt lgkmcnt(0)
	v_mul_f64 v[127:128], v[127:128], v[129:130]
	buffer_store_dword v128, off, s[0:3], 0 offset:500
	buffer_store_dword v127, off, s[0:3], 0 offset:496
.LBB126_259:
	s_or_b32 exec_lo, exec_lo, s4
	s_mov_b32 s5, -1
	s_waitcnt_vscnt null, 0x0
	s_barrier
	buffer_gl0_inv
.LBB126_260:
	s_and_b32 vcc_lo, exec_lo, s5
	s_cbranch_vccz .LBB126_262
; %bb.261:
	s_lshl_b64 s[4:5], s[6:7], 2
	v_mov_b32_e32 v127, 0
	s_add_u32 s4, s10, s4
	s_addc_u32 s5, s11, s5
	global_load_dword v127, v127, s[4:5]
	s_waitcnt vmcnt(0)
	v_cmp_ne_u32_e32 vcc_lo, 0, v127
	s_cbranch_vccz .LBB126_263
.LBB126_262:
	s_endpgm
.LBB126_263:
	v_lshl_or_b32 v127, v0, 3, 0x200
	s_mov_b32 s4, exec_lo
	v_cmpx_eq_u32_e32 62, v0
	s_cbranch_execz .LBB126_265
; %bb.264:
	s_clause 0x1
	buffer_load_dword v128, off, s[0:3], 0 offset:488
	buffer_load_dword v129, off, s[0:3], 0 offset:492
	v_mov_b32_e32 v130, 0
	buffer_store_dword v130, off, s[0:3], 0 offset:488
	buffer_store_dword v130, off, s[0:3], 0 offset:492
	s_waitcnt vmcnt(0)
	ds_write_b64 v127, v[128:129]
.LBB126_265:
	s_or_b32 exec_lo, exec_lo, s4
	s_waitcnt lgkmcnt(0)
	s_waitcnt_vscnt null, 0x0
	s_barrier
	buffer_gl0_inv
	s_clause 0x3
	buffer_load_dword v129, off, s[0:3], 0 offset:496
	buffer_load_dword v130, off, s[0:3], 0 offset:500
	;; [unrolled: 1-line block ×4, first 2 shown]
	v_mov_b32_e32 v128, 0
	s_mov_b32 s4, exec_lo
	ds_read_b64 v[133:134], v128 offset:1008
	s_waitcnt vmcnt(2) lgkmcnt(0)
	v_fma_f64 v[129:130], v[129:130], v[133:134], 0
	s_waitcnt vmcnt(0)
	v_add_f64 v[129:130], v[131:132], -v[129:130]
	buffer_store_dword v129, off, s[0:3], 0 offset:488
	buffer_store_dword v130, off, s[0:3], 0 offset:492
	v_cmpx_lt_u32_e32 60, v0
	s_cbranch_execz .LBB126_267
; %bb.266:
	s_clause 0x1
	buffer_load_dword v129, off, s[0:3], 0 offset:480
	buffer_load_dword v130, off, s[0:3], 0 offset:484
	buffer_store_dword v128, off, s[0:3], 0 offset:480
	buffer_store_dword v128, off, s[0:3], 0 offset:484
	s_waitcnt vmcnt(0)
	ds_write_b64 v127, v[129:130]
.LBB126_267:
	s_or_b32 exec_lo, exec_lo, s4
	s_waitcnt lgkmcnt(0)
	s_waitcnt_vscnt null, 0x0
	s_barrier
	buffer_gl0_inv
	s_clause 0x5
	buffer_load_dword v132, off, s[0:3], 0 offset:488
	buffer_load_dword v133, off, s[0:3], 0 offset:492
	;; [unrolled: 1-line block ×6, first 2 shown]
	ds_read2_b64 v[128:131], v128 offset0:125 offset1:126
	s_mov_b32 s4, exec_lo
	s_waitcnt vmcnt(4) lgkmcnt(0)
	v_fma_f64 v[128:129], v[132:133], v[128:129], 0
	s_waitcnt vmcnt(2)
	v_fma_f64 v[128:129], v[134:135], v[130:131], v[128:129]
	s_waitcnt vmcnt(0)
	v_add_f64 v[128:129], v[136:137], -v[128:129]
	buffer_store_dword v128, off, s[0:3], 0 offset:480
	buffer_store_dword v129, off, s[0:3], 0 offset:484
	v_cmpx_lt_u32_e32 59, v0
	s_cbranch_execz .LBB126_269
; %bb.268:
	s_clause 0x1
	buffer_load_dword v128, off, s[0:3], 0 offset:472
	buffer_load_dword v129, off, s[0:3], 0 offset:476
	v_mov_b32_e32 v130, 0
	buffer_store_dword v130, off, s[0:3], 0 offset:472
	buffer_store_dword v130, off, s[0:3], 0 offset:476
	s_waitcnt vmcnt(0)
	ds_write_b64 v127, v[128:129]
.LBB126_269:
	s_or_b32 exec_lo, exec_lo, s4
	s_waitcnt lgkmcnt(0)
	s_waitcnt_vscnt null, 0x0
	s_barrier
	buffer_gl0_inv
	s_clause 0x7
	buffer_load_dword v133, off, s[0:3], 0 offset:480
	buffer_load_dword v134, off, s[0:3], 0 offset:484
	;; [unrolled: 1-line block ×8, first 2 shown]
	v_mov_b32_e32 v128, 0
	ds_read_b128 v[129:132], v128 offset:992
	ds_read_b64 v[141:142], v128 offset:1008
	s_mov_b32 s4, exec_lo
	s_waitcnt vmcnt(6) lgkmcnt(1)
	v_fma_f64 v[129:130], v[133:134], v[129:130], 0
	s_waitcnt vmcnt(4)
	v_fma_f64 v[129:130], v[135:136], v[131:132], v[129:130]
	s_waitcnt vmcnt(2) lgkmcnt(0)
	v_fma_f64 v[129:130], v[137:138], v[141:142], v[129:130]
	s_waitcnt vmcnt(0)
	v_add_f64 v[129:130], v[139:140], -v[129:130]
	buffer_store_dword v129, off, s[0:3], 0 offset:472
	buffer_store_dword v130, off, s[0:3], 0 offset:476
	v_cmpx_lt_u32_e32 58, v0
	s_cbranch_execz .LBB126_271
; %bb.270:
	s_clause 0x1
	buffer_load_dword v129, off, s[0:3], 0 offset:464
	buffer_load_dword v130, off, s[0:3], 0 offset:468
	buffer_store_dword v128, off, s[0:3], 0 offset:464
	buffer_store_dword v128, off, s[0:3], 0 offset:468
	s_waitcnt vmcnt(0)
	ds_write_b64 v127, v[129:130]
.LBB126_271:
	s_or_b32 exec_lo, exec_lo, s4
	s_waitcnt lgkmcnt(0)
	s_waitcnt_vscnt null, 0x0
	s_barrier
	buffer_gl0_inv
	s_clause 0x9
	buffer_load_dword v137, off, s[0:3], 0 offset:472
	buffer_load_dword v138, off, s[0:3], 0 offset:476
	;; [unrolled: 1-line block ×10, first 2 shown]
	ds_read2_b64 v[129:132], v128 offset0:123 offset1:124
	ds_read2_b64 v[133:136], v128 offset0:125 offset1:126
	s_mov_b32 s4, exec_lo
	s_waitcnt vmcnt(8) lgkmcnt(1)
	v_fma_f64 v[128:129], v[137:138], v[129:130], 0
	s_waitcnt vmcnt(6)
	v_fma_f64 v[128:129], v[139:140], v[131:132], v[128:129]
	s_waitcnt vmcnt(4) lgkmcnt(0)
	v_fma_f64 v[128:129], v[141:142], v[133:134], v[128:129]
	s_waitcnt vmcnt(2)
	v_fma_f64 v[128:129], v[143:144], v[135:136], v[128:129]
	s_waitcnt vmcnt(0)
	v_add_f64 v[128:129], v[145:146], -v[128:129]
	buffer_store_dword v128, off, s[0:3], 0 offset:464
	buffer_store_dword v129, off, s[0:3], 0 offset:468
	v_cmpx_lt_u32_e32 57, v0
	s_cbranch_execz .LBB126_273
; %bb.272:
	s_clause 0x1
	buffer_load_dword v128, off, s[0:3], 0 offset:456
	buffer_load_dword v129, off, s[0:3], 0 offset:460
	v_mov_b32_e32 v130, 0
	buffer_store_dword v130, off, s[0:3], 0 offset:456
	buffer_store_dword v130, off, s[0:3], 0 offset:460
	s_waitcnt vmcnt(0)
	ds_write_b64 v127, v[128:129]
.LBB126_273:
	s_or_b32 exec_lo, exec_lo, s4
	s_waitcnt lgkmcnt(0)
	s_waitcnt_vscnt null, 0x0
	s_barrier
	buffer_gl0_inv
	s_clause 0xb
	buffer_load_dword v137, off, s[0:3], 0 offset:464
	buffer_load_dword v138, off, s[0:3], 0 offset:468
	;; [unrolled: 1-line block ×12, first 2 shown]
	v_mov_b32_e32 v128, 0
	ds_read_b128 v[129:132], v128 offset:976
	ds_read_b128 v[133:136], v128 offset:992
	s_mov_b32 s4, exec_lo
	s_waitcnt vmcnt(10) lgkmcnt(1)
	v_fma_f64 v[129:130], v[137:138], v[129:130], 0
	s_waitcnt vmcnt(8)
	v_fma_f64 v[129:130], v[139:140], v[131:132], v[129:130]
	ds_read_b64 v[131:132], v128 offset:1008
	s_waitcnt vmcnt(6) lgkmcnt(1)
	v_fma_f64 v[129:130], v[141:142], v[133:134], v[129:130]
	s_waitcnt vmcnt(4)
	v_fma_f64 v[129:130], v[143:144], v[135:136], v[129:130]
	s_waitcnt vmcnt(2) lgkmcnt(0)
	v_fma_f64 v[129:130], v[145:146], v[131:132], v[129:130]
	s_waitcnt vmcnt(0)
	v_add_f64 v[129:130], v[147:148], -v[129:130]
	buffer_store_dword v129, off, s[0:3], 0 offset:456
	buffer_store_dword v130, off, s[0:3], 0 offset:460
	v_cmpx_lt_u32_e32 56, v0
	s_cbranch_execz .LBB126_275
; %bb.274:
	s_clause 0x1
	buffer_load_dword v129, off, s[0:3], 0 offset:448
	buffer_load_dword v130, off, s[0:3], 0 offset:452
	buffer_store_dword v128, off, s[0:3], 0 offset:448
	buffer_store_dword v128, off, s[0:3], 0 offset:452
	s_waitcnt vmcnt(0)
	ds_write_b64 v127, v[129:130]
.LBB126_275:
	s_or_b32 exec_lo, exec_lo, s4
	s_waitcnt lgkmcnt(0)
	s_waitcnt_vscnt null, 0x0
	s_barrier
	buffer_gl0_inv
	s_clause 0xd
	buffer_load_dword v137, off, s[0:3], 0 offset:456
	buffer_load_dword v138, off, s[0:3], 0 offset:460
	;; [unrolled: 1-line block ×14, first 2 shown]
	ds_read2_b64 v[129:132], v128 offset0:121 offset1:122
	ds_read2_b64 v[133:136], v128 offset0:123 offset1:124
	s_mov_b32 s4, exec_lo
	s_waitcnt vmcnt(12) lgkmcnt(1)
	v_fma_f64 v[129:130], v[137:138], v[129:130], 0
	s_waitcnt vmcnt(10)
	v_fma_f64 v[129:130], v[139:140], v[131:132], v[129:130]
	s_waitcnt vmcnt(8) lgkmcnt(0)
	v_fma_f64 v[129:130], v[141:142], v[133:134], v[129:130]
	s_waitcnt vmcnt(6)
	v_fma_f64 v[132:133], v[143:144], v[135:136], v[129:130]
	ds_read2_b64 v[128:131], v128 offset0:125 offset1:126
	s_waitcnt vmcnt(4) lgkmcnt(0)
	v_fma_f64 v[128:129], v[145:146], v[128:129], v[132:133]
	s_waitcnt vmcnt(2)
	v_fma_f64 v[128:129], v[147:148], v[130:131], v[128:129]
	s_waitcnt vmcnt(0)
	v_add_f64 v[128:129], v[149:150], -v[128:129]
	buffer_store_dword v128, off, s[0:3], 0 offset:448
	buffer_store_dword v129, off, s[0:3], 0 offset:452
	v_cmpx_lt_u32_e32 55, v0
	s_cbranch_execz .LBB126_277
; %bb.276:
	s_clause 0x1
	buffer_load_dword v128, off, s[0:3], 0 offset:440
	buffer_load_dword v129, off, s[0:3], 0 offset:444
	v_mov_b32_e32 v130, 0
	buffer_store_dword v130, off, s[0:3], 0 offset:440
	buffer_store_dword v130, off, s[0:3], 0 offset:444
	s_waitcnt vmcnt(0)
	ds_write_b64 v127, v[128:129]
.LBB126_277:
	s_or_b32 exec_lo, exec_lo, s4
	s_waitcnt lgkmcnt(0)
	s_waitcnt_vscnt null, 0x0
	s_barrier
	buffer_gl0_inv
	s_clause 0xf
	buffer_load_dword v137, off, s[0:3], 0 offset:448
	buffer_load_dword v138, off, s[0:3], 0 offset:452
	;; [unrolled: 1-line block ×16, first 2 shown]
	v_mov_b32_e32 v128, 0
	ds_read_b128 v[129:132], v128 offset:960
	ds_read_b128 v[133:136], v128 offset:976
	s_mov_b32 s4, exec_lo
	s_waitcnt vmcnt(14) lgkmcnt(1)
	v_fma_f64 v[129:130], v[137:138], v[129:130], 0
	s_waitcnt vmcnt(12)
	v_fma_f64 v[129:130], v[139:140], v[131:132], v[129:130]
	s_waitcnt vmcnt(10) lgkmcnt(0)
	v_fma_f64 v[129:130], v[141:142], v[133:134], v[129:130]
	s_waitcnt vmcnt(8)
	v_fma_f64 v[133:134], v[143:144], v[135:136], v[129:130]
	ds_read_b128 v[129:132], v128 offset:992
	ds_read_b64 v[135:136], v128 offset:1008
	s_waitcnt vmcnt(6) lgkmcnt(1)
	v_fma_f64 v[129:130], v[145:146], v[129:130], v[133:134]
	s_waitcnt vmcnt(4)
	v_fma_f64 v[129:130], v[147:148], v[131:132], v[129:130]
	s_waitcnt vmcnt(2) lgkmcnt(0)
	v_fma_f64 v[129:130], v[149:150], v[135:136], v[129:130]
	s_waitcnt vmcnt(0)
	v_add_f64 v[129:130], v[151:152], -v[129:130]
	buffer_store_dword v129, off, s[0:3], 0 offset:440
	buffer_store_dword v130, off, s[0:3], 0 offset:444
	v_cmpx_lt_u32_e32 54, v0
	s_cbranch_execz .LBB126_279
; %bb.278:
	s_clause 0x1
	buffer_load_dword v129, off, s[0:3], 0 offset:432
	buffer_load_dword v130, off, s[0:3], 0 offset:436
	buffer_store_dword v128, off, s[0:3], 0 offset:432
	buffer_store_dword v128, off, s[0:3], 0 offset:436
	s_waitcnt vmcnt(0)
	ds_write_b64 v127, v[129:130]
.LBB126_279:
	s_or_b32 exec_lo, exec_lo, s4
	s_waitcnt lgkmcnt(0)
	s_waitcnt_vscnt null, 0x0
	s_barrier
	buffer_gl0_inv
	s_clause 0x11
	buffer_load_dword v137, off, s[0:3], 0 offset:440
	buffer_load_dword v138, off, s[0:3], 0 offset:444
	;; [unrolled: 1-line block ×18, first 2 shown]
	ds_read2_b64 v[129:132], v128 offset0:119 offset1:120
	ds_read2_b64 v[133:136], v128 offset0:121 offset1:122
	s_mov_b32 s4, exec_lo
	s_waitcnt vmcnt(16) lgkmcnt(1)
	v_fma_f64 v[129:130], v[137:138], v[129:130], 0
	s_waitcnt vmcnt(14)
	v_fma_f64 v[129:130], v[139:140], v[131:132], v[129:130]
	s_waitcnt vmcnt(12) lgkmcnt(0)
	v_fma_f64 v[129:130], v[141:142], v[133:134], v[129:130]
	s_waitcnt vmcnt(10)
	v_fma_f64 v[137:138], v[143:144], v[135:136], v[129:130]
	ds_read2_b64 v[129:132], v128 offset0:123 offset1:124
	ds_read2_b64 v[133:136], v128 offset0:125 offset1:126
	s_waitcnt vmcnt(8) lgkmcnt(1)
	v_fma_f64 v[128:129], v[145:146], v[129:130], v[137:138]
	s_waitcnt vmcnt(6)
	v_fma_f64 v[128:129], v[147:148], v[131:132], v[128:129]
	s_waitcnt vmcnt(4) lgkmcnt(0)
	v_fma_f64 v[128:129], v[149:150], v[133:134], v[128:129]
	s_waitcnt vmcnt(2)
	v_fma_f64 v[128:129], v[151:152], v[135:136], v[128:129]
	s_waitcnt vmcnt(0)
	v_add_f64 v[128:129], v[153:154], -v[128:129]
	buffer_store_dword v128, off, s[0:3], 0 offset:432
	buffer_store_dword v129, off, s[0:3], 0 offset:436
	v_cmpx_lt_u32_e32 53, v0
	s_cbranch_execz .LBB126_281
; %bb.280:
	s_clause 0x1
	buffer_load_dword v128, off, s[0:3], 0 offset:424
	buffer_load_dword v129, off, s[0:3], 0 offset:428
	v_mov_b32_e32 v130, 0
	buffer_store_dword v130, off, s[0:3], 0 offset:424
	buffer_store_dword v130, off, s[0:3], 0 offset:428
	s_waitcnt vmcnt(0)
	ds_write_b64 v127, v[128:129]
.LBB126_281:
	s_or_b32 exec_lo, exec_lo, s4
	s_waitcnt lgkmcnt(0)
	s_waitcnt_vscnt null, 0x0
	s_barrier
	buffer_gl0_inv
	s_clause 0x13
	buffer_load_dword v137, off, s[0:3], 0 offset:432
	buffer_load_dword v138, off, s[0:3], 0 offset:436
	;; [unrolled: 1-line block ×20, first 2 shown]
	v_mov_b32_e32 v128, 0
	ds_read_b128 v[129:132], v128 offset:944
	ds_read_b128 v[133:136], v128 offset:960
	s_mov_b32 s4, exec_lo
	s_waitcnt vmcnt(18) lgkmcnt(1)
	v_fma_f64 v[129:130], v[137:138], v[129:130], 0
	s_waitcnt vmcnt(16)
	v_fma_f64 v[129:130], v[139:140], v[131:132], v[129:130]
	s_waitcnt vmcnt(14) lgkmcnt(0)
	v_fma_f64 v[129:130], v[141:142], v[133:134], v[129:130]
	s_waitcnt vmcnt(12)
	v_fma_f64 v[137:138], v[143:144], v[135:136], v[129:130]
	ds_read_b128 v[129:132], v128 offset:976
	ds_read_b128 v[133:136], v128 offset:992
	s_waitcnt vmcnt(10) lgkmcnt(1)
	v_fma_f64 v[129:130], v[145:146], v[129:130], v[137:138]
	s_waitcnt vmcnt(8)
	v_fma_f64 v[129:130], v[147:148], v[131:132], v[129:130]
	ds_read_b64 v[131:132], v128 offset:1008
	s_waitcnt vmcnt(6) lgkmcnt(1)
	v_fma_f64 v[129:130], v[149:150], v[133:134], v[129:130]
	s_waitcnt vmcnt(3)
	v_fma_f64 v[129:130], v[151:152], v[135:136], v[129:130]
	s_waitcnt vmcnt(2) lgkmcnt(0)
	v_fma_f64 v[129:130], v[153:154], v[131:132], v[129:130]
	s_waitcnt vmcnt(0)
	v_add_f64 v[129:130], v[155:156], -v[129:130]
	buffer_store_dword v129, off, s[0:3], 0 offset:424
	buffer_store_dword v130, off, s[0:3], 0 offset:428
	v_cmpx_lt_u32_e32 52, v0
	s_cbranch_execz .LBB126_283
; %bb.282:
	s_clause 0x1
	buffer_load_dword v129, off, s[0:3], 0 offset:416
	buffer_load_dword v130, off, s[0:3], 0 offset:420
	buffer_store_dword v128, off, s[0:3], 0 offset:416
	buffer_store_dword v128, off, s[0:3], 0 offset:420
	s_waitcnt vmcnt(0)
	ds_write_b64 v127, v[129:130]
.LBB126_283:
	s_or_b32 exec_lo, exec_lo, s4
	s_waitcnt lgkmcnt(0)
	s_waitcnt_vscnt null, 0x0
	s_barrier
	buffer_gl0_inv
	s_clause 0x15
	buffer_load_dword v133, off, s[0:3], 0 offset:424
	buffer_load_dword v134, off, s[0:3], 0 offset:428
	;; [unrolled: 1-line block ×22, first 2 shown]
	ds_read2_b64 v[129:132], v128 offset0:117 offset1:118
	s_mov_b32 s4, exec_lo
	s_waitcnt vmcnt(20) lgkmcnt(0)
	v_fma_f64 v[129:130], v[133:134], v[129:130], 0
	s_waitcnt vmcnt(18)
	v_fma_f64 v[133:134], v[135:136], v[131:132], v[129:130]
	ds_read2_b64 v[129:132], v128 offset0:119 offset1:120
	s_waitcnt vmcnt(16) lgkmcnt(0)
	v_fma_f64 v[129:130], v[137:138], v[129:130], v[133:134]
	s_waitcnt vmcnt(14)
	v_fma_f64 v[133:134], v[139:140], v[131:132], v[129:130]
	ds_read2_b64 v[129:132], v128 offset0:121 offset1:122
	;; [unrolled: 5-line block ×4, first 2 shown]
	s_waitcnt vmcnt(4) lgkmcnt(0)
	v_fma_f64 v[128:129], v[149:150], v[128:129], v[132:133]
	s_waitcnt vmcnt(2)
	v_fma_f64 v[128:129], v[151:152], v[130:131], v[128:129]
	s_waitcnt vmcnt(0)
	v_add_f64 v[128:129], v[153:154], -v[128:129]
	buffer_store_dword v128, off, s[0:3], 0 offset:416
	buffer_store_dword v129, off, s[0:3], 0 offset:420
	v_cmpx_lt_u32_e32 51, v0
	s_cbranch_execz .LBB126_285
; %bb.284:
	s_clause 0x1
	buffer_load_dword v128, off, s[0:3], 0 offset:408
	buffer_load_dword v129, off, s[0:3], 0 offset:412
	v_mov_b32_e32 v130, 0
	buffer_store_dword v130, off, s[0:3], 0 offset:408
	buffer_store_dword v130, off, s[0:3], 0 offset:412
	s_waitcnt vmcnt(0)
	ds_write_b64 v127, v[128:129]
.LBB126_285:
	s_or_b32 exec_lo, exec_lo, s4
	s_waitcnt lgkmcnt(0)
	s_waitcnt_vscnt null, 0x0
	s_barrier
	buffer_gl0_inv
	s_clause 0x17
	buffer_load_dword v133, off, s[0:3], 0 offset:416
	buffer_load_dword v134, off, s[0:3], 0 offset:420
	;; [unrolled: 1-line block ×24, first 2 shown]
	v_mov_b32_e32 v128, 0
	s_mov_b32 s4, exec_lo
	ds_read_b128 v[129:132], v128 offset:928
	s_waitcnt vmcnt(22) lgkmcnt(0)
	v_fma_f64 v[129:130], v[133:134], v[129:130], 0
	s_waitcnt vmcnt(20)
	v_fma_f64 v[133:134], v[135:136], v[131:132], v[129:130]
	ds_read_b128 v[129:132], v128 offset:944
	s_waitcnt vmcnt(18) lgkmcnt(0)
	v_fma_f64 v[129:130], v[137:138], v[129:130], v[133:134]
	s_waitcnt vmcnt(16)
	v_fma_f64 v[133:134], v[139:140], v[131:132], v[129:130]
	;; [unrolled: 5-line block ×5, first 2 shown]
	ds_read_b64 v[131:132], v128 offset:1008
	s_waitcnt vmcnt(2) lgkmcnt(0)
	v_fma_f64 v[129:130], v[153:154], v[131:132], v[129:130]
	s_waitcnt vmcnt(0)
	v_add_f64 v[129:130], v[155:156], -v[129:130]
	buffer_store_dword v130, off, s[0:3], 0 offset:412
	buffer_store_dword v129, off, s[0:3], 0 offset:408
	v_cmpx_lt_u32_e32 50, v0
	s_cbranch_execz .LBB126_287
; %bb.286:
	s_clause 0x1
	buffer_load_dword v129, off, s[0:3], 0 offset:400
	buffer_load_dword v130, off, s[0:3], 0 offset:404
	buffer_store_dword v128, off, s[0:3], 0 offset:400
	buffer_store_dword v128, off, s[0:3], 0 offset:404
	s_waitcnt vmcnt(0)
	ds_write_b64 v127, v[129:130]
.LBB126_287:
	s_or_b32 exec_lo, exec_lo, s4
	s_waitcnt lgkmcnt(0)
	s_waitcnt_vscnt null, 0x0
	s_barrier
	buffer_gl0_inv
	s_clause 0x19
	buffer_load_dword v133, off, s[0:3], 0 offset:408
	buffer_load_dword v134, off, s[0:3], 0 offset:412
	;; [unrolled: 1-line block ×26, first 2 shown]
	ds_read2_b64 v[129:132], v128 offset0:115 offset1:116
	s_mov_b32 s4, exec_lo
	s_waitcnt vmcnt(24) lgkmcnt(0)
	v_fma_f64 v[129:130], v[133:134], v[129:130], 0
	s_waitcnt vmcnt(22)
	v_fma_f64 v[133:134], v[135:136], v[131:132], v[129:130]
	ds_read2_b64 v[129:132], v128 offset0:117 offset1:118
	s_waitcnt vmcnt(20) lgkmcnt(0)
	v_fma_f64 v[129:130], v[137:138], v[129:130], v[133:134]
	s_waitcnt vmcnt(18)
	v_fma_f64 v[133:134], v[139:140], v[131:132], v[129:130]
	ds_read2_b64 v[129:132], v128 offset0:119 offset1:120
	;; [unrolled: 5-line block ×5, first 2 shown]
	s_waitcnt vmcnt(4) lgkmcnt(0)
	v_fma_f64 v[128:129], v[153:154], v[128:129], v[132:133]
	s_waitcnt vmcnt(2)
	v_fma_f64 v[128:129], v[155:156], v[130:131], v[128:129]
	s_waitcnt vmcnt(0)
	v_add_f64 v[128:129], v[157:158], -v[128:129]
	buffer_store_dword v129, off, s[0:3], 0 offset:404
	buffer_store_dword v128, off, s[0:3], 0 offset:400
	v_cmpx_lt_u32_e32 49, v0
	s_cbranch_execz .LBB126_289
; %bb.288:
	s_clause 0x1
	buffer_load_dword v128, off, s[0:3], 0 offset:392
	buffer_load_dword v129, off, s[0:3], 0 offset:396
	v_mov_b32_e32 v130, 0
	buffer_store_dword v130, off, s[0:3], 0 offset:392
	buffer_store_dword v130, off, s[0:3], 0 offset:396
	s_waitcnt vmcnt(0)
	ds_write_b64 v127, v[128:129]
.LBB126_289:
	s_or_b32 exec_lo, exec_lo, s4
	s_waitcnt lgkmcnt(0)
	s_waitcnt_vscnt null, 0x0
	s_barrier
	buffer_gl0_inv
	s_clause 0x1b
	buffer_load_dword v137, off, s[0:3], 0 offset:400
	buffer_load_dword v138, off, s[0:3], 0 offset:404
	;; [unrolled: 1-line block ×28, first 2 shown]
	v_mov_b32_e32 v128, 0
	ds_read_b128 v[129:132], v128 offset:912
	ds_read_b128 v[133:136], v128 offset:928
	s_mov_b32 s4, exec_lo
	s_waitcnt vmcnt(26) lgkmcnt(1)
	v_fma_f64 v[129:130], v[137:138], v[129:130], 0
	s_waitcnt vmcnt(24)
	v_fma_f64 v[129:130], v[139:140], v[131:132], v[129:130]
	s_waitcnt vmcnt(22) lgkmcnt(0)
	v_fma_f64 v[129:130], v[141:142], v[133:134], v[129:130]
	s_waitcnt vmcnt(20)
	v_fma_f64 v[137:138], v[143:144], v[135:136], v[129:130]
	ds_read_b128 v[129:132], v128 offset:944
	ds_read_b128 v[133:136], v128 offset:960
	s_waitcnt vmcnt(18) lgkmcnt(1)
	v_fma_f64 v[129:130], v[145:146], v[129:130], v[137:138]
	s_waitcnt vmcnt(16)
	v_fma_f64 v[129:130], v[147:148], v[131:132], v[129:130]
	s_waitcnt vmcnt(14) lgkmcnt(0)
	v_fma_f64 v[129:130], v[149:150], v[133:134], v[129:130]
	s_waitcnt vmcnt(9)
	v_fma_f64 v[137:138], v[151:152], v[135:136], v[129:130]
	ds_read_b128 v[129:132], v128 offset:976
	ds_read_b128 v[133:136], v128 offset:992
	s_waitcnt vmcnt(8) lgkmcnt(1)
	v_fma_f64 v[129:130], v[157:158], v[129:130], v[137:138]
	s_waitcnt vmcnt(7)
	v_fma_f64 v[129:130], v[155:156], v[131:132], v[129:130]
	ds_read_b64 v[131:132], v128 offset:1008
	s_waitcnt vmcnt(6) lgkmcnt(1)
	v_fma_f64 v[129:130], v[153:154], v[133:134], v[129:130]
	s_waitcnt vmcnt(3)
	v_fma_f64 v[129:130], v[159:160], v[135:136], v[129:130]
	s_waitcnt vmcnt(2) lgkmcnt(0)
	v_fma_f64 v[129:130], v[161:162], v[131:132], v[129:130]
	s_waitcnt vmcnt(0)
	v_add_f64 v[129:130], v[163:164], -v[129:130]
	buffer_store_dword v130, off, s[0:3], 0 offset:396
	buffer_store_dword v129, off, s[0:3], 0 offset:392
	v_cmpx_lt_u32_e32 48, v0
	s_cbranch_execz .LBB126_291
; %bb.290:
	s_clause 0x1
	buffer_load_dword v129, off, s[0:3], 0 offset:384
	buffer_load_dword v130, off, s[0:3], 0 offset:388
	buffer_store_dword v128, off, s[0:3], 0 offset:384
	buffer_store_dword v128, off, s[0:3], 0 offset:388
	s_waitcnt vmcnt(0)
	ds_write_b64 v127, v[129:130]
.LBB126_291:
	s_or_b32 exec_lo, exec_lo, s4
	s_waitcnt lgkmcnt(0)
	s_waitcnt_vscnt null, 0x0
	s_barrier
	buffer_gl0_inv
	s_clause 0x1b
	buffer_load_dword v137, off, s[0:3], 0 offset:392
	buffer_load_dword v138, off, s[0:3], 0 offset:396
	buffer_load_dword v139, off, s[0:3], 0 offset:400
	buffer_load_dword v140, off, s[0:3], 0 offset:404
	buffer_load_dword v141, off, s[0:3], 0 offset:408
	buffer_load_dword v142, off, s[0:3], 0 offset:412
	buffer_load_dword v143, off, s[0:3], 0 offset:416
	buffer_load_dword v144, off, s[0:3], 0 offset:420
	buffer_load_dword v145, off, s[0:3], 0 offset:424
	buffer_load_dword v146, off, s[0:3], 0 offset:428
	buffer_load_dword v147, off, s[0:3], 0 offset:432
	buffer_load_dword v148, off, s[0:3], 0 offset:436
	buffer_load_dword v149, off, s[0:3], 0 offset:440
	buffer_load_dword v150, off, s[0:3], 0 offset:444
	buffer_load_dword v152, off, s[0:3], 0 offset:452
	buffer_load_dword v153, off, s[0:3], 0 offset:472
	buffer_load_dword v155, off, s[0:3], 0 offset:464
	buffer_load_dword v157, off, s[0:3], 0 offset:456
	buffer_load_dword v151, off, s[0:3], 0 offset:448
	buffer_load_dword v158, off, s[0:3], 0 offset:460
	buffer_load_dword v156, off, s[0:3], 0 offset:468
	buffer_load_dword v154, off, s[0:3], 0 offset:476
	buffer_load_dword v160, off, s[0:3], 0 offset:484
	buffer_load_dword v161, off, s[0:3], 0 offset:496
	buffer_load_dword v163, off, s[0:3], 0 offset:488
	buffer_load_dword v159, off, s[0:3], 0 offset:480
	buffer_load_dword v164, off, s[0:3], 0 offset:492
	buffer_load_dword v162, off, s[0:3], 0 offset:500
	ds_read2_b64 v[129:132], v128 offset0:113 offset1:114
	s_clause 0x1
	buffer_load_dword v165, off, s[0:3], 0 offset:384
	buffer_load_dword v166, off, s[0:3], 0 offset:388
	ds_read2_b64 v[133:136], v128 offset0:115 offset1:116
	s_mov_b32 s4, exec_lo
	s_waitcnt vmcnt(28) lgkmcnt(1)
	v_fma_f64 v[129:130], v[137:138], v[129:130], 0
	s_waitcnt vmcnt(26)
	v_fma_f64 v[129:130], v[139:140], v[131:132], v[129:130]
	s_waitcnt vmcnt(24) lgkmcnt(0)
	v_fma_f64 v[129:130], v[141:142], v[133:134], v[129:130]
	s_waitcnt vmcnt(22)
	v_fma_f64 v[137:138], v[143:144], v[135:136], v[129:130]
	ds_read2_b64 v[129:132], v128 offset0:117 offset1:118
	ds_read2_b64 v[133:136], v128 offset0:119 offset1:120
	s_waitcnt vmcnt(20) lgkmcnt(1)
	v_fma_f64 v[129:130], v[145:146], v[129:130], v[137:138]
	s_waitcnt vmcnt(18)
	v_fma_f64 v[129:130], v[147:148], v[131:132], v[129:130]
	s_waitcnt vmcnt(16) lgkmcnt(0)
	v_fma_f64 v[129:130], v[149:150], v[133:134], v[129:130]
	s_waitcnt vmcnt(11)
	v_fma_f64 v[137:138], v[151:152], v[135:136], v[129:130]
	ds_read2_b64 v[129:132], v128 offset0:121 offset1:122
	ds_read2_b64 v[133:136], v128 offset0:123 offset1:124
	s_waitcnt vmcnt(10) lgkmcnt(1)
	v_fma_f64 v[129:130], v[157:158], v[129:130], v[137:138]
	s_waitcnt vmcnt(9)
	v_fma_f64 v[129:130], v[155:156], v[131:132], v[129:130]
	s_waitcnt vmcnt(8) lgkmcnt(0)
	v_fma_f64 v[129:130], v[153:154], v[133:134], v[129:130]
	s_waitcnt vmcnt(4)
	v_fma_f64 v[132:133], v[159:160], v[135:136], v[129:130]
	ds_read2_b64 v[128:131], v128 offset0:125 offset1:126
	s_waitcnt vmcnt(3) lgkmcnt(0)
	v_fma_f64 v[128:129], v[163:164], v[128:129], v[132:133]
	s_waitcnt vmcnt(2)
	v_fma_f64 v[128:129], v[161:162], v[130:131], v[128:129]
	s_waitcnt vmcnt(0)
	v_add_f64 v[128:129], v[165:166], -v[128:129]
	buffer_store_dword v129, off, s[0:3], 0 offset:388
	buffer_store_dword v128, off, s[0:3], 0 offset:384
	v_cmpx_lt_u32_e32 47, v0
	s_cbranch_execz .LBB126_293
; %bb.292:
	s_clause 0x1
	buffer_load_dword v128, off, s[0:3], 0 offset:376
	buffer_load_dword v129, off, s[0:3], 0 offset:380
	v_mov_b32_e32 v130, 0
	buffer_store_dword v130, off, s[0:3], 0 offset:376
	buffer_store_dword v130, off, s[0:3], 0 offset:380
	s_waitcnt vmcnt(0)
	ds_write_b64 v127, v[128:129]
.LBB126_293:
	s_or_b32 exec_lo, exec_lo, s4
	s_waitcnt lgkmcnt(0)
	s_waitcnt_vscnt null, 0x0
	s_barrier
	buffer_gl0_inv
	s_clause 0x1c
	buffer_load_dword v137, off, s[0:3], 0 offset:384
	buffer_load_dword v138, off, s[0:3], 0 offset:388
	;; [unrolled: 1-line block ×29, first 2 shown]
	v_mov_b32_e32 v128, 0
	buffer_load_dword v162, off, s[0:3], 0 offset:500
	s_mov_b32 s4, exec_lo
	ds_read_b128 v[129:132], v128 offset:896
	ds_read_b128 v[133:136], v128 offset:912
	s_waitcnt vmcnt(28) lgkmcnt(1)
	v_fma_f64 v[129:130], v[137:138], v[129:130], 0
	s_clause 0x1
	buffer_load_dword v137, off, s[0:3], 0 offset:376
	buffer_load_dword v138, off, s[0:3], 0 offset:380
	s_waitcnt vmcnt(28)
	v_fma_f64 v[129:130], v[139:140], v[131:132], v[129:130]
	s_waitcnt vmcnt(26) lgkmcnt(0)
	v_fma_f64 v[129:130], v[141:142], v[133:134], v[129:130]
	s_waitcnt vmcnt(24)
	v_fma_f64 v[139:140], v[143:144], v[135:136], v[129:130]
	ds_read_b128 v[129:132], v128 offset:928
	ds_read_b128 v[133:136], v128 offset:944
	s_waitcnt vmcnt(22) lgkmcnt(1)
	v_fma_f64 v[129:130], v[145:146], v[129:130], v[139:140]
	s_waitcnt vmcnt(20)
	v_fma_f64 v[129:130], v[147:148], v[131:132], v[129:130]
	s_waitcnt vmcnt(18) lgkmcnt(0)
	v_fma_f64 v[129:130], v[149:150], v[133:134], v[129:130]
	s_waitcnt vmcnt(13)
	v_fma_f64 v[139:140], v[151:152], v[135:136], v[129:130]
	ds_read_b128 v[129:132], v128 offset:960
	ds_read_b128 v[133:136], v128 offset:976
	s_waitcnt vmcnt(12) lgkmcnt(1)
	v_fma_f64 v[129:130], v[157:158], v[129:130], v[139:140]
	s_waitcnt vmcnt(11)
	v_fma_f64 v[129:130], v[155:156], v[131:132], v[129:130]
	s_waitcnt vmcnt(10) lgkmcnt(0)
	v_fma_f64 v[129:130], v[153:154], v[133:134], v[129:130]
	s_waitcnt vmcnt(5)
	v_fma_f64 v[133:134], v[159:160], v[135:136], v[129:130]
	ds_read_b128 v[129:132], v128 offset:992
	ds_read_b64 v[135:136], v128 offset:1008
	s_waitcnt vmcnt(4) lgkmcnt(1)
	v_fma_f64 v[129:130], v[165:166], v[129:130], v[133:134]
	s_waitcnt vmcnt(3)
	v_fma_f64 v[129:130], v[163:164], v[131:132], v[129:130]
	s_waitcnt vmcnt(2) lgkmcnt(0)
	v_fma_f64 v[129:130], v[161:162], v[135:136], v[129:130]
	s_waitcnt vmcnt(0)
	v_add_f64 v[129:130], v[137:138], -v[129:130]
	buffer_store_dword v130, off, s[0:3], 0 offset:380
	buffer_store_dword v129, off, s[0:3], 0 offset:376
	v_cmpx_lt_u32_e32 46, v0
	s_cbranch_execz .LBB126_295
; %bb.294:
	s_clause 0x1
	buffer_load_dword v129, off, s[0:3], 0 offset:368
	buffer_load_dword v130, off, s[0:3], 0 offset:372
	buffer_store_dword v128, off, s[0:3], 0 offset:368
	buffer_store_dword v128, off, s[0:3], 0 offset:372
	s_waitcnt vmcnt(0)
	ds_write_b64 v127, v[129:130]
.LBB126_295:
	s_or_b32 exec_lo, exec_lo, s4
	s_waitcnt lgkmcnt(0)
	s_waitcnt_vscnt null, 0x0
	s_barrier
	buffer_gl0_inv
	s_clause 0x1c
	buffer_load_dword v137, off, s[0:3], 0 offset:376
	buffer_load_dword v138, off, s[0:3], 0 offset:380
	;; [unrolled: 1-line block ×29, first 2 shown]
	ds_read2_b64 v[129:132], v128 offset0:111 offset1:112
	ds_read2_b64 v[133:136], v128 offset0:113 offset1:114
	buffer_load_dword v162, off, s[0:3], 0 offset:492
	s_mov_b32 s4, exec_lo
	s_waitcnt vmcnt(28) lgkmcnt(1)
	v_fma_f64 v[129:130], v[137:138], v[129:130], 0
	s_clause 0x1
	buffer_load_dword v138, off, s[0:3], 0 offset:500
	buffer_load_dword v137, off, s[0:3], 0 offset:496
	s_waitcnt vmcnt(28)
	v_fma_f64 v[129:130], v[139:140], v[131:132], v[129:130]
	s_clause 0x1
	buffer_load_dword v139, off, s[0:3], 0 offset:368
	buffer_load_dword v140, off, s[0:3], 0 offset:372
	s_waitcnt vmcnt(28) lgkmcnt(0)
	v_fma_f64 v[129:130], v[141:142], v[133:134], v[129:130]
	s_waitcnt vmcnt(26)
	v_fma_f64 v[141:142], v[143:144], v[135:136], v[129:130]
	ds_read2_b64 v[129:132], v128 offset0:115 offset1:116
	ds_read2_b64 v[133:136], v128 offset0:117 offset1:118
	s_waitcnt vmcnt(24) lgkmcnt(1)
	v_fma_f64 v[129:130], v[145:146], v[129:130], v[141:142]
	s_waitcnt vmcnt(22)
	v_fma_f64 v[129:130], v[147:148], v[131:132], v[129:130]
	s_waitcnt vmcnt(20) lgkmcnt(0)
	v_fma_f64 v[129:130], v[149:150], v[133:134], v[129:130]
	s_waitcnt vmcnt(15)
	v_fma_f64 v[141:142], v[151:152], v[135:136], v[129:130]
	ds_read2_b64 v[129:132], v128 offset0:119 offset1:120
	ds_read2_b64 v[133:136], v128 offset0:121 offset1:122
	s_waitcnt vmcnt(14) lgkmcnt(1)
	v_fma_f64 v[129:130], v[157:158], v[129:130], v[141:142]
	s_waitcnt vmcnt(13)
	v_fma_f64 v[129:130], v[155:156], v[131:132], v[129:130]
	;; [unrolled: 10-line block ×3, first 2 shown]
	s_waitcnt vmcnt(4) lgkmcnt(0)
	v_fma_f64 v[128:129], v[161:162], v[133:134], v[128:129]
	s_waitcnt vmcnt(2)
	v_fma_f64 v[128:129], v[137:138], v[135:136], v[128:129]
	s_waitcnt vmcnt(0)
	v_add_f64 v[128:129], v[139:140], -v[128:129]
	buffer_store_dword v129, off, s[0:3], 0 offset:372
	buffer_store_dword v128, off, s[0:3], 0 offset:368
	v_cmpx_lt_u32_e32 45, v0
	s_cbranch_execz .LBB126_297
; %bb.296:
	s_clause 0x1
	buffer_load_dword v128, off, s[0:3], 0 offset:360
	buffer_load_dword v129, off, s[0:3], 0 offset:364
	v_mov_b32_e32 v130, 0
	buffer_store_dword v130, off, s[0:3], 0 offset:360
	buffer_store_dword v130, off, s[0:3], 0 offset:364
	s_waitcnt vmcnt(0)
	ds_write_b64 v127, v[128:129]
.LBB126_297:
	s_or_b32 exec_lo, exec_lo, s4
	s_waitcnt lgkmcnt(0)
	s_waitcnt_vscnt null, 0x0
	s_barrier
	buffer_gl0_inv
	s_clause 0x1c
	buffer_load_dword v137, off, s[0:3], 0 offset:368
	buffer_load_dword v138, off, s[0:3], 0 offset:372
	;; [unrolled: 1-line block ×29, first 2 shown]
	v_mov_b32_e32 v128, 0
	buffer_load_dword v162, off, s[0:3], 0 offset:484
	s_mov_b32 s4, exec_lo
	ds_read_b128 v[129:132], v128 offset:880
	ds_read_b128 v[133:136], v128 offset:896
	s_waitcnt vmcnt(28) lgkmcnt(1)
	v_fma_f64 v[129:130], v[137:138], v[129:130], 0
	s_clause 0x3
	buffer_load_dword v138, off, s[0:3], 0 offset:492
	buffer_load_dword v167, off, s[0:3], 0 offset:496
	;; [unrolled: 1-line block ×4, first 2 shown]
	s_waitcnt vmcnt(30)
	v_fma_f64 v[129:130], v[139:140], v[131:132], v[129:130]
	s_clause 0x1
	buffer_load_dword v139, off, s[0:3], 0 offset:360
	buffer_load_dword v140, off, s[0:3], 0 offset:364
	s_waitcnt vmcnt(30) lgkmcnt(0)
	v_fma_f64 v[129:130], v[141:142], v[133:134], v[129:130]
	s_waitcnt vmcnt(28)
	v_fma_f64 v[141:142], v[143:144], v[135:136], v[129:130]
	ds_read_b128 v[129:132], v128 offset:912
	ds_read_b128 v[133:136], v128 offset:928
	s_waitcnt vmcnt(26) lgkmcnt(1)
	v_fma_f64 v[129:130], v[145:146], v[129:130], v[141:142]
	s_waitcnt vmcnt(24)
	v_fma_f64 v[129:130], v[147:148], v[131:132], v[129:130]
	s_waitcnt vmcnt(22) lgkmcnt(0)
	v_fma_f64 v[129:130], v[149:150], v[133:134], v[129:130]
	s_waitcnt vmcnt(17)
	v_fma_f64 v[141:142], v[151:152], v[135:136], v[129:130]
	ds_read_b128 v[129:132], v128 offset:944
	ds_read_b128 v[133:136], v128 offset:960
	s_waitcnt vmcnt(16) lgkmcnt(1)
	v_fma_f64 v[129:130], v[157:158], v[129:130], v[141:142]
	s_waitcnt vmcnt(15)
	v_fma_f64 v[129:130], v[155:156], v[131:132], v[129:130]
	;; [unrolled: 10-line block ×3, first 2 shown]
	ds_read_b64 v[131:132], v128 offset:1008
	s_waitcnt vmcnt(6) lgkmcnt(1)
	v_fma_f64 v[129:130], v[161:162], v[133:134], v[129:130]
	s_waitcnt vmcnt(3)
	v_fma_f64 v[129:130], v[137:138], v[135:136], v[129:130]
	s_waitcnt vmcnt(2) lgkmcnt(0)
	v_fma_f64 v[129:130], v[167:168], v[131:132], v[129:130]
	s_waitcnt vmcnt(0)
	v_add_f64 v[129:130], v[139:140], -v[129:130]
	buffer_store_dword v130, off, s[0:3], 0 offset:364
	buffer_store_dword v129, off, s[0:3], 0 offset:360
	v_cmpx_lt_u32_e32 44, v0
	s_cbranch_execz .LBB126_299
; %bb.298:
	s_clause 0x1
	buffer_load_dword v129, off, s[0:3], 0 offset:352
	buffer_load_dword v130, off, s[0:3], 0 offset:356
	buffer_store_dword v128, off, s[0:3], 0 offset:352
	buffer_store_dword v128, off, s[0:3], 0 offset:356
	s_waitcnt vmcnt(0)
	ds_write_b64 v127, v[129:130]
.LBB126_299:
	s_or_b32 exec_lo, exec_lo, s4
	s_waitcnt lgkmcnt(0)
	s_waitcnt_vscnt null, 0x0
	s_barrier
	buffer_gl0_inv
	s_clause 0x1c
	buffer_load_dword v137, off, s[0:3], 0 offset:360
	buffer_load_dword v138, off, s[0:3], 0 offset:364
	;; [unrolled: 1-line block ×29, first 2 shown]
	ds_read2_b64 v[129:132], v128 offset0:109 offset1:110
	ds_read2_b64 v[133:136], v128 offset0:111 offset1:112
	buffer_load_dword v162, off, s[0:3], 0 offset:476
	s_mov_b32 s4, exec_lo
	s_waitcnt vmcnt(28) lgkmcnt(1)
	v_fma_f64 v[129:130], v[137:138], v[129:130], 0
	s_clause 0x5
	buffer_load_dword v138, off, s[0:3], 0 offset:484
	buffer_load_dword v167, off, s[0:3], 0 offset:496
	;; [unrolled: 1-line block ×6, first 2 shown]
	s_waitcnt vmcnt(32)
	v_fma_f64 v[129:130], v[139:140], v[131:132], v[129:130]
	s_waitcnt vmcnt(30) lgkmcnt(0)
	v_fma_f64 v[129:130], v[141:142], v[133:134], v[129:130]
	s_waitcnt vmcnt(28)
	v_fma_f64 v[139:140], v[143:144], v[135:136], v[129:130]
	ds_read2_b64 v[129:132], v128 offset0:113 offset1:114
	s_clause 0x1
	buffer_load_dword v141, off, s[0:3], 0 offset:352
	buffer_load_dword v142, off, s[0:3], 0 offset:356
	ds_read2_b64 v[133:136], v128 offset0:115 offset1:116
	s_waitcnt vmcnt(28) lgkmcnt(1)
	v_fma_f64 v[129:130], v[145:146], v[129:130], v[139:140]
	s_waitcnt vmcnt(26)
	v_fma_f64 v[129:130], v[147:148], v[131:132], v[129:130]
	s_waitcnt vmcnt(24) lgkmcnt(0)
	v_fma_f64 v[129:130], v[149:150], v[133:134], v[129:130]
	s_waitcnt vmcnt(19)
	v_fma_f64 v[139:140], v[151:152], v[135:136], v[129:130]
	ds_read2_b64 v[129:132], v128 offset0:117 offset1:118
	ds_read2_b64 v[133:136], v128 offset0:119 offset1:120
	s_waitcnt vmcnt(18) lgkmcnt(1)
	v_fma_f64 v[129:130], v[157:158], v[129:130], v[139:140]
	s_waitcnt vmcnt(17)
	v_fma_f64 v[129:130], v[155:156], v[131:132], v[129:130]
	s_waitcnt vmcnt(16) lgkmcnt(0)
	v_fma_f64 v[129:130], v[153:154], v[133:134], v[129:130]
	s_waitcnt vmcnt(11)
	v_fma_f64 v[139:140], v[159:160], v[135:136], v[129:130]
	ds_read2_b64 v[129:132], v128 offset0:121 offset1:122
	ds_read2_b64 v[133:136], v128 offset0:123 offset1:124
	s_waitcnt vmcnt(10) lgkmcnt(1)
	v_fma_f64 v[129:130], v[165:166], v[129:130], v[139:140]
	s_waitcnt vmcnt(9)
	v_fma_f64 v[129:130], v[163:164], v[131:132], v[129:130]
	s_waitcnt vmcnt(8) lgkmcnt(0)
	v_fma_f64 v[129:130], v[161:162], v[133:134], v[129:130]
	s_waitcnt vmcnt(4)
	v_fma_f64 v[132:133], v[137:138], v[135:136], v[129:130]
	ds_read2_b64 v[128:131], v128 offset0:125 offset1:126
	s_waitcnt vmcnt(3) lgkmcnt(0)
	v_fma_f64 v[128:129], v[169:170], v[128:129], v[132:133]
	s_waitcnt vmcnt(2)
	v_fma_f64 v[128:129], v[167:168], v[130:131], v[128:129]
	s_waitcnt vmcnt(0)
	v_add_f64 v[128:129], v[141:142], -v[128:129]
	buffer_store_dword v129, off, s[0:3], 0 offset:356
	buffer_store_dword v128, off, s[0:3], 0 offset:352
	v_cmpx_lt_u32_e32 43, v0
	s_cbranch_execz .LBB126_301
; %bb.300:
	s_clause 0x1
	buffer_load_dword v128, off, s[0:3], 0 offset:344
	buffer_load_dword v129, off, s[0:3], 0 offset:348
	v_mov_b32_e32 v130, 0
	buffer_store_dword v130, off, s[0:3], 0 offset:344
	buffer_store_dword v130, off, s[0:3], 0 offset:348
	s_waitcnt vmcnt(0)
	ds_write_b64 v127, v[128:129]
.LBB126_301:
	s_or_b32 exec_lo, exec_lo, s4
	s_waitcnt lgkmcnt(0)
	s_waitcnt_vscnt null, 0x0
	s_barrier
	buffer_gl0_inv
	s_clause 0x1c
	buffer_load_dword v137, off, s[0:3], 0 offset:352
	buffer_load_dword v138, off, s[0:3], 0 offset:356
	;; [unrolled: 1-line block ×29, first 2 shown]
	v_mov_b32_e32 v128, 0
	buffer_load_dword v162, off, s[0:3], 0 offset:468
	s_mov_b32 s4, exec_lo
	ds_read_b128 v[129:132], v128 offset:864
	ds_read_b128 v[133:136], v128 offset:880
	s_waitcnt vmcnt(28) lgkmcnt(1)
	v_fma_f64 v[129:130], v[137:138], v[129:130], 0
	s_clause 0x7
	buffer_load_dword v138, off, s[0:3], 0 offset:476
	buffer_load_dword v167, off, s[0:3], 0 offset:496
	;; [unrolled: 1-line block ×8, first 2 shown]
	s_waitcnt vmcnt(34)
	v_fma_f64 v[129:130], v[139:140], v[131:132], v[129:130]
	s_waitcnt vmcnt(32) lgkmcnt(0)
	v_fma_f64 v[129:130], v[141:142], v[133:134], v[129:130]
	s_waitcnt vmcnt(30)
	v_fma_f64 v[139:140], v[143:144], v[135:136], v[129:130]
	ds_read_b128 v[129:132], v128 offset:896
	ds_read_b128 v[133:136], v128 offset:912
	s_waitcnt vmcnt(28) lgkmcnt(1)
	v_fma_f64 v[129:130], v[145:146], v[129:130], v[139:140]
	s_clause 0x1
	buffer_load_dword v139, off, s[0:3], 0 offset:344
	buffer_load_dword v140, off, s[0:3], 0 offset:348
	s_waitcnt vmcnt(28)
	v_fma_f64 v[129:130], v[147:148], v[131:132], v[129:130]
	s_waitcnt vmcnt(26) lgkmcnt(0)
	v_fma_f64 v[129:130], v[149:150], v[133:134], v[129:130]
	s_waitcnt vmcnt(21)
	v_fma_f64 v[141:142], v[151:152], v[135:136], v[129:130]
	ds_read_b128 v[129:132], v128 offset:928
	ds_read_b128 v[133:136], v128 offset:944
	s_waitcnt vmcnt(20) lgkmcnt(1)
	v_fma_f64 v[129:130], v[157:158], v[129:130], v[141:142]
	s_waitcnt vmcnt(19)
	v_fma_f64 v[129:130], v[155:156], v[131:132], v[129:130]
	s_waitcnt vmcnt(18) lgkmcnt(0)
	v_fma_f64 v[129:130], v[153:154], v[133:134], v[129:130]
	s_waitcnt vmcnt(13)
	v_fma_f64 v[141:142], v[159:160], v[135:136], v[129:130]
	ds_read_b128 v[129:132], v128 offset:960
	ds_read_b128 v[133:136], v128 offset:976
	s_waitcnt vmcnt(12) lgkmcnt(1)
	v_fma_f64 v[129:130], v[165:166], v[129:130], v[141:142]
	s_waitcnt vmcnt(11)
	v_fma_f64 v[129:130], v[163:164], v[131:132], v[129:130]
	s_waitcnt vmcnt(10) lgkmcnt(0)
	v_fma_f64 v[129:130], v[161:162], v[133:134], v[129:130]
	s_waitcnt vmcnt(5)
	v_fma_f64 v[133:134], v[137:138], v[135:136], v[129:130]
	ds_read_b128 v[129:132], v128 offset:992
	ds_read_b64 v[135:136], v128 offset:1008
	s_waitcnt vmcnt(4) lgkmcnt(1)
	v_fma_f64 v[129:130], v[171:172], v[129:130], v[133:134]
	s_waitcnt vmcnt(3)
	v_fma_f64 v[129:130], v[169:170], v[131:132], v[129:130]
	s_waitcnt vmcnt(2) lgkmcnt(0)
	v_fma_f64 v[129:130], v[167:168], v[135:136], v[129:130]
	s_waitcnt vmcnt(0)
	v_add_f64 v[129:130], v[139:140], -v[129:130]
	buffer_store_dword v130, off, s[0:3], 0 offset:348
	buffer_store_dword v129, off, s[0:3], 0 offset:344
	v_cmpx_lt_u32_e32 42, v0
	s_cbranch_execz .LBB126_303
; %bb.302:
	s_clause 0x1
	buffer_load_dword v129, off, s[0:3], 0 offset:336
	buffer_load_dword v130, off, s[0:3], 0 offset:340
	buffer_store_dword v128, off, s[0:3], 0 offset:336
	buffer_store_dword v128, off, s[0:3], 0 offset:340
	s_waitcnt vmcnt(0)
	ds_write_b64 v127, v[129:130]
.LBB126_303:
	s_or_b32 exec_lo, exec_lo, s4
	s_waitcnt lgkmcnt(0)
	s_waitcnt_vscnt null, 0x0
	s_barrier
	buffer_gl0_inv
	s_clause 0x1c
	buffer_load_dword v137, off, s[0:3], 0 offset:344
	buffer_load_dword v138, off, s[0:3], 0 offset:348
	;; [unrolled: 1-line block ×29, first 2 shown]
	ds_read2_b64 v[129:132], v128 offset0:107 offset1:108
	ds_read2_b64 v[133:136], v128 offset0:109 offset1:110
	buffer_load_dword v162, off, s[0:3], 0 offset:460
	s_mov_b32 s4, exec_lo
	s_waitcnt vmcnt(28) lgkmcnt(1)
	v_fma_f64 v[129:130], v[137:138], v[129:130], 0
	s_clause 0x7
	buffer_load_dword v138, off, s[0:3], 0 offset:468
	buffer_load_dword v167, off, s[0:3], 0 offset:488
	;; [unrolled: 1-line block ×8, first 2 shown]
	s_waitcnt vmcnt(34)
	v_fma_f64 v[129:130], v[139:140], v[131:132], v[129:130]
	s_waitcnt vmcnt(32) lgkmcnt(0)
	v_fma_f64 v[129:130], v[141:142], v[133:134], v[129:130]
	s_waitcnt vmcnt(30)
	v_fma_f64 v[139:140], v[143:144], v[135:136], v[129:130]
	ds_read2_b64 v[129:132], v128 offset0:111 offset1:112
	ds_read2_b64 v[133:136], v128 offset0:113 offset1:114
	s_waitcnt vmcnt(28) lgkmcnt(1)
	v_fma_f64 v[129:130], v[145:146], v[129:130], v[139:140]
	s_clause 0x3
	buffer_load_dword v140, off, s[0:3], 0 offset:500
	buffer_load_dword v139, off, s[0:3], 0 offset:496
	;; [unrolled: 1-line block ×4, first 2 shown]
	s_waitcnt vmcnt(30)
	v_fma_f64 v[129:130], v[147:148], v[131:132], v[129:130]
	s_waitcnt vmcnt(28) lgkmcnt(0)
	v_fma_f64 v[129:130], v[149:150], v[133:134], v[129:130]
	s_waitcnt vmcnt(23)
	v_fma_f64 v[143:144], v[151:152], v[135:136], v[129:130]
	ds_read2_b64 v[129:132], v128 offset0:115 offset1:116
	ds_read2_b64 v[133:136], v128 offset0:117 offset1:118
	s_waitcnt vmcnt(22) lgkmcnt(1)
	v_fma_f64 v[129:130], v[157:158], v[129:130], v[143:144]
	s_waitcnt vmcnt(21)
	v_fma_f64 v[129:130], v[155:156], v[131:132], v[129:130]
	s_waitcnt vmcnt(20) lgkmcnt(0)
	v_fma_f64 v[129:130], v[153:154], v[133:134], v[129:130]
	s_waitcnt vmcnt(15)
	v_fma_f64 v[143:144], v[159:160], v[135:136], v[129:130]
	ds_read2_b64 v[129:132], v128 offset0:119 offset1:120
	ds_read2_b64 v[133:136], v128 offset0:121 offset1:122
	s_waitcnt vmcnt(14) lgkmcnt(1)
	v_fma_f64 v[129:130], v[165:166], v[129:130], v[143:144]
	;; [unrolled: 10-line block ×3, first 2 shown]
	s_waitcnt vmcnt(5)
	v_fma_f64 v[128:129], v[169:170], v[131:132], v[128:129]
	s_waitcnt vmcnt(4) lgkmcnt(0)
	v_fma_f64 v[128:129], v[167:168], v[133:134], v[128:129]
	s_waitcnt vmcnt(2)
	v_fma_f64 v[128:129], v[139:140], v[135:136], v[128:129]
	s_waitcnt vmcnt(0)
	v_add_f64 v[128:129], v[141:142], -v[128:129]
	buffer_store_dword v129, off, s[0:3], 0 offset:340
	buffer_store_dword v128, off, s[0:3], 0 offset:336
	v_cmpx_lt_u32_e32 41, v0
	s_cbranch_execz .LBB126_305
; %bb.304:
	s_clause 0x1
	buffer_load_dword v128, off, s[0:3], 0 offset:328
	buffer_load_dword v129, off, s[0:3], 0 offset:332
	v_mov_b32_e32 v130, 0
	buffer_store_dword v130, off, s[0:3], 0 offset:328
	buffer_store_dword v130, off, s[0:3], 0 offset:332
	s_waitcnt vmcnt(0)
	ds_write_b64 v127, v[128:129]
.LBB126_305:
	s_or_b32 exec_lo, exec_lo, s4
	s_waitcnt lgkmcnt(0)
	s_waitcnt_vscnt null, 0x0
	s_barrier
	buffer_gl0_inv
	s_clause 0x1c
	buffer_load_dword v137, off, s[0:3], 0 offset:336
	buffer_load_dword v138, off, s[0:3], 0 offset:340
	;; [unrolled: 1-line block ×29, first 2 shown]
	v_mov_b32_e32 v128, 0
	buffer_load_dword v162, off, s[0:3], 0 offset:452
	s_mov_b32 s4, exec_lo
	ds_read_b128 v[129:132], v128 offset:848
	ds_read_b128 v[133:136], v128 offset:864
	s_waitcnt vmcnt(28) lgkmcnt(1)
	v_fma_f64 v[129:130], v[137:138], v[129:130], 0
	s_clause 0x7
	buffer_load_dword v138, off, s[0:3], 0 offset:460
	buffer_load_dword v167, off, s[0:3], 0 offset:480
	buffer_load_dword v169, off, s[0:3], 0 offset:472
	buffer_load_dword v171, off, s[0:3], 0 offset:464
	buffer_load_dword v137, off, s[0:3], 0 offset:456
	buffer_load_dword v172, off, s[0:3], 0 offset:468
	buffer_load_dword v170, off, s[0:3], 0 offset:476
	buffer_load_dword v168, off, s[0:3], 0 offset:484
	s_waitcnt vmcnt(34)
	v_fma_f64 v[129:130], v[139:140], v[131:132], v[129:130]
	s_waitcnt vmcnt(32) lgkmcnt(0)
	v_fma_f64 v[129:130], v[141:142], v[133:134], v[129:130]
	s_waitcnt vmcnt(30)
	v_fma_f64 v[139:140], v[143:144], v[135:136], v[129:130]
	ds_read_b128 v[129:132], v128 offset:880
	ds_read_b128 v[133:136], v128 offset:896
	s_waitcnt vmcnt(28) lgkmcnt(1)
	v_fma_f64 v[129:130], v[145:146], v[129:130], v[139:140]
	s_clause 0x5
	buffer_load_dword v140, off, s[0:3], 0 offset:492
	buffer_load_dword v141, off, s[0:3], 0 offset:496
	;; [unrolled: 1-line block ×6, first 2 shown]
	s_waitcnt vmcnt(32)
	v_fma_f64 v[129:130], v[147:148], v[131:132], v[129:130]
	s_waitcnt vmcnt(30) lgkmcnt(0)
	v_fma_f64 v[129:130], v[149:150], v[133:134], v[129:130]
	s_waitcnt vmcnt(25)
	v_fma_f64 v[145:146], v[151:152], v[135:136], v[129:130]
	ds_read_b128 v[129:132], v128 offset:912
	ds_read_b128 v[133:136], v128 offset:928
	s_waitcnt vmcnt(24) lgkmcnt(1)
	v_fma_f64 v[129:130], v[157:158], v[129:130], v[145:146]
	s_waitcnt vmcnt(23)
	v_fma_f64 v[129:130], v[155:156], v[131:132], v[129:130]
	s_waitcnt vmcnt(22) lgkmcnt(0)
	v_fma_f64 v[129:130], v[153:154], v[133:134], v[129:130]
	s_waitcnt vmcnt(17)
	v_fma_f64 v[145:146], v[159:160], v[135:136], v[129:130]
	ds_read_b128 v[129:132], v128 offset:944
	ds_read_b128 v[133:136], v128 offset:960
	s_waitcnt vmcnt(16) lgkmcnt(1)
	v_fma_f64 v[129:130], v[165:166], v[129:130], v[145:146]
	;; [unrolled: 10-line block ×3, first 2 shown]
	s_waitcnt vmcnt(7)
	v_fma_f64 v[129:130], v[169:170], v[131:132], v[129:130]
	ds_read_b64 v[131:132], v128 offset:1008
	s_waitcnt vmcnt(6) lgkmcnt(1)
	v_fma_f64 v[129:130], v[167:168], v[133:134], v[129:130]
	s_waitcnt vmcnt(3)
	v_fma_f64 v[129:130], v[139:140], v[135:136], v[129:130]
	s_waitcnt vmcnt(2) lgkmcnt(0)
	v_fma_f64 v[129:130], v[141:142], v[131:132], v[129:130]
	s_waitcnt vmcnt(0)
	v_add_f64 v[129:130], v[143:144], -v[129:130]
	buffer_store_dword v130, off, s[0:3], 0 offset:332
	buffer_store_dword v129, off, s[0:3], 0 offset:328
	v_cmpx_lt_u32_e32 40, v0
	s_cbranch_execz .LBB126_307
; %bb.306:
	s_clause 0x1
	buffer_load_dword v129, off, s[0:3], 0 offset:320
	buffer_load_dword v130, off, s[0:3], 0 offset:324
	buffer_store_dword v128, off, s[0:3], 0 offset:320
	buffer_store_dword v128, off, s[0:3], 0 offset:324
	s_waitcnt vmcnt(0)
	ds_write_b64 v127, v[129:130]
.LBB126_307:
	s_or_b32 exec_lo, exec_lo, s4
	s_waitcnt lgkmcnt(0)
	s_waitcnt_vscnt null, 0x0
	s_barrier
	buffer_gl0_inv
	s_clause 0x1c
	buffer_load_dword v137, off, s[0:3], 0 offset:328
	buffer_load_dword v138, off, s[0:3], 0 offset:332
	;; [unrolled: 1-line block ×29, first 2 shown]
	ds_read2_b64 v[129:132], v128 offset0:105 offset1:106
	ds_read2_b64 v[133:136], v128 offset0:107 offset1:108
	buffer_load_dword v162, off, s[0:3], 0 offset:444
	s_mov_b32 s4, exec_lo
	s_waitcnt vmcnt(28) lgkmcnt(1)
	v_fma_f64 v[129:130], v[137:138], v[129:130], 0
	s_clause 0x7
	buffer_load_dword v138, off, s[0:3], 0 offset:452
	buffer_load_dword v167, off, s[0:3], 0 offset:472
	;; [unrolled: 1-line block ×8, first 2 shown]
	s_waitcnt vmcnt(34)
	v_fma_f64 v[129:130], v[139:140], v[131:132], v[129:130]
	s_waitcnt vmcnt(32) lgkmcnt(0)
	v_fma_f64 v[129:130], v[141:142], v[133:134], v[129:130]
	s_waitcnt vmcnt(30)
	v_fma_f64 v[139:140], v[143:144], v[135:136], v[129:130]
	ds_read2_b64 v[129:132], v128 offset0:109 offset1:110
	ds_read2_b64 v[133:136], v128 offset0:111 offset1:112
	s_waitcnt vmcnt(28) lgkmcnt(1)
	v_fma_f64 v[129:130], v[145:146], v[129:130], v[139:140]
	s_clause 0x5
	buffer_load_dword v140, off, s[0:3], 0 offset:484
	buffer_load_dword v141, off, s[0:3], 0 offset:496
	;; [unrolled: 1-line block ×6, first 2 shown]
	s_waitcnt vmcnt(32)
	v_fma_f64 v[129:130], v[147:148], v[131:132], v[129:130]
	s_waitcnt vmcnt(30) lgkmcnt(0)
	v_fma_f64 v[129:130], v[149:150], v[133:134], v[129:130]
	s_waitcnt vmcnt(25)
	v_fma_f64 v[145:146], v[151:152], v[135:136], v[129:130]
	ds_read2_b64 v[129:132], v128 offset0:113 offset1:114
	s_clause 0x1
	buffer_load_dword v147, off, s[0:3], 0 offset:320
	buffer_load_dword v148, off, s[0:3], 0 offset:324
	ds_read2_b64 v[133:136], v128 offset0:115 offset1:116
	s_waitcnt vmcnt(26) lgkmcnt(1)
	v_fma_f64 v[129:130], v[157:158], v[129:130], v[145:146]
	s_waitcnt vmcnt(25)
	v_fma_f64 v[129:130], v[155:156], v[131:132], v[129:130]
	s_waitcnt vmcnt(24) lgkmcnt(0)
	v_fma_f64 v[129:130], v[153:154], v[133:134], v[129:130]
	s_waitcnt vmcnt(19)
	v_fma_f64 v[145:146], v[159:160], v[135:136], v[129:130]
	ds_read2_b64 v[129:132], v128 offset0:117 offset1:118
	ds_read2_b64 v[133:136], v128 offset0:119 offset1:120
	s_waitcnt vmcnt(18) lgkmcnt(1)
	v_fma_f64 v[129:130], v[165:166], v[129:130], v[145:146]
	s_waitcnt vmcnt(17)
	v_fma_f64 v[129:130], v[163:164], v[131:132], v[129:130]
	s_waitcnt vmcnt(16) lgkmcnt(0)
	v_fma_f64 v[129:130], v[161:162], v[133:134], v[129:130]
	s_waitcnt vmcnt(11)
	v_fma_f64 v[137:138], v[137:138], v[135:136], v[129:130]
	ds_read2_b64 v[129:132], v128 offset0:121 offset1:122
	;; [unrolled: 10-line block ×3, first 2 shown]
	s_waitcnt vmcnt(3) lgkmcnt(0)
	v_fma_f64 v[128:129], v[143:144], v[128:129], v[132:133]
	s_waitcnt vmcnt(2)
	v_fma_f64 v[128:129], v[141:142], v[130:131], v[128:129]
	s_waitcnt vmcnt(0)
	v_add_f64 v[128:129], v[147:148], -v[128:129]
	buffer_store_dword v129, off, s[0:3], 0 offset:324
	buffer_store_dword v128, off, s[0:3], 0 offset:320
	v_cmpx_lt_u32_e32 39, v0
	s_cbranch_execz .LBB126_309
; %bb.308:
	s_clause 0x1
	buffer_load_dword v128, off, s[0:3], 0 offset:312
	buffer_load_dword v129, off, s[0:3], 0 offset:316
	v_mov_b32_e32 v130, 0
	buffer_store_dword v130, off, s[0:3], 0 offset:312
	buffer_store_dword v130, off, s[0:3], 0 offset:316
	s_waitcnt vmcnt(0)
	ds_write_b64 v127, v[128:129]
.LBB126_309:
	s_or_b32 exec_lo, exec_lo, s4
	s_waitcnt lgkmcnt(0)
	s_waitcnt_vscnt null, 0x0
	s_barrier
	buffer_gl0_inv
	s_clause 0x1c
	buffer_load_dword v137, off, s[0:3], 0 offset:320
	buffer_load_dword v138, off, s[0:3], 0 offset:324
	;; [unrolled: 1-line block ×29, first 2 shown]
	v_mov_b32_e32 v128, 0
	buffer_load_dword v162, off, s[0:3], 0 offset:436
	s_mov_b32 s4, exec_lo
	ds_read_b128 v[129:132], v128 offset:832
	ds_read_b128 v[133:136], v128 offset:848
	s_waitcnt vmcnt(28) lgkmcnt(1)
	v_fma_f64 v[129:130], v[137:138], v[129:130], 0
	s_clause 0x7
	buffer_load_dword v138, off, s[0:3], 0 offset:444
	buffer_load_dword v167, off, s[0:3], 0 offset:464
	buffer_load_dword v169, off, s[0:3], 0 offset:456
	buffer_load_dword v171, off, s[0:3], 0 offset:448
	buffer_load_dword v137, off, s[0:3], 0 offset:440
	buffer_load_dword v172, off, s[0:3], 0 offset:452
	buffer_load_dword v170, off, s[0:3], 0 offset:460
	buffer_load_dword v168, off, s[0:3], 0 offset:468
	s_waitcnt vmcnt(34)
	v_fma_f64 v[129:130], v[139:140], v[131:132], v[129:130]
	s_waitcnt vmcnt(32) lgkmcnt(0)
	v_fma_f64 v[129:130], v[141:142], v[133:134], v[129:130]
	s_waitcnt vmcnt(30)
	v_fma_f64 v[139:140], v[143:144], v[135:136], v[129:130]
	ds_read_b128 v[129:132], v128 offset:864
	ds_read_b128 v[133:136], v128 offset:880
	s_waitcnt vmcnt(28) lgkmcnt(1)
	v_fma_f64 v[129:130], v[145:146], v[129:130], v[139:140]
	s_clause 0x7
	buffer_load_dword v140, off, s[0:3], 0 offset:476
	buffer_load_dword v141, off, s[0:3], 0 offset:496
	;; [unrolled: 1-line block ×8, first 2 shown]
	s_waitcnt vmcnt(34)
	v_fma_f64 v[129:130], v[147:148], v[131:132], v[129:130]
	s_waitcnt vmcnt(32) lgkmcnt(0)
	v_fma_f64 v[129:130], v[149:150], v[133:134], v[129:130]
	s_waitcnt vmcnt(27)
	v_fma_f64 v[147:148], v[151:152], v[135:136], v[129:130]
	ds_read_b128 v[129:132], v128 offset:896
	ds_read_b128 v[133:136], v128 offset:912
	s_waitcnt vmcnt(26) lgkmcnt(1)
	v_fma_f64 v[129:130], v[157:158], v[129:130], v[147:148]
	s_clause 0x1
	buffer_load_dword v147, off, s[0:3], 0 offset:312
	buffer_load_dword v148, off, s[0:3], 0 offset:316
	s_waitcnt vmcnt(27)
	v_fma_f64 v[129:130], v[155:156], v[131:132], v[129:130]
	s_waitcnt vmcnt(26) lgkmcnt(0)
	v_fma_f64 v[129:130], v[153:154], v[133:134], v[129:130]
	s_waitcnt vmcnt(21)
	v_fma_f64 v[149:150], v[159:160], v[135:136], v[129:130]
	ds_read_b128 v[129:132], v128 offset:928
	ds_read_b128 v[133:136], v128 offset:944
	s_waitcnt vmcnt(20) lgkmcnt(1)
	v_fma_f64 v[129:130], v[165:166], v[129:130], v[149:150]
	s_waitcnt vmcnt(19)
	v_fma_f64 v[129:130], v[163:164], v[131:132], v[129:130]
	s_waitcnt vmcnt(18) lgkmcnt(0)
	v_fma_f64 v[129:130], v[161:162], v[133:134], v[129:130]
	s_waitcnt vmcnt(13)
	v_fma_f64 v[137:138], v[137:138], v[135:136], v[129:130]
	ds_read_b128 v[129:132], v128 offset:960
	ds_read_b128 v[133:136], v128 offset:976
	s_waitcnt vmcnt(12) lgkmcnt(1)
	v_fma_f64 v[129:130], v[171:172], v[129:130], v[137:138]
	s_waitcnt vmcnt(11)
	v_fma_f64 v[129:130], v[169:170], v[131:132], v[129:130]
	s_waitcnt vmcnt(10) lgkmcnt(0)
	v_fma_f64 v[129:130], v[167:168], v[133:134], v[129:130]
	s_waitcnt vmcnt(5)
	v_fma_f64 v[133:134], v[139:140], v[135:136], v[129:130]
	ds_read_b128 v[129:132], v128 offset:992
	ds_read_b64 v[135:136], v128 offset:1008
	s_waitcnt vmcnt(4) lgkmcnt(1)
	v_fma_f64 v[129:130], v[145:146], v[129:130], v[133:134]
	s_waitcnt vmcnt(3)
	v_fma_f64 v[129:130], v[143:144], v[131:132], v[129:130]
	s_waitcnt vmcnt(2) lgkmcnt(0)
	v_fma_f64 v[129:130], v[141:142], v[135:136], v[129:130]
	s_waitcnt vmcnt(0)
	v_add_f64 v[129:130], v[147:148], -v[129:130]
	buffer_store_dword v130, off, s[0:3], 0 offset:316
	buffer_store_dword v129, off, s[0:3], 0 offset:312
	v_cmpx_lt_u32_e32 38, v0
	s_cbranch_execz .LBB126_311
; %bb.310:
	s_clause 0x1
	buffer_load_dword v129, off, s[0:3], 0 offset:304
	buffer_load_dword v130, off, s[0:3], 0 offset:308
	buffer_store_dword v128, off, s[0:3], 0 offset:304
	buffer_store_dword v128, off, s[0:3], 0 offset:308
	s_waitcnt vmcnt(0)
	ds_write_b64 v127, v[129:130]
.LBB126_311:
	s_or_b32 exec_lo, exec_lo, s4
	s_waitcnt lgkmcnt(0)
	s_waitcnt_vscnt null, 0x0
	s_barrier
	buffer_gl0_inv
	s_clause 0x1c
	buffer_load_dword v137, off, s[0:3], 0 offset:312
	buffer_load_dword v138, off, s[0:3], 0 offset:316
	buffer_load_dword v139, off, s[0:3], 0 offset:320
	buffer_load_dword v140, off, s[0:3], 0 offset:324
	buffer_load_dword v141, off, s[0:3], 0 offset:328
	buffer_load_dword v142, off, s[0:3], 0 offset:332
	buffer_load_dword v143, off, s[0:3], 0 offset:336
	buffer_load_dword v144, off, s[0:3], 0 offset:340
	buffer_load_dword v145, off, s[0:3], 0 offset:344
	buffer_load_dword v146, off, s[0:3], 0 offset:348
	buffer_load_dword v147, off, s[0:3], 0 offset:352
	buffer_load_dword v148, off, s[0:3], 0 offset:356
	buffer_load_dword v149, off, s[0:3], 0 offset:360
	buffer_load_dword v150, off, s[0:3], 0 offset:364
	buffer_load_dword v152, off, s[0:3], 0 offset:372
	buffer_load_dword v153, off, s[0:3], 0 offset:392
	buffer_load_dword v155, off, s[0:3], 0 offset:384
	buffer_load_dword v157, off, s[0:3], 0 offset:376
	buffer_load_dword v151, off, s[0:3], 0 offset:368
	buffer_load_dword v158, off, s[0:3], 0 offset:380
	buffer_load_dword v156, off, s[0:3], 0 offset:388
	buffer_load_dword v154, off, s[0:3], 0 offset:396
	buffer_load_dword v160, off, s[0:3], 0 offset:404
	buffer_load_dword v161, off, s[0:3], 0 offset:424
	buffer_load_dword v163, off, s[0:3], 0 offset:416
	buffer_load_dword v165, off, s[0:3], 0 offset:408
	buffer_load_dword v159, off, s[0:3], 0 offset:400
	buffer_load_dword v166, off, s[0:3], 0 offset:412
	buffer_load_dword v164, off, s[0:3], 0 offset:420
	ds_read2_b64 v[129:132], v128 offset0:103 offset1:104
	ds_read2_b64 v[133:136], v128 offset0:105 offset1:106
	buffer_load_dword v162, off, s[0:3], 0 offset:428
	s_mov_b32 s4, exec_lo
	s_waitcnt vmcnt(28) lgkmcnt(1)
	v_fma_f64 v[129:130], v[137:138], v[129:130], 0
	s_clause 0x7
	buffer_load_dword v138, off, s[0:3], 0 offset:436
	buffer_load_dword v167, off, s[0:3], 0 offset:456
	;; [unrolled: 1-line block ×8, first 2 shown]
	s_waitcnt vmcnt(34)
	v_fma_f64 v[129:130], v[139:140], v[131:132], v[129:130]
	s_waitcnt vmcnt(32) lgkmcnt(0)
	v_fma_f64 v[129:130], v[141:142], v[133:134], v[129:130]
	s_waitcnt vmcnt(30)
	v_fma_f64 v[139:140], v[143:144], v[135:136], v[129:130]
	ds_read2_b64 v[129:132], v128 offset0:107 offset1:108
	ds_read2_b64 v[133:136], v128 offset0:109 offset1:110
	s_waitcnt vmcnt(28) lgkmcnt(1)
	v_fma_f64 v[129:130], v[145:146], v[129:130], v[139:140]
	s_clause 0x7
	buffer_load_dword v140, off, s[0:3], 0 offset:468
	buffer_load_dword v141, off, s[0:3], 0 offset:488
	;; [unrolled: 1-line block ×8, first 2 shown]
	s_waitcnt vmcnt(34)
	v_fma_f64 v[129:130], v[147:148], v[131:132], v[129:130]
	s_waitcnt vmcnt(32) lgkmcnt(0)
	v_fma_f64 v[129:130], v[149:150], v[133:134], v[129:130]
	s_waitcnt vmcnt(27)
	v_fma_f64 v[147:148], v[151:152], v[135:136], v[129:130]
	ds_read2_b64 v[129:132], v128 offset0:111 offset1:112
	ds_read2_b64 v[133:136], v128 offset0:113 offset1:114
	s_waitcnt vmcnt(26) lgkmcnt(1)
	v_fma_f64 v[129:130], v[157:158], v[129:130], v[147:148]
	s_clause 0x3
	buffer_load_dword v148, off, s[0:3], 0 offset:500
	buffer_load_dword v147, off, s[0:3], 0 offset:496
	;; [unrolled: 1-line block ×4, first 2 shown]
	s_waitcnt vmcnt(29)
	v_fma_f64 v[129:130], v[155:156], v[131:132], v[129:130]
	s_waitcnt vmcnt(28) lgkmcnt(0)
	v_fma_f64 v[129:130], v[153:154], v[133:134], v[129:130]
	s_waitcnt vmcnt(23)
	v_fma_f64 v[151:152], v[159:160], v[135:136], v[129:130]
	ds_read2_b64 v[129:132], v128 offset0:115 offset1:116
	ds_read2_b64 v[133:136], v128 offset0:117 offset1:118
	s_waitcnt vmcnt(22) lgkmcnt(1)
	v_fma_f64 v[129:130], v[165:166], v[129:130], v[151:152]
	s_waitcnt vmcnt(21)
	v_fma_f64 v[129:130], v[163:164], v[131:132], v[129:130]
	s_waitcnt vmcnt(20) lgkmcnt(0)
	v_fma_f64 v[129:130], v[161:162], v[133:134], v[129:130]
	s_waitcnt vmcnt(15)
	v_fma_f64 v[137:138], v[137:138], v[135:136], v[129:130]
	ds_read2_b64 v[129:132], v128 offset0:119 offset1:120
	ds_read2_b64 v[133:136], v128 offset0:121 offset1:122
	s_waitcnt vmcnt(14) lgkmcnt(1)
	v_fma_f64 v[129:130], v[171:172], v[129:130], v[137:138]
	;; [unrolled: 10-line block ×3, first 2 shown]
	s_waitcnt vmcnt(5)
	v_fma_f64 v[128:129], v[143:144], v[131:132], v[128:129]
	s_waitcnt vmcnt(4) lgkmcnt(0)
	v_fma_f64 v[128:129], v[141:142], v[133:134], v[128:129]
	s_waitcnt vmcnt(2)
	v_fma_f64 v[128:129], v[147:148], v[135:136], v[128:129]
	s_waitcnt vmcnt(0)
	v_add_f64 v[128:129], v[149:150], -v[128:129]
	buffer_store_dword v129, off, s[0:3], 0 offset:308
	buffer_store_dword v128, off, s[0:3], 0 offset:304
	v_cmpx_lt_u32_e32 37, v0
	s_cbranch_execz .LBB126_313
; %bb.312:
	s_clause 0x1
	buffer_load_dword v128, off, s[0:3], 0 offset:296
	buffer_load_dword v129, off, s[0:3], 0 offset:300
	v_mov_b32_e32 v130, 0
	buffer_store_dword v130, off, s[0:3], 0 offset:296
	buffer_store_dword v130, off, s[0:3], 0 offset:300
	s_waitcnt vmcnt(0)
	ds_write_b64 v127, v[128:129]
.LBB126_313:
	s_or_b32 exec_lo, exec_lo, s4
	s_waitcnt lgkmcnt(0)
	s_waitcnt_vscnt null, 0x0
	s_barrier
	buffer_gl0_inv
	s_clause 0x1c
	buffer_load_dword v137, off, s[0:3], 0 offset:304
	buffer_load_dword v138, off, s[0:3], 0 offset:308
	;; [unrolled: 1-line block ×29, first 2 shown]
	v_mov_b32_e32 v128, 0
	buffer_load_dword v162, off, s[0:3], 0 offset:420
	s_mov_b32 s4, exec_lo
	ds_read_b128 v[129:132], v128 offset:816
	ds_read_b128 v[133:136], v128 offset:832
	s_waitcnt vmcnt(28) lgkmcnt(1)
	v_fma_f64 v[129:130], v[137:138], v[129:130], 0
	s_clause 0x7
	buffer_load_dword v138, off, s[0:3], 0 offset:428
	buffer_load_dword v167, off, s[0:3], 0 offset:448
	;; [unrolled: 1-line block ×8, first 2 shown]
	s_waitcnt vmcnt(34)
	v_fma_f64 v[129:130], v[139:140], v[131:132], v[129:130]
	s_waitcnt vmcnt(32) lgkmcnt(0)
	v_fma_f64 v[129:130], v[141:142], v[133:134], v[129:130]
	s_waitcnt vmcnt(30)
	v_fma_f64 v[139:140], v[143:144], v[135:136], v[129:130]
	ds_read_b128 v[129:132], v128 offset:848
	ds_read_b128 v[133:136], v128 offset:864
	s_waitcnt vmcnt(28) lgkmcnt(1)
	v_fma_f64 v[129:130], v[145:146], v[129:130], v[139:140]
	s_clause 0x7
	buffer_load_dword v140, off, s[0:3], 0 offset:460
	buffer_load_dword v141, off, s[0:3], 0 offset:480
	;; [unrolled: 1-line block ×8, first 2 shown]
	s_waitcnt vmcnt(34)
	v_fma_f64 v[129:130], v[147:148], v[131:132], v[129:130]
	s_waitcnt vmcnt(32) lgkmcnt(0)
	v_fma_f64 v[129:130], v[149:150], v[133:134], v[129:130]
	s_waitcnt vmcnt(27)
	v_fma_f64 v[147:148], v[151:152], v[135:136], v[129:130]
	ds_read_b128 v[129:132], v128 offset:880
	ds_read_b128 v[133:136], v128 offset:896
	s_waitcnt vmcnt(26) lgkmcnt(1)
	v_fma_f64 v[129:130], v[157:158], v[129:130], v[147:148]
	s_clause 0x5
	buffer_load_dword v148, off, s[0:3], 0 offset:492
	buffer_load_dword v149, off, s[0:3], 0 offset:496
	;; [unrolled: 1-line block ×6, first 2 shown]
	s_waitcnt vmcnt(31)
	v_fma_f64 v[129:130], v[155:156], v[131:132], v[129:130]
	s_waitcnt vmcnt(30) lgkmcnt(0)
	v_fma_f64 v[129:130], v[153:154], v[133:134], v[129:130]
	s_waitcnt vmcnt(25)
	v_fma_f64 v[153:154], v[159:160], v[135:136], v[129:130]
	ds_read_b128 v[129:132], v128 offset:912
	ds_read_b128 v[133:136], v128 offset:928
	s_waitcnt vmcnt(24) lgkmcnt(1)
	v_fma_f64 v[129:130], v[165:166], v[129:130], v[153:154]
	s_waitcnt vmcnt(23)
	v_fma_f64 v[129:130], v[163:164], v[131:132], v[129:130]
	s_waitcnt vmcnt(22) lgkmcnt(0)
	v_fma_f64 v[129:130], v[161:162], v[133:134], v[129:130]
	s_waitcnt vmcnt(17)
	v_fma_f64 v[137:138], v[137:138], v[135:136], v[129:130]
	ds_read_b128 v[129:132], v128 offset:944
	ds_read_b128 v[133:136], v128 offset:960
	s_waitcnt vmcnt(16) lgkmcnt(1)
	v_fma_f64 v[129:130], v[171:172], v[129:130], v[137:138]
	;; [unrolled: 10-line block ×3, first 2 shown]
	s_waitcnt vmcnt(7)
	v_fma_f64 v[129:130], v[143:144], v[131:132], v[129:130]
	ds_read_b64 v[131:132], v128 offset:1008
	s_waitcnt vmcnt(6) lgkmcnt(1)
	v_fma_f64 v[129:130], v[141:142], v[133:134], v[129:130]
	s_waitcnt vmcnt(3)
	v_fma_f64 v[129:130], v[147:148], v[135:136], v[129:130]
	s_waitcnt vmcnt(2) lgkmcnt(0)
	v_fma_f64 v[129:130], v[149:150], v[131:132], v[129:130]
	s_waitcnt vmcnt(0)
	v_add_f64 v[129:130], v[151:152], -v[129:130]
	buffer_store_dword v130, off, s[0:3], 0 offset:300
	buffer_store_dword v129, off, s[0:3], 0 offset:296
	v_cmpx_lt_u32_e32 36, v0
	s_cbranch_execz .LBB126_315
; %bb.314:
	s_clause 0x1
	buffer_load_dword v129, off, s[0:3], 0 offset:288
	buffer_load_dword v130, off, s[0:3], 0 offset:292
	buffer_store_dword v128, off, s[0:3], 0 offset:288
	buffer_store_dword v128, off, s[0:3], 0 offset:292
	s_waitcnt vmcnt(0)
	ds_write_b64 v127, v[129:130]
.LBB126_315:
	s_or_b32 exec_lo, exec_lo, s4
	s_waitcnt lgkmcnt(0)
	s_waitcnt_vscnt null, 0x0
	s_barrier
	buffer_gl0_inv
	s_clause 0x1c
	buffer_load_dword v137, off, s[0:3], 0 offset:296
	buffer_load_dword v138, off, s[0:3], 0 offset:300
	;; [unrolled: 1-line block ×29, first 2 shown]
	ds_read2_b64 v[129:132], v128 offset0:101 offset1:102
	ds_read2_b64 v[133:136], v128 offset0:103 offset1:104
	buffer_load_dword v162, off, s[0:3], 0 offset:412
	s_mov_b32 s4, exec_lo
	s_waitcnt vmcnt(28) lgkmcnt(1)
	v_fma_f64 v[129:130], v[137:138], v[129:130], 0
	s_clause 0x7
	buffer_load_dword v138, off, s[0:3], 0 offset:420
	buffer_load_dword v167, off, s[0:3], 0 offset:440
	;; [unrolled: 1-line block ×8, first 2 shown]
	s_waitcnt vmcnt(34)
	v_fma_f64 v[129:130], v[139:140], v[131:132], v[129:130]
	s_waitcnt vmcnt(32) lgkmcnt(0)
	v_fma_f64 v[129:130], v[141:142], v[133:134], v[129:130]
	s_waitcnt vmcnt(30)
	v_fma_f64 v[139:140], v[143:144], v[135:136], v[129:130]
	ds_read2_b64 v[129:132], v128 offset0:105 offset1:106
	ds_read2_b64 v[133:136], v128 offset0:107 offset1:108
	s_waitcnt vmcnt(28) lgkmcnt(1)
	v_fma_f64 v[129:130], v[145:146], v[129:130], v[139:140]
	s_clause 0x7
	buffer_load_dword v140, off, s[0:3], 0 offset:452
	buffer_load_dword v141, off, s[0:3], 0 offset:472
	;; [unrolled: 1-line block ×8, first 2 shown]
	s_waitcnt vmcnt(34)
	v_fma_f64 v[129:130], v[147:148], v[131:132], v[129:130]
	s_waitcnt vmcnt(32) lgkmcnt(0)
	v_fma_f64 v[129:130], v[149:150], v[133:134], v[129:130]
	s_waitcnt vmcnt(27)
	v_fma_f64 v[147:148], v[151:152], v[135:136], v[129:130]
	ds_read2_b64 v[129:132], v128 offset0:109 offset1:110
	ds_read2_b64 v[133:136], v128 offset0:111 offset1:112
	s_waitcnt vmcnt(26) lgkmcnt(1)
	v_fma_f64 v[129:130], v[157:158], v[129:130], v[147:148]
	s_clause 0x5
	buffer_load_dword v148, off, s[0:3], 0 offset:484
	buffer_load_dword v149, off, s[0:3], 0 offset:496
	;; [unrolled: 1-line block ×6, first 2 shown]
	s_waitcnt vmcnt(31)
	v_fma_f64 v[129:130], v[155:156], v[131:132], v[129:130]
	s_waitcnt vmcnt(30) lgkmcnt(0)
	v_fma_f64 v[129:130], v[153:154], v[133:134], v[129:130]
	s_waitcnt vmcnt(25)
	v_fma_f64 v[153:154], v[159:160], v[135:136], v[129:130]
	ds_read2_b64 v[129:132], v128 offset0:113 offset1:114
	s_clause 0x1
	buffer_load_dword v155, off, s[0:3], 0 offset:288
	buffer_load_dword v156, off, s[0:3], 0 offset:292
	ds_read2_b64 v[133:136], v128 offset0:115 offset1:116
	s_waitcnt vmcnt(26) lgkmcnt(1)
	v_fma_f64 v[129:130], v[165:166], v[129:130], v[153:154]
	s_waitcnt vmcnt(25)
	v_fma_f64 v[129:130], v[163:164], v[131:132], v[129:130]
	s_waitcnt vmcnt(24) lgkmcnt(0)
	v_fma_f64 v[129:130], v[161:162], v[133:134], v[129:130]
	s_waitcnt vmcnt(19)
	v_fma_f64 v[137:138], v[137:138], v[135:136], v[129:130]
	ds_read2_b64 v[129:132], v128 offset0:117 offset1:118
	ds_read2_b64 v[133:136], v128 offset0:119 offset1:120
	s_waitcnt vmcnt(18) lgkmcnt(1)
	v_fma_f64 v[129:130], v[171:172], v[129:130], v[137:138]
	s_waitcnt vmcnt(17)
	v_fma_f64 v[129:130], v[169:170], v[131:132], v[129:130]
	s_waitcnt vmcnt(16) lgkmcnt(0)
	v_fma_f64 v[129:130], v[167:168], v[133:134], v[129:130]
	s_waitcnt vmcnt(11)
	v_fma_f64 v[137:138], v[139:140], v[135:136], v[129:130]
	ds_read2_b64 v[129:132], v128 offset0:121 offset1:122
	;; [unrolled: 10-line block ×3, first 2 shown]
	s_waitcnt vmcnt(3) lgkmcnt(0)
	v_fma_f64 v[128:129], v[151:152], v[128:129], v[132:133]
	s_waitcnt vmcnt(2)
	v_fma_f64 v[128:129], v[149:150], v[130:131], v[128:129]
	s_waitcnt vmcnt(0)
	v_add_f64 v[128:129], v[155:156], -v[128:129]
	buffer_store_dword v129, off, s[0:3], 0 offset:292
	buffer_store_dword v128, off, s[0:3], 0 offset:288
	v_cmpx_lt_u32_e32 35, v0
	s_cbranch_execz .LBB126_317
; %bb.316:
	s_clause 0x1
	buffer_load_dword v128, off, s[0:3], 0 offset:280
	buffer_load_dword v129, off, s[0:3], 0 offset:284
	v_mov_b32_e32 v130, 0
	buffer_store_dword v130, off, s[0:3], 0 offset:280
	buffer_store_dword v130, off, s[0:3], 0 offset:284
	s_waitcnt vmcnt(0)
	ds_write_b64 v127, v[128:129]
.LBB126_317:
	s_or_b32 exec_lo, exec_lo, s4
	s_waitcnt lgkmcnt(0)
	s_waitcnt_vscnt null, 0x0
	s_barrier
	buffer_gl0_inv
	s_clause 0x1c
	buffer_load_dword v137, off, s[0:3], 0 offset:288
	buffer_load_dword v138, off, s[0:3], 0 offset:292
	;; [unrolled: 1-line block ×29, first 2 shown]
	v_mov_b32_e32 v128, 0
	buffer_load_dword v162, off, s[0:3], 0 offset:404
	s_mov_b32 s4, exec_lo
	ds_read_b128 v[129:132], v128 offset:800
	ds_read_b128 v[133:136], v128 offset:816
	s_waitcnt vmcnt(28) lgkmcnt(1)
	v_fma_f64 v[129:130], v[137:138], v[129:130], 0
	s_clause 0x7
	buffer_load_dword v138, off, s[0:3], 0 offset:412
	buffer_load_dword v167, off, s[0:3], 0 offset:432
	buffer_load_dword v169, off, s[0:3], 0 offset:424
	buffer_load_dword v171, off, s[0:3], 0 offset:416
	buffer_load_dword v137, off, s[0:3], 0 offset:408
	buffer_load_dword v172, off, s[0:3], 0 offset:420
	buffer_load_dword v170, off, s[0:3], 0 offset:428
	buffer_load_dword v168, off, s[0:3], 0 offset:436
	s_waitcnt vmcnt(34)
	v_fma_f64 v[129:130], v[139:140], v[131:132], v[129:130]
	s_waitcnt vmcnt(32) lgkmcnt(0)
	v_fma_f64 v[129:130], v[141:142], v[133:134], v[129:130]
	s_waitcnt vmcnt(30)
	v_fma_f64 v[139:140], v[143:144], v[135:136], v[129:130]
	ds_read_b128 v[129:132], v128 offset:832
	ds_read_b128 v[133:136], v128 offset:848
	s_waitcnt vmcnt(28) lgkmcnt(1)
	v_fma_f64 v[129:130], v[145:146], v[129:130], v[139:140]
	s_clause 0x7
	buffer_load_dword v140, off, s[0:3], 0 offset:444
	buffer_load_dword v141, off, s[0:3], 0 offset:464
	buffer_load_dword v143, off, s[0:3], 0 offset:456
	buffer_load_dword v145, off, s[0:3], 0 offset:448
	buffer_load_dword v139, off, s[0:3], 0 offset:440
	buffer_load_dword v146, off, s[0:3], 0 offset:452
	buffer_load_dword v144, off, s[0:3], 0 offset:460
	buffer_load_dword v142, off, s[0:3], 0 offset:468
	s_waitcnt vmcnt(34)
	v_fma_f64 v[129:130], v[147:148], v[131:132], v[129:130]
	s_waitcnt vmcnt(32) lgkmcnt(0)
	v_fma_f64 v[129:130], v[149:150], v[133:134], v[129:130]
	s_waitcnt vmcnt(27)
	v_fma_f64 v[147:148], v[151:152], v[135:136], v[129:130]
	;; [unrolled: 19-line block ×3, first 2 shown]
	ds_read_b128 v[129:132], v128 offset:896
	ds_read_b128 v[133:136], v128 offset:912
	s_waitcnt vmcnt(26) lgkmcnt(1)
	v_fma_f64 v[129:130], v[165:166], v[129:130], v[153:154]
	s_clause 0x1
	buffer_load_dword v153, off, s[0:3], 0 offset:280
	buffer_load_dword v154, off, s[0:3], 0 offset:284
	s_waitcnt vmcnt(27)
	v_fma_f64 v[129:130], v[163:164], v[131:132], v[129:130]
	s_waitcnt vmcnt(26) lgkmcnt(0)
	v_fma_f64 v[129:130], v[161:162], v[133:134], v[129:130]
	s_waitcnt vmcnt(21)
	v_fma_f64 v[137:138], v[137:138], v[135:136], v[129:130]
	ds_read_b128 v[129:132], v128 offset:928
	ds_read_b128 v[133:136], v128 offset:944
	s_waitcnt vmcnt(20) lgkmcnt(1)
	v_fma_f64 v[129:130], v[171:172], v[129:130], v[137:138]
	s_waitcnt vmcnt(19)
	v_fma_f64 v[129:130], v[169:170], v[131:132], v[129:130]
	s_waitcnt vmcnt(18) lgkmcnt(0)
	v_fma_f64 v[129:130], v[167:168], v[133:134], v[129:130]
	s_waitcnt vmcnt(13)
	v_fma_f64 v[137:138], v[139:140], v[135:136], v[129:130]
	ds_read_b128 v[129:132], v128 offset:960
	ds_read_b128 v[133:136], v128 offset:976
	s_waitcnt vmcnt(12) lgkmcnt(1)
	v_fma_f64 v[129:130], v[145:146], v[129:130], v[137:138]
	s_waitcnt vmcnt(11)
	v_fma_f64 v[129:130], v[143:144], v[131:132], v[129:130]
	s_waitcnt vmcnt(10) lgkmcnt(0)
	v_fma_f64 v[129:130], v[141:142], v[133:134], v[129:130]
	s_waitcnt vmcnt(5)
	v_fma_f64 v[133:134], v[147:148], v[135:136], v[129:130]
	ds_read_b128 v[129:132], v128 offset:992
	ds_read_b64 v[135:136], v128 offset:1008
	s_waitcnt vmcnt(4) lgkmcnt(1)
	v_fma_f64 v[129:130], v[157:158], v[129:130], v[133:134]
	s_waitcnt vmcnt(3)
	v_fma_f64 v[129:130], v[151:152], v[131:132], v[129:130]
	s_waitcnt vmcnt(2) lgkmcnt(0)
	v_fma_f64 v[129:130], v[149:150], v[135:136], v[129:130]
	s_waitcnt vmcnt(0)
	v_add_f64 v[129:130], v[153:154], -v[129:130]
	buffer_store_dword v130, off, s[0:3], 0 offset:284
	buffer_store_dword v129, off, s[0:3], 0 offset:280
	v_cmpx_lt_u32_e32 34, v0
	s_cbranch_execz .LBB126_319
; %bb.318:
	s_clause 0x1
	buffer_load_dword v129, off, s[0:3], 0 offset:272
	buffer_load_dword v130, off, s[0:3], 0 offset:276
	buffer_store_dword v128, off, s[0:3], 0 offset:272
	buffer_store_dword v128, off, s[0:3], 0 offset:276
	s_waitcnt vmcnt(0)
	ds_write_b64 v127, v[129:130]
.LBB126_319:
	s_or_b32 exec_lo, exec_lo, s4
	s_waitcnt lgkmcnt(0)
	s_waitcnt_vscnt null, 0x0
	s_barrier
	buffer_gl0_inv
	s_clause 0x1c
	buffer_load_dword v137, off, s[0:3], 0 offset:280
	buffer_load_dword v138, off, s[0:3], 0 offset:284
	;; [unrolled: 1-line block ×29, first 2 shown]
	ds_read2_b64 v[129:132], v128 offset0:99 offset1:100
	ds_read2_b64 v[133:136], v128 offset0:101 offset1:102
	buffer_load_dword v162, off, s[0:3], 0 offset:396
	s_mov_b32 s4, exec_lo
	s_waitcnt vmcnt(28) lgkmcnt(1)
	v_fma_f64 v[129:130], v[137:138], v[129:130], 0
	s_clause 0x7
	buffer_load_dword v138, off, s[0:3], 0 offset:404
	buffer_load_dword v167, off, s[0:3], 0 offset:424
	buffer_load_dword v169, off, s[0:3], 0 offset:416
	buffer_load_dword v171, off, s[0:3], 0 offset:408
	buffer_load_dword v137, off, s[0:3], 0 offset:400
	buffer_load_dword v172, off, s[0:3], 0 offset:412
	buffer_load_dword v170, off, s[0:3], 0 offset:420
	buffer_load_dword v168, off, s[0:3], 0 offset:428
	s_waitcnt vmcnt(34)
	v_fma_f64 v[129:130], v[139:140], v[131:132], v[129:130]
	s_waitcnt vmcnt(32) lgkmcnt(0)
	v_fma_f64 v[129:130], v[141:142], v[133:134], v[129:130]
	s_waitcnt vmcnt(30)
	v_fma_f64 v[139:140], v[143:144], v[135:136], v[129:130]
	ds_read2_b64 v[129:132], v128 offset0:103 offset1:104
	ds_read2_b64 v[133:136], v128 offset0:105 offset1:106
	s_waitcnt vmcnt(28) lgkmcnt(1)
	v_fma_f64 v[129:130], v[145:146], v[129:130], v[139:140]
	s_clause 0x7
	buffer_load_dword v140, off, s[0:3], 0 offset:436
	buffer_load_dword v141, off, s[0:3], 0 offset:456
	buffer_load_dword v143, off, s[0:3], 0 offset:448
	buffer_load_dword v145, off, s[0:3], 0 offset:440
	buffer_load_dword v139, off, s[0:3], 0 offset:432
	buffer_load_dword v146, off, s[0:3], 0 offset:444
	buffer_load_dword v144, off, s[0:3], 0 offset:452
	buffer_load_dword v142, off, s[0:3], 0 offset:460
	s_waitcnt vmcnt(34)
	v_fma_f64 v[129:130], v[147:148], v[131:132], v[129:130]
	s_waitcnt vmcnt(32) lgkmcnt(0)
	v_fma_f64 v[129:130], v[149:150], v[133:134], v[129:130]
	s_waitcnt vmcnt(27)
	v_fma_f64 v[147:148], v[151:152], v[135:136], v[129:130]
	ds_read2_b64 v[129:132], v128 offset0:107 offset1:108
	ds_read2_b64 v[133:136], v128 offset0:109 offset1:110
	;; [unrolled: 19-line block ×3, first 2 shown]
	s_waitcnt vmcnt(26) lgkmcnt(1)
	v_fma_f64 v[129:130], v[165:166], v[129:130], v[153:154]
	s_clause 0x3
	buffer_load_dword v154, off, s[0:3], 0 offset:500
	buffer_load_dword v153, off, s[0:3], 0 offset:496
	;; [unrolled: 1-line block ×4, first 2 shown]
	s_waitcnt vmcnt(29)
	v_fma_f64 v[129:130], v[163:164], v[131:132], v[129:130]
	s_waitcnt vmcnt(28) lgkmcnt(0)
	v_fma_f64 v[129:130], v[161:162], v[133:134], v[129:130]
	s_waitcnt vmcnt(23)
	v_fma_f64 v[137:138], v[137:138], v[135:136], v[129:130]
	ds_read2_b64 v[129:132], v128 offset0:115 offset1:116
	ds_read2_b64 v[133:136], v128 offset0:117 offset1:118
	s_waitcnt vmcnt(22) lgkmcnt(1)
	v_fma_f64 v[129:130], v[171:172], v[129:130], v[137:138]
	s_waitcnt vmcnt(21)
	v_fma_f64 v[129:130], v[169:170], v[131:132], v[129:130]
	s_waitcnt vmcnt(20) lgkmcnt(0)
	v_fma_f64 v[129:130], v[167:168], v[133:134], v[129:130]
	s_waitcnt vmcnt(15)
	v_fma_f64 v[137:138], v[139:140], v[135:136], v[129:130]
	ds_read2_b64 v[129:132], v128 offset0:119 offset1:120
	ds_read2_b64 v[133:136], v128 offset0:121 offset1:122
	s_waitcnt vmcnt(14) lgkmcnt(1)
	v_fma_f64 v[129:130], v[145:146], v[129:130], v[137:138]
	s_waitcnt vmcnt(13)
	v_fma_f64 v[129:130], v[143:144], v[131:132], v[129:130]
	s_waitcnt vmcnt(12) lgkmcnt(0)
	v_fma_f64 v[129:130], v[141:142], v[133:134], v[129:130]
	s_waitcnt vmcnt(7)
	v_fma_f64 v[137:138], v[147:148], v[135:136], v[129:130]
	ds_read2_b64 v[129:132], v128 offset0:123 offset1:124
	ds_read2_b64 v[133:136], v128 offset0:125 offset1:126
	s_waitcnt vmcnt(6) lgkmcnt(1)
	v_fma_f64 v[128:129], v[157:158], v[129:130], v[137:138]
	s_waitcnt vmcnt(5)
	v_fma_f64 v[128:129], v[151:152], v[131:132], v[128:129]
	s_waitcnt vmcnt(4) lgkmcnt(0)
	v_fma_f64 v[128:129], v[149:150], v[133:134], v[128:129]
	s_waitcnt vmcnt(2)
	v_fma_f64 v[128:129], v[153:154], v[135:136], v[128:129]
	s_waitcnt vmcnt(0)
	v_add_f64 v[128:129], v[155:156], -v[128:129]
	buffer_store_dword v129, off, s[0:3], 0 offset:276
	buffer_store_dword v128, off, s[0:3], 0 offset:272
	v_cmpx_lt_u32_e32 33, v0
	s_cbranch_execz .LBB126_321
; %bb.320:
	s_clause 0x1
	buffer_load_dword v128, off, s[0:3], 0 offset:264
	buffer_load_dword v129, off, s[0:3], 0 offset:268
	v_mov_b32_e32 v130, 0
	buffer_store_dword v130, off, s[0:3], 0 offset:264
	buffer_store_dword v130, off, s[0:3], 0 offset:268
	s_waitcnt vmcnt(0)
	ds_write_b64 v127, v[128:129]
.LBB126_321:
	s_or_b32 exec_lo, exec_lo, s4
	s_waitcnt lgkmcnt(0)
	s_waitcnt_vscnt null, 0x0
	s_barrier
	buffer_gl0_inv
	s_clause 0x1c
	buffer_load_dword v137, off, s[0:3], 0 offset:272
	buffer_load_dword v138, off, s[0:3], 0 offset:276
	buffer_load_dword v139, off, s[0:3], 0 offset:280
	buffer_load_dword v140, off, s[0:3], 0 offset:284
	buffer_load_dword v141, off, s[0:3], 0 offset:288
	buffer_load_dword v142, off, s[0:3], 0 offset:292
	buffer_load_dword v143, off, s[0:3], 0 offset:296
	buffer_load_dword v144, off, s[0:3], 0 offset:300
	buffer_load_dword v145, off, s[0:3], 0 offset:304
	buffer_load_dword v146, off, s[0:3], 0 offset:308
	buffer_load_dword v147, off, s[0:3], 0 offset:312
	buffer_load_dword v148, off, s[0:3], 0 offset:316
	buffer_load_dword v149, off, s[0:3], 0 offset:320
	buffer_load_dword v150, off, s[0:3], 0 offset:324
	buffer_load_dword v152, off, s[0:3], 0 offset:332
	buffer_load_dword v153, off, s[0:3], 0 offset:352
	buffer_load_dword v155, off, s[0:3], 0 offset:344
	buffer_load_dword v157, off, s[0:3], 0 offset:336
	buffer_load_dword v151, off, s[0:3], 0 offset:328
	buffer_load_dword v158, off, s[0:3], 0 offset:340
	buffer_load_dword v156, off, s[0:3], 0 offset:348
	buffer_load_dword v154, off, s[0:3], 0 offset:356
	buffer_load_dword v160, off, s[0:3], 0 offset:364
	buffer_load_dword v161, off, s[0:3], 0 offset:384
	buffer_load_dword v163, off, s[0:3], 0 offset:376
	buffer_load_dword v165, off, s[0:3], 0 offset:368
	buffer_load_dword v159, off, s[0:3], 0 offset:360
	buffer_load_dword v166, off, s[0:3], 0 offset:372
	buffer_load_dword v164, off, s[0:3], 0 offset:380
	v_mov_b32_e32 v128, 0
	buffer_load_dword v162, off, s[0:3], 0 offset:388
	s_mov_b32 s4, exec_lo
	ds_read_b128 v[129:132], v128 offset:784
	ds_read_b128 v[133:136], v128 offset:800
	s_waitcnt vmcnt(28) lgkmcnt(1)
	v_fma_f64 v[129:130], v[137:138], v[129:130], 0
	s_clause 0x7
	buffer_load_dword v138, off, s[0:3], 0 offset:396
	buffer_load_dword v167, off, s[0:3], 0 offset:416
	buffer_load_dword v169, off, s[0:3], 0 offset:408
	buffer_load_dword v171, off, s[0:3], 0 offset:400
	buffer_load_dword v137, off, s[0:3], 0 offset:392
	buffer_load_dword v172, off, s[0:3], 0 offset:404
	buffer_load_dword v170, off, s[0:3], 0 offset:412
	buffer_load_dword v168, off, s[0:3], 0 offset:420
	s_waitcnt vmcnt(34)
	v_fma_f64 v[129:130], v[139:140], v[131:132], v[129:130]
	s_waitcnt vmcnt(32) lgkmcnt(0)
	v_fma_f64 v[129:130], v[141:142], v[133:134], v[129:130]
	s_waitcnt vmcnt(30)
	v_fma_f64 v[139:140], v[143:144], v[135:136], v[129:130]
	ds_read_b128 v[129:132], v128 offset:816
	ds_read_b128 v[133:136], v128 offset:832
	s_waitcnt vmcnt(28) lgkmcnt(1)
	v_fma_f64 v[129:130], v[145:146], v[129:130], v[139:140]
	s_clause 0x7
	buffer_load_dword v140, off, s[0:3], 0 offset:428
	buffer_load_dword v141, off, s[0:3], 0 offset:448
	buffer_load_dword v143, off, s[0:3], 0 offset:440
	buffer_load_dword v145, off, s[0:3], 0 offset:432
	buffer_load_dword v139, off, s[0:3], 0 offset:424
	buffer_load_dword v146, off, s[0:3], 0 offset:436
	buffer_load_dword v144, off, s[0:3], 0 offset:444
	buffer_load_dword v142, off, s[0:3], 0 offset:452
	s_waitcnt vmcnt(34)
	v_fma_f64 v[129:130], v[147:148], v[131:132], v[129:130]
	s_waitcnt vmcnt(32) lgkmcnt(0)
	v_fma_f64 v[129:130], v[149:150], v[133:134], v[129:130]
	s_waitcnt vmcnt(27)
	v_fma_f64 v[147:148], v[151:152], v[135:136], v[129:130]
	;; [unrolled: 19-line block ×3, first 2 shown]
	ds_read_b128 v[129:132], v128 offset:880
	ds_read_b128 v[133:136], v128 offset:896
	s_waitcnt vmcnt(26) lgkmcnt(1)
	v_fma_f64 v[129:130], v[165:166], v[129:130], v[153:154]
	s_clause 0x5
	buffer_load_dword v154, off, s[0:3], 0 offset:492
	buffer_load_dword v155, off, s[0:3], 0 offset:496
	;; [unrolled: 1-line block ×6, first 2 shown]
	s_waitcnt vmcnt(31)
	v_fma_f64 v[129:130], v[163:164], v[131:132], v[129:130]
	s_waitcnt vmcnt(30) lgkmcnt(0)
	v_fma_f64 v[129:130], v[161:162], v[133:134], v[129:130]
	s_waitcnt vmcnt(25)
	v_fma_f64 v[137:138], v[137:138], v[135:136], v[129:130]
	ds_read_b128 v[129:132], v128 offset:912
	ds_read_b128 v[133:136], v128 offset:928
	s_waitcnt vmcnt(24) lgkmcnt(1)
	v_fma_f64 v[129:130], v[171:172], v[129:130], v[137:138]
	s_waitcnt vmcnt(23)
	v_fma_f64 v[129:130], v[169:170], v[131:132], v[129:130]
	s_waitcnt vmcnt(22) lgkmcnt(0)
	v_fma_f64 v[129:130], v[167:168], v[133:134], v[129:130]
	s_waitcnt vmcnt(17)
	v_fma_f64 v[137:138], v[139:140], v[135:136], v[129:130]
	ds_read_b128 v[129:132], v128 offset:944
	ds_read_b128 v[133:136], v128 offset:960
	s_waitcnt vmcnt(16) lgkmcnt(1)
	v_fma_f64 v[129:130], v[145:146], v[129:130], v[137:138]
	;; [unrolled: 10-line block ×3, first 2 shown]
	s_waitcnt vmcnt(7)
	v_fma_f64 v[129:130], v[151:152], v[131:132], v[129:130]
	ds_read_b64 v[131:132], v128 offset:1008
	s_waitcnt vmcnt(6) lgkmcnt(1)
	v_fma_f64 v[129:130], v[149:150], v[133:134], v[129:130]
	s_waitcnt vmcnt(3)
	v_fma_f64 v[129:130], v[153:154], v[135:136], v[129:130]
	s_waitcnt vmcnt(2) lgkmcnt(0)
	v_fma_f64 v[129:130], v[155:156], v[131:132], v[129:130]
	s_waitcnt vmcnt(0)
	v_add_f64 v[129:130], v[159:160], -v[129:130]
	buffer_store_dword v130, off, s[0:3], 0 offset:268
	buffer_store_dword v129, off, s[0:3], 0 offset:264
	v_cmpx_lt_u32_e32 32, v0
	s_cbranch_execz .LBB126_323
; %bb.322:
	s_clause 0x1
	buffer_load_dword v129, off, s[0:3], 0 offset:256
	buffer_load_dword v130, off, s[0:3], 0 offset:260
	buffer_store_dword v128, off, s[0:3], 0 offset:256
	buffer_store_dword v128, off, s[0:3], 0 offset:260
	s_waitcnt vmcnt(0)
	ds_write_b64 v127, v[129:130]
.LBB126_323:
	s_or_b32 exec_lo, exec_lo, s4
	s_waitcnt lgkmcnt(0)
	s_waitcnt_vscnt null, 0x0
	s_barrier
	buffer_gl0_inv
	s_clause 0x1c
	buffer_load_dword v137, off, s[0:3], 0 offset:264
	buffer_load_dword v138, off, s[0:3], 0 offset:268
	;; [unrolled: 1-line block ×29, first 2 shown]
	ds_read2_b64 v[129:132], v128 offset0:97 offset1:98
	ds_read2_b64 v[133:136], v128 offset0:99 offset1:100
	buffer_load_dword v162, off, s[0:3], 0 offset:380
	s_mov_b32 s4, exec_lo
	s_waitcnt vmcnt(28) lgkmcnt(1)
	v_fma_f64 v[129:130], v[137:138], v[129:130], 0
	s_clause 0x7
	buffer_load_dword v138, off, s[0:3], 0 offset:388
	buffer_load_dword v167, off, s[0:3], 0 offset:408
	buffer_load_dword v169, off, s[0:3], 0 offset:400
	buffer_load_dword v171, off, s[0:3], 0 offset:392
	buffer_load_dword v137, off, s[0:3], 0 offset:384
	buffer_load_dword v172, off, s[0:3], 0 offset:396
	buffer_load_dword v170, off, s[0:3], 0 offset:404
	buffer_load_dword v168, off, s[0:3], 0 offset:412
	s_waitcnt vmcnt(34)
	v_fma_f64 v[129:130], v[139:140], v[131:132], v[129:130]
	s_waitcnt vmcnt(32) lgkmcnt(0)
	v_fma_f64 v[129:130], v[141:142], v[133:134], v[129:130]
	s_waitcnt vmcnt(30)
	v_fma_f64 v[139:140], v[143:144], v[135:136], v[129:130]
	ds_read2_b64 v[129:132], v128 offset0:101 offset1:102
	ds_read2_b64 v[133:136], v128 offset0:103 offset1:104
	s_waitcnt vmcnt(28) lgkmcnt(1)
	v_fma_f64 v[129:130], v[145:146], v[129:130], v[139:140]
	s_clause 0x7
	buffer_load_dword v140, off, s[0:3], 0 offset:420
	buffer_load_dword v141, off, s[0:3], 0 offset:440
	buffer_load_dword v143, off, s[0:3], 0 offset:432
	buffer_load_dword v145, off, s[0:3], 0 offset:424
	buffer_load_dword v139, off, s[0:3], 0 offset:416
	buffer_load_dword v146, off, s[0:3], 0 offset:428
	buffer_load_dword v144, off, s[0:3], 0 offset:436
	buffer_load_dword v142, off, s[0:3], 0 offset:444
	s_waitcnt vmcnt(34)
	v_fma_f64 v[129:130], v[147:148], v[131:132], v[129:130]
	s_waitcnt vmcnt(32) lgkmcnt(0)
	v_fma_f64 v[129:130], v[149:150], v[133:134], v[129:130]
	s_waitcnt vmcnt(27)
	v_fma_f64 v[147:148], v[151:152], v[135:136], v[129:130]
	ds_read2_b64 v[129:132], v128 offset0:105 offset1:106
	ds_read2_b64 v[133:136], v128 offset0:107 offset1:108
	;; [unrolled: 19-line block ×3, first 2 shown]
	s_waitcnt vmcnt(26) lgkmcnt(1)
	v_fma_f64 v[129:130], v[165:166], v[129:130], v[153:154]
	s_clause 0x5
	buffer_load_dword v154, off, s[0:3], 0 offset:484
	buffer_load_dword v155, off, s[0:3], 0 offset:496
	;; [unrolled: 1-line block ×6, first 2 shown]
	s_waitcnt vmcnt(31)
	v_fma_f64 v[129:130], v[163:164], v[131:132], v[129:130]
	s_waitcnt vmcnt(30) lgkmcnt(0)
	v_fma_f64 v[129:130], v[161:162], v[133:134], v[129:130]
	s_waitcnt vmcnt(25)
	v_fma_f64 v[137:138], v[137:138], v[135:136], v[129:130]
	ds_read2_b64 v[129:132], v128 offset0:113 offset1:114
	s_clause 0x1
	buffer_load_dword v161, off, s[0:3], 0 offset:256
	buffer_load_dword v162, off, s[0:3], 0 offset:260
	ds_read2_b64 v[133:136], v128 offset0:115 offset1:116
	s_waitcnt vmcnt(26) lgkmcnt(1)
	v_fma_f64 v[129:130], v[171:172], v[129:130], v[137:138]
	s_waitcnt vmcnt(25)
	v_fma_f64 v[129:130], v[169:170], v[131:132], v[129:130]
	s_waitcnt vmcnt(24) lgkmcnt(0)
	v_fma_f64 v[129:130], v[167:168], v[133:134], v[129:130]
	s_waitcnt vmcnt(19)
	v_fma_f64 v[137:138], v[139:140], v[135:136], v[129:130]
	ds_read2_b64 v[129:132], v128 offset0:117 offset1:118
	ds_read2_b64 v[133:136], v128 offset0:119 offset1:120
	s_waitcnt vmcnt(18) lgkmcnt(1)
	v_fma_f64 v[129:130], v[145:146], v[129:130], v[137:138]
	s_waitcnt vmcnt(17)
	v_fma_f64 v[129:130], v[143:144], v[131:132], v[129:130]
	s_waitcnt vmcnt(16) lgkmcnt(0)
	v_fma_f64 v[129:130], v[141:142], v[133:134], v[129:130]
	s_waitcnt vmcnt(11)
	v_fma_f64 v[137:138], v[147:148], v[135:136], v[129:130]
	ds_read2_b64 v[129:132], v128 offset0:121 offset1:122
	;; [unrolled: 10-line block ×3, first 2 shown]
	s_waitcnt vmcnt(3) lgkmcnt(0)
	v_fma_f64 v[128:129], v[159:160], v[128:129], v[132:133]
	s_waitcnt vmcnt(2)
	v_fma_f64 v[128:129], v[155:156], v[130:131], v[128:129]
	s_waitcnt vmcnt(0)
	v_add_f64 v[128:129], v[161:162], -v[128:129]
	buffer_store_dword v129, off, s[0:3], 0 offset:260
	buffer_store_dword v128, off, s[0:3], 0 offset:256
	v_cmpx_lt_u32_e32 31, v0
	s_cbranch_execz .LBB126_325
; %bb.324:
	s_clause 0x1
	buffer_load_dword v128, off, s[0:3], 0 offset:248
	buffer_load_dword v129, off, s[0:3], 0 offset:252
	v_mov_b32_e32 v130, 0
	buffer_store_dword v130, off, s[0:3], 0 offset:248
	buffer_store_dword v130, off, s[0:3], 0 offset:252
	s_waitcnt vmcnt(0)
	ds_write_b64 v127, v[128:129]
.LBB126_325:
	s_or_b32 exec_lo, exec_lo, s4
	s_waitcnt lgkmcnt(0)
	s_waitcnt_vscnt null, 0x0
	s_barrier
	buffer_gl0_inv
	s_clause 0x1c
	buffer_load_dword v137, off, s[0:3], 0 offset:256
	buffer_load_dword v138, off, s[0:3], 0 offset:260
	;; [unrolled: 1-line block ×29, first 2 shown]
	v_mov_b32_e32 v128, 0
	buffer_load_dword v162, off, s[0:3], 0 offset:372
	s_mov_b32 s4, exec_lo
	ds_read_b128 v[129:132], v128 offset:768
	ds_read_b128 v[133:136], v128 offset:784
	s_waitcnt vmcnt(28) lgkmcnt(1)
	v_fma_f64 v[129:130], v[137:138], v[129:130], 0
	s_clause 0x7
	buffer_load_dword v138, off, s[0:3], 0 offset:380
	buffer_load_dword v167, off, s[0:3], 0 offset:400
	buffer_load_dword v169, off, s[0:3], 0 offset:392
	buffer_load_dword v171, off, s[0:3], 0 offset:384
	buffer_load_dword v137, off, s[0:3], 0 offset:376
	buffer_load_dword v172, off, s[0:3], 0 offset:388
	buffer_load_dword v170, off, s[0:3], 0 offset:396
	buffer_load_dword v168, off, s[0:3], 0 offset:404
	s_waitcnt vmcnt(34)
	v_fma_f64 v[129:130], v[139:140], v[131:132], v[129:130]
	s_waitcnt vmcnt(32) lgkmcnt(0)
	v_fma_f64 v[129:130], v[141:142], v[133:134], v[129:130]
	s_waitcnt vmcnt(30)
	v_fma_f64 v[139:140], v[143:144], v[135:136], v[129:130]
	ds_read_b128 v[129:132], v128 offset:800
	ds_read_b128 v[133:136], v128 offset:816
	s_waitcnt vmcnt(28) lgkmcnt(1)
	v_fma_f64 v[129:130], v[145:146], v[129:130], v[139:140]
	s_clause 0x7
	buffer_load_dword v140, off, s[0:3], 0 offset:412
	buffer_load_dword v141, off, s[0:3], 0 offset:432
	buffer_load_dword v143, off, s[0:3], 0 offset:424
	buffer_load_dword v145, off, s[0:3], 0 offset:416
	buffer_load_dword v139, off, s[0:3], 0 offset:408
	buffer_load_dword v146, off, s[0:3], 0 offset:420
	buffer_load_dword v144, off, s[0:3], 0 offset:428
	buffer_load_dword v142, off, s[0:3], 0 offset:436
	s_waitcnt vmcnt(34)
	v_fma_f64 v[129:130], v[147:148], v[131:132], v[129:130]
	s_waitcnt vmcnt(32) lgkmcnt(0)
	v_fma_f64 v[129:130], v[149:150], v[133:134], v[129:130]
	s_waitcnt vmcnt(27)
	v_fma_f64 v[147:148], v[151:152], v[135:136], v[129:130]
	;; [unrolled: 19-line block ×4, first 2 shown]
	ds_read_b128 v[129:132], v128 offset:896
	ds_read_b128 v[133:136], v128 offset:912
	s_waitcnt vmcnt(26) lgkmcnt(1)
	v_fma_f64 v[129:130], v[171:172], v[129:130], v[137:138]
	s_clause 0x1
	buffer_load_dword v137, off, s[0:3], 0 offset:248
	buffer_load_dword v138, off, s[0:3], 0 offset:252
	s_waitcnt vmcnt(27)
	v_fma_f64 v[129:130], v[169:170], v[131:132], v[129:130]
	s_waitcnt vmcnt(26) lgkmcnt(0)
	v_fma_f64 v[129:130], v[167:168], v[133:134], v[129:130]
	s_waitcnt vmcnt(21)
	v_fma_f64 v[139:140], v[139:140], v[135:136], v[129:130]
	ds_read_b128 v[129:132], v128 offset:928
	ds_read_b128 v[133:136], v128 offset:944
	s_waitcnt vmcnt(20) lgkmcnt(1)
	v_fma_f64 v[129:130], v[145:146], v[129:130], v[139:140]
	s_waitcnt vmcnt(19)
	v_fma_f64 v[129:130], v[143:144], v[131:132], v[129:130]
	s_waitcnt vmcnt(18) lgkmcnt(0)
	v_fma_f64 v[129:130], v[141:142], v[133:134], v[129:130]
	s_waitcnt vmcnt(13)
	v_fma_f64 v[139:140], v[147:148], v[135:136], v[129:130]
	ds_read_b128 v[129:132], v128 offset:960
	ds_read_b128 v[133:136], v128 offset:976
	s_waitcnt vmcnt(12) lgkmcnt(1)
	v_fma_f64 v[129:130], v[157:158], v[129:130], v[139:140]
	s_waitcnt vmcnt(11)
	v_fma_f64 v[129:130], v[151:152], v[131:132], v[129:130]
	s_waitcnt vmcnt(10) lgkmcnt(0)
	v_fma_f64 v[129:130], v[149:150], v[133:134], v[129:130]
	s_waitcnt vmcnt(5)
	v_fma_f64 v[133:134], v[153:154], v[135:136], v[129:130]
	ds_read_b128 v[129:132], v128 offset:992
	ds_read_b64 v[135:136], v128 offset:1008
	s_waitcnt vmcnt(4) lgkmcnt(1)
	v_fma_f64 v[129:130], v[165:166], v[129:130], v[133:134]
	s_waitcnt vmcnt(3)
	v_fma_f64 v[129:130], v[159:160], v[131:132], v[129:130]
	s_waitcnt vmcnt(2) lgkmcnt(0)
	v_fma_f64 v[129:130], v[155:156], v[135:136], v[129:130]
	s_waitcnt vmcnt(0)
	v_add_f64 v[129:130], v[137:138], -v[129:130]
	buffer_store_dword v130, off, s[0:3], 0 offset:252
	buffer_store_dword v129, off, s[0:3], 0 offset:248
	v_cmpx_lt_u32_e32 30, v0
	s_cbranch_execz .LBB126_327
; %bb.326:
	s_clause 0x1
	buffer_load_dword v129, off, s[0:3], 0 offset:240
	buffer_load_dword v130, off, s[0:3], 0 offset:244
	buffer_store_dword v128, off, s[0:3], 0 offset:240
	buffer_store_dword v128, off, s[0:3], 0 offset:244
	s_waitcnt vmcnt(0)
	ds_write_b64 v127, v[129:130]
.LBB126_327:
	s_or_b32 exec_lo, exec_lo, s4
	s_waitcnt lgkmcnt(0)
	s_waitcnt_vscnt null, 0x0
	s_barrier
	buffer_gl0_inv
	s_clause 0x1c
	buffer_load_dword v137, off, s[0:3], 0 offset:248
	buffer_load_dword v138, off, s[0:3], 0 offset:252
	;; [unrolled: 1-line block ×29, first 2 shown]
	ds_read2_b64 v[129:132], v128 offset0:95 offset1:96
	ds_read2_b64 v[133:136], v128 offset0:97 offset1:98
	buffer_load_dword v162, off, s[0:3], 0 offset:364
	s_mov_b32 s4, exec_lo
	s_waitcnt vmcnt(28) lgkmcnt(1)
	v_fma_f64 v[129:130], v[137:138], v[129:130], 0
	s_clause 0x7
	buffer_load_dword v138, off, s[0:3], 0 offset:372
	buffer_load_dword v167, off, s[0:3], 0 offset:392
	buffer_load_dword v169, off, s[0:3], 0 offset:384
	buffer_load_dword v171, off, s[0:3], 0 offset:376
	buffer_load_dword v137, off, s[0:3], 0 offset:368
	buffer_load_dword v172, off, s[0:3], 0 offset:380
	buffer_load_dword v170, off, s[0:3], 0 offset:388
	buffer_load_dword v168, off, s[0:3], 0 offset:396
	s_waitcnt vmcnt(34)
	v_fma_f64 v[129:130], v[139:140], v[131:132], v[129:130]
	s_waitcnt vmcnt(32) lgkmcnt(0)
	v_fma_f64 v[129:130], v[141:142], v[133:134], v[129:130]
	s_waitcnt vmcnt(30)
	v_fma_f64 v[139:140], v[143:144], v[135:136], v[129:130]
	ds_read2_b64 v[129:132], v128 offset0:99 offset1:100
	ds_read2_b64 v[133:136], v128 offset0:101 offset1:102
	s_waitcnt vmcnt(28) lgkmcnt(1)
	v_fma_f64 v[129:130], v[145:146], v[129:130], v[139:140]
	s_clause 0x7
	buffer_load_dword v140, off, s[0:3], 0 offset:404
	buffer_load_dword v141, off, s[0:3], 0 offset:424
	buffer_load_dword v143, off, s[0:3], 0 offset:416
	buffer_load_dword v145, off, s[0:3], 0 offset:408
	buffer_load_dword v139, off, s[0:3], 0 offset:400
	buffer_load_dword v146, off, s[0:3], 0 offset:412
	buffer_load_dword v144, off, s[0:3], 0 offset:420
	buffer_load_dword v142, off, s[0:3], 0 offset:428
	s_waitcnt vmcnt(34)
	v_fma_f64 v[129:130], v[147:148], v[131:132], v[129:130]
	s_waitcnt vmcnt(32) lgkmcnt(0)
	v_fma_f64 v[129:130], v[149:150], v[133:134], v[129:130]
	s_waitcnt vmcnt(27)
	v_fma_f64 v[147:148], v[151:152], v[135:136], v[129:130]
	ds_read2_b64 v[129:132], v128 offset0:103 offset1:104
	ds_read2_b64 v[133:136], v128 offset0:105 offset1:106
	;; [unrolled: 19-line block ×4, first 2 shown]
	s_waitcnt vmcnt(26) lgkmcnt(1)
	v_fma_f64 v[129:130], v[171:172], v[129:130], v[137:138]
	s_clause 0x3
	buffer_load_dword v138, off, s[0:3], 0 offset:500
	buffer_load_dword v137, off, s[0:3], 0 offset:496
	;; [unrolled: 1-line block ×4, first 2 shown]
	s_waitcnt vmcnt(29)
	v_fma_f64 v[129:130], v[169:170], v[131:132], v[129:130]
	s_waitcnt vmcnt(28) lgkmcnt(0)
	v_fma_f64 v[129:130], v[167:168], v[133:134], v[129:130]
	s_waitcnt vmcnt(23)
	v_fma_f64 v[139:140], v[139:140], v[135:136], v[129:130]
	ds_read2_b64 v[129:132], v128 offset0:115 offset1:116
	ds_read2_b64 v[133:136], v128 offset0:117 offset1:118
	s_waitcnt vmcnt(22) lgkmcnt(1)
	v_fma_f64 v[129:130], v[145:146], v[129:130], v[139:140]
	s_waitcnt vmcnt(21)
	v_fma_f64 v[129:130], v[143:144], v[131:132], v[129:130]
	s_waitcnt vmcnt(20) lgkmcnt(0)
	v_fma_f64 v[129:130], v[141:142], v[133:134], v[129:130]
	s_waitcnt vmcnt(15)
	v_fma_f64 v[139:140], v[147:148], v[135:136], v[129:130]
	ds_read2_b64 v[129:132], v128 offset0:119 offset1:120
	ds_read2_b64 v[133:136], v128 offset0:121 offset1:122
	s_waitcnt vmcnt(14) lgkmcnt(1)
	v_fma_f64 v[129:130], v[157:158], v[129:130], v[139:140]
	;; [unrolled: 10-line block ×3, first 2 shown]
	s_waitcnt vmcnt(5)
	v_fma_f64 v[128:129], v[159:160], v[131:132], v[128:129]
	s_waitcnt vmcnt(4) lgkmcnt(0)
	v_fma_f64 v[128:129], v[155:156], v[133:134], v[128:129]
	s_waitcnt vmcnt(2)
	v_fma_f64 v[128:129], v[137:138], v[135:136], v[128:129]
	s_waitcnt vmcnt(0)
	v_add_f64 v[128:129], v[161:162], -v[128:129]
	buffer_store_dword v129, off, s[0:3], 0 offset:244
	buffer_store_dword v128, off, s[0:3], 0 offset:240
	v_cmpx_lt_u32_e32 29, v0
	s_cbranch_execz .LBB126_329
; %bb.328:
	s_clause 0x1
	buffer_load_dword v128, off, s[0:3], 0 offset:232
	buffer_load_dword v129, off, s[0:3], 0 offset:236
	v_mov_b32_e32 v130, 0
	buffer_store_dword v130, off, s[0:3], 0 offset:232
	buffer_store_dword v130, off, s[0:3], 0 offset:236
	s_waitcnt vmcnt(0)
	ds_write_b64 v127, v[128:129]
.LBB126_329:
	s_or_b32 exec_lo, exec_lo, s4
	s_waitcnt lgkmcnt(0)
	s_waitcnt_vscnt null, 0x0
	s_barrier
	buffer_gl0_inv
	s_clause 0x1c
	buffer_load_dword v137, off, s[0:3], 0 offset:240
	buffer_load_dword v138, off, s[0:3], 0 offset:244
	;; [unrolled: 1-line block ×29, first 2 shown]
	v_mov_b32_e32 v128, 0
	buffer_load_dword v162, off, s[0:3], 0 offset:356
	s_mov_b32 s4, exec_lo
	ds_read_b128 v[129:132], v128 offset:752
	ds_read_b128 v[133:136], v128 offset:768
	s_waitcnt vmcnt(28) lgkmcnt(1)
	v_fma_f64 v[129:130], v[137:138], v[129:130], 0
	s_clause 0x7
	buffer_load_dword v138, off, s[0:3], 0 offset:364
	buffer_load_dword v167, off, s[0:3], 0 offset:384
	buffer_load_dword v169, off, s[0:3], 0 offset:376
	buffer_load_dword v171, off, s[0:3], 0 offset:368
	buffer_load_dword v137, off, s[0:3], 0 offset:360
	buffer_load_dword v172, off, s[0:3], 0 offset:372
	buffer_load_dword v170, off, s[0:3], 0 offset:380
	buffer_load_dword v168, off, s[0:3], 0 offset:388
	s_waitcnt vmcnt(34)
	v_fma_f64 v[129:130], v[139:140], v[131:132], v[129:130]
	s_waitcnt vmcnt(32) lgkmcnt(0)
	v_fma_f64 v[129:130], v[141:142], v[133:134], v[129:130]
	s_waitcnt vmcnt(30)
	v_fma_f64 v[139:140], v[143:144], v[135:136], v[129:130]
	ds_read_b128 v[129:132], v128 offset:784
	ds_read_b128 v[133:136], v128 offset:800
	s_waitcnt vmcnt(28) lgkmcnt(1)
	v_fma_f64 v[129:130], v[145:146], v[129:130], v[139:140]
	s_clause 0x7
	buffer_load_dword v140, off, s[0:3], 0 offset:396
	buffer_load_dword v141, off, s[0:3], 0 offset:416
	buffer_load_dword v143, off, s[0:3], 0 offset:408
	buffer_load_dword v145, off, s[0:3], 0 offset:400
	buffer_load_dword v139, off, s[0:3], 0 offset:392
	buffer_load_dword v146, off, s[0:3], 0 offset:404
	buffer_load_dword v144, off, s[0:3], 0 offset:412
	buffer_load_dword v142, off, s[0:3], 0 offset:420
	s_waitcnt vmcnt(34)
	v_fma_f64 v[129:130], v[147:148], v[131:132], v[129:130]
	s_waitcnt vmcnt(32) lgkmcnt(0)
	v_fma_f64 v[129:130], v[149:150], v[133:134], v[129:130]
	s_waitcnt vmcnt(27)
	v_fma_f64 v[147:148], v[151:152], v[135:136], v[129:130]
	;; [unrolled: 19-line block ×4, first 2 shown]
	ds_read_b128 v[129:132], v128 offset:880
	ds_read_b128 v[133:136], v128 offset:896
	s_waitcnt vmcnt(26) lgkmcnt(1)
	v_fma_f64 v[129:130], v[171:172], v[129:130], v[137:138]
	s_clause 0x5
	buffer_load_dword v138, off, s[0:3], 0 offset:492
	buffer_load_dword v161, off, s[0:3], 0 offset:496
	;; [unrolled: 1-line block ×6, first 2 shown]
	s_waitcnt vmcnt(31)
	v_fma_f64 v[129:130], v[169:170], v[131:132], v[129:130]
	s_waitcnt vmcnt(30) lgkmcnt(0)
	v_fma_f64 v[129:130], v[167:168], v[133:134], v[129:130]
	s_waitcnt vmcnt(25)
	v_fma_f64 v[139:140], v[139:140], v[135:136], v[129:130]
	ds_read_b128 v[129:132], v128 offset:912
	ds_read_b128 v[133:136], v128 offset:928
	s_waitcnt vmcnt(24) lgkmcnt(1)
	v_fma_f64 v[129:130], v[145:146], v[129:130], v[139:140]
	s_waitcnt vmcnt(23)
	v_fma_f64 v[129:130], v[143:144], v[131:132], v[129:130]
	s_waitcnt vmcnt(22) lgkmcnt(0)
	v_fma_f64 v[129:130], v[141:142], v[133:134], v[129:130]
	s_waitcnt vmcnt(17)
	v_fma_f64 v[139:140], v[147:148], v[135:136], v[129:130]
	ds_read_b128 v[129:132], v128 offset:944
	ds_read_b128 v[133:136], v128 offset:960
	s_waitcnt vmcnt(16) lgkmcnt(1)
	v_fma_f64 v[129:130], v[157:158], v[129:130], v[139:140]
	s_waitcnt vmcnt(15)
	v_fma_f64 v[129:130], v[151:152], v[131:132], v[129:130]
	s_waitcnt vmcnt(14) lgkmcnt(0)
	v_fma_f64 v[129:130], v[149:150], v[133:134], v[129:130]
	s_waitcnt vmcnt(9)
	v_fma_f64 v[139:140], v[153:154], v[135:136], v[129:130]
	ds_read_b128 v[129:132], v128 offset:976
	ds_read_b128 v[133:136], v128 offset:992
	s_waitcnt vmcnt(8) lgkmcnt(1)
	v_fma_f64 v[129:130], v[165:166], v[129:130], v[139:140]
	s_waitcnt vmcnt(7)
	v_fma_f64 v[129:130], v[159:160], v[131:132], v[129:130]
	ds_read_b64 v[131:132], v128 offset:1008
	s_waitcnt vmcnt(6) lgkmcnt(1)
	v_fma_f64 v[129:130], v[155:156], v[133:134], v[129:130]
	s_waitcnt vmcnt(3)
	v_fma_f64 v[129:130], v[137:138], v[135:136], v[129:130]
	s_waitcnt vmcnt(2) lgkmcnt(0)
	v_fma_f64 v[129:130], v[161:162], v[131:132], v[129:130]
	s_waitcnt vmcnt(0)
	v_add_f64 v[129:130], v[163:164], -v[129:130]
	buffer_store_dword v130, off, s[0:3], 0 offset:236
	buffer_store_dword v129, off, s[0:3], 0 offset:232
	v_cmpx_lt_u32_e32 28, v0
	s_cbranch_execz .LBB126_331
; %bb.330:
	s_clause 0x1
	buffer_load_dword v129, off, s[0:3], 0 offset:224
	buffer_load_dword v130, off, s[0:3], 0 offset:228
	buffer_store_dword v128, off, s[0:3], 0 offset:224
	buffer_store_dword v128, off, s[0:3], 0 offset:228
	s_waitcnt vmcnt(0)
	ds_write_b64 v127, v[129:130]
.LBB126_331:
	s_or_b32 exec_lo, exec_lo, s4
	s_waitcnt lgkmcnt(0)
	s_waitcnt_vscnt null, 0x0
	s_barrier
	buffer_gl0_inv
	s_clause 0x1c
	buffer_load_dword v137, off, s[0:3], 0 offset:232
	buffer_load_dword v138, off, s[0:3], 0 offset:236
	;; [unrolled: 1-line block ×29, first 2 shown]
	ds_read2_b64 v[129:132], v128 offset0:93 offset1:94
	ds_read2_b64 v[133:136], v128 offset0:95 offset1:96
	buffer_load_dword v162, off, s[0:3], 0 offset:348
	s_mov_b32 s4, exec_lo
	s_waitcnt vmcnt(28) lgkmcnt(1)
	v_fma_f64 v[129:130], v[137:138], v[129:130], 0
	s_clause 0x7
	buffer_load_dword v138, off, s[0:3], 0 offset:356
	buffer_load_dword v167, off, s[0:3], 0 offset:376
	buffer_load_dword v169, off, s[0:3], 0 offset:368
	buffer_load_dword v171, off, s[0:3], 0 offset:360
	buffer_load_dword v137, off, s[0:3], 0 offset:352
	buffer_load_dword v172, off, s[0:3], 0 offset:364
	buffer_load_dword v170, off, s[0:3], 0 offset:372
	buffer_load_dword v168, off, s[0:3], 0 offset:380
	s_waitcnt vmcnt(34)
	v_fma_f64 v[129:130], v[139:140], v[131:132], v[129:130]
	s_waitcnt vmcnt(32) lgkmcnt(0)
	v_fma_f64 v[129:130], v[141:142], v[133:134], v[129:130]
	s_waitcnt vmcnt(30)
	v_fma_f64 v[139:140], v[143:144], v[135:136], v[129:130]
	ds_read2_b64 v[129:132], v128 offset0:97 offset1:98
	ds_read2_b64 v[133:136], v128 offset0:99 offset1:100
	s_waitcnt vmcnt(28) lgkmcnt(1)
	v_fma_f64 v[129:130], v[145:146], v[129:130], v[139:140]
	s_clause 0x7
	buffer_load_dword v140, off, s[0:3], 0 offset:388
	buffer_load_dword v141, off, s[0:3], 0 offset:408
	buffer_load_dword v143, off, s[0:3], 0 offset:400
	buffer_load_dword v145, off, s[0:3], 0 offset:392
	buffer_load_dword v139, off, s[0:3], 0 offset:384
	buffer_load_dword v146, off, s[0:3], 0 offset:396
	buffer_load_dword v144, off, s[0:3], 0 offset:404
	buffer_load_dword v142, off, s[0:3], 0 offset:412
	s_waitcnt vmcnt(34)
	v_fma_f64 v[129:130], v[147:148], v[131:132], v[129:130]
	s_waitcnt vmcnt(32) lgkmcnt(0)
	v_fma_f64 v[129:130], v[149:150], v[133:134], v[129:130]
	s_waitcnt vmcnt(27)
	v_fma_f64 v[147:148], v[151:152], v[135:136], v[129:130]
	ds_read2_b64 v[129:132], v128 offset0:101 offset1:102
	ds_read2_b64 v[133:136], v128 offset0:103 offset1:104
	;; [unrolled: 19-line block ×4, first 2 shown]
	s_waitcnt vmcnt(26) lgkmcnt(1)
	v_fma_f64 v[129:130], v[171:172], v[129:130], v[137:138]
	s_clause 0x5
	buffer_load_dword v138, off, s[0:3], 0 offset:484
	buffer_load_dword v161, off, s[0:3], 0 offset:496
	;; [unrolled: 1-line block ×6, first 2 shown]
	s_waitcnt vmcnt(31)
	v_fma_f64 v[129:130], v[169:170], v[131:132], v[129:130]
	s_waitcnt vmcnt(30) lgkmcnt(0)
	v_fma_f64 v[129:130], v[167:168], v[133:134], v[129:130]
	s_waitcnt vmcnt(25)
	v_fma_f64 v[139:140], v[139:140], v[135:136], v[129:130]
	ds_read2_b64 v[129:132], v128 offset0:113 offset1:114
	s_clause 0x1
	buffer_load_dword v167, off, s[0:3], 0 offset:224
	buffer_load_dword v168, off, s[0:3], 0 offset:228
	ds_read2_b64 v[133:136], v128 offset0:115 offset1:116
	s_waitcnt vmcnt(26) lgkmcnt(1)
	v_fma_f64 v[129:130], v[145:146], v[129:130], v[139:140]
	s_waitcnt vmcnt(25)
	v_fma_f64 v[129:130], v[143:144], v[131:132], v[129:130]
	s_waitcnt vmcnt(24) lgkmcnt(0)
	v_fma_f64 v[129:130], v[141:142], v[133:134], v[129:130]
	s_waitcnt vmcnt(19)
	v_fma_f64 v[139:140], v[147:148], v[135:136], v[129:130]
	ds_read2_b64 v[129:132], v128 offset0:117 offset1:118
	ds_read2_b64 v[133:136], v128 offset0:119 offset1:120
	s_waitcnt vmcnt(18) lgkmcnt(1)
	v_fma_f64 v[129:130], v[157:158], v[129:130], v[139:140]
	s_waitcnt vmcnt(17)
	v_fma_f64 v[129:130], v[151:152], v[131:132], v[129:130]
	s_waitcnt vmcnt(16) lgkmcnt(0)
	v_fma_f64 v[129:130], v[149:150], v[133:134], v[129:130]
	s_waitcnt vmcnt(11)
	v_fma_f64 v[139:140], v[153:154], v[135:136], v[129:130]
	ds_read2_b64 v[129:132], v128 offset0:121 offset1:122
	;; [unrolled: 10-line block ×3, first 2 shown]
	s_waitcnt vmcnt(3) lgkmcnt(0)
	v_fma_f64 v[128:129], v[163:164], v[128:129], v[132:133]
	s_waitcnt vmcnt(2)
	v_fma_f64 v[128:129], v[161:162], v[130:131], v[128:129]
	s_waitcnt vmcnt(0)
	v_add_f64 v[128:129], v[167:168], -v[128:129]
	buffer_store_dword v129, off, s[0:3], 0 offset:228
	buffer_store_dword v128, off, s[0:3], 0 offset:224
	v_cmpx_lt_u32_e32 27, v0
	s_cbranch_execz .LBB126_333
; %bb.332:
	s_clause 0x1
	buffer_load_dword v128, off, s[0:3], 0 offset:216
	buffer_load_dword v129, off, s[0:3], 0 offset:220
	v_mov_b32_e32 v130, 0
	buffer_store_dword v130, off, s[0:3], 0 offset:216
	buffer_store_dword v130, off, s[0:3], 0 offset:220
	s_waitcnt vmcnt(0)
	ds_write_b64 v127, v[128:129]
.LBB126_333:
	s_or_b32 exec_lo, exec_lo, s4
	s_waitcnt lgkmcnt(0)
	s_waitcnt_vscnt null, 0x0
	s_barrier
	buffer_gl0_inv
	s_clause 0x1c
	buffer_load_dword v137, off, s[0:3], 0 offset:224
	buffer_load_dword v138, off, s[0:3], 0 offset:228
	;; [unrolled: 1-line block ×29, first 2 shown]
	v_mov_b32_e32 v128, 0
	buffer_load_dword v162, off, s[0:3], 0 offset:340
	s_mov_b32 s4, exec_lo
	ds_read_b128 v[129:132], v128 offset:736
	ds_read_b128 v[133:136], v128 offset:752
	s_waitcnt vmcnt(28) lgkmcnt(1)
	v_fma_f64 v[129:130], v[137:138], v[129:130], 0
	s_clause 0x7
	buffer_load_dword v138, off, s[0:3], 0 offset:348
	buffer_load_dword v167, off, s[0:3], 0 offset:368
	buffer_load_dword v169, off, s[0:3], 0 offset:360
	buffer_load_dword v171, off, s[0:3], 0 offset:352
	buffer_load_dword v137, off, s[0:3], 0 offset:344
	buffer_load_dword v172, off, s[0:3], 0 offset:356
	buffer_load_dword v170, off, s[0:3], 0 offset:364
	buffer_load_dword v168, off, s[0:3], 0 offset:372
	s_waitcnt vmcnt(34)
	v_fma_f64 v[129:130], v[139:140], v[131:132], v[129:130]
	s_waitcnt vmcnt(32) lgkmcnt(0)
	v_fma_f64 v[129:130], v[141:142], v[133:134], v[129:130]
	s_waitcnt vmcnt(30)
	v_fma_f64 v[139:140], v[143:144], v[135:136], v[129:130]
	ds_read_b128 v[129:132], v128 offset:768
	ds_read_b128 v[133:136], v128 offset:784
	s_waitcnt vmcnt(28) lgkmcnt(1)
	v_fma_f64 v[129:130], v[145:146], v[129:130], v[139:140]
	s_clause 0x7
	buffer_load_dword v140, off, s[0:3], 0 offset:380
	buffer_load_dword v141, off, s[0:3], 0 offset:400
	buffer_load_dword v143, off, s[0:3], 0 offset:392
	buffer_load_dword v145, off, s[0:3], 0 offset:384
	buffer_load_dword v139, off, s[0:3], 0 offset:376
	buffer_load_dword v146, off, s[0:3], 0 offset:388
	buffer_load_dword v144, off, s[0:3], 0 offset:396
	buffer_load_dword v142, off, s[0:3], 0 offset:404
	s_waitcnt vmcnt(34)
	v_fma_f64 v[129:130], v[147:148], v[131:132], v[129:130]
	s_waitcnt vmcnt(32) lgkmcnt(0)
	v_fma_f64 v[129:130], v[149:150], v[133:134], v[129:130]
	s_waitcnt vmcnt(27)
	v_fma_f64 v[147:148], v[151:152], v[135:136], v[129:130]
	;; [unrolled: 19-line block ×5, first 2 shown]
	ds_read_b128 v[129:132], v128 offset:896
	ds_read_b128 v[133:136], v128 offset:912
	s_waitcnt vmcnt(26) lgkmcnt(1)
	v_fma_f64 v[129:130], v[145:146], v[129:130], v[139:140]
	s_clause 0x1
	buffer_load_dword v139, off, s[0:3], 0 offset:216
	buffer_load_dword v140, off, s[0:3], 0 offset:220
	s_waitcnt vmcnt(27)
	v_fma_f64 v[129:130], v[143:144], v[131:132], v[129:130]
	s_waitcnt vmcnt(26) lgkmcnt(0)
	v_fma_f64 v[129:130], v[141:142], v[133:134], v[129:130]
	s_waitcnt vmcnt(21)
	v_fma_f64 v[141:142], v[147:148], v[135:136], v[129:130]
	ds_read_b128 v[129:132], v128 offset:928
	ds_read_b128 v[133:136], v128 offset:944
	s_waitcnt vmcnt(20) lgkmcnt(1)
	v_fma_f64 v[129:130], v[157:158], v[129:130], v[141:142]
	s_waitcnt vmcnt(19)
	v_fma_f64 v[129:130], v[151:152], v[131:132], v[129:130]
	s_waitcnt vmcnt(18) lgkmcnt(0)
	v_fma_f64 v[129:130], v[149:150], v[133:134], v[129:130]
	s_waitcnt vmcnt(13)
	v_fma_f64 v[141:142], v[153:154], v[135:136], v[129:130]
	ds_read_b128 v[129:132], v128 offset:960
	ds_read_b128 v[133:136], v128 offset:976
	s_waitcnt vmcnt(12) lgkmcnt(1)
	v_fma_f64 v[129:130], v[165:166], v[129:130], v[141:142]
	s_waitcnt vmcnt(11)
	v_fma_f64 v[129:130], v[159:160], v[131:132], v[129:130]
	s_waitcnt vmcnt(10) lgkmcnt(0)
	v_fma_f64 v[129:130], v[155:156], v[133:134], v[129:130]
	s_waitcnt vmcnt(5)
	v_fma_f64 v[133:134], v[137:138], v[135:136], v[129:130]
	ds_read_b128 v[129:132], v128 offset:992
	ds_read_b64 v[135:136], v128 offset:1008
	s_waitcnt vmcnt(4) lgkmcnt(1)
	v_fma_f64 v[129:130], v[171:172], v[129:130], v[133:134]
	s_waitcnt vmcnt(3)
	v_fma_f64 v[129:130], v[163:164], v[131:132], v[129:130]
	s_waitcnt vmcnt(2) lgkmcnt(0)
	v_fma_f64 v[129:130], v[161:162], v[135:136], v[129:130]
	s_waitcnt vmcnt(0)
	v_add_f64 v[129:130], v[139:140], -v[129:130]
	buffer_store_dword v130, off, s[0:3], 0 offset:220
	buffer_store_dword v129, off, s[0:3], 0 offset:216
	v_cmpx_lt_u32_e32 26, v0
	s_cbranch_execz .LBB126_335
; %bb.334:
	s_clause 0x1
	buffer_load_dword v129, off, s[0:3], 0 offset:208
	buffer_load_dword v130, off, s[0:3], 0 offset:212
	buffer_store_dword v128, off, s[0:3], 0 offset:208
	buffer_store_dword v128, off, s[0:3], 0 offset:212
	s_waitcnt vmcnt(0)
	ds_write_b64 v127, v[129:130]
.LBB126_335:
	s_or_b32 exec_lo, exec_lo, s4
	s_waitcnt lgkmcnt(0)
	s_waitcnt_vscnt null, 0x0
	s_barrier
	buffer_gl0_inv
	s_clause 0x1c
	buffer_load_dword v137, off, s[0:3], 0 offset:216
	buffer_load_dword v138, off, s[0:3], 0 offset:220
	;; [unrolled: 1-line block ×29, first 2 shown]
	ds_read2_b64 v[129:132], v128 offset0:91 offset1:92
	ds_read2_b64 v[133:136], v128 offset0:93 offset1:94
	buffer_load_dword v162, off, s[0:3], 0 offset:332
	s_mov_b32 s4, exec_lo
	s_waitcnt vmcnt(28) lgkmcnt(1)
	v_fma_f64 v[129:130], v[137:138], v[129:130], 0
	s_clause 0x7
	buffer_load_dword v138, off, s[0:3], 0 offset:340
	buffer_load_dword v167, off, s[0:3], 0 offset:360
	buffer_load_dword v169, off, s[0:3], 0 offset:352
	buffer_load_dword v171, off, s[0:3], 0 offset:344
	buffer_load_dword v137, off, s[0:3], 0 offset:336
	buffer_load_dword v172, off, s[0:3], 0 offset:348
	buffer_load_dword v170, off, s[0:3], 0 offset:356
	buffer_load_dword v168, off, s[0:3], 0 offset:364
	s_waitcnt vmcnt(34)
	v_fma_f64 v[129:130], v[139:140], v[131:132], v[129:130]
	s_waitcnt vmcnt(32) lgkmcnt(0)
	v_fma_f64 v[129:130], v[141:142], v[133:134], v[129:130]
	s_waitcnt vmcnt(30)
	v_fma_f64 v[139:140], v[143:144], v[135:136], v[129:130]
	ds_read2_b64 v[129:132], v128 offset0:95 offset1:96
	ds_read2_b64 v[133:136], v128 offset0:97 offset1:98
	s_waitcnt vmcnt(28) lgkmcnt(1)
	v_fma_f64 v[129:130], v[145:146], v[129:130], v[139:140]
	s_clause 0x7
	buffer_load_dword v140, off, s[0:3], 0 offset:372
	buffer_load_dword v141, off, s[0:3], 0 offset:392
	buffer_load_dword v143, off, s[0:3], 0 offset:384
	buffer_load_dword v145, off, s[0:3], 0 offset:376
	buffer_load_dword v139, off, s[0:3], 0 offset:368
	buffer_load_dword v146, off, s[0:3], 0 offset:380
	buffer_load_dword v144, off, s[0:3], 0 offset:388
	buffer_load_dword v142, off, s[0:3], 0 offset:396
	s_waitcnt vmcnt(34)
	v_fma_f64 v[129:130], v[147:148], v[131:132], v[129:130]
	s_waitcnt vmcnt(32) lgkmcnt(0)
	v_fma_f64 v[129:130], v[149:150], v[133:134], v[129:130]
	s_waitcnt vmcnt(27)
	v_fma_f64 v[147:148], v[151:152], v[135:136], v[129:130]
	ds_read2_b64 v[129:132], v128 offset0:99 offset1:100
	ds_read2_b64 v[133:136], v128 offset0:101 offset1:102
	;; [unrolled: 19-line block ×5, first 2 shown]
	s_waitcnt vmcnt(26) lgkmcnt(1)
	v_fma_f64 v[129:130], v[145:146], v[129:130], v[139:140]
	s_clause 0x1
	buffer_load_dword v140, off, s[0:3], 0 offset:500
	buffer_load_dword v139, off, s[0:3], 0 offset:496
	s_waitcnt vmcnt(27)
	v_fma_f64 v[129:130], v[143:144], v[131:132], v[129:130]
	s_clause 0x1
	buffer_load_dword v143, off, s[0:3], 0 offset:208
	buffer_load_dword v144, off, s[0:3], 0 offset:212
	s_waitcnt vmcnt(28) lgkmcnt(0)
	v_fma_f64 v[129:130], v[141:142], v[133:134], v[129:130]
	s_waitcnt vmcnt(23)
	v_fma_f64 v[141:142], v[147:148], v[135:136], v[129:130]
	ds_read2_b64 v[129:132], v128 offset0:115 offset1:116
	ds_read2_b64 v[133:136], v128 offset0:117 offset1:118
	s_waitcnt vmcnt(22) lgkmcnt(1)
	v_fma_f64 v[129:130], v[157:158], v[129:130], v[141:142]
	s_waitcnt vmcnt(21)
	v_fma_f64 v[129:130], v[151:152], v[131:132], v[129:130]
	s_waitcnt vmcnt(20) lgkmcnt(0)
	v_fma_f64 v[129:130], v[149:150], v[133:134], v[129:130]
	s_waitcnt vmcnt(15)
	v_fma_f64 v[141:142], v[153:154], v[135:136], v[129:130]
	ds_read2_b64 v[129:132], v128 offset0:119 offset1:120
	ds_read2_b64 v[133:136], v128 offset0:121 offset1:122
	s_waitcnt vmcnt(14) lgkmcnt(1)
	v_fma_f64 v[129:130], v[165:166], v[129:130], v[141:142]
	s_waitcnt vmcnt(13)
	v_fma_f64 v[129:130], v[159:160], v[131:132], v[129:130]
	;; [unrolled: 10-line block ×3, first 2 shown]
	s_waitcnt vmcnt(4) lgkmcnt(0)
	v_fma_f64 v[128:129], v[161:162], v[133:134], v[128:129]
	s_waitcnt vmcnt(2)
	v_fma_f64 v[128:129], v[139:140], v[135:136], v[128:129]
	s_waitcnt vmcnt(0)
	v_add_f64 v[128:129], v[143:144], -v[128:129]
	buffer_store_dword v129, off, s[0:3], 0 offset:212
	buffer_store_dword v128, off, s[0:3], 0 offset:208
	v_cmpx_lt_u32_e32 25, v0
	s_cbranch_execz .LBB126_337
; %bb.336:
	s_clause 0x1
	buffer_load_dword v128, off, s[0:3], 0 offset:200
	buffer_load_dword v129, off, s[0:3], 0 offset:204
	v_mov_b32_e32 v130, 0
	buffer_store_dword v130, off, s[0:3], 0 offset:200
	buffer_store_dword v130, off, s[0:3], 0 offset:204
	s_waitcnt vmcnt(0)
	ds_write_b64 v127, v[128:129]
.LBB126_337:
	s_or_b32 exec_lo, exec_lo, s4
	s_waitcnt lgkmcnt(0)
	s_waitcnt_vscnt null, 0x0
	s_barrier
	buffer_gl0_inv
	s_clause 0x1c
	buffer_load_dword v137, off, s[0:3], 0 offset:208
	buffer_load_dword v138, off, s[0:3], 0 offset:212
	;; [unrolled: 1-line block ×29, first 2 shown]
	v_mov_b32_e32 v128, 0
	buffer_load_dword v162, off, s[0:3], 0 offset:324
	s_mov_b32 s4, exec_lo
	ds_read_b128 v[129:132], v128 offset:720
	ds_read_b128 v[133:136], v128 offset:736
	s_waitcnt vmcnt(28) lgkmcnt(1)
	v_fma_f64 v[129:130], v[137:138], v[129:130], 0
	s_clause 0x7
	buffer_load_dword v138, off, s[0:3], 0 offset:332
	buffer_load_dword v167, off, s[0:3], 0 offset:352
	buffer_load_dword v169, off, s[0:3], 0 offset:344
	buffer_load_dword v171, off, s[0:3], 0 offset:336
	buffer_load_dword v137, off, s[0:3], 0 offset:328
	buffer_load_dword v172, off, s[0:3], 0 offset:340
	buffer_load_dword v170, off, s[0:3], 0 offset:348
	buffer_load_dword v168, off, s[0:3], 0 offset:356
	s_waitcnt vmcnt(34)
	v_fma_f64 v[129:130], v[139:140], v[131:132], v[129:130]
	s_waitcnt vmcnt(32) lgkmcnt(0)
	v_fma_f64 v[129:130], v[141:142], v[133:134], v[129:130]
	s_waitcnt vmcnt(30)
	v_fma_f64 v[139:140], v[143:144], v[135:136], v[129:130]
	ds_read_b128 v[129:132], v128 offset:752
	ds_read_b128 v[133:136], v128 offset:768
	s_waitcnt vmcnt(28) lgkmcnt(1)
	v_fma_f64 v[129:130], v[145:146], v[129:130], v[139:140]
	s_clause 0x7
	buffer_load_dword v140, off, s[0:3], 0 offset:364
	buffer_load_dword v141, off, s[0:3], 0 offset:384
	buffer_load_dword v143, off, s[0:3], 0 offset:376
	buffer_load_dword v145, off, s[0:3], 0 offset:368
	buffer_load_dword v139, off, s[0:3], 0 offset:360
	buffer_load_dword v146, off, s[0:3], 0 offset:372
	buffer_load_dword v144, off, s[0:3], 0 offset:380
	buffer_load_dword v142, off, s[0:3], 0 offset:388
	s_waitcnt vmcnt(34)
	v_fma_f64 v[129:130], v[147:148], v[131:132], v[129:130]
	s_waitcnt vmcnt(32) lgkmcnt(0)
	v_fma_f64 v[129:130], v[149:150], v[133:134], v[129:130]
	s_waitcnt vmcnt(27)
	v_fma_f64 v[147:148], v[151:152], v[135:136], v[129:130]
	;; [unrolled: 19-line block ×5, first 2 shown]
	ds_read_b128 v[129:132], v128 offset:880
	ds_read_b128 v[133:136], v128 offset:896
	s_waitcnt vmcnt(26) lgkmcnt(1)
	v_fma_f64 v[129:130], v[145:146], v[129:130], v[139:140]
	s_clause 0x3
	buffer_load_dword v140, off, s[0:3], 0 offset:492
	buffer_load_dword v145, off, s[0:3], 0 offset:496
	;; [unrolled: 1-line block ×4, first 2 shown]
	s_waitcnt vmcnt(29)
	v_fma_f64 v[129:130], v[143:144], v[131:132], v[129:130]
	s_waitcnt vmcnt(28) lgkmcnt(0)
	v_fma_f64 v[129:130], v[141:142], v[133:134], v[129:130]
	s_clause 0x1
	buffer_load_dword v141, off, s[0:3], 0 offset:200
	buffer_load_dword v142, off, s[0:3], 0 offset:204
	s_waitcnt vmcnt(25)
	v_fma_f64 v[143:144], v[147:148], v[135:136], v[129:130]
	ds_read_b128 v[129:132], v128 offset:912
	ds_read_b128 v[133:136], v128 offset:928
	s_waitcnt vmcnt(24) lgkmcnt(1)
	v_fma_f64 v[129:130], v[157:158], v[129:130], v[143:144]
	s_waitcnt vmcnt(23)
	v_fma_f64 v[129:130], v[151:152], v[131:132], v[129:130]
	s_waitcnt vmcnt(22) lgkmcnt(0)
	v_fma_f64 v[129:130], v[149:150], v[133:134], v[129:130]
	s_waitcnt vmcnt(17)
	v_fma_f64 v[143:144], v[153:154], v[135:136], v[129:130]
	ds_read_b128 v[129:132], v128 offset:944
	ds_read_b128 v[133:136], v128 offset:960
	s_waitcnt vmcnt(16) lgkmcnt(1)
	v_fma_f64 v[129:130], v[165:166], v[129:130], v[143:144]
	s_waitcnt vmcnt(15)
	v_fma_f64 v[129:130], v[159:160], v[131:132], v[129:130]
	s_waitcnt vmcnt(14) lgkmcnt(0)
	v_fma_f64 v[129:130], v[155:156], v[133:134], v[129:130]
	s_waitcnt vmcnt(9)
	v_fma_f64 v[137:138], v[137:138], v[135:136], v[129:130]
	ds_read_b128 v[129:132], v128 offset:976
	ds_read_b128 v[133:136], v128 offset:992
	s_waitcnt vmcnt(8) lgkmcnt(1)
	v_fma_f64 v[129:130], v[171:172], v[129:130], v[137:138]
	s_waitcnt vmcnt(7)
	v_fma_f64 v[129:130], v[163:164], v[131:132], v[129:130]
	ds_read_b64 v[131:132], v128 offset:1008
	s_waitcnt vmcnt(6) lgkmcnt(1)
	v_fma_f64 v[129:130], v[161:162], v[133:134], v[129:130]
	s_waitcnt vmcnt(3)
	v_fma_f64 v[129:130], v[139:140], v[135:136], v[129:130]
	s_waitcnt vmcnt(2) lgkmcnt(0)
	v_fma_f64 v[129:130], v[145:146], v[131:132], v[129:130]
	s_waitcnt vmcnt(0)
	v_add_f64 v[129:130], v[141:142], -v[129:130]
	buffer_store_dword v130, off, s[0:3], 0 offset:204
	buffer_store_dword v129, off, s[0:3], 0 offset:200
	v_cmpx_lt_u32_e32 24, v0
	s_cbranch_execz .LBB126_339
; %bb.338:
	s_clause 0x1
	buffer_load_dword v129, off, s[0:3], 0 offset:192
	buffer_load_dword v130, off, s[0:3], 0 offset:196
	buffer_store_dword v128, off, s[0:3], 0 offset:192
	buffer_store_dword v128, off, s[0:3], 0 offset:196
	s_waitcnt vmcnt(0)
	ds_write_b64 v127, v[129:130]
.LBB126_339:
	s_or_b32 exec_lo, exec_lo, s4
	s_waitcnt lgkmcnt(0)
	s_waitcnt_vscnt null, 0x0
	s_barrier
	buffer_gl0_inv
	s_clause 0x1c
	buffer_load_dword v137, off, s[0:3], 0 offset:200
	buffer_load_dword v138, off, s[0:3], 0 offset:204
	;; [unrolled: 1-line block ×29, first 2 shown]
	ds_read2_b64 v[129:132], v128 offset0:89 offset1:90
	ds_read2_b64 v[133:136], v128 offset0:91 offset1:92
	buffer_load_dword v162, off, s[0:3], 0 offset:316
	s_mov_b32 s4, exec_lo
	s_waitcnt vmcnt(28) lgkmcnt(1)
	v_fma_f64 v[129:130], v[137:138], v[129:130], 0
	s_clause 0x7
	buffer_load_dword v138, off, s[0:3], 0 offset:324
	buffer_load_dword v167, off, s[0:3], 0 offset:344
	buffer_load_dword v169, off, s[0:3], 0 offset:336
	buffer_load_dword v171, off, s[0:3], 0 offset:328
	buffer_load_dword v137, off, s[0:3], 0 offset:320
	buffer_load_dword v172, off, s[0:3], 0 offset:332
	buffer_load_dword v170, off, s[0:3], 0 offset:340
	buffer_load_dword v168, off, s[0:3], 0 offset:348
	s_waitcnt vmcnt(34)
	v_fma_f64 v[129:130], v[139:140], v[131:132], v[129:130]
	s_waitcnt vmcnt(32) lgkmcnt(0)
	v_fma_f64 v[129:130], v[141:142], v[133:134], v[129:130]
	s_waitcnt vmcnt(30)
	v_fma_f64 v[139:140], v[143:144], v[135:136], v[129:130]
	ds_read2_b64 v[129:132], v128 offset0:93 offset1:94
	ds_read2_b64 v[133:136], v128 offset0:95 offset1:96
	s_waitcnt vmcnt(28) lgkmcnt(1)
	v_fma_f64 v[129:130], v[145:146], v[129:130], v[139:140]
	s_clause 0x7
	buffer_load_dword v140, off, s[0:3], 0 offset:356
	buffer_load_dword v141, off, s[0:3], 0 offset:376
	buffer_load_dword v143, off, s[0:3], 0 offset:368
	buffer_load_dword v145, off, s[0:3], 0 offset:360
	buffer_load_dword v139, off, s[0:3], 0 offset:352
	buffer_load_dword v146, off, s[0:3], 0 offset:364
	buffer_load_dword v144, off, s[0:3], 0 offset:372
	buffer_load_dword v142, off, s[0:3], 0 offset:380
	s_waitcnt vmcnt(34)
	v_fma_f64 v[129:130], v[147:148], v[131:132], v[129:130]
	s_waitcnt vmcnt(32) lgkmcnt(0)
	v_fma_f64 v[129:130], v[149:150], v[133:134], v[129:130]
	s_waitcnt vmcnt(27)
	v_fma_f64 v[147:148], v[151:152], v[135:136], v[129:130]
	ds_read2_b64 v[129:132], v128 offset0:97 offset1:98
	ds_read2_b64 v[133:136], v128 offset0:99 offset1:100
	;; [unrolled: 19-line block ×5, first 2 shown]
	s_waitcnt vmcnt(26) lgkmcnt(1)
	v_fma_f64 v[129:130], v[145:146], v[129:130], v[139:140]
	s_clause 0x5
	buffer_load_dword v140, off, s[0:3], 0 offset:484
	buffer_load_dword v145, off, s[0:3], 0 offset:496
	;; [unrolled: 1-line block ×6, first 2 shown]
	s_waitcnt vmcnt(31)
	v_fma_f64 v[129:130], v[143:144], v[131:132], v[129:130]
	s_waitcnt vmcnt(30) lgkmcnt(0)
	v_fma_f64 v[129:130], v[141:142], v[133:134], v[129:130]
	s_waitcnt vmcnt(25)
	v_fma_f64 v[141:142], v[147:148], v[135:136], v[129:130]
	ds_read2_b64 v[129:132], v128 offset0:113 offset1:114
	s_clause 0x1
	buffer_load_dword v143, off, s[0:3], 0 offset:192
	buffer_load_dword v144, off, s[0:3], 0 offset:196
	ds_read2_b64 v[133:136], v128 offset0:115 offset1:116
	s_waitcnt vmcnt(26) lgkmcnt(1)
	v_fma_f64 v[129:130], v[157:158], v[129:130], v[141:142]
	s_waitcnt vmcnt(25)
	v_fma_f64 v[129:130], v[151:152], v[131:132], v[129:130]
	s_waitcnt vmcnt(24) lgkmcnt(0)
	v_fma_f64 v[129:130], v[149:150], v[133:134], v[129:130]
	s_waitcnt vmcnt(19)
	v_fma_f64 v[141:142], v[153:154], v[135:136], v[129:130]
	ds_read2_b64 v[129:132], v128 offset0:117 offset1:118
	ds_read2_b64 v[133:136], v128 offset0:119 offset1:120
	s_waitcnt vmcnt(18) lgkmcnt(1)
	v_fma_f64 v[129:130], v[165:166], v[129:130], v[141:142]
	s_waitcnt vmcnt(17)
	v_fma_f64 v[129:130], v[159:160], v[131:132], v[129:130]
	s_waitcnt vmcnt(16) lgkmcnt(0)
	v_fma_f64 v[129:130], v[155:156], v[133:134], v[129:130]
	s_waitcnt vmcnt(11)
	v_fma_f64 v[137:138], v[137:138], v[135:136], v[129:130]
	ds_read2_b64 v[129:132], v128 offset0:121 offset1:122
	;; [unrolled: 10-line block ×3, first 2 shown]
	s_waitcnt vmcnt(3) lgkmcnt(0)
	v_fma_f64 v[128:129], v[167:168], v[128:129], v[132:133]
	s_waitcnt vmcnt(2)
	v_fma_f64 v[128:129], v[145:146], v[130:131], v[128:129]
	s_waitcnt vmcnt(0)
	v_add_f64 v[128:129], v[143:144], -v[128:129]
	buffer_store_dword v129, off, s[0:3], 0 offset:196
	buffer_store_dword v128, off, s[0:3], 0 offset:192
	v_cmpx_lt_u32_e32 23, v0
	s_cbranch_execz .LBB126_341
; %bb.340:
	s_clause 0x1
	buffer_load_dword v128, off, s[0:3], 0 offset:184
	buffer_load_dword v129, off, s[0:3], 0 offset:188
	v_mov_b32_e32 v130, 0
	buffer_store_dword v130, off, s[0:3], 0 offset:184
	buffer_store_dword v130, off, s[0:3], 0 offset:188
	s_waitcnt vmcnt(0)
	ds_write_b64 v127, v[128:129]
.LBB126_341:
	s_or_b32 exec_lo, exec_lo, s4
	s_waitcnt lgkmcnt(0)
	s_waitcnt_vscnt null, 0x0
	s_barrier
	buffer_gl0_inv
	s_clause 0x1c
	buffer_load_dword v137, off, s[0:3], 0 offset:192
	buffer_load_dword v138, off, s[0:3], 0 offset:196
	;; [unrolled: 1-line block ×29, first 2 shown]
	v_mov_b32_e32 v128, 0
	buffer_load_dword v162, off, s[0:3], 0 offset:308
	s_mov_b32 s4, exec_lo
	ds_read_b128 v[129:132], v128 offset:704
	ds_read_b128 v[133:136], v128 offset:720
	s_waitcnt vmcnt(28) lgkmcnt(1)
	v_fma_f64 v[129:130], v[137:138], v[129:130], 0
	s_clause 0x7
	buffer_load_dword v138, off, s[0:3], 0 offset:316
	buffer_load_dword v167, off, s[0:3], 0 offset:336
	buffer_load_dword v169, off, s[0:3], 0 offset:328
	buffer_load_dword v171, off, s[0:3], 0 offset:320
	buffer_load_dword v137, off, s[0:3], 0 offset:312
	buffer_load_dword v172, off, s[0:3], 0 offset:324
	buffer_load_dword v170, off, s[0:3], 0 offset:332
	buffer_load_dword v168, off, s[0:3], 0 offset:340
	s_waitcnt vmcnt(34)
	v_fma_f64 v[129:130], v[139:140], v[131:132], v[129:130]
	s_waitcnt vmcnt(32) lgkmcnt(0)
	v_fma_f64 v[129:130], v[141:142], v[133:134], v[129:130]
	s_waitcnt vmcnt(30)
	v_fma_f64 v[139:140], v[143:144], v[135:136], v[129:130]
	ds_read_b128 v[129:132], v128 offset:736
	ds_read_b128 v[133:136], v128 offset:752
	s_waitcnt vmcnt(28) lgkmcnt(1)
	v_fma_f64 v[129:130], v[145:146], v[129:130], v[139:140]
	s_clause 0x7
	buffer_load_dword v140, off, s[0:3], 0 offset:348
	buffer_load_dword v141, off, s[0:3], 0 offset:368
	buffer_load_dword v143, off, s[0:3], 0 offset:360
	buffer_load_dword v145, off, s[0:3], 0 offset:352
	buffer_load_dword v139, off, s[0:3], 0 offset:344
	buffer_load_dword v146, off, s[0:3], 0 offset:356
	buffer_load_dword v144, off, s[0:3], 0 offset:364
	buffer_load_dword v142, off, s[0:3], 0 offset:372
	s_waitcnt vmcnt(34)
	v_fma_f64 v[129:130], v[147:148], v[131:132], v[129:130]
	s_waitcnt vmcnt(32) lgkmcnt(0)
	v_fma_f64 v[129:130], v[149:150], v[133:134], v[129:130]
	s_waitcnt vmcnt(27)
	v_fma_f64 v[147:148], v[151:152], v[135:136], v[129:130]
	;; [unrolled: 19-line block ×6, first 2 shown]
	ds_read_b128 v[129:132], v128 offset:896
	ds_read_b128 v[133:136], v128 offset:912
	s_waitcnt vmcnt(26) lgkmcnt(1)
	v_fma_f64 v[129:130], v[157:158], v[129:130], v[141:142]
	s_clause 0x1
	buffer_load_dword v141, off, s[0:3], 0 offset:184
	buffer_load_dword v142, off, s[0:3], 0 offset:188
	s_waitcnt vmcnt(27)
	v_fma_f64 v[129:130], v[151:152], v[131:132], v[129:130]
	s_waitcnt vmcnt(26) lgkmcnt(0)
	v_fma_f64 v[129:130], v[149:150], v[133:134], v[129:130]
	s_waitcnt vmcnt(21)
	v_fma_f64 v[143:144], v[153:154], v[135:136], v[129:130]
	ds_read_b128 v[129:132], v128 offset:928
	ds_read_b128 v[133:136], v128 offset:944
	s_waitcnt vmcnt(20) lgkmcnt(1)
	v_fma_f64 v[129:130], v[165:166], v[129:130], v[143:144]
	s_waitcnt vmcnt(19)
	v_fma_f64 v[129:130], v[159:160], v[131:132], v[129:130]
	s_waitcnt vmcnt(18) lgkmcnt(0)
	v_fma_f64 v[129:130], v[155:156], v[133:134], v[129:130]
	s_waitcnt vmcnt(13)
	v_fma_f64 v[137:138], v[137:138], v[135:136], v[129:130]
	ds_read_b128 v[129:132], v128 offset:960
	ds_read_b128 v[133:136], v128 offset:976
	s_waitcnt vmcnt(12) lgkmcnt(1)
	v_fma_f64 v[129:130], v[171:172], v[129:130], v[137:138]
	s_waitcnt vmcnt(11)
	v_fma_f64 v[129:130], v[163:164], v[131:132], v[129:130]
	s_waitcnt vmcnt(10) lgkmcnt(0)
	v_fma_f64 v[129:130], v[161:162], v[133:134], v[129:130]
	s_waitcnt vmcnt(5)
	v_fma_f64 v[133:134], v[139:140], v[135:136], v[129:130]
	ds_read_b128 v[129:132], v128 offset:992
	ds_read_b64 v[135:136], v128 offset:1008
	s_waitcnt vmcnt(4) lgkmcnt(1)
	v_fma_f64 v[129:130], v[169:170], v[129:130], v[133:134]
	s_waitcnt vmcnt(3)
	v_fma_f64 v[129:130], v[167:168], v[131:132], v[129:130]
	s_waitcnt vmcnt(2) lgkmcnt(0)
	v_fma_f64 v[129:130], v[145:146], v[135:136], v[129:130]
	s_waitcnt vmcnt(0)
	v_add_f64 v[129:130], v[141:142], -v[129:130]
	buffer_store_dword v130, off, s[0:3], 0 offset:188
	buffer_store_dword v129, off, s[0:3], 0 offset:184
	v_cmpx_lt_u32_e32 22, v0
	s_cbranch_execz .LBB126_343
; %bb.342:
	s_clause 0x1
	buffer_load_dword v129, off, s[0:3], 0 offset:176
	buffer_load_dword v130, off, s[0:3], 0 offset:180
	buffer_store_dword v128, off, s[0:3], 0 offset:176
	buffer_store_dword v128, off, s[0:3], 0 offset:180
	s_waitcnt vmcnt(0)
	ds_write_b64 v127, v[129:130]
.LBB126_343:
	s_or_b32 exec_lo, exec_lo, s4
	s_waitcnt lgkmcnt(0)
	s_waitcnt_vscnt null, 0x0
	s_barrier
	buffer_gl0_inv
	s_clause 0x1c
	buffer_load_dword v137, off, s[0:3], 0 offset:184
	buffer_load_dword v138, off, s[0:3], 0 offset:188
	;; [unrolled: 1-line block ×29, first 2 shown]
	ds_read2_b64 v[129:132], v128 offset0:87 offset1:88
	ds_read2_b64 v[133:136], v128 offset0:89 offset1:90
	buffer_load_dword v162, off, s[0:3], 0 offset:300
	s_mov_b32 s4, exec_lo
	s_waitcnt vmcnt(28) lgkmcnt(1)
	v_fma_f64 v[129:130], v[137:138], v[129:130], 0
	s_clause 0x7
	buffer_load_dword v138, off, s[0:3], 0 offset:308
	buffer_load_dword v167, off, s[0:3], 0 offset:328
	buffer_load_dword v169, off, s[0:3], 0 offset:320
	buffer_load_dword v171, off, s[0:3], 0 offset:312
	buffer_load_dword v137, off, s[0:3], 0 offset:304
	buffer_load_dword v172, off, s[0:3], 0 offset:316
	buffer_load_dword v170, off, s[0:3], 0 offset:324
	buffer_load_dword v168, off, s[0:3], 0 offset:332
	s_waitcnt vmcnt(34)
	v_fma_f64 v[129:130], v[139:140], v[131:132], v[129:130]
	s_waitcnt vmcnt(32) lgkmcnt(0)
	v_fma_f64 v[129:130], v[141:142], v[133:134], v[129:130]
	s_waitcnt vmcnt(30)
	v_fma_f64 v[139:140], v[143:144], v[135:136], v[129:130]
	ds_read2_b64 v[129:132], v128 offset0:91 offset1:92
	ds_read2_b64 v[133:136], v128 offset0:93 offset1:94
	s_waitcnt vmcnt(28) lgkmcnt(1)
	v_fma_f64 v[129:130], v[145:146], v[129:130], v[139:140]
	s_clause 0x7
	buffer_load_dword v140, off, s[0:3], 0 offset:340
	buffer_load_dword v141, off, s[0:3], 0 offset:360
	buffer_load_dword v143, off, s[0:3], 0 offset:352
	buffer_load_dword v145, off, s[0:3], 0 offset:344
	buffer_load_dword v139, off, s[0:3], 0 offset:336
	buffer_load_dword v146, off, s[0:3], 0 offset:348
	buffer_load_dword v144, off, s[0:3], 0 offset:356
	buffer_load_dword v142, off, s[0:3], 0 offset:364
	s_waitcnt vmcnt(34)
	v_fma_f64 v[129:130], v[147:148], v[131:132], v[129:130]
	s_waitcnt vmcnt(32) lgkmcnt(0)
	v_fma_f64 v[129:130], v[149:150], v[133:134], v[129:130]
	s_waitcnt vmcnt(27)
	v_fma_f64 v[147:148], v[151:152], v[135:136], v[129:130]
	ds_read2_b64 v[129:132], v128 offset0:95 offset1:96
	ds_read2_b64 v[133:136], v128 offset0:97 offset1:98
	;; [unrolled: 19-line block ×6, first 2 shown]
	s_waitcnt vmcnt(26) lgkmcnt(1)
	v_fma_f64 v[129:130], v[157:158], v[129:130], v[141:142]
	s_clause 0x3
	buffer_load_dword v142, off, s[0:3], 0 offset:500
	buffer_load_dword v141, off, s[0:3], 0 offset:496
	;; [unrolled: 1-line block ×4, first 2 shown]
	s_waitcnt vmcnt(29)
	v_fma_f64 v[129:130], v[151:152], v[131:132], v[129:130]
	s_waitcnt vmcnt(28) lgkmcnt(0)
	v_fma_f64 v[129:130], v[149:150], v[133:134], v[129:130]
	s_waitcnt vmcnt(23)
	v_fma_f64 v[147:148], v[153:154], v[135:136], v[129:130]
	ds_read2_b64 v[129:132], v128 offset0:115 offset1:116
	ds_read2_b64 v[133:136], v128 offset0:117 offset1:118
	s_waitcnt vmcnt(22) lgkmcnt(1)
	v_fma_f64 v[129:130], v[165:166], v[129:130], v[147:148]
	s_waitcnt vmcnt(21)
	v_fma_f64 v[129:130], v[159:160], v[131:132], v[129:130]
	s_waitcnt vmcnt(20) lgkmcnt(0)
	v_fma_f64 v[129:130], v[155:156], v[133:134], v[129:130]
	s_waitcnt vmcnt(15)
	v_fma_f64 v[137:138], v[137:138], v[135:136], v[129:130]
	ds_read2_b64 v[129:132], v128 offset0:119 offset1:120
	ds_read2_b64 v[133:136], v128 offset0:121 offset1:122
	s_waitcnt vmcnt(14) lgkmcnt(1)
	v_fma_f64 v[129:130], v[171:172], v[129:130], v[137:138]
	;; [unrolled: 10-line block ×3, first 2 shown]
	s_waitcnt vmcnt(5)
	v_fma_f64 v[128:129], v[167:168], v[131:132], v[128:129]
	s_waitcnt vmcnt(4) lgkmcnt(0)
	v_fma_f64 v[128:129], v[145:146], v[133:134], v[128:129]
	s_waitcnt vmcnt(2)
	v_fma_f64 v[128:129], v[141:142], v[135:136], v[128:129]
	s_waitcnt vmcnt(0)
	v_add_f64 v[128:129], v[143:144], -v[128:129]
	buffer_store_dword v129, off, s[0:3], 0 offset:180
	buffer_store_dword v128, off, s[0:3], 0 offset:176
	v_cmpx_lt_u32_e32 21, v0
	s_cbranch_execz .LBB126_345
; %bb.344:
	s_clause 0x1
	buffer_load_dword v128, off, s[0:3], 0 offset:168
	buffer_load_dword v129, off, s[0:3], 0 offset:172
	v_mov_b32_e32 v130, 0
	buffer_store_dword v130, off, s[0:3], 0 offset:168
	buffer_store_dword v130, off, s[0:3], 0 offset:172
	s_waitcnt vmcnt(0)
	ds_write_b64 v127, v[128:129]
.LBB126_345:
	s_or_b32 exec_lo, exec_lo, s4
	s_waitcnt lgkmcnt(0)
	s_waitcnt_vscnt null, 0x0
	s_barrier
	buffer_gl0_inv
	s_clause 0x1c
	buffer_load_dword v137, off, s[0:3], 0 offset:176
	buffer_load_dword v138, off, s[0:3], 0 offset:180
	;; [unrolled: 1-line block ×29, first 2 shown]
	v_mov_b32_e32 v128, 0
	buffer_load_dword v162, off, s[0:3], 0 offset:292
	s_mov_b32 s4, exec_lo
	ds_read_b128 v[129:132], v128 offset:688
	ds_read_b128 v[133:136], v128 offset:704
	s_waitcnt vmcnt(28) lgkmcnt(1)
	v_fma_f64 v[129:130], v[137:138], v[129:130], 0
	s_clause 0x7
	buffer_load_dword v138, off, s[0:3], 0 offset:300
	buffer_load_dword v167, off, s[0:3], 0 offset:320
	buffer_load_dword v169, off, s[0:3], 0 offset:312
	buffer_load_dword v171, off, s[0:3], 0 offset:304
	buffer_load_dword v137, off, s[0:3], 0 offset:296
	buffer_load_dword v172, off, s[0:3], 0 offset:308
	buffer_load_dword v170, off, s[0:3], 0 offset:316
	buffer_load_dword v168, off, s[0:3], 0 offset:324
	s_waitcnt vmcnt(34)
	v_fma_f64 v[129:130], v[139:140], v[131:132], v[129:130]
	s_waitcnt vmcnt(32) lgkmcnt(0)
	v_fma_f64 v[129:130], v[141:142], v[133:134], v[129:130]
	s_waitcnt vmcnt(30)
	v_fma_f64 v[139:140], v[143:144], v[135:136], v[129:130]
	ds_read_b128 v[129:132], v128 offset:720
	ds_read_b128 v[133:136], v128 offset:736
	s_waitcnt vmcnt(28) lgkmcnt(1)
	v_fma_f64 v[129:130], v[145:146], v[129:130], v[139:140]
	s_clause 0x7
	buffer_load_dword v140, off, s[0:3], 0 offset:332
	buffer_load_dword v141, off, s[0:3], 0 offset:352
	buffer_load_dword v143, off, s[0:3], 0 offset:344
	buffer_load_dword v145, off, s[0:3], 0 offset:336
	buffer_load_dword v139, off, s[0:3], 0 offset:328
	buffer_load_dword v146, off, s[0:3], 0 offset:340
	buffer_load_dword v144, off, s[0:3], 0 offset:348
	buffer_load_dword v142, off, s[0:3], 0 offset:356
	s_waitcnt vmcnt(34)
	v_fma_f64 v[129:130], v[147:148], v[131:132], v[129:130]
	s_waitcnt vmcnt(32) lgkmcnt(0)
	v_fma_f64 v[129:130], v[149:150], v[133:134], v[129:130]
	s_waitcnt vmcnt(27)
	v_fma_f64 v[147:148], v[151:152], v[135:136], v[129:130]
	;; [unrolled: 19-line block ×6, first 2 shown]
	ds_read_b128 v[129:132], v128 offset:880
	ds_read_b128 v[133:136], v128 offset:896
	s_waitcnt vmcnt(26) lgkmcnt(1)
	v_fma_f64 v[129:130], v[157:158], v[129:130], v[141:142]
	s_clause 0x5
	buffer_load_dword v142, off, s[0:3], 0 offset:492
	buffer_load_dword v143, off, s[0:3], 0 offset:496
	;; [unrolled: 1-line block ×6, first 2 shown]
	s_waitcnt vmcnt(31)
	v_fma_f64 v[129:130], v[151:152], v[131:132], v[129:130]
	s_waitcnt vmcnt(30) lgkmcnt(0)
	v_fma_f64 v[129:130], v[149:150], v[133:134], v[129:130]
	s_waitcnt vmcnt(25)
	v_fma_f64 v[149:150], v[153:154], v[135:136], v[129:130]
	ds_read_b128 v[129:132], v128 offset:912
	ds_read_b128 v[133:136], v128 offset:928
	s_waitcnt vmcnt(24) lgkmcnt(1)
	v_fma_f64 v[129:130], v[165:166], v[129:130], v[149:150]
	s_waitcnt vmcnt(23)
	v_fma_f64 v[129:130], v[159:160], v[131:132], v[129:130]
	s_waitcnt vmcnt(22) lgkmcnt(0)
	v_fma_f64 v[129:130], v[155:156], v[133:134], v[129:130]
	s_waitcnt vmcnt(17)
	v_fma_f64 v[137:138], v[137:138], v[135:136], v[129:130]
	ds_read_b128 v[129:132], v128 offset:944
	ds_read_b128 v[133:136], v128 offset:960
	s_waitcnt vmcnt(16) lgkmcnt(1)
	v_fma_f64 v[129:130], v[171:172], v[129:130], v[137:138]
	;; [unrolled: 10-line block ×3, first 2 shown]
	s_waitcnt vmcnt(7)
	v_fma_f64 v[129:130], v[167:168], v[131:132], v[129:130]
	ds_read_b64 v[131:132], v128 offset:1008
	s_waitcnt vmcnt(6) lgkmcnt(1)
	v_fma_f64 v[129:130], v[145:146], v[133:134], v[129:130]
	s_waitcnt vmcnt(3)
	v_fma_f64 v[129:130], v[141:142], v[135:136], v[129:130]
	s_waitcnt vmcnt(2) lgkmcnt(0)
	v_fma_f64 v[129:130], v[143:144], v[131:132], v[129:130]
	s_waitcnt vmcnt(0)
	v_add_f64 v[129:130], v[147:148], -v[129:130]
	buffer_store_dword v130, off, s[0:3], 0 offset:172
	buffer_store_dword v129, off, s[0:3], 0 offset:168
	v_cmpx_lt_u32_e32 20, v0
	s_cbranch_execz .LBB126_347
; %bb.346:
	s_clause 0x1
	buffer_load_dword v129, off, s[0:3], 0 offset:160
	buffer_load_dword v130, off, s[0:3], 0 offset:164
	buffer_store_dword v128, off, s[0:3], 0 offset:160
	buffer_store_dword v128, off, s[0:3], 0 offset:164
	s_waitcnt vmcnt(0)
	ds_write_b64 v127, v[129:130]
.LBB126_347:
	s_or_b32 exec_lo, exec_lo, s4
	s_waitcnt lgkmcnt(0)
	s_waitcnt_vscnt null, 0x0
	s_barrier
	buffer_gl0_inv
	s_clause 0x1c
	buffer_load_dword v137, off, s[0:3], 0 offset:168
	buffer_load_dword v138, off, s[0:3], 0 offset:172
	;; [unrolled: 1-line block ×29, first 2 shown]
	ds_read2_b64 v[129:132], v128 offset0:85 offset1:86
	ds_read2_b64 v[133:136], v128 offset0:87 offset1:88
	buffer_load_dword v162, off, s[0:3], 0 offset:284
	s_mov_b32 s4, exec_lo
	s_waitcnt vmcnt(28) lgkmcnt(1)
	v_fma_f64 v[129:130], v[137:138], v[129:130], 0
	s_clause 0x7
	buffer_load_dword v138, off, s[0:3], 0 offset:292
	buffer_load_dword v167, off, s[0:3], 0 offset:312
	buffer_load_dword v169, off, s[0:3], 0 offset:304
	buffer_load_dword v171, off, s[0:3], 0 offset:296
	buffer_load_dword v137, off, s[0:3], 0 offset:288
	buffer_load_dword v172, off, s[0:3], 0 offset:300
	buffer_load_dword v170, off, s[0:3], 0 offset:308
	buffer_load_dword v168, off, s[0:3], 0 offset:316
	s_waitcnt vmcnt(34)
	v_fma_f64 v[129:130], v[139:140], v[131:132], v[129:130]
	s_waitcnt vmcnt(32) lgkmcnt(0)
	v_fma_f64 v[129:130], v[141:142], v[133:134], v[129:130]
	s_waitcnt vmcnt(30)
	v_fma_f64 v[139:140], v[143:144], v[135:136], v[129:130]
	ds_read2_b64 v[129:132], v128 offset0:89 offset1:90
	ds_read2_b64 v[133:136], v128 offset0:91 offset1:92
	s_waitcnt vmcnt(28) lgkmcnt(1)
	v_fma_f64 v[129:130], v[145:146], v[129:130], v[139:140]
	s_clause 0x7
	buffer_load_dword v140, off, s[0:3], 0 offset:324
	buffer_load_dword v141, off, s[0:3], 0 offset:344
	buffer_load_dword v143, off, s[0:3], 0 offset:336
	buffer_load_dword v145, off, s[0:3], 0 offset:328
	buffer_load_dword v139, off, s[0:3], 0 offset:320
	buffer_load_dword v146, off, s[0:3], 0 offset:332
	buffer_load_dword v144, off, s[0:3], 0 offset:340
	buffer_load_dword v142, off, s[0:3], 0 offset:348
	s_waitcnt vmcnt(34)
	v_fma_f64 v[129:130], v[147:148], v[131:132], v[129:130]
	s_waitcnt vmcnt(32) lgkmcnt(0)
	v_fma_f64 v[129:130], v[149:150], v[133:134], v[129:130]
	s_waitcnt vmcnt(27)
	v_fma_f64 v[147:148], v[151:152], v[135:136], v[129:130]
	ds_read2_b64 v[129:132], v128 offset0:93 offset1:94
	ds_read2_b64 v[133:136], v128 offset0:95 offset1:96
	;; [unrolled: 19-line block ×6, first 2 shown]
	s_waitcnt vmcnt(26) lgkmcnt(1)
	v_fma_f64 v[129:130], v[157:158], v[129:130], v[141:142]
	s_clause 0x5
	buffer_load_dword v142, off, s[0:3], 0 offset:484
	buffer_load_dword v143, off, s[0:3], 0 offset:496
	buffer_load_dword v147, off, s[0:3], 0 offset:488
	buffer_load_dword v141, off, s[0:3], 0 offset:480
	buffer_load_dword v148, off, s[0:3], 0 offset:492
	buffer_load_dword v144, off, s[0:3], 0 offset:500
	s_waitcnt vmcnt(31)
	v_fma_f64 v[129:130], v[151:152], v[131:132], v[129:130]
	s_waitcnt vmcnt(30) lgkmcnt(0)
	v_fma_f64 v[129:130], v[149:150], v[133:134], v[129:130]
	s_waitcnt vmcnt(25)
	v_fma_f64 v[149:150], v[153:154], v[135:136], v[129:130]
	ds_read2_b64 v[129:132], v128 offset0:113 offset1:114
	s_clause 0x1
	buffer_load_dword v151, off, s[0:3], 0 offset:160
	buffer_load_dword v152, off, s[0:3], 0 offset:164
	ds_read2_b64 v[133:136], v128 offset0:115 offset1:116
	s_waitcnt vmcnt(26) lgkmcnt(1)
	v_fma_f64 v[129:130], v[165:166], v[129:130], v[149:150]
	s_waitcnt vmcnt(25)
	v_fma_f64 v[129:130], v[159:160], v[131:132], v[129:130]
	s_waitcnt vmcnt(24) lgkmcnt(0)
	v_fma_f64 v[129:130], v[155:156], v[133:134], v[129:130]
	s_waitcnt vmcnt(19)
	v_fma_f64 v[137:138], v[137:138], v[135:136], v[129:130]
	ds_read2_b64 v[129:132], v128 offset0:117 offset1:118
	ds_read2_b64 v[133:136], v128 offset0:119 offset1:120
	s_waitcnt vmcnt(18) lgkmcnt(1)
	v_fma_f64 v[129:130], v[171:172], v[129:130], v[137:138]
	s_waitcnt vmcnt(17)
	v_fma_f64 v[129:130], v[163:164], v[131:132], v[129:130]
	s_waitcnt vmcnt(16) lgkmcnt(0)
	v_fma_f64 v[129:130], v[161:162], v[133:134], v[129:130]
	s_waitcnt vmcnt(11)
	v_fma_f64 v[137:138], v[139:140], v[135:136], v[129:130]
	ds_read2_b64 v[129:132], v128 offset0:121 offset1:122
	;; [unrolled: 10-line block ×3, first 2 shown]
	s_waitcnt vmcnt(3) lgkmcnt(0)
	v_fma_f64 v[128:129], v[147:148], v[128:129], v[132:133]
	s_waitcnt vmcnt(2)
	v_fma_f64 v[128:129], v[143:144], v[130:131], v[128:129]
	s_waitcnt vmcnt(0)
	v_add_f64 v[128:129], v[151:152], -v[128:129]
	buffer_store_dword v129, off, s[0:3], 0 offset:164
	buffer_store_dword v128, off, s[0:3], 0 offset:160
	v_cmpx_lt_u32_e32 19, v0
	s_cbranch_execz .LBB126_349
; %bb.348:
	s_clause 0x1
	buffer_load_dword v128, off, s[0:3], 0 offset:152
	buffer_load_dword v129, off, s[0:3], 0 offset:156
	v_mov_b32_e32 v130, 0
	buffer_store_dword v130, off, s[0:3], 0 offset:152
	buffer_store_dword v130, off, s[0:3], 0 offset:156
	s_waitcnt vmcnt(0)
	ds_write_b64 v127, v[128:129]
.LBB126_349:
	s_or_b32 exec_lo, exec_lo, s4
	s_waitcnt lgkmcnt(0)
	s_waitcnt_vscnt null, 0x0
	s_barrier
	buffer_gl0_inv
	s_clause 0x1c
	buffer_load_dword v137, off, s[0:3], 0 offset:160
	buffer_load_dword v138, off, s[0:3], 0 offset:164
	buffer_load_dword v139, off, s[0:3], 0 offset:168
	buffer_load_dword v140, off, s[0:3], 0 offset:172
	buffer_load_dword v141, off, s[0:3], 0 offset:176
	buffer_load_dword v142, off, s[0:3], 0 offset:180
	buffer_load_dword v143, off, s[0:3], 0 offset:184
	buffer_load_dword v144, off, s[0:3], 0 offset:188
	buffer_load_dword v145, off, s[0:3], 0 offset:192
	buffer_load_dword v146, off, s[0:3], 0 offset:196
	buffer_load_dword v147, off, s[0:3], 0 offset:200
	buffer_load_dword v148, off, s[0:3], 0 offset:204
	buffer_load_dword v149, off, s[0:3], 0 offset:208
	buffer_load_dword v150, off, s[0:3], 0 offset:212
	buffer_load_dword v152, off, s[0:3], 0 offset:220
	buffer_load_dword v153, off, s[0:3], 0 offset:240
	buffer_load_dword v155, off, s[0:3], 0 offset:232
	buffer_load_dword v157, off, s[0:3], 0 offset:224
	buffer_load_dword v151, off, s[0:3], 0 offset:216
	buffer_load_dword v158, off, s[0:3], 0 offset:228
	buffer_load_dword v156, off, s[0:3], 0 offset:236
	buffer_load_dword v154, off, s[0:3], 0 offset:244
	buffer_load_dword v160, off, s[0:3], 0 offset:252
	buffer_load_dword v161, off, s[0:3], 0 offset:272
	buffer_load_dword v163, off, s[0:3], 0 offset:264
	buffer_load_dword v165, off, s[0:3], 0 offset:256
	buffer_load_dword v159, off, s[0:3], 0 offset:248
	buffer_load_dword v166, off, s[0:3], 0 offset:260
	buffer_load_dword v164, off, s[0:3], 0 offset:268
	v_mov_b32_e32 v128, 0
	buffer_load_dword v162, off, s[0:3], 0 offset:276
	s_mov_b32 s4, exec_lo
	ds_read_b128 v[129:132], v128 offset:672
	ds_read_b128 v[133:136], v128 offset:688
	s_waitcnt vmcnt(28) lgkmcnt(1)
	v_fma_f64 v[129:130], v[137:138], v[129:130], 0
	s_clause 0x7
	buffer_load_dword v138, off, s[0:3], 0 offset:284
	buffer_load_dword v167, off, s[0:3], 0 offset:304
	buffer_load_dword v169, off, s[0:3], 0 offset:296
	buffer_load_dword v171, off, s[0:3], 0 offset:288
	buffer_load_dword v137, off, s[0:3], 0 offset:280
	buffer_load_dword v172, off, s[0:3], 0 offset:292
	buffer_load_dword v170, off, s[0:3], 0 offset:300
	buffer_load_dword v168, off, s[0:3], 0 offset:308
	s_waitcnt vmcnt(34)
	v_fma_f64 v[129:130], v[139:140], v[131:132], v[129:130]
	s_waitcnt vmcnt(32) lgkmcnt(0)
	v_fma_f64 v[129:130], v[141:142], v[133:134], v[129:130]
	s_waitcnt vmcnt(30)
	v_fma_f64 v[139:140], v[143:144], v[135:136], v[129:130]
	ds_read_b128 v[129:132], v128 offset:704
	ds_read_b128 v[133:136], v128 offset:720
	s_waitcnt vmcnt(28) lgkmcnt(1)
	v_fma_f64 v[129:130], v[145:146], v[129:130], v[139:140]
	s_clause 0x7
	buffer_load_dword v140, off, s[0:3], 0 offset:316
	buffer_load_dword v141, off, s[0:3], 0 offset:336
	buffer_load_dword v143, off, s[0:3], 0 offset:328
	buffer_load_dword v145, off, s[0:3], 0 offset:320
	buffer_load_dword v139, off, s[0:3], 0 offset:312
	buffer_load_dword v146, off, s[0:3], 0 offset:324
	buffer_load_dword v144, off, s[0:3], 0 offset:332
	buffer_load_dword v142, off, s[0:3], 0 offset:340
	s_waitcnt vmcnt(34)
	v_fma_f64 v[129:130], v[147:148], v[131:132], v[129:130]
	s_waitcnt vmcnt(32) lgkmcnt(0)
	v_fma_f64 v[129:130], v[149:150], v[133:134], v[129:130]
	s_waitcnt vmcnt(27)
	v_fma_f64 v[147:148], v[151:152], v[135:136], v[129:130]
	;; [unrolled: 19-line block ×7, first 2 shown]
	ds_read_b128 v[129:132], v128 offset:896
	ds_read_b128 v[133:136], v128 offset:912
	s_waitcnt vmcnt(26) lgkmcnt(1)
	v_fma_f64 v[129:130], v[165:166], v[129:130], v[149:150]
	s_clause 0x1
	buffer_load_dword v149, off, s[0:3], 0 offset:152
	buffer_load_dword v150, off, s[0:3], 0 offset:156
	s_waitcnt vmcnt(27)
	v_fma_f64 v[129:130], v[159:160], v[131:132], v[129:130]
	s_waitcnt vmcnt(26) lgkmcnt(0)
	v_fma_f64 v[129:130], v[155:156], v[133:134], v[129:130]
	s_waitcnt vmcnt(21)
	v_fma_f64 v[137:138], v[137:138], v[135:136], v[129:130]
	ds_read_b128 v[129:132], v128 offset:928
	ds_read_b128 v[133:136], v128 offset:944
	s_waitcnt vmcnt(20) lgkmcnt(1)
	v_fma_f64 v[129:130], v[171:172], v[129:130], v[137:138]
	s_waitcnt vmcnt(19)
	v_fma_f64 v[129:130], v[163:164], v[131:132], v[129:130]
	s_waitcnt vmcnt(18) lgkmcnt(0)
	v_fma_f64 v[129:130], v[161:162], v[133:134], v[129:130]
	s_waitcnt vmcnt(13)
	v_fma_f64 v[137:138], v[139:140], v[135:136], v[129:130]
	ds_read_b128 v[129:132], v128 offset:960
	ds_read_b128 v[133:136], v128 offset:976
	s_waitcnt vmcnt(12) lgkmcnt(1)
	v_fma_f64 v[129:130], v[169:170], v[129:130], v[137:138]
	s_waitcnt vmcnt(11)
	v_fma_f64 v[129:130], v[167:168], v[131:132], v[129:130]
	s_waitcnt vmcnt(10) lgkmcnt(0)
	v_fma_f64 v[129:130], v[145:146], v[133:134], v[129:130]
	s_waitcnt vmcnt(5)
	v_fma_f64 v[133:134], v[141:142], v[135:136], v[129:130]
	ds_read_b128 v[129:132], v128 offset:992
	ds_read_b64 v[135:136], v128 offset:1008
	s_waitcnt vmcnt(4) lgkmcnt(1)
	v_fma_f64 v[129:130], v[157:158], v[129:130], v[133:134]
	s_waitcnt vmcnt(3)
	v_fma_f64 v[129:130], v[147:148], v[131:132], v[129:130]
	s_waitcnt vmcnt(2) lgkmcnt(0)
	v_fma_f64 v[129:130], v[143:144], v[135:136], v[129:130]
	s_waitcnt vmcnt(0)
	v_add_f64 v[129:130], v[149:150], -v[129:130]
	buffer_store_dword v130, off, s[0:3], 0 offset:156
	buffer_store_dword v129, off, s[0:3], 0 offset:152
	v_cmpx_lt_u32_e32 18, v0
	s_cbranch_execz .LBB126_351
; %bb.350:
	s_clause 0x1
	buffer_load_dword v129, off, s[0:3], 0 offset:144
	buffer_load_dword v130, off, s[0:3], 0 offset:148
	buffer_store_dword v128, off, s[0:3], 0 offset:144
	buffer_store_dword v128, off, s[0:3], 0 offset:148
	s_waitcnt vmcnt(0)
	ds_write_b64 v127, v[129:130]
.LBB126_351:
	s_or_b32 exec_lo, exec_lo, s4
	s_waitcnt lgkmcnt(0)
	s_waitcnt_vscnt null, 0x0
	s_barrier
	buffer_gl0_inv
	s_clause 0x1c
	buffer_load_dword v137, off, s[0:3], 0 offset:152
	buffer_load_dword v138, off, s[0:3], 0 offset:156
	;; [unrolled: 1-line block ×29, first 2 shown]
	ds_read2_b64 v[129:132], v128 offset0:83 offset1:84
	ds_read2_b64 v[133:136], v128 offset0:85 offset1:86
	buffer_load_dword v162, off, s[0:3], 0 offset:268
	s_mov_b32 s4, exec_lo
	s_waitcnt vmcnt(28) lgkmcnt(1)
	v_fma_f64 v[129:130], v[137:138], v[129:130], 0
	s_clause 0x7
	buffer_load_dword v138, off, s[0:3], 0 offset:276
	buffer_load_dword v167, off, s[0:3], 0 offset:296
	buffer_load_dword v169, off, s[0:3], 0 offset:288
	buffer_load_dword v171, off, s[0:3], 0 offset:280
	buffer_load_dword v137, off, s[0:3], 0 offset:272
	buffer_load_dword v172, off, s[0:3], 0 offset:284
	buffer_load_dword v170, off, s[0:3], 0 offset:292
	buffer_load_dword v168, off, s[0:3], 0 offset:300
	s_waitcnt vmcnt(34)
	v_fma_f64 v[129:130], v[139:140], v[131:132], v[129:130]
	s_waitcnt vmcnt(32) lgkmcnt(0)
	v_fma_f64 v[129:130], v[141:142], v[133:134], v[129:130]
	s_waitcnt vmcnt(30)
	v_fma_f64 v[139:140], v[143:144], v[135:136], v[129:130]
	ds_read2_b64 v[129:132], v128 offset0:87 offset1:88
	ds_read2_b64 v[133:136], v128 offset0:89 offset1:90
	s_waitcnt vmcnt(28) lgkmcnt(1)
	v_fma_f64 v[129:130], v[145:146], v[129:130], v[139:140]
	s_clause 0x7
	buffer_load_dword v140, off, s[0:3], 0 offset:308
	buffer_load_dword v141, off, s[0:3], 0 offset:328
	buffer_load_dword v143, off, s[0:3], 0 offset:320
	buffer_load_dword v145, off, s[0:3], 0 offset:312
	buffer_load_dword v139, off, s[0:3], 0 offset:304
	buffer_load_dword v146, off, s[0:3], 0 offset:316
	buffer_load_dword v144, off, s[0:3], 0 offset:324
	buffer_load_dword v142, off, s[0:3], 0 offset:332
	s_waitcnt vmcnt(34)
	v_fma_f64 v[129:130], v[147:148], v[131:132], v[129:130]
	s_waitcnt vmcnt(32) lgkmcnt(0)
	v_fma_f64 v[129:130], v[149:150], v[133:134], v[129:130]
	s_waitcnt vmcnt(27)
	v_fma_f64 v[147:148], v[151:152], v[135:136], v[129:130]
	ds_read2_b64 v[129:132], v128 offset0:91 offset1:92
	ds_read2_b64 v[133:136], v128 offset0:93 offset1:94
	;; [unrolled: 19-line block ×7, first 2 shown]
	s_waitcnt vmcnt(26) lgkmcnt(1)
	v_fma_f64 v[129:130], v[165:166], v[129:130], v[149:150]
	s_clause 0x3
	buffer_load_dword v150, off, s[0:3], 0 offset:500
	buffer_load_dword v149, off, s[0:3], 0 offset:496
	;; [unrolled: 1-line block ×4, first 2 shown]
	s_waitcnt vmcnt(29)
	v_fma_f64 v[129:130], v[159:160], v[131:132], v[129:130]
	s_waitcnt vmcnt(28) lgkmcnt(0)
	v_fma_f64 v[129:130], v[155:156], v[133:134], v[129:130]
	s_waitcnt vmcnt(23)
	v_fma_f64 v[137:138], v[137:138], v[135:136], v[129:130]
	ds_read2_b64 v[129:132], v128 offset0:115 offset1:116
	ds_read2_b64 v[133:136], v128 offset0:117 offset1:118
	s_waitcnt vmcnt(22) lgkmcnt(1)
	v_fma_f64 v[129:130], v[171:172], v[129:130], v[137:138]
	s_waitcnt vmcnt(21)
	v_fma_f64 v[129:130], v[163:164], v[131:132], v[129:130]
	s_waitcnt vmcnt(20) lgkmcnt(0)
	v_fma_f64 v[129:130], v[161:162], v[133:134], v[129:130]
	s_waitcnt vmcnt(15)
	v_fma_f64 v[137:138], v[139:140], v[135:136], v[129:130]
	ds_read2_b64 v[129:132], v128 offset0:119 offset1:120
	ds_read2_b64 v[133:136], v128 offset0:121 offset1:122
	s_waitcnt vmcnt(14) lgkmcnt(1)
	v_fma_f64 v[129:130], v[169:170], v[129:130], v[137:138]
	;; [unrolled: 10-line block ×3, first 2 shown]
	s_waitcnt vmcnt(5)
	v_fma_f64 v[128:129], v[147:148], v[131:132], v[128:129]
	s_waitcnt vmcnt(4) lgkmcnt(0)
	v_fma_f64 v[128:129], v[143:144], v[133:134], v[128:129]
	s_waitcnt vmcnt(2)
	v_fma_f64 v[128:129], v[149:150], v[135:136], v[128:129]
	s_waitcnt vmcnt(0)
	v_add_f64 v[128:129], v[151:152], -v[128:129]
	buffer_store_dword v129, off, s[0:3], 0 offset:148
	buffer_store_dword v128, off, s[0:3], 0 offset:144
	v_cmpx_lt_u32_e32 17, v0
	s_cbranch_execz .LBB126_353
; %bb.352:
	s_clause 0x1
	buffer_load_dword v128, off, s[0:3], 0 offset:136
	buffer_load_dword v129, off, s[0:3], 0 offset:140
	v_mov_b32_e32 v130, 0
	buffer_store_dword v130, off, s[0:3], 0 offset:136
	buffer_store_dword v130, off, s[0:3], 0 offset:140
	s_waitcnt vmcnt(0)
	ds_write_b64 v127, v[128:129]
.LBB126_353:
	s_or_b32 exec_lo, exec_lo, s4
	s_waitcnt lgkmcnt(0)
	s_waitcnt_vscnt null, 0x0
	s_barrier
	buffer_gl0_inv
	s_clause 0x1c
	buffer_load_dword v137, off, s[0:3], 0 offset:144
	buffer_load_dword v138, off, s[0:3], 0 offset:148
	;; [unrolled: 1-line block ×29, first 2 shown]
	v_mov_b32_e32 v128, 0
	buffer_load_dword v162, off, s[0:3], 0 offset:260
	s_mov_b32 s4, exec_lo
	ds_read_b128 v[129:132], v128 offset:656
	ds_read_b128 v[133:136], v128 offset:672
	s_waitcnt vmcnt(28) lgkmcnt(1)
	v_fma_f64 v[129:130], v[137:138], v[129:130], 0
	s_clause 0x7
	buffer_load_dword v138, off, s[0:3], 0 offset:268
	buffer_load_dword v167, off, s[0:3], 0 offset:288
	buffer_load_dword v169, off, s[0:3], 0 offset:280
	buffer_load_dword v171, off, s[0:3], 0 offset:272
	buffer_load_dword v137, off, s[0:3], 0 offset:264
	buffer_load_dword v172, off, s[0:3], 0 offset:276
	buffer_load_dword v170, off, s[0:3], 0 offset:284
	buffer_load_dword v168, off, s[0:3], 0 offset:292
	s_waitcnt vmcnt(34)
	v_fma_f64 v[129:130], v[139:140], v[131:132], v[129:130]
	s_waitcnt vmcnt(32) lgkmcnt(0)
	v_fma_f64 v[129:130], v[141:142], v[133:134], v[129:130]
	s_waitcnt vmcnt(30)
	v_fma_f64 v[139:140], v[143:144], v[135:136], v[129:130]
	ds_read_b128 v[129:132], v128 offset:688
	ds_read_b128 v[133:136], v128 offset:704
	s_waitcnt vmcnt(28) lgkmcnt(1)
	v_fma_f64 v[129:130], v[145:146], v[129:130], v[139:140]
	s_clause 0x7
	buffer_load_dword v140, off, s[0:3], 0 offset:300
	buffer_load_dword v141, off, s[0:3], 0 offset:320
	buffer_load_dword v143, off, s[0:3], 0 offset:312
	buffer_load_dword v145, off, s[0:3], 0 offset:304
	buffer_load_dword v139, off, s[0:3], 0 offset:296
	buffer_load_dword v146, off, s[0:3], 0 offset:308
	buffer_load_dword v144, off, s[0:3], 0 offset:316
	buffer_load_dword v142, off, s[0:3], 0 offset:324
	s_waitcnt vmcnt(34)
	v_fma_f64 v[129:130], v[147:148], v[131:132], v[129:130]
	s_waitcnt vmcnt(32) lgkmcnt(0)
	v_fma_f64 v[129:130], v[149:150], v[133:134], v[129:130]
	s_waitcnt vmcnt(27)
	v_fma_f64 v[147:148], v[151:152], v[135:136], v[129:130]
	;; [unrolled: 19-line block ×7, first 2 shown]
	ds_read_b128 v[129:132], v128 offset:880
	ds_read_b128 v[133:136], v128 offset:896
	s_waitcnt vmcnt(26) lgkmcnt(1)
	v_fma_f64 v[129:130], v[165:166], v[129:130], v[149:150]
	s_clause 0x5
	buffer_load_dword v150, off, s[0:3], 0 offset:492
	buffer_load_dword v151, off, s[0:3], 0 offset:496
	;; [unrolled: 1-line block ×6, first 2 shown]
	s_waitcnt vmcnt(31)
	v_fma_f64 v[129:130], v[159:160], v[131:132], v[129:130]
	s_waitcnt vmcnt(30) lgkmcnt(0)
	v_fma_f64 v[129:130], v[155:156], v[133:134], v[129:130]
	s_waitcnt vmcnt(25)
	v_fma_f64 v[137:138], v[137:138], v[135:136], v[129:130]
	ds_read_b128 v[129:132], v128 offset:912
	ds_read_b128 v[133:136], v128 offset:928
	s_waitcnt vmcnt(24) lgkmcnt(1)
	v_fma_f64 v[129:130], v[171:172], v[129:130], v[137:138]
	s_waitcnt vmcnt(23)
	v_fma_f64 v[129:130], v[163:164], v[131:132], v[129:130]
	s_waitcnt vmcnt(22) lgkmcnt(0)
	v_fma_f64 v[129:130], v[161:162], v[133:134], v[129:130]
	s_waitcnt vmcnt(17)
	v_fma_f64 v[137:138], v[139:140], v[135:136], v[129:130]
	ds_read_b128 v[129:132], v128 offset:944
	ds_read_b128 v[133:136], v128 offset:960
	s_waitcnt vmcnt(16) lgkmcnt(1)
	v_fma_f64 v[129:130], v[169:170], v[129:130], v[137:138]
	;; [unrolled: 10-line block ×3, first 2 shown]
	s_waitcnt vmcnt(7)
	v_fma_f64 v[129:130], v[147:148], v[131:132], v[129:130]
	ds_read_b64 v[131:132], v128 offset:1008
	s_waitcnt vmcnt(6) lgkmcnt(1)
	v_fma_f64 v[129:130], v[143:144], v[133:134], v[129:130]
	s_waitcnt vmcnt(3)
	v_fma_f64 v[129:130], v[149:150], v[135:136], v[129:130]
	s_waitcnt vmcnt(2) lgkmcnt(0)
	v_fma_f64 v[129:130], v[151:152], v[131:132], v[129:130]
	s_waitcnt vmcnt(0)
	v_add_f64 v[129:130], v[153:154], -v[129:130]
	buffer_store_dword v130, off, s[0:3], 0 offset:140
	buffer_store_dword v129, off, s[0:3], 0 offset:136
	v_cmpx_lt_u32_e32 16, v0
	s_cbranch_execz .LBB126_355
; %bb.354:
	s_clause 0x1
	buffer_load_dword v129, off, s[0:3], 0 offset:128
	buffer_load_dword v130, off, s[0:3], 0 offset:132
	buffer_store_dword v128, off, s[0:3], 0 offset:128
	buffer_store_dword v128, off, s[0:3], 0 offset:132
	s_waitcnt vmcnt(0)
	ds_write_b64 v127, v[129:130]
.LBB126_355:
	s_or_b32 exec_lo, exec_lo, s4
	s_waitcnt lgkmcnt(0)
	s_waitcnt_vscnt null, 0x0
	s_barrier
	buffer_gl0_inv
	s_clause 0x1c
	buffer_load_dword v137, off, s[0:3], 0 offset:136
	buffer_load_dword v138, off, s[0:3], 0 offset:140
	;; [unrolled: 1-line block ×29, first 2 shown]
	ds_read2_b64 v[129:132], v128 offset0:81 offset1:82
	ds_read2_b64 v[133:136], v128 offset0:83 offset1:84
	buffer_load_dword v162, off, s[0:3], 0 offset:252
	s_mov_b32 s4, exec_lo
	s_waitcnt vmcnt(28) lgkmcnt(1)
	v_fma_f64 v[129:130], v[137:138], v[129:130], 0
	s_clause 0x7
	buffer_load_dword v138, off, s[0:3], 0 offset:260
	buffer_load_dword v167, off, s[0:3], 0 offset:280
	buffer_load_dword v169, off, s[0:3], 0 offset:272
	buffer_load_dword v171, off, s[0:3], 0 offset:264
	buffer_load_dword v137, off, s[0:3], 0 offset:256
	buffer_load_dword v172, off, s[0:3], 0 offset:268
	buffer_load_dword v170, off, s[0:3], 0 offset:276
	buffer_load_dword v168, off, s[0:3], 0 offset:284
	s_waitcnt vmcnt(34)
	v_fma_f64 v[129:130], v[139:140], v[131:132], v[129:130]
	s_waitcnt vmcnt(32) lgkmcnt(0)
	v_fma_f64 v[129:130], v[141:142], v[133:134], v[129:130]
	s_waitcnt vmcnt(30)
	v_fma_f64 v[139:140], v[143:144], v[135:136], v[129:130]
	ds_read2_b64 v[129:132], v128 offset0:85 offset1:86
	ds_read2_b64 v[133:136], v128 offset0:87 offset1:88
	s_waitcnt vmcnt(28) lgkmcnt(1)
	v_fma_f64 v[129:130], v[145:146], v[129:130], v[139:140]
	s_clause 0x7
	buffer_load_dword v140, off, s[0:3], 0 offset:292
	buffer_load_dword v141, off, s[0:3], 0 offset:312
	buffer_load_dword v143, off, s[0:3], 0 offset:304
	buffer_load_dword v145, off, s[0:3], 0 offset:296
	buffer_load_dword v139, off, s[0:3], 0 offset:288
	buffer_load_dword v146, off, s[0:3], 0 offset:300
	buffer_load_dword v144, off, s[0:3], 0 offset:308
	buffer_load_dword v142, off, s[0:3], 0 offset:316
	s_waitcnt vmcnt(34)
	v_fma_f64 v[129:130], v[147:148], v[131:132], v[129:130]
	s_waitcnt vmcnt(32) lgkmcnt(0)
	v_fma_f64 v[129:130], v[149:150], v[133:134], v[129:130]
	s_waitcnt vmcnt(27)
	v_fma_f64 v[147:148], v[151:152], v[135:136], v[129:130]
	ds_read2_b64 v[129:132], v128 offset0:89 offset1:90
	ds_read2_b64 v[133:136], v128 offset0:91 offset1:92
	;; [unrolled: 19-line block ×7, first 2 shown]
	s_waitcnt vmcnt(26) lgkmcnt(1)
	v_fma_f64 v[129:130], v[165:166], v[129:130], v[149:150]
	s_clause 0x5
	buffer_load_dword v150, off, s[0:3], 0 offset:484
	buffer_load_dword v151, off, s[0:3], 0 offset:496
	;; [unrolled: 1-line block ×6, first 2 shown]
	s_waitcnt vmcnt(31)
	v_fma_f64 v[129:130], v[159:160], v[131:132], v[129:130]
	s_waitcnt vmcnt(30) lgkmcnt(0)
	v_fma_f64 v[129:130], v[155:156], v[133:134], v[129:130]
	s_waitcnt vmcnt(25)
	v_fma_f64 v[137:138], v[137:138], v[135:136], v[129:130]
	ds_read2_b64 v[129:132], v128 offset0:113 offset1:114
	s_clause 0x1
	buffer_load_dword v155, off, s[0:3], 0 offset:128
	buffer_load_dword v156, off, s[0:3], 0 offset:132
	ds_read2_b64 v[133:136], v128 offset0:115 offset1:116
	s_waitcnt vmcnt(26) lgkmcnt(1)
	v_fma_f64 v[129:130], v[171:172], v[129:130], v[137:138]
	s_waitcnt vmcnt(25)
	v_fma_f64 v[129:130], v[163:164], v[131:132], v[129:130]
	s_waitcnt vmcnt(24) lgkmcnt(0)
	v_fma_f64 v[129:130], v[161:162], v[133:134], v[129:130]
	s_waitcnt vmcnt(19)
	v_fma_f64 v[137:138], v[139:140], v[135:136], v[129:130]
	ds_read2_b64 v[129:132], v128 offset0:117 offset1:118
	ds_read2_b64 v[133:136], v128 offset0:119 offset1:120
	s_waitcnt vmcnt(18) lgkmcnt(1)
	v_fma_f64 v[129:130], v[169:170], v[129:130], v[137:138]
	s_waitcnt vmcnt(17)
	v_fma_f64 v[129:130], v[167:168], v[131:132], v[129:130]
	s_waitcnt vmcnt(16) lgkmcnt(0)
	v_fma_f64 v[129:130], v[145:146], v[133:134], v[129:130]
	s_waitcnt vmcnt(11)
	v_fma_f64 v[137:138], v[141:142], v[135:136], v[129:130]
	ds_read2_b64 v[129:132], v128 offset0:121 offset1:122
	;; [unrolled: 10-line block ×3, first 2 shown]
	s_waitcnt vmcnt(3) lgkmcnt(0)
	v_fma_f64 v[128:129], v[153:154], v[128:129], v[132:133]
	s_waitcnt vmcnt(2)
	v_fma_f64 v[128:129], v[151:152], v[130:131], v[128:129]
	s_waitcnt vmcnt(0)
	v_add_f64 v[128:129], v[155:156], -v[128:129]
	buffer_store_dword v129, off, s[0:3], 0 offset:132
	buffer_store_dword v128, off, s[0:3], 0 offset:128
	v_cmpx_lt_u32_e32 15, v0
	s_cbranch_execz .LBB126_357
; %bb.356:
	s_clause 0x1
	buffer_load_dword v128, off, s[0:3], 0 offset:120
	buffer_load_dword v129, off, s[0:3], 0 offset:124
	v_mov_b32_e32 v130, 0
	buffer_store_dword v130, off, s[0:3], 0 offset:120
	buffer_store_dword v130, off, s[0:3], 0 offset:124
	s_waitcnt vmcnt(0)
	ds_write_b64 v127, v[128:129]
.LBB126_357:
	s_or_b32 exec_lo, exec_lo, s4
	s_waitcnt lgkmcnt(0)
	s_waitcnt_vscnt null, 0x0
	s_barrier
	buffer_gl0_inv
	s_clause 0x1c
	buffer_load_dword v137, off, s[0:3], 0 offset:128
	buffer_load_dword v138, off, s[0:3], 0 offset:132
	;; [unrolled: 1-line block ×29, first 2 shown]
	v_mov_b32_e32 v128, 0
	buffer_load_dword v162, off, s[0:3], 0 offset:244
	s_mov_b32 s4, exec_lo
	ds_read_b128 v[129:132], v128 offset:640
	ds_read_b128 v[133:136], v128 offset:656
	s_waitcnt vmcnt(28) lgkmcnt(1)
	v_fma_f64 v[129:130], v[137:138], v[129:130], 0
	s_clause 0x7
	buffer_load_dword v138, off, s[0:3], 0 offset:252
	buffer_load_dword v167, off, s[0:3], 0 offset:272
	buffer_load_dword v169, off, s[0:3], 0 offset:264
	buffer_load_dword v171, off, s[0:3], 0 offset:256
	buffer_load_dword v137, off, s[0:3], 0 offset:248
	buffer_load_dword v172, off, s[0:3], 0 offset:260
	buffer_load_dword v170, off, s[0:3], 0 offset:268
	buffer_load_dword v168, off, s[0:3], 0 offset:276
	s_waitcnt vmcnt(34)
	v_fma_f64 v[129:130], v[139:140], v[131:132], v[129:130]
	s_waitcnt vmcnt(32) lgkmcnt(0)
	v_fma_f64 v[129:130], v[141:142], v[133:134], v[129:130]
	s_waitcnt vmcnt(30)
	v_fma_f64 v[139:140], v[143:144], v[135:136], v[129:130]
	ds_read_b128 v[129:132], v128 offset:672
	ds_read_b128 v[133:136], v128 offset:688
	s_waitcnt vmcnt(28) lgkmcnt(1)
	v_fma_f64 v[129:130], v[145:146], v[129:130], v[139:140]
	s_clause 0x7
	buffer_load_dword v140, off, s[0:3], 0 offset:284
	buffer_load_dword v141, off, s[0:3], 0 offset:304
	buffer_load_dword v143, off, s[0:3], 0 offset:296
	buffer_load_dword v145, off, s[0:3], 0 offset:288
	buffer_load_dword v139, off, s[0:3], 0 offset:280
	buffer_load_dword v146, off, s[0:3], 0 offset:292
	buffer_load_dword v144, off, s[0:3], 0 offset:300
	buffer_load_dword v142, off, s[0:3], 0 offset:308
	s_waitcnt vmcnt(34)
	v_fma_f64 v[129:130], v[147:148], v[131:132], v[129:130]
	s_waitcnt vmcnt(32) lgkmcnt(0)
	v_fma_f64 v[129:130], v[149:150], v[133:134], v[129:130]
	s_waitcnt vmcnt(27)
	v_fma_f64 v[147:148], v[151:152], v[135:136], v[129:130]
	;; [unrolled: 19-line block ×8, first 2 shown]
	ds_read_b128 v[129:132], v128 offset:896
	ds_read_b128 v[133:136], v128 offset:912
	s_waitcnt vmcnt(26) lgkmcnt(1)
	v_fma_f64 v[129:130], v[171:172], v[129:130], v[137:138]
	s_clause 0x1
	buffer_load_dword v137, off, s[0:3], 0 offset:120
	buffer_load_dword v138, off, s[0:3], 0 offset:124
	s_waitcnt vmcnt(27)
	v_fma_f64 v[129:130], v[163:164], v[131:132], v[129:130]
	s_waitcnt vmcnt(26) lgkmcnt(0)
	v_fma_f64 v[129:130], v[161:162], v[133:134], v[129:130]
	s_waitcnt vmcnt(21)
	v_fma_f64 v[139:140], v[139:140], v[135:136], v[129:130]
	ds_read_b128 v[129:132], v128 offset:928
	ds_read_b128 v[133:136], v128 offset:944
	s_waitcnt vmcnt(20) lgkmcnt(1)
	v_fma_f64 v[129:130], v[169:170], v[129:130], v[139:140]
	s_waitcnt vmcnt(19)
	v_fma_f64 v[129:130], v[167:168], v[131:132], v[129:130]
	s_waitcnt vmcnt(18) lgkmcnt(0)
	v_fma_f64 v[129:130], v[145:146], v[133:134], v[129:130]
	s_waitcnt vmcnt(13)
	v_fma_f64 v[139:140], v[141:142], v[135:136], v[129:130]
	ds_read_b128 v[129:132], v128 offset:960
	ds_read_b128 v[133:136], v128 offset:976
	s_waitcnt vmcnt(12) lgkmcnt(1)
	v_fma_f64 v[129:130], v[157:158], v[129:130], v[139:140]
	s_waitcnt vmcnt(11)
	v_fma_f64 v[129:130], v[147:148], v[131:132], v[129:130]
	s_waitcnt vmcnt(10) lgkmcnt(0)
	v_fma_f64 v[129:130], v[143:144], v[133:134], v[129:130]
	s_waitcnt vmcnt(5)
	v_fma_f64 v[133:134], v[149:150], v[135:136], v[129:130]
	ds_read_b128 v[129:132], v128 offset:992
	ds_read_b64 v[135:136], v128 offset:1008
	s_waitcnt vmcnt(4) lgkmcnt(1)
	v_fma_f64 v[129:130], v[165:166], v[129:130], v[133:134]
	s_waitcnt vmcnt(3)
	v_fma_f64 v[129:130], v[153:154], v[131:132], v[129:130]
	s_waitcnt vmcnt(2) lgkmcnt(0)
	v_fma_f64 v[129:130], v[151:152], v[135:136], v[129:130]
	s_waitcnt vmcnt(0)
	v_add_f64 v[129:130], v[137:138], -v[129:130]
	buffer_store_dword v130, off, s[0:3], 0 offset:124
	buffer_store_dword v129, off, s[0:3], 0 offset:120
	v_cmpx_lt_u32_e32 14, v0
	s_cbranch_execz .LBB126_359
; %bb.358:
	s_clause 0x1
	buffer_load_dword v129, off, s[0:3], 0 offset:112
	buffer_load_dword v130, off, s[0:3], 0 offset:116
	buffer_store_dword v128, off, s[0:3], 0 offset:112
	buffer_store_dword v128, off, s[0:3], 0 offset:116
	s_waitcnt vmcnt(0)
	ds_write_b64 v127, v[129:130]
.LBB126_359:
	s_or_b32 exec_lo, exec_lo, s4
	s_waitcnt lgkmcnt(0)
	s_waitcnt_vscnt null, 0x0
	s_barrier
	buffer_gl0_inv
	s_clause 0x1c
	buffer_load_dword v137, off, s[0:3], 0 offset:120
	buffer_load_dword v138, off, s[0:3], 0 offset:124
	;; [unrolled: 1-line block ×29, first 2 shown]
	ds_read2_b64 v[129:132], v128 offset0:79 offset1:80
	ds_read2_b64 v[133:136], v128 offset0:81 offset1:82
	buffer_load_dword v162, off, s[0:3], 0 offset:236
	s_mov_b32 s4, exec_lo
	s_waitcnt vmcnt(28) lgkmcnt(1)
	v_fma_f64 v[129:130], v[137:138], v[129:130], 0
	s_clause 0x7
	buffer_load_dword v138, off, s[0:3], 0 offset:244
	buffer_load_dword v167, off, s[0:3], 0 offset:264
	buffer_load_dword v169, off, s[0:3], 0 offset:256
	buffer_load_dword v171, off, s[0:3], 0 offset:248
	buffer_load_dword v137, off, s[0:3], 0 offset:240
	buffer_load_dword v172, off, s[0:3], 0 offset:252
	buffer_load_dword v170, off, s[0:3], 0 offset:260
	buffer_load_dword v168, off, s[0:3], 0 offset:268
	s_waitcnt vmcnt(34)
	v_fma_f64 v[129:130], v[139:140], v[131:132], v[129:130]
	s_waitcnt vmcnt(32) lgkmcnt(0)
	v_fma_f64 v[129:130], v[141:142], v[133:134], v[129:130]
	s_waitcnt vmcnt(30)
	v_fma_f64 v[139:140], v[143:144], v[135:136], v[129:130]
	ds_read2_b64 v[129:132], v128 offset0:83 offset1:84
	ds_read2_b64 v[133:136], v128 offset0:85 offset1:86
	s_waitcnt vmcnt(28) lgkmcnt(1)
	v_fma_f64 v[129:130], v[145:146], v[129:130], v[139:140]
	s_clause 0x7
	buffer_load_dword v140, off, s[0:3], 0 offset:276
	buffer_load_dword v141, off, s[0:3], 0 offset:296
	buffer_load_dword v143, off, s[0:3], 0 offset:288
	buffer_load_dword v145, off, s[0:3], 0 offset:280
	buffer_load_dword v139, off, s[0:3], 0 offset:272
	buffer_load_dword v146, off, s[0:3], 0 offset:284
	buffer_load_dword v144, off, s[0:3], 0 offset:292
	buffer_load_dword v142, off, s[0:3], 0 offset:300
	s_waitcnt vmcnt(34)
	v_fma_f64 v[129:130], v[147:148], v[131:132], v[129:130]
	s_waitcnt vmcnt(32) lgkmcnt(0)
	v_fma_f64 v[129:130], v[149:150], v[133:134], v[129:130]
	s_waitcnt vmcnt(27)
	v_fma_f64 v[147:148], v[151:152], v[135:136], v[129:130]
	ds_read2_b64 v[129:132], v128 offset0:87 offset1:88
	ds_read2_b64 v[133:136], v128 offset0:89 offset1:90
	;; [unrolled: 19-line block ×8, first 2 shown]
	s_waitcnt vmcnt(26) lgkmcnt(1)
	v_fma_f64 v[129:130], v[171:172], v[129:130], v[137:138]
	s_clause 0x3
	buffer_load_dword v138, off, s[0:3], 0 offset:500
	buffer_load_dword v137, off, s[0:3], 0 offset:496
	;; [unrolled: 1-line block ×4, first 2 shown]
	s_waitcnt vmcnt(29)
	v_fma_f64 v[129:130], v[163:164], v[131:132], v[129:130]
	s_waitcnt vmcnt(28) lgkmcnt(0)
	v_fma_f64 v[129:130], v[161:162], v[133:134], v[129:130]
	s_waitcnt vmcnt(23)
	v_fma_f64 v[139:140], v[139:140], v[135:136], v[129:130]
	ds_read2_b64 v[129:132], v128 offset0:115 offset1:116
	ds_read2_b64 v[133:136], v128 offset0:117 offset1:118
	s_waitcnt vmcnt(22) lgkmcnt(1)
	v_fma_f64 v[129:130], v[169:170], v[129:130], v[139:140]
	s_waitcnt vmcnt(21)
	v_fma_f64 v[129:130], v[167:168], v[131:132], v[129:130]
	s_waitcnt vmcnt(20) lgkmcnt(0)
	v_fma_f64 v[129:130], v[145:146], v[133:134], v[129:130]
	s_waitcnt vmcnt(15)
	v_fma_f64 v[139:140], v[141:142], v[135:136], v[129:130]
	ds_read2_b64 v[129:132], v128 offset0:119 offset1:120
	ds_read2_b64 v[133:136], v128 offset0:121 offset1:122
	s_waitcnt vmcnt(14) lgkmcnt(1)
	v_fma_f64 v[129:130], v[157:158], v[129:130], v[139:140]
	;; [unrolled: 10-line block ×3, first 2 shown]
	s_waitcnt vmcnt(5)
	v_fma_f64 v[128:129], v[153:154], v[131:132], v[128:129]
	s_waitcnt vmcnt(4) lgkmcnt(0)
	v_fma_f64 v[128:129], v[151:152], v[133:134], v[128:129]
	s_waitcnt vmcnt(2)
	v_fma_f64 v[128:129], v[137:138], v[135:136], v[128:129]
	s_waitcnt vmcnt(0)
	v_add_f64 v[128:129], v[155:156], -v[128:129]
	buffer_store_dword v129, off, s[0:3], 0 offset:116
	buffer_store_dword v128, off, s[0:3], 0 offset:112
	v_cmpx_lt_u32_e32 13, v0
	s_cbranch_execz .LBB126_361
; %bb.360:
	s_clause 0x1
	buffer_load_dword v128, off, s[0:3], 0 offset:104
	buffer_load_dword v129, off, s[0:3], 0 offset:108
	v_mov_b32_e32 v130, 0
	buffer_store_dword v130, off, s[0:3], 0 offset:104
	buffer_store_dword v130, off, s[0:3], 0 offset:108
	s_waitcnt vmcnt(0)
	ds_write_b64 v127, v[128:129]
.LBB126_361:
	s_or_b32 exec_lo, exec_lo, s4
	s_waitcnt lgkmcnt(0)
	s_waitcnt_vscnt null, 0x0
	s_barrier
	buffer_gl0_inv
	s_clause 0x1c
	buffer_load_dword v137, off, s[0:3], 0 offset:112
	buffer_load_dword v138, off, s[0:3], 0 offset:116
	;; [unrolled: 1-line block ×29, first 2 shown]
	v_mov_b32_e32 v128, 0
	buffer_load_dword v162, off, s[0:3], 0 offset:228
	s_mov_b32 s4, exec_lo
	ds_read_b128 v[129:132], v128 offset:624
	ds_read_b128 v[133:136], v128 offset:640
	s_waitcnt vmcnt(28) lgkmcnt(1)
	v_fma_f64 v[129:130], v[137:138], v[129:130], 0
	s_clause 0x7
	buffer_load_dword v138, off, s[0:3], 0 offset:236
	buffer_load_dword v167, off, s[0:3], 0 offset:256
	buffer_load_dword v169, off, s[0:3], 0 offset:248
	buffer_load_dword v171, off, s[0:3], 0 offset:240
	buffer_load_dword v137, off, s[0:3], 0 offset:232
	buffer_load_dword v172, off, s[0:3], 0 offset:244
	buffer_load_dword v170, off, s[0:3], 0 offset:252
	buffer_load_dword v168, off, s[0:3], 0 offset:260
	s_waitcnt vmcnt(34)
	v_fma_f64 v[129:130], v[139:140], v[131:132], v[129:130]
	s_waitcnt vmcnt(32) lgkmcnt(0)
	v_fma_f64 v[129:130], v[141:142], v[133:134], v[129:130]
	s_waitcnt vmcnt(30)
	v_fma_f64 v[139:140], v[143:144], v[135:136], v[129:130]
	ds_read_b128 v[129:132], v128 offset:656
	ds_read_b128 v[133:136], v128 offset:672
	s_waitcnt vmcnt(28) lgkmcnt(1)
	v_fma_f64 v[129:130], v[145:146], v[129:130], v[139:140]
	s_clause 0x7
	buffer_load_dword v140, off, s[0:3], 0 offset:268
	buffer_load_dword v141, off, s[0:3], 0 offset:288
	buffer_load_dword v143, off, s[0:3], 0 offset:280
	buffer_load_dword v145, off, s[0:3], 0 offset:272
	buffer_load_dword v139, off, s[0:3], 0 offset:264
	buffer_load_dword v146, off, s[0:3], 0 offset:276
	buffer_load_dword v144, off, s[0:3], 0 offset:284
	buffer_load_dword v142, off, s[0:3], 0 offset:292
	s_waitcnt vmcnt(34)
	v_fma_f64 v[129:130], v[147:148], v[131:132], v[129:130]
	s_waitcnt vmcnt(32) lgkmcnt(0)
	v_fma_f64 v[129:130], v[149:150], v[133:134], v[129:130]
	s_waitcnt vmcnt(27)
	v_fma_f64 v[147:148], v[151:152], v[135:136], v[129:130]
	;; [unrolled: 19-line block ×8, first 2 shown]
	ds_read_b128 v[129:132], v128 offset:880
	ds_read_b128 v[133:136], v128 offset:896
	s_waitcnt vmcnt(26) lgkmcnt(1)
	v_fma_f64 v[129:130], v[171:172], v[129:130], v[137:138]
	s_clause 0x5
	buffer_load_dword v138, off, s[0:3], 0 offset:492
	buffer_load_dword v155, off, s[0:3], 0 offset:496
	buffer_load_dword v137, off, s[0:3], 0 offset:488
	buffer_load_dword v156, off, s[0:3], 0 offset:500
	buffer_load_dword v159, off, s[0:3], 0 offset:104
	buffer_load_dword v160, off, s[0:3], 0 offset:108
	s_waitcnt vmcnt(31)
	v_fma_f64 v[129:130], v[163:164], v[131:132], v[129:130]
	s_waitcnt vmcnt(30) lgkmcnt(0)
	v_fma_f64 v[129:130], v[161:162], v[133:134], v[129:130]
	s_waitcnt vmcnt(25)
	v_fma_f64 v[139:140], v[139:140], v[135:136], v[129:130]
	ds_read_b128 v[129:132], v128 offset:912
	ds_read_b128 v[133:136], v128 offset:928
	s_waitcnt vmcnt(24) lgkmcnt(1)
	v_fma_f64 v[129:130], v[169:170], v[129:130], v[139:140]
	s_waitcnt vmcnt(23)
	v_fma_f64 v[129:130], v[167:168], v[131:132], v[129:130]
	s_waitcnt vmcnt(22) lgkmcnt(0)
	v_fma_f64 v[129:130], v[145:146], v[133:134], v[129:130]
	s_waitcnt vmcnt(17)
	v_fma_f64 v[139:140], v[141:142], v[135:136], v[129:130]
	ds_read_b128 v[129:132], v128 offset:944
	ds_read_b128 v[133:136], v128 offset:960
	s_waitcnt vmcnt(16) lgkmcnt(1)
	v_fma_f64 v[129:130], v[157:158], v[129:130], v[139:140]
	;; [unrolled: 10-line block ×3, first 2 shown]
	s_waitcnt vmcnt(7)
	v_fma_f64 v[129:130], v[153:154], v[131:132], v[129:130]
	ds_read_b64 v[131:132], v128 offset:1008
	s_waitcnt vmcnt(6) lgkmcnt(1)
	v_fma_f64 v[129:130], v[151:152], v[133:134], v[129:130]
	s_waitcnt vmcnt(3)
	v_fma_f64 v[129:130], v[137:138], v[135:136], v[129:130]
	s_waitcnt vmcnt(2) lgkmcnt(0)
	v_fma_f64 v[129:130], v[155:156], v[131:132], v[129:130]
	s_waitcnt vmcnt(0)
	v_add_f64 v[129:130], v[159:160], -v[129:130]
	buffer_store_dword v130, off, s[0:3], 0 offset:108
	buffer_store_dword v129, off, s[0:3], 0 offset:104
	v_cmpx_lt_u32_e32 12, v0
	s_cbranch_execz .LBB126_363
; %bb.362:
	s_clause 0x1
	buffer_load_dword v129, off, s[0:3], 0 offset:96
	buffer_load_dword v130, off, s[0:3], 0 offset:100
	buffer_store_dword v128, off, s[0:3], 0 offset:96
	buffer_store_dword v128, off, s[0:3], 0 offset:100
	s_waitcnt vmcnt(0)
	ds_write_b64 v127, v[129:130]
.LBB126_363:
	s_or_b32 exec_lo, exec_lo, s4
	s_waitcnt lgkmcnt(0)
	s_waitcnt_vscnt null, 0x0
	s_barrier
	buffer_gl0_inv
	s_clause 0x1c
	buffer_load_dword v137, off, s[0:3], 0 offset:104
	buffer_load_dword v138, off, s[0:3], 0 offset:108
	buffer_load_dword v139, off, s[0:3], 0 offset:112
	buffer_load_dword v140, off, s[0:3], 0 offset:116
	buffer_load_dword v141, off, s[0:3], 0 offset:120
	buffer_load_dword v142, off, s[0:3], 0 offset:124
	buffer_load_dword v143, off, s[0:3], 0 offset:128
	buffer_load_dword v144, off, s[0:3], 0 offset:132
	buffer_load_dword v145, off, s[0:3], 0 offset:136
	buffer_load_dword v146, off, s[0:3], 0 offset:140
	buffer_load_dword v147, off, s[0:3], 0 offset:144
	buffer_load_dword v148, off, s[0:3], 0 offset:148
	buffer_load_dword v149, off, s[0:3], 0 offset:152
	buffer_load_dword v150, off, s[0:3], 0 offset:156
	buffer_load_dword v152, off, s[0:3], 0 offset:164
	buffer_load_dword v153, off, s[0:3], 0 offset:184
	buffer_load_dword v155, off, s[0:3], 0 offset:176
	buffer_load_dword v157, off, s[0:3], 0 offset:168
	buffer_load_dword v151, off, s[0:3], 0 offset:160
	buffer_load_dword v158, off, s[0:3], 0 offset:172
	buffer_load_dword v156, off, s[0:3], 0 offset:180
	buffer_load_dword v154, off, s[0:3], 0 offset:188
	buffer_load_dword v160, off, s[0:3], 0 offset:196
	buffer_load_dword v161, off, s[0:3], 0 offset:216
	buffer_load_dword v163, off, s[0:3], 0 offset:208
	buffer_load_dword v165, off, s[0:3], 0 offset:200
	buffer_load_dword v159, off, s[0:3], 0 offset:192
	buffer_load_dword v166, off, s[0:3], 0 offset:204
	buffer_load_dword v164, off, s[0:3], 0 offset:212
	ds_read2_b64 v[129:132], v128 offset0:77 offset1:78
	ds_read2_b64 v[133:136], v128 offset0:79 offset1:80
	buffer_load_dword v162, off, s[0:3], 0 offset:220
	s_mov_b32 s4, exec_lo
	s_waitcnt vmcnt(28) lgkmcnt(1)
	v_fma_f64 v[129:130], v[137:138], v[129:130], 0
	s_clause 0x7
	buffer_load_dword v138, off, s[0:3], 0 offset:228
	buffer_load_dword v167, off, s[0:3], 0 offset:248
	buffer_load_dword v169, off, s[0:3], 0 offset:240
	buffer_load_dword v171, off, s[0:3], 0 offset:232
	buffer_load_dword v137, off, s[0:3], 0 offset:224
	buffer_load_dword v172, off, s[0:3], 0 offset:236
	buffer_load_dword v170, off, s[0:3], 0 offset:244
	buffer_load_dword v168, off, s[0:3], 0 offset:252
	s_waitcnt vmcnt(34)
	v_fma_f64 v[129:130], v[139:140], v[131:132], v[129:130]
	s_waitcnt vmcnt(32) lgkmcnt(0)
	v_fma_f64 v[129:130], v[141:142], v[133:134], v[129:130]
	s_waitcnt vmcnt(30)
	v_fma_f64 v[139:140], v[143:144], v[135:136], v[129:130]
	ds_read2_b64 v[129:132], v128 offset0:81 offset1:82
	ds_read2_b64 v[133:136], v128 offset0:83 offset1:84
	s_waitcnt vmcnt(28) lgkmcnt(1)
	v_fma_f64 v[129:130], v[145:146], v[129:130], v[139:140]
	s_clause 0x7
	buffer_load_dword v140, off, s[0:3], 0 offset:260
	buffer_load_dword v141, off, s[0:3], 0 offset:280
	buffer_load_dword v143, off, s[0:3], 0 offset:272
	buffer_load_dword v145, off, s[0:3], 0 offset:264
	buffer_load_dword v139, off, s[0:3], 0 offset:256
	buffer_load_dword v146, off, s[0:3], 0 offset:268
	buffer_load_dword v144, off, s[0:3], 0 offset:276
	buffer_load_dword v142, off, s[0:3], 0 offset:284
	s_waitcnt vmcnt(34)
	v_fma_f64 v[129:130], v[147:148], v[131:132], v[129:130]
	s_waitcnt vmcnt(32) lgkmcnt(0)
	v_fma_f64 v[129:130], v[149:150], v[133:134], v[129:130]
	s_waitcnt vmcnt(27)
	v_fma_f64 v[147:148], v[151:152], v[135:136], v[129:130]
	ds_read2_b64 v[129:132], v128 offset0:85 offset1:86
	ds_read2_b64 v[133:136], v128 offset0:87 offset1:88
	;; [unrolled: 19-line block ×8, first 2 shown]
	s_waitcnt vmcnt(26) lgkmcnt(1)
	v_fma_f64 v[129:130], v[171:172], v[129:130], v[137:138]
	s_clause 0x5
	buffer_load_dword v138, off, s[0:3], 0 offset:484
	buffer_load_dword v155, off, s[0:3], 0 offset:496
	buffer_load_dword v159, off, s[0:3], 0 offset:488
	buffer_load_dword v137, off, s[0:3], 0 offset:480
	buffer_load_dword v160, off, s[0:3], 0 offset:492
	buffer_load_dword v156, off, s[0:3], 0 offset:500
	s_waitcnt vmcnt(31)
	v_fma_f64 v[129:130], v[163:164], v[131:132], v[129:130]
	s_waitcnt vmcnt(30) lgkmcnt(0)
	v_fma_f64 v[129:130], v[161:162], v[133:134], v[129:130]
	s_waitcnt vmcnt(25)
	v_fma_f64 v[139:140], v[139:140], v[135:136], v[129:130]
	ds_read2_b64 v[129:132], v128 offset0:113 offset1:114
	s_clause 0x1
	buffer_load_dword v161, off, s[0:3], 0 offset:96
	buffer_load_dword v162, off, s[0:3], 0 offset:100
	ds_read2_b64 v[133:136], v128 offset0:115 offset1:116
	s_waitcnt vmcnt(26) lgkmcnt(1)
	v_fma_f64 v[129:130], v[169:170], v[129:130], v[139:140]
	s_waitcnt vmcnt(25)
	v_fma_f64 v[129:130], v[167:168], v[131:132], v[129:130]
	s_waitcnt vmcnt(24) lgkmcnt(0)
	v_fma_f64 v[129:130], v[145:146], v[133:134], v[129:130]
	s_waitcnt vmcnt(19)
	v_fma_f64 v[139:140], v[141:142], v[135:136], v[129:130]
	ds_read2_b64 v[129:132], v128 offset0:117 offset1:118
	ds_read2_b64 v[133:136], v128 offset0:119 offset1:120
	s_waitcnt vmcnt(18) lgkmcnt(1)
	v_fma_f64 v[129:130], v[157:158], v[129:130], v[139:140]
	s_waitcnt vmcnt(17)
	v_fma_f64 v[129:130], v[147:148], v[131:132], v[129:130]
	s_waitcnt vmcnt(16) lgkmcnt(0)
	v_fma_f64 v[129:130], v[143:144], v[133:134], v[129:130]
	s_waitcnt vmcnt(11)
	v_fma_f64 v[139:140], v[149:150], v[135:136], v[129:130]
	ds_read2_b64 v[129:132], v128 offset0:121 offset1:122
	;; [unrolled: 10-line block ×3, first 2 shown]
	s_waitcnt vmcnt(3) lgkmcnt(0)
	v_fma_f64 v[128:129], v[159:160], v[128:129], v[132:133]
	s_waitcnt vmcnt(2)
	v_fma_f64 v[128:129], v[155:156], v[130:131], v[128:129]
	s_waitcnt vmcnt(0)
	v_add_f64 v[128:129], v[161:162], -v[128:129]
	buffer_store_dword v129, off, s[0:3], 0 offset:100
	buffer_store_dword v128, off, s[0:3], 0 offset:96
	v_cmpx_lt_u32_e32 11, v0
	s_cbranch_execz .LBB126_365
; %bb.364:
	s_clause 0x1
	buffer_load_dword v128, off, s[0:3], 0 offset:88
	buffer_load_dword v129, off, s[0:3], 0 offset:92
	v_mov_b32_e32 v130, 0
	buffer_store_dword v130, off, s[0:3], 0 offset:88
	buffer_store_dword v130, off, s[0:3], 0 offset:92
	s_waitcnt vmcnt(0)
	ds_write_b64 v127, v[128:129]
.LBB126_365:
	s_or_b32 exec_lo, exec_lo, s4
	s_waitcnt lgkmcnt(0)
	s_waitcnt_vscnt null, 0x0
	s_barrier
	buffer_gl0_inv
	s_clause 0x1c
	buffer_load_dword v137, off, s[0:3], 0 offset:96
	buffer_load_dword v138, off, s[0:3], 0 offset:100
	;; [unrolled: 1-line block ×29, first 2 shown]
	v_mov_b32_e32 v128, 0
	buffer_load_dword v162, off, s[0:3], 0 offset:212
	s_mov_b32 s4, exec_lo
	ds_read_b128 v[129:132], v128 offset:608
	ds_read_b128 v[133:136], v128 offset:624
	s_waitcnt vmcnt(28) lgkmcnt(1)
	v_fma_f64 v[129:130], v[137:138], v[129:130], 0
	s_clause 0x7
	buffer_load_dword v138, off, s[0:3], 0 offset:220
	buffer_load_dword v167, off, s[0:3], 0 offset:240
	buffer_load_dword v169, off, s[0:3], 0 offset:232
	buffer_load_dword v171, off, s[0:3], 0 offset:224
	buffer_load_dword v137, off, s[0:3], 0 offset:216
	buffer_load_dword v172, off, s[0:3], 0 offset:228
	buffer_load_dword v170, off, s[0:3], 0 offset:236
	buffer_load_dword v168, off, s[0:3], 0 offset:244
	s_waitcnt vmcnt(34)
	v_fma_f64 v[129:130], v[139:140], v[131:132], v[129:130]
	s_waitcnt vmcnt(32) lgkmcnt(0)
	v_fma_f64 v[129:130], v[141:142], v[133:134], v[129:130]
	s_waitcnt vmcnt(30)
	v_fma_f64 v[139:140], v[143:144], v[135:136], v[129:130]
	ds_read_b128 v[129:132], v128 offset:640
	ds_read_b128 v[133:136], v128 offset:656
	s_waitcnt vmcnt(28) lgkmcnt(1)
	v_fma_f64 v[129:130], v[145:146], v[129:130], v[139:140]
	s_clause 0x7
	buffer_load_dword v140, off, s[0:3], 0 offset:252
	buffer_load_dword v141, off, s[0:3], 0 offset:272
	buffer_load_dword v143, off, s[0:3], 0 offset:264
	buffer_load_dword v145, off, s[0:3], 0 offset:256
	buffer_load_dword v139, off, s[0:3], 0 offset:248
	buffer_load_dword v146, off, s[0:3], 0 offset:260
	buffer_load_dword v144, off, s[0:3], 0 offset:268
	buffer_load_dword v142, off, s[0:3], 0 offset:276
	s_waitcnt vmcnt(34)
	v_fma_f64 v[129:130], v[147:148], v[131:132], v[129:130]
	s_waitcnt vmcnt(32) lgkmcnt(0)
	v_fma_f64 v[129:130], v[149:150], v[133:134], v[129:130]
	s_waitcnt vmcnt(27)
	v_fma_f64 v[147:148], v[151:152], v[135:136], v[129:130]
	;; [unrolled: 19-line block ×9, first 2 shown]
	ds_read_b128 v[129:132], v128 offset:896
	ds_read_b128 v[133:136], v128 offset:912
	s_waitcnt vmcnt(26) lgkmcnt(1)
	v_fma_f64 v[129:130], v[169:170], v[129:130], v[139:140]
	s_clause 0x1
	buffer_load_dword v139, off, s[0:3], 0 offset:88
	buffer_load_dword v140, off, s[0:3], 0 offset:92
	s_waitcnt vmcnt(27)
	v_fma_f64 v[129:130], v[167:168], v[131:132], v[129:130]
	s_waitcnt vmcnt(26) lgkmcnt(0)
	v_fma_f64 v[129:130], v[145:146], v[133:134], v[129:130]
	s_waitcnt vmcnt(21)
	v_fma_f64 v[141:142], v[141:142], v[135:136], v[129:130]
	ds_read_b128 v[129:132], v128 offset:928
	ds_read_b128 v[133:136], v128 offset:944
	s_waitcnt vmcnt(20) lgkmcnt(1)
	v_fma_f64 v[129:130], v[157:158], v[129:130], v[141:142]
	s_waitcnt vmcnt(19)
	v_fma_f64 v[129:130], v[147:148], v[131:132], v[129:130]
	s_waitcnt vmcnt(18) lgkmcnt(0)
	v_fma_f64 v[129:130], v[143:144], v[133:134], v[129:130]
	s_waitcnt vmcnt(13)
	v_fma_f64 v[141:142], v[149:150], v[135:136], v[129:130]
	ds_read_b128 v[129:132], v128 offset:960
	ds_read_b128 v[133:136], v128 offset:976
	s_waitcnt vmcnt(12) lgkmcnt(1)
	v_fma_f64 v[129:130], v[165:166], v[129:130], v[141:142]
	s_waitcnt vmcnt(11)
	v_fma_f64 v[129:130], v[153:154], v[131:132], v[129:130]
	s_waitcnt vmcnt(10) lgkmcnt(0)
	v_fma_f64 v[129:130], v[151:152], v[133:134], v[129:130]
	s_waitcnt vmcnt(5)
	v_fma_f64 v[133:134], v[137:138], v[135:136], v[129:130]
	ds_read_b128 v[129:132], v128 offset:992
	ds_read_b64 v[135:136], v128 offset:1008
	s_waitcnt vmcnt(4) lgkmcnt(1)
	v_fma_f64 v[129:130], v[171:172], v[129:130], v[133:134]
	s_waitcnt vmcnt(3)
	v_fma_f64 v[129:130], v[159:160], v[131:132], v[129:130]
	s_waitcnt vmcnt(2) lgkmcnt(0)
	v_fma_f64 v[129:130], v[155:156], v[135:136], v[129:130]
	s_waitcnt vmcnt(0)
	v_add_f64 v[129:130], v[139:140], -v[129:130]
	buffer_store_dword v130, off, s[0:3], 0 offset:92
	buffer_store_dword v129, off, s[0:3], 0 offset:88
	v_cmpx_lt_u32_e32 10, v0
	s_cbranch_execz .LBB126_367
; %bb.366:
	s_clause 0x1
	buffer_load_dword v129, off, s[0:3], 0 offset:80
	buffer_load_dword v130, off, s[0:3], 0 offset:84
	buffer_store_dword v128, off, s[0:3], 0 offset:80
	buffer_store_dword v128, off, s[0:3], 0 offset:84
	s_waitcnt vmcnt(0)
	ds_write_b64 v127, v[129:130]
.LBB126_367:
	s_or_b32 exec_lo, exec_lo, s4
	s_waitcnt lgkmcnt(0)
	s_waitcnt_vscnt null, 0x0
	s_barrier
	buffer_gl0_inv
	s_clause 0x1c
	buffer_load_dword v137, off, s[0:3], 0 offset:88
	buffer_load_dword v138, off, s[0:3], 0 offset:92
	;; [unrolled: 1-line block ×29, first 2 shown]
	ds_read2_b64 v[129:132], v128 offset0:75 offset1:76
	ds_read2_b64 v[133:136], v128 offset0:77 offset1:78
	buffer_load_dword v162, off, s[0:3], 0 offset:204
	s_mov_b32 s4, exec_lo
	s_waitcnt vmcnt(28) lgkmcnt(1)
	v_fma_f64 v[129:130], v[137:138], v[129:130], 0
	s_clause 0x7
	buffer_load_dword v138, off, s[0:3], 0 offset:212
	buffer_load_dword v167, off, s[0:3], 0 offset:232
	buffer_load_dword v169, off, s[0:3], 0 offset:224
	buffer_load_dword v171, off, s[0:3], 0 offset:216
	buffer_load_dword v137, off, s[0:3], 0 offset:208
	buffer_load_dword v172, off, s[0:3], 0 offset:220
	buffer_load_dword v170, off, s[0:3], 0 offset:228
	buffer_load_dword v168, off, s[0:3], 0 offset:236
	s_waitcnt vmcnt(34)
	v_fma_f64 v[129:130], v[139:140], v[131:132], v[129:130]
	s_waitcnt vmcnt(32) lgkmcnt(0)
	v_fma_f64 v[129:130], v[141:142], v[133:134], v[129:130]
	s_waitcnt vmcnt(30)
	v_fma_f64 v[139:140], v[143:144], v[135:136], v[129:130]
	ds_read2_b64 v[129:132], v128 offset0:79 offset1:80
	ds_read2_b64 v[133:136], v128 offset0:81 offset1:82
	s_waitcnt vmcnt(28) lgkmcnt(1)
	v_fma_f64 v[129:130], v[145:146], v[129:130], v[139:140]
	s_clause 0x7
	buffer_load_dword v140, off, s[0:3], 0 offset:244
	buffer_load_dword v141, off, s[0:3], 0 offset:264
	buffer_load_dword v143, off, s[0:3], 0 offset:256
	buffer_load_dword v145, off, s[0:3], 0 offset:248
	buffer_load_dword v139, off, s[0:3], 0 offset:240
	buffer_load_dword v146, off, s[0:3], 0 offset:252
	buffer_load_dword v144, off, s[0:3], 0 offset:260
	buffer_load_dword v142, off, s[0:3], 0 offset:268
	s_waitcnt vmcnt(34)
	v_fma_f64 v[129:130], v[147:148], v[131:132], v[129:130]
	s_waitcnt vmcnt(32) lgkmcnt(0)
	v_fma_f64 v[129:130], v[149:150], v[133:134], v[129:130]
	s_waitcnt vmcnt(27)
	v_fma_f64 v[147:148], v[151:152], v[135:136], v[129:130]
	ds_read2_b64 v[129:132], v128 offset0:83 offset1:84
	ds_read2_b64 v[133:136], v128 offset0:85 offset1:86
	;; [unrolled: 19-line block ×9, first 2 shown]
	s_waitcnt vmcnt(26) lgkmcnt(1)
	v_fma_f64 v[129:130], v[169:170], v[129:130], v[139:140]
	s_clause 0x3
	buffer_load_dword v140, off, s[0:3], 0 offset:500
	buffer_load_dword v139, off, s[0:3], 0 offset:496
	;; [unrolled: 1-line block ×4, first 2 shown]
	s_waitcnt vmcnt(29)
	v_fma_f64 v[129:130], v[167:168], v[131:132], v[129:130]
	s_waitcnt vmcnt(28) lgkmcnt(0)
	v_fma_f64 v[129:130], v[145:146], v[133:134], v[129:130]
	s_waitcnt vmcnt(23)
	v_fma_f64 v[141:142], v[141:142], v[135:136], v[129:130]
	ds_read2_b64 v[129:132], v128 offset0:115 offset1:116
	ds_read2_b64 v[133:136], v128 offset0:117 offset1:118
	s_waitcnt vmcnt(22) lgkmcnt(1)
	v_fma_f64 v[129:130], v[157:158], v[129:130], v[141:142]
	s_waitcnt vmcnt(21)
	v_fma_f64 v[129:130], v[147:148], v[131:132], v[129:130]
	s_waitcnt vmcnt(20) lgkmcnt(0)
	v_fma_f64 v[129:130], v[143:144], v[133:134], v[129:130]
	s_waitcnt vmcnt(15)
	v_fma_f64 v[141:142], v[149:150], v[135:136], v[129:130]
	ds_read2_b64 v[129:132], v128 offset0:119 offset1:120
	ds_read2_b64 v[133:136], v128 offset0:121 offset1:122
	s_waitcnt vmcnt(14) lgkmcnt(1)
	v_fma_f64 v[129:130], v[165:166], v[129:130], v[141:142]
	;; [unrolled: 10-line block ×3, first 2 shown]
	s_waitcnt vmcnt(5)
	v_fma_f64 v[128:129], v[159:160], v[131:132], v[128:129]
	s_waitcnt vmcnt(4) lgkmcnt(0)
	v_fma_f64 v[128:129], v[155:156], v[133:134], v[128:129]
	s_waitcnt vmcnt(2)
	v_fma_f64 v[128:129], v[139:140], v[135:136], v[128:129]
	s_waitcnt vmcnt(0)
	v_add_f64 v[128:129], v[161:162], -v[128:129]
	buffer_store_dword v129, off, s[0:3], 0 offset:84
	buffer_store_dword v128, off, s[0:3], 0 offset:80
	v_cmpx_lt_u32_e32 9, v0
	s_cbranch_execz .LBB126_369
; %bb.368:
	s_clause 0x1
	buffer_load_dword v128, off, s[0:3], 0 offset:72
	buffer_load_dword v129, off, s[0:3], 0 offset:76
	v_mov_b32_e32 v130, 0
	buffer_store_dword v130, off, s[0:3], 0 offset:72
	buffer_store_dword v130, off, s[0:3], 0 offset:76
	s_waitcnt vmcnt(0)
	ds_write_b64 v127, v[128:129]
.LBB126_369:
	s_or_b32 exec_lo, exec_lo, s4
	s_waitcnt lgkmcnt(0)
	s_waitcnt_vscnt null, 0x0
	s_barrier
	buffer_gl0_inv
	s_clause 0x1c
	buffer_load_dword v137, off, s[0:3], 0 offset:80
	buffer_load_dword v138, off, s[0:3], 0 offset:84
	;; [unrolled: 1-line block ×29, first 2 shown]
	v_mov_b32_e32 v128, 0
	buffer_load_dword v162, off, s[0:3], 0 offset:196
	s_mov_b32 s4, exec_lo
	ds_read_b128 v[129:132], v128 offset:592
	ds_read_b128 v[133:136], v128 offset:608
	s_waitcnt vmcnt(28) lgkmcnt(1)
	v_fma_f64 v[129:130], v[137:138], v[129:130], 0
	s_clause 0x7
	buffer_load_dword v138, off, s[0:3], 0 offset:204
	buffer_load_dword v167, off, s[0:3], 0 offset:224
	buffer_load_dword v169, off, s[0:3], 0 offset:216
	buffer_load_dword v171, off, s[0:3], 0 offset:208
	buffer_load_dword v137, off, s[0:3], 0 offset:200
	buffer_load_dword v172, off, s[0:3], 0 offset:212
	buffer_load_dword v170, off, s[0:3], 0 offset:220
	buffer_load_dword v168, off, s[0:3], 0 offset:228
	s_waitcnt vmcnt(34)
	v_fma_f64 v[129:130], v[139:140], v[131:132], v[129:130]
	s_waitcnt vmcnt(32) lgkmcnt(0)
	v_fma_f64 v[129:130], v[141:142], v[133:134], v[129:130]
	s_waitcnt vmcnt(30)
	v_fma_f64 v[139:140], v[143:144], v[135:136], v[129:130]
	ds_read_b128 v[129:132], v128 offset:624
	ds_read_b128 v[133:136], v128 offset:640
	s_waitcnt vmcnt(28) lgkmcnt(1)
	v_fma_f64 v[129:130], v[145:146], v[129:130], v[139:140]
	s_clause 0x7
	buffer_load_dword v140, off, s[0:3], 0 offset:236
	buffer_load_dword v141, off, s[0:3], 0 offset:256
	buffer_load_dword v143, off, s[0:3], 0 offset:248
	buffer_load_dword v145, off, s[0:3], 0 offset:240
	buffer_load_dword v139, off, s[0:3], 0 offset:232
	buffer_load_dword v146, off, s[0:3], 0 offset:244
	buffer_load_dword v144, off, s[0:3], 0 offset:252
	buffer_load_dword v142, off, s[0:3], 0 offset:260
	s_waitcnt vmcnt(34)
	v_fma_f64 v[129:130], v[147:148], v[131:132], v[129:130]
	s_waitcnt vmcnt(32) lgkmcnt(0)
	v_fma_f64 v[129:130], v[149:150], v[133:134], v[129:130]
	s_waitcnt vmcnt(27)
	v_fma_f64 v[147:148], v[151:152], v[135:136], v[129:130]
	;; [unrolled: 19-line block ×9, first 2 shown]
	ds_read_b128 v[129:132], v128 offset:880
	ds_read_b128 v[133:136], v128 offset:896
	s_waitcnt vmcnt(26) lgkmcnt(1)
	v_fma_f64 v[129:130], v[169:170], v[129:130], v[139:140]
	s_clause 0x3
	buffer_load_dword v140, off, s[0:3], 0 offset:492
	buffer_load_dword v161, off, s[0:3], 0 offset:496
	;; [unrolled: 1-line block ×4, first 2 shown]
	s_waitcnt vmcnt(29)
	v_fma_f64 v[129:130], v[167:168], v[131:132], v[129:130]
	s_waitcnt vmcnt(28) lgkmcnt(0)
	v_fma_f64 v[129:130], v[145:146], v[133:134], v[129:130]
	s_clause 0x1
	buffer_load_dword v145, off, s[0:3], 0 offset:72
	buffer_load_dword v146, off, s[0:3], 0 offset:76
	s_waitcnt vmcnt(25)
	v_fma_f64 v[141:142], v[141:142], v[135:136], v[129:130]
	ds_read_b128 v[129:132], v128 offset:912
	ds_read_b128 v[133:136], v128 offset:928
	s_waitcnt vmcnt(24) lgkmcnt(1)
	v_fma_f64 v[129:130], v[157:158], v[129:130], v[141:142]
	s_waitcnt vmcnt(23)
	v_fma_f64 v[129:130], v[147:148], v[131:132], v[129:130]
	s_waitcnt vmcnt(22) lgkmcnt(0)
	v_fma_f64 v[129:130], v[143:144], v[133:134], v[129:130]
	s_waitcnt vmcnt(17)
	v_fma_f64 v[141:142], v[149:150], v[135:136], v[129:130]
	ds_read_b128 v[129:132], v128 offset:944
	ds_read_b128 v[133:136], v128 offset:960
	s_waitcnt vmcnt(16) lgkmcnt(1)
	v_fma_f64 v[129:130], v[165:166], v[129:130], v[141:142]
	s_waitcnt vmcnt(15)
	v_fma_f64 v[129:130], v[153:154], v[131:132], v[129:130]
	s_waitcnt vmcnt(14) lgkmcnt(0)
	v_fma_f64 v[129:130], v[151:152], v[133:134], v[129:130]
	s_waitcnt vmcnt(9)
	v_fma_f64 v[137:138], v[137:138], v[135:136], v[129:130]
	ds_read_b128 v[129:132], v128 offset:976
	ds_read_b128 v[133:136], v128 offset:992
	s_waitcnt vmcnt(8) lgkmcnt(1)
	v_fma_f64 v[129:130], v[171:172], v[129:130], v[137:138]
	s_waitcnt vmcnt(7)
	v_fma_f64 v[129:130], v[159:160], v[131:132], v[129:130]
	ds_read_b64 v[131:132], v128 offset:1008
	s_waitcnt vmcnt(6) lgkmcnt(1)
	v_fma_f64 v[129:130], v[155:156], v[133:134], v[129:130]
	s_waitcnt vmcnt(3)
	v_fma_f64 v[129:130], v[139:140], v[135:136], v[129:130]
	s_waitcnt vmcnt(2) lgkmcnt(0)
	v_fma_f64 v[129:130], v[161:162], v[131:132], v[129:130]
	s_waitcnt vmcnt(0)
	v_add_f64 v[129:130], v[145:146], -v[129:130]
	buffer_store_dword v130, off, s[0:3], 0 offset:76
	buffer_store_dword v129, off, s[0:3], 0 offset:72
	v_cmpx_lt_u32_e32 8, v0
	s_cbranch_execz .LBB126_371
; %bb.370:
	s_clause 0x1
	buffer_load_dword v129, off, s[0:3], 0 offset:64
	buffer_load_dword v130, off, s[0:3], 0 offset:68
	buffer_store_dword v128, off, s[0:3], 0 offset:64
	buffer_store_dword v128, off, s[0:3], 0 offset:68
	s_waitcnt vmcnt(0)
	ds_write_b64 v127, v[129:130]
.LBB126_371:
	s_or_b32 exec_lo, exec_lo, s4
	s_waitcnt lgkmcnt(0)
	s_waitcnt_vscnt null, 0x0
	s_barrier
	buffer_gl0_inv
	s_clause 0x1c
	buffer_load_dword v137, off, s[0:3], 0 offset:72
	buffer_load_dword v138, off, s[0:3], 0 offset:76
	buffer_load_dword v139, off, s[0:3], 0 offset:80
	buffer_load_dword v140, off, s[0:3], 0 offset:84
	buffer_load_dword v141, off, s[0:3], 0 offset:88
	buffer_load_dword v142, off, s[0:3], 0 offset:92
	buffer_load_dword v143, off, s[0:3], 0 offset:96
	buffer_load_dword v144, off, s[0:3], 0 offset:100
	buffer_load_dword v145, off, s[0:3], 0 offset:104
	buffer_load_dword v146, off, s[0:3], 0 offset:108
	buffer_load_dword v147, off, s[0:3], 0 offset:112
	buffer_load_dword v148, off, s[0:3], 0 offset:116
	buffer_load_dword v149, off, s[0:3], 0 offset:120
	buffer_load_dword v150, off, s[0:3], 0 offset:124
	buffer_load_dword v152, off, s[0:3], 0 offset:132
	buffer_load_dword v153, off, s[0:3], 0 offset:152
	buffer_load_dword v155, off, s[0:3], 0 offset:144
	buffer_load_dword v157, off, s[0:3], 0 offset:136
	buffer_load_dword v151, off, s[0:3], 0 offset:128
	buffer_load_dword v158, off, s[0:3], 0 offset:140
	buffer_load_dword v156, off, s[0:3], 0 offset:148
	buffer_load_dword v154, off, s[0:3], 0 offset:156
	buffer_load_dword v160, off, s[0:3], 0 offset:164
	buffer_load_dword v161, off, s[0:3], 0 offset:184
	buffer_load_dword v163, off, s[0:3], 0 offset:176
	buffer_load_dword v165, off, s[0:3], 0 offset:168
	buffer_load_dword v159, off, s[0:3], 0 offset:160
	buffer_load_dword v166, off, s[0:3], 0 offset:172
	buffer_load_dword v164, off, s[0:3], 0 offset:180
	ds_read2_b64 v[129:132], v128 offset0:73 offset1:74
	ds_read2_b64 v[133:136], v128 offset0:75 offset1:76
	buffer_load_dword v162, off, s[0:3], 0 offset:188
	s_mov_b32 s4, exec_lo
	s_waitcnt vmcnt(28) lgkmcnt(1)
	v_fma_f64 v[129:130], v[137:138], v[129:130], 0
	s_clause 0x7
	buffer_load_dword v138, off, s[0:3], 0 offset:196
	buffer_load_dword v167, off, s[0:3], 0 offset:216
	buffer_load_dword v169, off, s[0:3], 0 offset:208
	buffer_load_dword v171, off, s[0:3], 0 offset:200
	buffer_load_dword v137, off, s[0:3], 0 offset:192
	buffer_load_dword v172, off, s[0:3], 0 offset:204
	buffer_load_dword v170, off, s[0:3], 0 offset:212
	buffer_load_dword v168, off, s[0:3], 0 offset:220
	s_waitcnt vmcnt(34)
	v_fma_f64 v[129:130], v[139:140], v[131:132], v[129:130]
	s_waitcnt vmcnt(32) lgkmcnt(0)
	v_fma_f64 v[129:130], v[141:142], v[133:134], v[129:130]
	s_waitcnt vmcnt(30)
	v_fma_f64 v[139:140], v[143:144], v[135:136], v[129:130]
	ds_read2_b64 v[129:132], v128 offset0:77 offset1:78
	ds_read2_b64 v[133:136], v128 offset0:79 offset1:80
	s_waitcnt vmcnt(28) lgkmcnt(1)
	v_fma_f64 v[129:130], v[145:146], v[129:130], v[139:140]
	s_clause 0x7
	buffer_load_dword v140, off, s[0:3], 0 offset:228
	buffer_load_dword v141, off, s[0:3], 0 offset:248
	buffer_load_dword v143, off, s[0:3], 0 offset:240
	buffer_load_dword v145, off, s[0:3], 0 offset:232
	buffer_load_dword v139, off, s[0:3], 0 offset:224
	buffer_load_dword v146, off, s[0:3], 0 offset:236
	buffer_load_dword v144, off, s[0:3], 0 offset:244
	buffer_load_dword v142, off, s[0:3], 0 offset:252
	s_waitcnt vmcnt(34)
	v_fma_f64 v[129:130], v[147:148], v[131:132], v[129:130]
	s_waitcnt vmcnt(32) lgkmcnt(0)
	v_fma_f64 v[129:130], v[149:150], v[133:134], v[129:130]
	s_waitcnt vmcnt(27)
	v_fma_f64 v[147:148], v[151:152], v[135:136], v[129:130]
	ds_read2_b64 v[129:132], v128 offset0:81 offset1:82
	ds_read2_b64 v[133:136], v128 offset0:83 offset1:84
	;; [unrolled: 19-line block ×9, first 2 shown]
	s_waitcnt vmcnt(26) lgkmcnt(1)
	v_fma_f64 v[129:130], v[169:170], v[129:130], v[139:140]
	s_clause 0x5
	buffer_load_dword v140, off, s[0:3], 0 offset:484
	buffer_load_dword v161, off, s[0:3], 0 offset:496
	;; [unrolled: 1-line block ×6, first 2 shown]
	s_waitcnt vmcnt(31)
	v_fma_f64 v[129:130], v[167:168], v[131:132], v[129:130]
	s_waitcnt vmcnt(30) lgkmcnt(0)
	v_fma_f64 v[129:130], v[145:146], v[133:134], v[129:130]
	s_waitcnt vmcnt(25)
	v_fma_f64 v[141:142], v[141:142], v[135:136], v[129:130]
	ds_read2_b64 v[129:132], v128 offset0:113 offset1:114
	s_clause 0x1
	buffer_load_dword v145, off, s[0:3], 0 offset:64
	buffer_load_dword v146, off, s[0:3], 0 offset:68
	ds_read2_b64 v[133:136], v128 offset0:115 offset1:116
	s_waitcnt vmcnt(26) lgkmcnt(1)
	v_fma_f64 v[129:130], v[157:158], v[129:130], v[141:142]
	s_waitcnt vmcnt(25)
	v_fma_f64 v[129:130], v[147:148], v[131:132], v[129:130]
	s_waitcnt vmcnt(24) lgkmcnt(0)
	v_fma_f64 v[129:130], v[143:144], v[133:134], v[129:130]
	s_waitcnt vmcnt(19)
	v_fma_f64 v[141:142], v[149:150], v[135:136], v[129:130]
	ds_read2_b64 v[129:132], v128 offset0:117 offset1:118
	ds_read2_b64 v[133:136], v128 offset0:119 offset1:120
	s_waitcnt vmcnt(18) lgkmcnt(1)
	v_fma_f64 v[129:130], v[165:166], v[129:130], v[141:142]
	s_waitcnt vmcnt(17)
	v_fma_f64 v[129:130], v[153:154], v[131:132], v[129:130]
	s_waitcnt vmcnt(16) lgkmcnt(0)
	v_fma_f64 v[129:130], v[151:152], v[133:134], v[129:130]
	s_waitcnt vmcnt(11)
	v_fma_f64 v[137:138], v[137:138], v[135:136], v[129:130]
	ds_read2_b64 v[129:132], v128 offset0:121 offset1:122
	;; [unrolled: 10-line block ×3, first 2 shown]
	s_waitcnt vmcnt(3) lgkmcnt(0)
	v_fma_f64 v[128:129], v[163:164], v[128:129], v[132:133]
	s_waitcnt vmcnt(2)
	v_fma_f64 v[128:129], v[161:162], v[130:131], v[128:129]
	s_waitcnt vmcnt(0)
	v_add_f64 v[128:129], v[145:146], -v[128:129]
	buffer_store_dword v129, off, s[0:3], 0 offset:68
	buffer_store_dword v128, off, s[0:3], 0 offset:64
	v_cmpx_lt_u32_e32 7, v0
	s_cbranch_execz .LBB126_373
; %bb.372:
	s_clause 0x1
	buffer_load_dword v128, off, s[0:3], 0 offset:56
	buffer_load_dword v129, off, s[0:3], 0 offset:60
	v_mov_b32_e32 v130, 0
	buffer_store_dword v130, off, s[0:3], 0 offset:56
	buffer_store_dword v130, off, s[0:3], 0 offset:60
	s_waitcnt vmcnt(0)
	ds_write_b64 v127, v[128:129]
.LBB126_373:
	s_or_b32 exec_lo, exec_lo, s4
	s_waitcnt lgkmcnt(0)
	s_waitcnt_vscnt null, 0x0
	s_barrier
	buffer_gl0_inv
	s_clause 0x1c
	buffer_load_dword v137, off, s[0:3], 0 offset:64
	buffer_load_dword v138, off, s[0:3], 0 offset:68
	;; [unrolled: 1-line block ×29, first 2 shown]
	v_mov_b32_e32 v128, 0
	buffer_load_dword v162, off, s[0:3], 0 offset:180
	s_mov_b32 s4, exec_lo
	ds_read_b128 v[129:132], v128 offset:576
	ds_read_b128 v[133:136], v128 offset:592
	s_waitcnt vmcnt(28) lgkmcnt(1)
	v_fma_f64 v[129:130], v[137:138], v[129:130], 0
	s_clause 0x7
	buffer_load_dword v138, off, s[0:3], 0 offset:188
	buffer_load_dword v167, off, s[0:3], 0 offset:208
	buffer_load_dword v169, off, s[0:3], 0 offset:200
	buffer_load_dword v171, off, s[0:3], 0 offset:192
	buffer_load_dword v137, off, s[0:3], 0 offset:184
	buffer_load_dword v172, off, s[0:3], 0 offset:196
	buffer_load_dword v170, off, s[0:3], 0 offset:204
	buffer_load_dword v168, off, s[0:3], 0 offset:212
	s_waitcnt vmcnt(34)
	v_fma_f64 v[129:130], v[139:140], v[131:132], v[129:130]
	s_waitcnt vmcnt(32) lgkmcnt(0)
	v_fma_f64 v[129:130], v[141:142], v[133:134], v[129:130]
	s_waitcnt vmcnt(30)
	v_fma_f64 v[139:140], v[143:144], v[135:136], v[129:130]
	ds_read_b128 v[129:132], v128 offset:608
	ds_read_b128 v[133:136], v128 offset:624
	s_waitcnt vmcnt(28) lgkmcnt(1)
	v_fma_f64 v[129:130], v[145:146], v[129:130], v[139:140]
	s_clause 0x7
	buffer_load_dword v140, off, s[0:3], 0 offset:220
	buffer_load_dword v141, off, s[0:3], 0 offset:240
	buffer_load_dword v143, off, s[0:3], 0 offset:232
	buffer_load_dword v145, off, s[0:3], 0 offset:224
	buffer_load_dword v139, off, s[0:3], 0 offset:216
	buffer_load_dword v146, off, s[0:3], 0 offset:228
	buffer_load_dword v144, off, s[0:3], 0 offset:236
	buffer_load_dword v142, off, s[0:3], 0 offset:244
	s_waitcnt vmcnt(34)
	v_fma_f64 v[129:130], v[147:148], v[131:132], v[129:130]
	s_waitcnt vmcnt(32) lgkmcnt(0)
	v_fma_f64 v[129:130], v[149:150], v[133:134], v[129:130]
	s_waitcnt vmcnt(27)
	v_fma_f64 v[147:148], v[151:152], v[135:136], v[129:130]
	;; [unrolled: 19-line block ×10, first 2 shown]
	ds_read_b128 v[129:132], v128 offset:896
	ds_read_b128 v[133:136], v128 offset:912
	s_waitcnt vmcnt(26) lgkmcnt(1)
	v_fma_f64 v[129:130], v[157:158], v[129:130], v[141:142]
	s_clause 0x1
	buffer_load_dword v141, off, s[0:3], 0 offset:56
	buffer_load_dword v142, off, s[0:3], 0 offset:60
	s_waitcnt vmcnt(27)
	v_fma_f64 v[129:130], v[147:148], v[131:132], v[129:130]
	s_waitcnt vmcnt(26) lgkmcnt(0)
	v_fma_f64 v[129:130], v[143:144], v[133:134], v[129:130]
	s_waitcnt vmcnt(21)
	v_fma_f64 v[143:144], v[149:150], v[135:136], v[129:130]
	ds_read_b128 v[129:132], v128 offset:928
	ds_read_b128 v[133:136], v128 offset:944
	s_waitcnt vmcnt(20) lgkmcnt(1)
	v_fma_f64 v[129:130], v[165:166], v[129:130], v[143:144]
	s_waitcnt vmcnt(19)
	v_fma_f64 v[129:130], v[153:154], v[131:132], v[129:130]
	s_waitcnt vmcnt(18) lgkmcnt(0)
	v_fma_f64 v[129:130], v[151:152], v[133:134], v[129:130]
	s_waitcnt vmcnt(13)
	v_fma_f64 v[137:138], v[137:138], v[135:136], v[129:130]
	ds_read_b128 v[129:132], v128 offset:960
	ds_read_b128 v[133:136], v128 offset:976
	s_waitcnt vmcnt(12) lgkmcnt(1)
	v_fma_f64 v[129:130], v[171:172], v[129:130], v[137:138]
	s_waitcnt vmcnt(11)
	v_fma_f64 v[129:130], v[159:160], v[131:132], v[129:130]
	s_waitcnt vmcnt(10) lgkmcnt(0)
	v_fma_f64 v[129:130], v[155:156], v[133:134], v[129:130]
	s_waitcnt vmcnt(5)
	v_fma_f64 v[133:134], v[139:140], v[135:136], v[129:130]
	ds_read_b128 v[129:132], v128 offset:992
	ds_read_b64 v[135:136], v128 offset:1008
	s_waitcnt vmcnt(4) lgkmcnt(1)
	v_fma_f64 v[129:130], v[169:170], v[129:130], v[133:134]
	s_waitcnt vmcnt(3)
	v_fma_f64 v[129:130], v[163:164], v[131:132], v[129:130]
	s_waitcnt vmcnt(2) lgkmcnt(0)
	v_fma_f64 v[129:130], v[161:162], v[135:136], v[129:130]
	s_waitcnt vmcnt(0)
	v_add_f64 v[129:130], v[141:142], -v[129:130]
	buffer_store_dword v130, off, s[0:3], 0 offset:60
	buffer_store_dword v129, off, s[0:3], 0 offset:56
	v_cmpx_lt_u32_e32 6, v0
	s_cbranch_execz .LBB126_375
; %bb.374:
	s_clause 0x1
	buffer_load_dword v129, off, s[0:3], 0 offset:48
	buffer_load_dword v130, off, s[0:3], 0 offset:52
	buffer_store_dword v128, off, s[0:3], 0 offset:48
	buffer_store_dword v128, off, s[0:3], 0 offset:52
	s_waitcnt vmcnt(0)
	ds_write_b64 v127, v[129:130]
.LBB126_375:
	s_or_b32 exec_lo, exec_lo, s4
	s_waitcnt lgkmcnt(0)
	s_waitcnt_vscnt null, 0x0
	s_barrier
	buffer_gl0_inv
	s_clause 0x1c
	buffer_load_dword v137, off, s[0:3], 0 offset:56
	buffer_load_dword v138, off, s[0:3], 0 offset:60
	;; [unrolled: 1-line block ×29, first 2 shown]
	ds_read2_b64 v[129:132], v128 offset0:71 offset1:72
	ds_read2_b64 v[133:136], v128 offset0:73 offset1:74
	buffer_load_dword v162, off, s[0:3], 0 offset:172
	s_mov_b32 s4, exec_lo
	s_waitcnt vmcnt(28) lgkmcnt(1)
	v_fma_f64 v[129:130], v[137:138], v[129:130], 0
	s_clause 0x7
	buffer_load_dword v138, off, s[0:3], 0 offset:180
	buffer_load_dword v167, off, s[0:3], 0 offset:200
	buffer_load_dword v169, off, s[0:3], 0 offset:192
	buffer_load_dword v171, off, s[0:3], 0 offset:184
	buffer_load_dword v137, off, s[0:3], 0 offset:176
	buffer_load_dword v172, off, s[0:3], 0 offset:188
	buffer_load_dword v170, off, s[0:3], 0 offset:196
	buffer_load_dword v168, off, s[0:3], 0 offset:204
	s_waitcnt vmcnt(34)
	v_fma_f64 v[129:130], v[139:140], v[131:132], v[129:130]
	s_waitcnt vmcnt(32) lgkmcnt(0)
	v_fma_f64 v[129:130], v[141:142], v[133:134], v[129:130]
	s_waitcnt vmcnt(30)
	v_fma_f64 v[139:140], v[143:144], v[135:136], v[129:130]
	ds_read2_b64 v[129:132], v128 offset0:75 offset1:76
	ds_read2_b64 v[133:136], v128 offset0:77 offset1:78
	s_waitcnt vmcnt(28) lgkmcnt(1)
	v_fma_f64 v[129:130], v[145:146], v[129:130], v[139:140]
	s_clause 0x7
	buffer_load_dword v140, off, s[0:3], 0 offset:212
	buffer_load_dword v141, off, s[0:3], 0 offset:232
	buffer_load_dword v143, off, s[0:3], 0 offset:224
	buffer_load_dword v145, off, s[0:3], 0 offset:216
	buffer_load_dword v139, off, s[0:3], 0 offset:208
	buffer_load_dword v146, off, s[0:3], 0 offset:220
	buffer_load_dword v144, off, s[0:3], 0 offset:228
	buffer_load_dword v142, off, s[0:3], 0 offset:236
	s_waitcnt vmcnt(34)
	v_fma_f64 v[129:130], v[147:148], v[131:132], v[129:130]
	s_waitcnt vmcnt(32) lgkmcnt(0)
	v_fma_f64 v[129:130], v[149:150], v[133:134], v[129:130]
	s_waitcnt vmcnt(27)
	v_fma_f64 v[147:148], v[151:152], v[135:136], v[129:130]
	ds_read2_b64 v[129:132], v128 offset0:79 offset1:80
	ds_read2_b64 v[133:136], v128 offset0:81 offset1:82
	;; [unrolled: 19-line block ×10, first 2 shown]
	s_waitcnt vmcnt(26) lgkmcnt(1)
	v_fma_f64 v[129:130], v[157:158], v[129:130], v[141:142]
	s_clause 0x3
	buffer_load_dword v142, off, s[0:3], 0 offset:500
	buffer_load_dword v141, off, s[0:3], 0 offset:496
	;; [unrolled: 1-line block ×4, first 2 shown]
	s_waitcnt vmcnt(29)
	v_fma_f64 v[129:130], v[147:148], v[131:132], v[129:130]
	s_waitcnt vmcnt(28) lgkmcnt(0)
	v_fma_f64 v[129:130], v[143:144], v[133:134], v[129:130]
	s_waitcnt vmcnt(23)
	v_fma_f64 v[143:144], v[149:150], v[135:136], v[129:130]
	ds_read2_b64 v[129:132], v128 offset0:115 offset1:116
	ds_read2_b64 v[133:136], v128 offset0:117 offset1:118
	s_waitcnt vmcnt(22) lgkmcnt(1)
	v_fma_f64 v[129:130], v[165:166], v[129:130], v[143:144]
	s_waitcnt vmcnt(21)
	v_fma_f64 v[129:130], v[153:154], v[131:132], v[129:130]
	s_waitcnt vmcnt(20) lgkmcnt(0)
	v_fma_f64 v[129:130], v[151:152], v[133:134], v[129:130]
	s_waitcnt vmcnt(15)
	v_fma_f64 v[137:138], v[137:138], v[135:136], v[129:130]
	ds_read2_b64 v[129:132], v128 offset0:119 offset1:120
	ds_read2_b64 v[133:136], v128 offset0:121 offset1:122
	s_waitcnt vmcnt(14) lgkmcnt(1)
	v_fma_f64 v[129:130], v[171:172], v[129:130], v[137:138]
	;; [unrolled: 10-line block ×3, first 2 shown]
	s_waitcnt vmcnt(5)
	v_fma_f64 v[128:129], v[163:164], v[131:132], v[128:129]
	s_waitcnt vmcnt(4) lgkmcnt(0)
	v_fma_f64 v[128:129], v[161:162], v[133:134], v[128:129]
	s_waitcnt vmcnt(2)
	v_fma_f64 v[128:129], v[141:142], v[135:136], v[128:129]
	s_waitcnt vmcnt(0)
	v_add_f64 v[128:129], v[145:146], -v[128:129]
	buffer_store_dword v129, off, s[0:3], 0 offset:52
	buffer_store_dword v128, off, s[0:3], 0 offset:48
	v_cmpx_lt_u32_e32 5, v0
	s_cbranch_execz .LBB126_377
; %bb.376:
	s_clause 0x1
	buffer_load_dword v128, off, s[0:3], 0 offset:40
	buffer_load_dword v129, off, s[0:3], 0 offset:44
	v_mov_b32_e32 v130, 0
	buffer_store_dword v130, off, s[0:3], 0 offset:40
	buffer_store_dword v130, off, s[0:3], 0 offset:44
	s_waitcnt vmcnt(0)
	ds_write_b64 v127, v[128:129]
.LBB126_377:
	s_or_b32 exec_lo, exec_lo, s4
	s_waitcnt lgkmcnt(0)
	s_waitcnt_vscnt null, 0x0
	s_barrier
	buffer_gl0_inv
	s_clause 0x1c
	buffer_load_dword v137, off, s[0:3], 0 offset:48
	buffer_load_dword v138, off, s[0:3], 0 offset:52
	;; [unrolled: 1-line block ×29, first 2 shown]
	v_mov_b32_e32 v128, 0
	buffer_load_dword v162, off, s[0:3], 0 offset:164
	s_mov_b32 s4, exec_lo
	ds_read_b128 v[129:132], v128 offset:560
	ds_read_b128 v[133:136], v128 offset:576
	s_waitcnt vmcnt(28) lgkmcnt(1)
	v_fma_f64 v[129:130], v[137:138], v[129:130], 0
	s_clause 0x7
	buffer_load_dword v138, off, s[0:3], 0 offset:172
	buffer_load_dword v167, off, s[0:3], 0 offset:192
	buffer_load_dword v169, off, s[0:3], 0 offset:184
	buffer_load_dword v171, off, s[0:3], 0 offset:176
	buffer_load_dword v137, off, s[0:3], 0 offset:168
	buffer_load_dword v172, off, s[0:3], 0 offset:180
	buffer_load_dword v170, off, s[0:3], 0 offset:188
	buffer_load_dword v168, off, s[0:3], 0 offset:196
	s_waitcnt vmcnt(34)
	v_fma_f64 v[129:130], v[139:140], v[131:132], v[129:130]
	s_waitcnt vmcnt(32) lgkmcnt(0)
	v_fma_f64 v[129:130], v[141:142], v[133:134], v[129:130]
	s_waitcnt vmcnt(30)
	v_fma_f64 v[139:140], v[143:144], v[135:136], v[129:130]
	ds_read_b128 v[129:132], v128 offset:592
	ds_read_b128 v[133:136], v128 offset:608
	s_waitcnt vmcnt(28) lgkmcnt(1)
	v_fma_f64 v[129:130], v[145:146], v[129:130], v[139:140]
	s_clause 0x7
	buffer_load_dword v140, off, s[0:3], 0 offset:204
	buffer_load_dword v141, off, s[0:3], 0 offset:224
	buffer_load_dword v143, off, s[0:3], 0 offset:216
	buffer_load_dword v145, off, s[0:3], 0 offset:208
	buffer_load_dword v139, off, s[0:3], 0 offset:200
	buffer_load_dword v146, off, s[0:3], 0 offset:212
	buffer_load_dword v144, off, s[0:3], 0 offset:220
	buffer_load_dword v142, off, s[0:3], 0 offset:228
	s_waitcnt vmcnt(34)
	v_fma_f64 v[129:130], v[147:148], v[131:132], v[129:130]
	s_waitcnt vmcnt(32) lgkmcnt(0)
	v_fma_f64 v[129:130], v[149:150], v[133:134], v[129:130]
	s_waitcnt vmcnt(27)
	v_fma_f64 v[147:148], v[151:152], v[135:136], v[129:130]
	;; [unrolled: 19-line block ×10, first 2 shown]
	ds_read_b128 v[129:132], v128 offset:880
	ds_read_b128 v[133:136], v128 offset:896
	s_waitcnt vmcnt(26) lgkmcnt(1)
	v_fma_f64 v[129:130], v[157:158], v[129:130], v[141:142]
	s_clause 0x3
	buffer_load_dword v142, off, s[0:3], 0 offset:492
	buffer_load_dword v145, off, s[0:3], 0 offset:496
	;; [unrolled: 1-line block ×4, first 2 shown]
	s_waitcnt vmcnt(29)
	v_fma_f64 v[129:130], v[147:148], v[131:132], v[129:130]
	s_waitcnt vmcnt(28) lgkmcnt(0)
	v_fma_f64 v[129:130], v[143:144], v[133:134], v[129:130]
	s_clause 0x1
	buffer_load_dword v143, off, s[0:3], 0 offset:40
	buffer_load_dword v144, off, s[0:3], 0 offset:44
	s_waitcnt vmcnt(25)
	v_fma_f64 v[147:148], v[149:150], v[135:136], v[129:130]
	ds_read_b128 v[129:132], v128 offset:912
	ds_read_b128 v[133:136], v128 offset:928
	s_waitcnt vmcnt(24) lgkmcnt(1)
	v_fma_f64 v[129:130], v[165:166], v[129:130], v[147:148]
	s_waitcnt vmcnt(23)
	v_fma_f64 v[129:130], v[153:154], v[131:132], v[129:130]
	s_waitcnt vmcnt(22) lgkmcnt(0)
	v_fma_f64 v[129:130], v[151:152], v[133:134], v[129:130]
	s_waitcnt vmcnt(17)
	v_fma_f64 v[137:138], v[137:138], v[135:136], v[129:130]
	ds_read_b128 v[129:132], v128 offset:944
	ds_read_b128 v[133:136], v128 offset:960
	s_waitcnt vmcnt(16) lgkmcnt(1)
	v_fma_f64 v[129:130], v[171:172], v[129:130], v[137:138]
	s_waitcnt vmcnt(15)
	v_fma_f64 v[129:130], v[159:160], v[131:132], v[129:130]
	s_waitcnt vmcnt(14) lgkmcnt(0)
	v_fma_f64 v[129:130], v[155:156], v[133:134], v[129:130]
	s_waitcnt vmcnt(9)
	v_fma_f64 v[137:138], v[139:140], v[135:136], v[129:130]
	ds_read_b128 v[129:132], v128 offset:976
	ds_read_b128 v[133:136], v128 offset:992
	s_waitcnt vmcnt(8) lgkmcnt(1)
	v_fma_f64 v[129:130], v[169:170], v[129:130], v[137:138]
	s_waitcnt vmcnt(7)
	v_fma_f64 v[129:130], v[163:164], v[131:132], v[129:130]
	ds_read_b64 v[131:132], v128 offset:1008
	s_waitcnt vmcnt(6) lgkmcnt(1)
	v_fma_f64 v[129:130], v[161:162], v[133:134], v[129:130]
	s_waitcnt vmcnt(3)
	v_fma_f64 v[129:130], v[141:142], v[135:136], v[129:130]
	s_waitcnt vmcnt(2) lgkmcnt(0)
	v_fma_f64 v[129:130], v[145:146], v[131:132], v[129:130]
	s_waitcnt vmcnt(0)
	v_add_f64 v[129:130], v[143:144], -v[129:130]
	buffer_store_dword v130, off, s[0:3], 0 offset:44
	buffer_store_dword v129, off, s[0:3], 0 offset:40
	v_cmpx_lt_u32_e32 4, v0
	s_cbranch_execz .LBB126_379
; %bb.378:
	s_clause 0x1
	buffer_load_dword v129, off, s[0:3], 0 offset:32
	buffer_load_dword v130, off, s[0:3], 0 offset:36
	buffer_store_dword v128, off, s[0:3], 0 offset:32
	buffer_store_dword v128, off, s[0:3], 0 offset:36
	s_waitcnt vmcnt(0)
	ds_write_b64 v127, v[129:130]
.LBB126_379:
	s_or_b32 exec_lo, exec_lo, s4
	s_waitcnt lgkmcnt(0)
	s_waitcnt_vscnt null, 0x0
	s_barrier
	buffer_gl0_inv
	s_clause 0x1c
	buffer_load_dword v137, off, s[0:3], 0 offset:40
	buffer_load_dword v138, off, s[0:3], 0 offset:44
	;; [unrolled: 1-line block ×29, first 2 shown]
	ds_read2_b64 v[129:132], v128 offset0:69 offset1:70
	ds_read2_b64 v[133:136], v128 offset0:71 offset1:72
	buffer_load_dword v162, off, s[0:3], 0 offset:156
	s_mov_b32 s4, exec_lo
	s_waitcnt vmcnt(28) lgkmcnt(1)
	v_fma_f64 v[129:130], v[137:138], v[129:130], 0
	s_clause 0x7
	buffer_load_dword v138, off, s[0:3], 0 offset:164
	buffer_load_dword v167, off, s[0:3], 0 offset:184
	buffer_load_dword v169, off, s[0:3], 0 offset:176
	buffer_load_dword v171, off, s[0:3], 0 offset:168
	buffer_load_dword v137, off, s[0:3], 0 offset:160
	buffer_load_dword v172, off, s[0:3], 0 offset:172
	buffer_load_dword v170, off, s[0:3], 0 offset:180
	buffer_load_dword v168, off, s[0:3], 0 offset:188
	s_waitcnt vmcnt(34)
	v_fma_f64 v[129:130], v[139:140], v[131:132], v[129:130]
	s_waitcnt vmcnt(32) lgkmcnt(0)
	v_fma_f64 v[129:130], v[141:142], v[133:134], v[129:130]
	s_waitcnt vmcnt(30)
	v_fma_f64 v[139:140], v[143:144], v[135:136], v[129:130]
	ds_read2_b64 v[129:132], v128 offset0:73 offset1:74
	ds_read2_b64 v[133:136], v128 offset0:75 offset1:76
	s_waitcnt vmcnt(28) lgkmcnt(1)
	v_fma_f64 v[129:130], v[145:146], v[129:130], v[139:140]
	s_clause 0x7
	buffer_load_dword v140, off, s[0:3], 0 offset:196
	buffer_load_dword v141, off, s[0:3], 0 offset:216
	buffer_load_dword v143, off, s[0:3], 0 offset:208
	buffer_load_dword v145, off, s[0:3], 0 offset:200
	buffer_load_dword v139, off, s[0:3], 0 offset:192
	buffer_load_dword v146, off, s[0:3], 0 offset:204
	buffer_load_dword v144, off, s[0:3], 0 offset:212
	buffer_load_dword v142, off, s[0:3], 0 offset:220
	s_waitcnt vmcnt(34)
	v_fma_f64 v[129:130], v[147:148], v[131:132], v[129:130]
	s_waitcnt vmcnt(32) lgkmcnt(0)
	v_fma_f64 v[129:130], v[149:150], v[133:134], v[129:130]
	s_waitcnt vmcnt(27)
	v_fma_f64 v[147:148], v[151:152], v[135:136], v[129:130]
	ds_read2_b64 v[129:132], v128 offset0:77 offset1:78
	ds_read2_b64 v[133:136], v128 offset0:79 offset1:80
	s_waitcnt vmcnt(26) lgkmcnt(1)
	v_fma_f64 v[129:130], v[157:158], v[129:130], v[147:148]
	s_clause 0x7
	buffer_load_dword v148, off, s[0:3], 0 offset:228
	buffer_load_dword v149, off, s[0:3], 0 offset:248
	buffer_load_dword v151, off, s[0:3], 0 offset:240
	buffer_load_dword v157, off, s[0:3], 0 offset:232
	buffer_load_dword v147, off, s[0:3], 0 offset:224
	buffer_load_dword v158, off, s[0:3], 0 offset:236
	buffer_load_dword v152, off, s[0:3], 0 offset:244
	buffer_load_dword v150, off, s[0:3], 0 offset:252
	s_waitcnt vmcnt(33)
	v_fma_f64 v[129:130], v[155:156], v[131:132], v[129:130]
	s_waitcnt vmcnt(32) lgkmcnt(0)
	v_fma_f64 v[129:130], v[153:154], v[133:134], v[129:130]
	s_waitcnt vmcnt(27)
	v_fma_f64 v[153:154], v[159:160], v[135:136], v[129:130]
	ds_read2_b64 v[129:132], v128 offset0:81 offset1:82
	ds_read2_b64 v[133:136], v128 offset0:83 offset1:84
	s_waitcnt vmcnt(26) lgkmcnt(1)
	v_fma_f64 v[129:130], v[165:166], v[129:130], v[153:154]
	s_clause 0x7
	buffer_load_dword v154, off, s[0:3], 0 offset:260
	buffer_load_dword v155, off, s[0:3], 0 offset:280
	buffer_load_dword v159, off, s[0:3], 0 offset:272
	buffer_load_dword v165, off, s[0:3], 0 offset:264
	buffer_load_dword v153, off, s[0:3], 0 offset:256
	buffer_load_dword v166, off, s[0:3], 0 offset:268
	buffer_load_dword v160, off, s[0:3], 0 offset:276
	buffer_load_dword v156, off, s[0:3], 0 offset:284
	s_waitcnt vmcnt(33)
	v_fma_f64 v[129:130], v[163:164], v[131:132], v[129:130]
	s_waitcnt vmcnt(32) lgkmcnt(0)
	v_fma_f64 v[129:130], v[161:162], v[133:134], v[129:130]
	s_waitcnt vmcnt(27)
	v_fma_f64 v[137:138], v[137:138], v[135:136], v[129:130]
	ds_read2_b64 v[129:132], v128 offset0:85 offset1:86
	ds_read2_b64 v[133:136], v128 offset0:87 offset1:88
	s_waitcnt vmcnt(26) lgkmcnt(1)
	v_fma_f64 v[129:130], v[171:172], v[129:130], v[137:138]
	s_clause 0x7
	buffer_load_dword v138, off, s[0:3], 0 offset:292
	buffer_load_dword v161, off, s[0:3], 0 offset:312
	buffer_load_dword v163, off, s[0:3], 0 offset:304
	buffer_load_dword v171, off, s[0:3], 0 offset:296
	buffer_load_dword v137, off, s[0:3], 0 offset:288
	buffer_load_dword v172, off, s[0:3], 0 offset:300
	buffer_load_dword v164, off, s[0:3], 0 offset:308
	buffer_load_dword v162, off, s[0:3], 0 offset:316
	s_waitcnt vmcnt(33)
	v_fma_f64 v[129:130], v[169:170], v[131:132], v[129:130]
	s_waitcnt vmcnt(32) lgkmcnt(0)
	v_fma_f64 v[129:130], v[167:168], v[133:134], v[129:130]
	s_waitcnt vmcnt(27)
	v_fma_f64 v[139:140], v[139:140], v[135:136], v[129:130]
	ds_read2_b64 v[129:132], v128 offset0:89 offset1:90
	ds_read2_b64 v[133:136], v128 offset0:91 offset1:92
	s_waitcnt vmcnt(26) lgkmcnt(1)
	v_fma_f64 v[129:130], v[145:146], v[129:130], v[139:140]
	s_clause 0x7
	buffer_load_dword v140, off, s[0:3], 0 offset:324
	buffer_load_dword v145, off, s[0:3], 0 offset:344
	buffer_load_dword v167, off, s[0:3], 0 offset:336
	buffer_load_dword v169, off, s[0:3], 0 offset:328
	buffer_load_dword v139, off, s[0:3], 0 offset:320
	buffer_load_dword v170, off, s[0:3], 0 offset:332
	buffer_load_dword v168, off, s[0:3], 0 offset:340
	buffer_load_dword v146, off, s[0:3], 0 offset:348
	s_waitcnt vmcnt(33)
	v_fma_f64 v[129:130], v[143:144], v[131:132], v[129:130]
	s_waitcnt vmcnt(32) lgkmcnt(0)
	v_fma_f64 v[129:130], v[141:142], v[133:134], v[129:130]
	s_waitcnt vmcnt(27)
	v_fma_f64 v[141:142], v[147:148], v[135:136], v[129:130]
	ds_read2_b64 v[129:132], v128 offset0:93 offset1:94
	ds_read2_b64 v[133:136], v128 offset0:95 offset1:96
	s_waitcnt vmcnt(26) lgkmcnt(1)
	v_fma_f64 v[129:130], v[157:158], v[129:130], v[141:142]
	s_clause 0x7
	buffer_load_dword v142, off, s[0:3], 0 offset:356
	buffer_load_dword v143, off, s[0:3], 0 offset:376
	buffer_load_dword v147, off, s[0:3], 0 offset:368
	buffer_load_dword v157, off, s[0:3], 0 offset:360
	buffer_load_dword v141, off, s[0:3], 0 offset:352
	buffer_load_dword v158, off, s[0:3], 0 offset:364
	buffer_load_dword v148, off, s[0:3], 0 offset:372
	buffer_load_dword v144, off, s[0:3], 0 offset:380
	s_waitcnt vmcnt(33)
	v_fma_f64 v[129:130], v[151:152], v[131:132], v[129:130]
	s_waitcnt vmcnt(32) lgkmcnt(0)
	v_fma_f64 v[129:130], v[149:150], v[133:134], v[129:130]
	s_waitcnt vmcnt(27)
	v_fma_f64 v[149:150], v[153:154], v[135:136], v[129:130]
	ds_read2_b64 v[129:132], v128 offset0:97 offset1:98
	ds_read2_b64 v[133:136], v128 offset0:99 offset1:100
	s_waitcnt vmcnt(26) lgkmcnt(1)
	v_fma_f64 v[129:130], v[165:166], v[129:130], v[149:150]
	s_clause 0x7
	buffer_load_dword v150, off, s[0:3], 0 offset:388
	buffer_load_dword v151, off, s[0:3], 0 offset:408
	buffer_load_dword v153, off, s[0:3], 0 offset:400
	buffer_load_dword v165, off, s[0:3], 0 offset:392
	buffer_load_dword v149, off, s[0:3], 0 offset:384
	buffer_load_dword v166, off, s[0:3], 0 offset:396
	buffer_load_dword v154, off, s[0:3], 0 offset:404
	buffer_load_dword v152, off, s[0:3], 0 offset:412
	s_waitcnt vmcnt(33)
	v_fma_f64 v[129:130], v[159:160], v[131:132], v[129:130]
	s_waitcnt vmcnt(32) lgkmcnt(0)
	v_fma_f64 v[129:130], v[155:156], v[133:134], v[129:130]
	s_waitcnt vmcnt(27)
	v_fma_f64 v[137:138], v[137:138], v[135:136], v[129:130]
	ds_read2_b64 v[129:132], v128 offset0:101 offset1:102
	ds_read2_b64 v[133:136], v128 offset0:103 offset1:104
	s_waitcnt vmcnt(26) lgkmcnt(1)
	v_fma_f64 v[129:130], v[171:172], v[129:130], v[137:138]
	s_clause 0x7
	buffer_load_dword v138, off, s[0:3], 0 offset:420
	buffer_load_dword v155, off, s[0:3], 0 offset:440
	buffer_load_dword v159, off, s[0:3], 0 offset:432
	buffer_load_dword v171, off, s[0:3], 0 offset:424
	buffer_load_dword v137, off, s[0:3], 0 offset:416
	buffer_load_dword v172, off, s[0:3], 0 offset:428
	buffer_load_dword v160, off, s[0:3], 0 offset:436
	buffer_load_dword v156, off, s[0:3], 0 offset:444
	s_waitcnt vmcnt(33)
	v_fma_f64 v[129:130], v[163:164], v[131:132], v[129:130]
	s_waitcnt vmcnt(32) lgkmcnt(0)
	v_fma_f64 v[129:130], v[161:162], v[133:134], v[129:130]
	s_waitcnt vmcnt(27)
	v_fma_f64 v[139:140], v[139:140], v[135:136], v[129:130]
	ds_read2_b64 v[129:132], v128 offset0:105 offset1:106
	ds_read2_b64 v[133:136], v128 offset0:107 offset1:108
	s_waitcnt vmcnt(26) lgkmcnt(1)
	v_fma_f64 v[129:130], v[169:170], v[129:130], v[139:140]
	s_clause 0x7
	buffer_load_dword v140, off, s[0:3], 0 offset:452
	buffer_load_dword v161, off, s[0:3], 0 offset:472
	buffer_load_dword v163, off, s[0:3], 0 offset:464
	buffer_load_dword v169, off, s[0:3], 0 offset:456
	buffer_load_dword v139, off, s[0:3], 0 offset:448
	buffer_load_dword v170, off, s[0:3], 0 offset:460
	buffer_load_dword v164, off, s[0:3], 0 offset:468
	buffer_load_dword v162, off, s[0:3], 0 offset:476
	s_waitcnt vmcnt(33)
	v_fma_f64 v[129:130], v[167:168], v[131:132], v[129:130]
	s_waitcnt vmcnt(32) lgkmcnt(0)
	v_fma_f64 v[129:130], v[145:146], v[133:134], v[129:130]
	s_waitcnt vmcnt(27)
	v_fma_f64 v[141:142], v[141:142], v[135:136], v[129:130]
	ds_read2_b64 v[129:132], v128 offset0:109 offset1:110
	ds_read2_b64 v[133:136], v128 offset0:111 offset1:112
	s_waitcnt vmcnt(26) lgkmcnt(1)
	v_fma_f64 v[129:130], v[157:158], v[129:130], v[141:142]
	s_clause 0x5
	buffer_load_dword v142, off, s[0:3], 0 offset:484
	buffer_load_dword v145, off, s[0:3], 0 offset:496
	;; [unrolled: 1-line block ×6, first 2 shown]
	s_waitcnt vmcnt(31)
	v_fma_f64 v[129:130], v[147:148], v[131:132], v[129:130]
	s_waitcnt vmcnt(30) lgkmcnt(0)
	v_fma_f64 v[129:130], v[143:144], v[133:134], v[129:130]
	s_waitcnt vmcnt(25)
	v_fma_f64 v[143:144], v[149:150], v[135:136], v[129:130]
	ds_read2_b64 v[129:132], v128 offset0:113 offset1:114
	s_clause 0x1
	buffer_load_dword v147, off, s[0:3], 0 offset:32
	buffer_load_dword v148, off, s[0:3], 0 offset:36
	ds_read2_b64 v[133:136], v128 offset0:115 offset1:116
	s_waitcnt vmcnt(26) lgkmcnt(1)
	v_fma_f64 v[129:130], v[165:166], v[129:130], v[143:144]
	s_waitcnt vmcnt(25)
	v_fma_f64 v[129:130], v[153:154], v[131:132], v[129:130]
	s_waitcnt vmcnt(24) lgkmcnt(0)
	v_fma_f64 v[129:130], v[151:152], v[133:134], v[129:130]
	s_waitcnt vmcnt(19)
	v_fma_f64 v[137:138], v[137:138], v[135:136], v[129:130]
	ds_read2_b64 v[129:132], v128 offset0:117 offset1:118
	ds_read2_b64 v[133:136], v128 offset0:119 offset1:120
	s_waitcnt vmcnt(18) lgkmcnt(1)
	v_fma_f64 v[129:130], v[171:172], v[129:130], v[137:138]
	s_waitcnt vmcnt(17)
	v_fma_f64 v[129:130], v[159:160], v[131:132], v[129:130]
	s_waitcnt vmcnt(16) lgkmcnt(0)
	v_fma_f64 v[129:130], v[155:156], v[133:134], v[129:130]
	s_waitcnt vmcnt(11)
	v_fma_f64 v[137:138], v[139:140], v[135:136], v[129:130]
	ds_read2_b64 v[129:132], v128 offset0:121 offset1:122
	;; [unrolled: 10-line block ×3, first 2 shown]
	s_waitcnt vmcnt(3) lgkmcnt(0)
	v_fma_f64 v[128:129], v[157:158], v[128:129], v[132:133]
	s_waitcnt vmcnt(2)
	v_fma_f64 v[128:129], v[145:146], v[130:131], v[128:129]
	s_waitcnt vmcnt(0)
	v_add_f64 v[128:129], v[147:148], -v[128:129]
	buffer_store_dword v129, off, s[0:3], 0 offset:36
	buffer_store_dword v128, off, s[0:3], 0 offset:32
	v_cmpx_lt_u32_e32 3, v0
	s_cbranch_execz .LBB126_381
; %bb.380:
	s_clause 0x1
	buffer_load_dword v128, off, s[0:3], 0 offset:24
	buffer_load_dword v129, off, s[0:3], 0 offset:28
	v_mov_b32_e32 v130, 0
	buffer_store_dword v130, off, s[0:3], 0 offset:24
	buffer_store_dword v130, off, s[0:3], 0 offset:28
	s_waitcnt vmcnt(0)
	ds_write_b64 v127, v[128:129]
.LBB126_381:
	s_or_b32 exec_lo, exec_lo, s4
	s_waitcnt lgkmcnt(0)
	s_waitcnt_vscnt null, 0x0
	s_barrier
	buffer_gl0_inv
	s_clause 0x1c
	buffer_load_dword v137, off, s[0:3], 0 offset:32
	buffer_load_dword v138, off, s[0:3], 0 offset:36
	;; [unrolled: 1-line block ×29, first 2 shown]
	v_mov_b32_e32 v128, 0
	buffer_load_dword v162, off, s[0:3], 0 offset:148
	s_mov_b32 s4, exec_lo
	ds_read_b128 v[129:132], v128 offset:544
	ds_read_b128 v[133:136], v128 offset:560
	s_waitcnt vmcnt(28) lgkmcnt(1)
	v_fma_f64 v[129:130], v[137:138], v[129:130], 0
	s_clause 0x7
	buffer_load_dword v138, off, s[0:3], 0 offset:156
	buffer_load_dword v167, off, s[0:3], 0 offset:176
	buffer_load_dword v169, off, s[0:3], 0 offset:168
	buffer_load_dword v171, off, s[0:3], 0 offset:160
	buffer_load_dword v137, off, s[0:3], 0 offset:152
	buffer_load_dword v172, off, s[0:3], 0 offset:164
	buffer_load_dword v170, off, s[0:3], 0 offset:172
	buffer_load_dword v168, off, s[0:3], 0 offset:180
	s_waitcnt vmcnt(34)
	v_fma_f64 v[129:130], v[139:140], v[131:132], v[129:130]
	s_waitcnt vmcnt(32) lgkmcnt(0)
	v_fma_f64 v[129:130], v[141:142], v[133:134], v[129:130]
	s_waitcnt vmcnt(30)
	v_fma_f64 v[139:140], v[143:144], v[135:136], v[129:130]
	ds_read_b128 v[129:132], v128 offset:576
	ds_read_b128 v[133:136], v128 offset:592
	s_waitcnt vmcnt(28) lgkmcnt(1)
	v_fma_f64 v[129:130], v[145:146], v[129:130], v[139:140]
	s_clause 0x7
	buffer_load_dword v140, off, s[0:3], 0 offset:188
	buffer_load_dword v141, off, s[0:3], 0 offset:208
	buffer_load_dword v143, off, s[0:3], 0 offset:200
	buffer_load_dword v145, off, s[0:3], 0 offset:192
	buffer_load_dword v139, off, s[0:3], 0 offset:184
	buffer_load_dword v146, off, s[0:3], 0 offset:196
	buffer_load_dword v144, off, s[0:3], 0 offset:204
	buffer_load_dword v142, off, s[0:3], 0 offset:212
	s_waitcnt vmcnt(34)
	v_fma_f64 v[129:130], v[147:148], v[131:132], v[129:130]
	s_waitcnt vmcnt(32) lgkmcnt(0)
	v_fma_f64 v[129:130], v[149:150], v[133:134], v[129:130]
	s_waitcnt vmcnt(27)
	v_fma_f64 v[147:148], v[151:152], v[135:136], v[129:130]
	ds_read_b128 v[129:132], v128 offset:608
	ds_read_b128 v[133:136], v128 offset:624
	s_waitcnt vmcnt(26) lgkmcnt(1)
	v_fma_f64 v[129:130], v[157:158], v[129:130], v[147:148]
	s_clause 0x7
	buffer_load_dword v148, off, s[0:3], 0 offset:220
	buffer_load_dword v149, off, s[0:3], 0 offset:240
	buffer_load_dword v151, off, s[0:3], 0 offset:232
	buffer_load_dword v157, off, s[0:3], 0 offset:224
	buffer_load_dword v147, off, s[0:3], 0 offset:216
	buffer_load_dword v158, off, s[0:3], 0 offset:228
	buffer_load_dword v152, off, s[0:3], 0 offset:236
	buffer_load_dword v150, off, s[0:3], 0 offset:244
	s_waitcnt vmcnt(33)
	v_fma_f64 v[129:130], v[155:156], v[131:132], v[129:130]
	s_waitcnt vmcnt(32) lgkmcnt(0)
	v_fma_f64 v[129:130], v[153:154], v[133:134], v[129:130]
	s_waitcnt vmcnt(27)
	v_fma_f64 v[153:154], v[159:160], v[135:136], v[129:130]
	ds_read_b128 v[129:132], v128 offset:640
	ds_read_b128 v[133:136], v128 offset:656
	s_waitcnt vmcnt(26) lgkmcnt(1)
	v_fma_f64 v[129:130], v[165:166], v[129:130], v[153:154]
	s_clause 0x7
	buffer_load_dword v154, off, s[0:3], 0 offset:252
	buffer_load_dword v155, off, s[0:3], 0 offset:272
	buffer_load_dword v159, off, s[0:3], 0 offset:264
	buffer_load_dword v165, off, s[0:3], 0 offset:256
	buffer_load_dword v153, off, s[0:3], 0 offset:248
	buffer_load_dword v166, off, s[0:3], 0 offset:260
	buffer_load_dword v160, off, s[0:3], 0 offset:268
	buffer_load_dword v156, off, s[0:3], 0 offset:276
	s_waitcnt vmcnt(33)
	v_fma_f64 v[129:130], v[163:164], v[131:132], v[129:130]
	s_waitcnt vmcnt(32) lgkmcnt(0)
	v_fma_f64 v[129:130], v[161:162], v[133:134], v[129:130]
	s_waitcnt vmcnt(27)
	v_fma_f64 v[137:138], v[137:138], v[135:136], v[129:130]
	ds_read_b128 v[129:132], v128 offset:672
	ds_read_b128 v[133:136], v128 offset:688
	s_waitcnt vmcnt(26) lgkmcnt(1)
	v_fma_f64 v[129:130], v[171:172], v[129:130], v[137:138]
	s_clause 0x7
	buffer_load_dword v138, off, s[0:3], 0 offset:284
	buffer_load_dword v161, off, s[0:3], 0 offset:304
	buffer_load_dword v163, off, s[0:3], 0 offset:296
	buffer_load_dword v171, off, s[0:3], 0 offset:288
	buffer_load_dword v137, off, s[0:3], 0 offset:280
	buffer_load_dword v172, off, s[0:3], 0 offset:292
	buffer_load_dword v164, off, s[0:3], 0 offset:300
	buffer_load_dword v162, off, s[0:3], 0 offset:308
	s_waitcnt vmcnt(33)
	v_fma_f64 v[129:130], v[169:170], v[131:132], v[129:130]
	s_waitcnt vmcnt(32) lgkmcnt(0)
	v_fma_f64 v[129:130], v[167:168], v[133:134], v[129:130]
	s_waitcnt vmcnt(27)
	v_fma_f64 v[139:140], v[139:140], v[135:136], v[129:130]
	ds_read_b128 v[129:132], v128 offset:704
	ds_read_b128 v[133:136], v128 offset:720
	s_waitcnt vmcnt(26) lgkmcnt(1)
	v_fma_f64 v[129:130], v[145:146], v[129:130], v[139:140]
	s_clause 0x7
	buffer_load_dword v140, off, s[0:3], 0 offset:316
	buffer_load_dword v145, off, s[0:3], 0 offset:336
	buffer_load_dword v167, off, s[0:3], 0 offset:328
	buffer_load_dword v169, off, s[0:3], 0 offset:320
	buffer_load_dword v139, off, s[0:3], 0 offset:312
	buffer_load_dword v170, off, s[0:3], 0 offset:324
	buffer_load_dword v168, off, s[0:3], 0 offset:332
	buffer_load_dword v146, off, s[0:3], 0 offset:340
	s_waitcnt vmcnt(33)
	v_fma_f64 v[129:130], v[143:144], v[131:132], v[129:130]
	s_waitcnt vmcnt(32) lgkmcnt(0)
	v_fma_f64 v[129:130], v[141:142], v[133:134], v[129:130]
	s_waitcnt vmcnt(27)
	v_fma_f64 v[141:142], v[147:148], v[135:136], v[129:130]
	ds_read_b128 v[129:132], v128 offset:736
	ds_read_b128 v[133:136], v128 offset:752
	s_waitcnt vmcnt(26) lgkmcnt(1)
	v_fma_f64 v[129:130], v[157:158], v[129:130], v[141:142]
	s_clause 0x7
	buffer_load_dword v142, off, s[0:3], 0 offset:348
	buffer_load_dword v143, off, s[0:3], 0 offset:368
	buffer_load_dword v147, off, s[0:3], 0 offset:360
	buffer_load_dword v157, off, s[0:3], 0 offset:352
	buffer_load_dword v141, off, s[0:3], 0 offset:344
	buffer_load_dword v158, off, s[0:3], 0 offset:356
	buffer_load_dword v148, off, s[0:3], 0 offset:364
	buffer_load_dword v144, off, s[0:3], 0 offset:372
	s_waitcnt vmcnt(33)
	v_fma_f64 v[129:130], v[151:152], v[131:132], v[129:130]
	s_waitcnt vmcnt(32) lgkmcnt(0)
	v_fma_f64 v[129:130], v[149:150], v[133:134], v[129:130]
	s_waitcnt vmcnt(27)
	v_fma_f64 v[149:150], v[153:154], v[135:136], v[129:130]
	ds_read_b128 v[129:132], v128 offset:768
	ds_read_b128 v[133:136], v128 offset:784
	s_waitcnt vmcnt(26) lgkmcnt(1)
	v_fma_f64 v[129:130], v[165:166], v[129:130], v[149:150]
	s_clause 0x7
	buffer_load_dword v150, off, s[0:3], 0 offset:380
	buffer_load_dword v151, off, s[0:3], 0 offset:400
	buffer_load_dword v153, off, s[0:3], 0 offset:392
	buffer_load_dword v165, off, s[0:3], 0 offset:384
	buffer_load_dword v149, off, s[0:3], 0 offset:376
	buffer_load_dword v166, off, s[0:3], 0 offset:388
	buffer_load_dword v154, off, s[0:3], 0 offset:396
	buffer_load_dword v152, off, s[0:3], 0 offset:404
	s_waitcnt vmcnt(33)
	v_fma_f64 v[129:130], v[159:160], v[131:132], v[129:130]
	s_waitcnt vmcnt(32) lgkmcnt(0)
	v_fma_f64 v[129:130], v[155:156], v[133:134], v[129:130]
	s_waitcnt vmcnt(27)
	v_fma_f64 v[137:138], v[137:138], v[135:136], v[129:130]
	ds_read_b128 v[129:132], v128 offset:800
	ds_read_b128 v[133:136], v128 offset:816
	s_waitcnt vmcnt(26) lgkmcnt(1)
	v_fma_f64 v[129:130], v[171:172], v[129:130], v[137:138]
	s_clause 0x7
	buffer_load_dword v138, off, s[0:3], 0 offset:412
	buffer_load_dword v155, off, s[0:3], 0 offset:432
	buffer_load_dword v159, off, s[0:3], 0 offset:424
	buffer_load_dword v171, off, s[0:3], 0 offset:416
	buffer_load_dword v137, off, s[0:3], 0 offset:408
	buffer_load_dword v172, off, s[0:3], 0 offset:420
	buffer_load_dword v160, off, s[0:3], 0 offset:428
	buffer_load_dword v156, off, s[0:3], 0 offset:436
	s_waitcnt vmcnt(33)
	v_fma_f64 v[129:130], v[163:164], v[131:132], v[129:130]
	s_waitcnt vmcnt(32) lgkmcnt(0)
	v_fma_f64 v[129:130], v[161:162], v[133:134], v[129:130]
	s_waitcnt vmcnt(27)
	v_fma_f64 v[139:140], v[139:140], v[135:136], v[129:130]
	ds_read_b128 v[129:132], v128 offset:832
	ds_read_b128 v[133:136], v128 offset:848
	s_waitcnt vmcnt(26) lgkmcnt(1)
	v_fma_f64 v[129:130], v[169:170], v[129:130], v[139:140]
	s_clause 0x7
	buffer_load_dword v140, off, s[0:3], 0 offset:444
	buffer_load_dword v161, off, s[0:3], 0 offset:464
	buffer_load_dword v163, off, s[0:3], 0 offset:456
	buffer_load_dword v169, off, s[0:3], 0 offset:448
	buffer_load_dword v139, off, s[0:3], 0 offset:440
	buffer_load_dword v170, off, s[0:3], 0 offset:452
	buffer_load_dword v164, off, s[0:3], 0 offset:460
	buffer_load_dword v162, off, s[0:3], 0 offset:468
	s_waitcnt vmcnt(33)
	v_fma_f64 v[129:130], v[167:168], v[131:132], v[129:130]
	s_waitcnt vmcnt(32) lgkmcnt(0)
	v_fma_f64 v[129:130], v[145:146], v[133:134], v[129:130]
	s_waitcnt vmcnt(27)
	v_fma_f64 v[141:142], v[141:142], v[135:136], v[129:130]
	ds_read_b128 v[129:132], v128 offset:864
	ds_read_b128 v[133:136], v128 offset:880
	s_waitcnt vmcnt(26) lgkmcnt(1)
	v_fma_f64 v[129:130], v[157:158], v[129:130], v[141:142]
	s_clause 0x7
	buffer_load_dword v142, off, s[0:3], 0 offset:476
	buffer_load_dword v145, off, s[0:3], 0 offset:496
	buffer_load_dword v157, off, s[0:3], 0 offset:488
	buffer_load_dword v167, off, s[0:3], 0 offset:480
	buffer_load_dword v141, off, s[0:3], 0 offset:472
	buffer_load_dword v168, off, s[0:3], 0 offset:484
	buffer_load_dword v158, off, s[0:3], 0 offset:492
	buffer_load_dword v146, off, s[0:3], 0 offset:500
	s_waitcnt vmcnt(33)
	v_fma_f64 v[129:130], v[147:148], v[131:132], v[129:130]
	s_waitcnt vmcnt(32) lgkmcnt(0)
	v_fma_f64 v[129:130], v[143:144], v[133:134], v[129:130]
	s_waitcnt vmcnt(27)
	v_fma_f64 v[143:144], v[149:150], v[135:136], v[129:130]
	ds_read_b128 v[129:132], v128 offset:896
	ds_read_b128 v[133:136], v128 offset:912
	s_waitcnt vmcnt(26) lgkmcnt(1)
	v_fma_f64 v[129:130], v[165:166], v[129:130], v[143:144]
	s_clause 0x1
	buffer_load_dword v143, off, s[0:3], 0 offset:24
	buffer_load_dword v144, off, s[0:3], 0 offset:28
	s_waitcnt vmcnt(27)
	v_fma_f64 v[129:130], v[153:154], v[131:132], v[129:130]
	s_waitcnt vmcnt(26) lgkmcnt(0)
	v_fma_f64 v[129:130], v[151:152], v[133:134], v[129:130]
	s_waitcnt vmcnt(21)
	v_fma_f64 v[137:138], v[137:138], v[135:136], v[129:130]
	ds_read_b128 v[129:132], v128 offset:928
	ds_read_b128 v[133:136], v128 offset:944
	s_waitcnt vmcnt(20) lgkmcnt(1)
	v_fma_f64 v[129:130], v[171:172], v[129:130], v[137:138]
	s_waitcnt vmcnt(19)
	v_fma_f64 v[129:130], v[159:160], v[131:132], v[129:130]
	s_waitcnt vmcnt(18) lgkmcnt(0)
	v_fma_f64 v[129:130], v[155:156], v[133:134], v[129:130]
	s_waitcnt vmcnt(13)
	v_fma_f64 v[137:138], v[139:140], v[135:136], v[129:130]
	ds_read_b128 v[129:132], v128 offset:960
	ds_read_b128 v[133:136], v128 offset:976
	s_waitcnt vmcnt(12) lgkmcnt(1)
	v_fma_f64 v[129:130], v[169:170], v[129:130], v[137:138]
	s_waitcnt vmcnt(11)
	v_fma_f64 v[129:130], v[163:164], v[131:132], v[129:130]
	s_waitcnt vmcnt(10) lgkmcnt(0)
	v_fma_f64 v[129:130], v[161:162], v[133:134], v[129:130]
	s_waitcnt vmcnt(5)
	v_fma_f64 v[133:134], v[141:142], v[135:136], v[129:130]
	ds_read_b128 v[129:132], v128 offset:992
	ds_read_b64 v[135:136], v128 offset:1008
	s_waitcnt vmcnt(4) lgkmcnt(1)
	v_fma_f64 v[129:130], v[167:168], v[129:130], v[133:134]
	s_waitcnt vmcnt(3)
	v_fma_f64 v[129:130], v[157:158], v[131:132], v[129:130]
	s_waitcnt vmcnt(2) lgkmcnt(0)
	v_fma_f64 v[129:130], v[145:146], v[135:136], v[129:130]
	s_waitcnt vmcnt(0)
	v_add_f64 v[129:130], v[143:144], -v[129:130]
	buffer_store_dword v130, off, s[0:3], 0 offset:28
	buffer_store_dword v129, off, s[0:3], 0 offset:24
	v_cmpx_lt_u32_e32 2, v0
	s_cbranch_execz .LBB126_383
; %bb.382:
	s_clause 0x1
	buffer_load_dword v129, off, s[0:3], 0 offset:16
	buffer_load_dword v130, off, s[0:3], 0 offset:20
	buffer_store_dword v128, off, s[0:3], 0 offset:16
	buffer_store_dword v128, off, s[0:3], 0 offset:20
	s_waitcnt vmcnt(0)
	ds_write_b64 v127, v[129:130]
.LBB126_383:
	s_or_b32 exec_lo, exec_lo, s4
	s_waitcnt lgkmcnt(0)
	s_waitcnt_vscnt null, 0x0
	s_barrier
	buffer_gl0_inv
	s_clause 0x1c
	buffer_load_dword v137, off, s[0:3], 0 offset:24
	buffer_load_dword v138, off, s[0:3], 0 offset:28
	;; [unrolled: 1-line block ×29, first 2 shown]
	ds_read2_b64 v[129:132], v128 offset0:67 offset1:68
	ds_read2_b64 v[133:136], v128 offset0:69 offset1:70
	buffer_load_dword v162, off, s[0:3], 0 offset:140
	s_mov_b32 s4, exec_lo
	s_waitcnt vmcnt(28) lgkmcnt(1)
	v_fma_f64 v[129:130], v[137:138], v[129:130], 0
	s_clause 0x7
	buffer_load_dword v138, off, s[0:3], 0 offset:148
	buffer_load_dword v167, off, s[0:3], 0 offset:168
	buffer_load_dword v169, off, s[0:3], 0 offset:160
	buffer_load_dword v171, off, s[0:3], 0 offset:152
	buffer_load_dword v137, off, s[0:3], 0 offset:144
	buffer_load_dword v172, off, s[0:3], 0 offset:156
	buffer_load_dword v170, off, s[0:3], 0 offset:164
	buffer_load_dword v168, off, s[0:3], 0 offset:172
	s_waitcnt vmcnt(34)
	v_fma_f64 v[129:130], v[139:140], v[131:132], v[129:130]
	s_waitcnt vmcnt(32) lgkmcnt(0)
	v_fma_f64 v[129:130], v[141:142], v[133:134], v[129:130]
	s_waitcnt vmcnt(30)
	v_fma_f64 v[139:140], v[143:144], v[135:136], v[129:130]
	ds_read2_b64 v[129:132], v128 offset0:71 offset1:72
	ds_read2_b64 v[133:136], v128 offset0:73 offset1:74
	s_waitcnt vmcnt(28) lgkmcnt(1)
	v_fma_f64 v[129:130], v[145:146], v[129:130], v[139:140]
	s_clause 0x7
	buffer_load_dword v140, off, s[0:3], 0 offset:180
	buffer_load_dword v141, off, s[0:3], 0 offset:200
	buffer_load_dword v143, off, s[0:3], 0 offset:192
	buffer_load_dword v145, off, s[0:3], 0 offset:184
	buffer_load_dword v139, off, s[0:3], 0 offset:176
	buffer_load_dword v146, off, s[0:3], 0 offset:188
	buffer_load_dword v144, off, s[0:3], 0 offset:196
	buffer_load_dword v142, off, s[0:3], 0 offset:204
	s_waitcnt vmcnt(34)
	v_fma_f64 v[129:130], v[147:148], v[131:132], v[129:130]
	s_waitcnt vmcnt(32) lgkmcnt(0)
	v_fma_f64 v[129:130], v[149:150], v[133:134], v[129:130]
	s_waitcnt vmcnt(27)
	v_fma_f64 v[147:148], v[151:152], v[135:136], v[129:130]
	ds_read2_b64 v[129:132], v128 offset0:75 offset1:76
	ds_read2_b64 v[133:136], v128 offset0:77 offset1:78
	;; [unrolled: 19-line block ×11, first 2 shown]
	s_waitcnt vmcnt(26) lgkmcnt(1)
	v_fma_f64 v[129:130], v[165:166], v[129:130], v[143:144]
	s_clause 0x3
	buffer_load_dword v144, off, s[0:3], 0 offset:500
	buffer_load_dword v143, off, s[0:3], 0 offset:496
	buffer_load_dword v147, off, s[0:3], 0 offset:16
	buffer_load_dword v148, off, s[0:3], 0 offset:20
	s_waitcnt vmcnt(29)
	v_fma_f64 v[129:130], v[153:154], v[131:132], v[129:130]
	s_waitcnt vmcnt(28) lgkmcnt(0)
	v_fma_f64 v[129:130], v[151:152], v[133:134], v[129:130]
	s_waitcnt vmcnt(23)
	v_fma_f64 v[137:138], v[137:138], v[135:136], v[129:130]
	ds_read2_b64 v[129:132], v128 offset0:115 offset1:116
	ds_read2_b64 v[133:136], v128 offset0:117 offset1:118
	s_waitcnt vmcnt(22) lgkmcnt(1)
	v_fma_f64 v[129:130], v[171:172], v[129:130], v[137:138]
	s_waitcnt vmcnt(21)
	v_fma_f64 v[129:130], v[159:160], v[131:132], v[129:130]
	s_waitcnt vmcnt(20) lgkmcnt(0)
	v_fma_f64 v[129:130], v[155:156], v[133:134], v[129:130]
	s_waitcnt vmcnt(15)
	v_fma_f64 v[137:138], v[139:140], v[135:136], v[129:130]
	ds_read2_b64 v[129:132], v128 offset0:119 offset1:120
	ds_read2_b64 v[133:136], v128 offset0:121 offset1:122
	s_waitcnt vmcnt(14) lgkmcnt(1)
	v_fma_f64 v[129:130], v[169:170], v[129:130], v[137:138]
	;; [unrolled: 10-line block ×3, first 2 shown]
	s_waitcnt vmcnt(5)
	v_fma_f64 v[128:129], v[157:158], v[131:132], v[128:129]
	s_waitcnt vmcnt(4) lgkmcnt(0)
	v_fma_f64 v[128:129], v[145:146], v[133:134], v[128:129]
	s_waitcnt vmcnt(2)
	v_fma_f64 v[128:129], v[143:144], v[135:136], v[128:129]
	s_waitcnt vmcnt(0)
	v_add_f64 v[128:129], v[147:148], -v[128:129]
	buffer_store_dword v129, off, s[0:3], 0 offset:20
	buffer_store_dword v128, off, s[0:3], 0 offset:16
	v_cmpx_lt_u32_e32 1, v0
	s_cbranch_execz .LBB126_385
; %bb.384:
	s_clause 0x1
	buffer_load_dword v128, off, s[0:3], 0 offset:8
	buffer_load_dword v129, off, s[0:3], 0 offset:12
	v_mov_b32_e32 v130, 0
	buffer_store_dword v130, off, s[0:3], 0 offset:8
	buffer_store_dword v130, off, s[0:3], 0 offset:12
	s_waitcnt vmcnt(0)
	ds_write_b64 v127, v[128:129]
.LBB126_385:
	s_or_b32 exec_lo, exec_lo, s4
	s_waitcnt lgkmcnt(0)
	s_waitcnt_vscnt null, 0x0
	s_barrier
	buffer_gl0_inv
	s_clause 0x1c
	buffer_load_dword v138, off, s[0:3], 0 offset:16
	buffer_load_dword v139, off, s[0:3], 0 offset:20
	;; [unrolled: 1-line block ×29, first 2 shown]
	v_mov_b32_e32 v129, 0
	buffer_load_dword v163, off, s[0:3], 0 offset:132
	s_mov_b32 s4, exec_lo
	ds_read_b128 v[130:133], v129 offset:528
	ds_read_b128 v[134:137], v129 offset:544
	s_waitcnt vmcnt(28) lgkmcnt(1)
	v_fma_f64 v[130:131], v[138:139], v[130:131], 0
	s_clause 0x7
	buffer_load_dword v139, off, s[0:3], 0 offset:140
	buffer_load_dword v168, off, s[0:3], 0 offset:160
	buffer_load_dword v170, off, s[0:3], 0 offset:152
	buffer_load_dword v172, off, s[0:3], 0 offset:144
	buffer_load_dword v138, off, s[0:3], 0 offset:136
	buffer_load_dword v173, off, s[0:3], 0 offset:148
	buffer_load_dword v171, off, s[0:3], 0 offset:156
	buffer_load_dword v169, off, s[0:3], 0 offset:164
	s_waitcnt vmcnt(34)
	v_fma_f64 v[130:131], v[140:141], v[132:133], v[130:131]
	s_waitcnt vmcnt(32) lgkmcnt(0)
	v_fma_f64 v[130:131], v[142:143], v[134:135], v[130:131]
	s_waitcnt vmcnt(30)
	v_fma_f64 v[140:141], v[144:145], v[136:137], v[130:131]
	ds_read_b128 v[130:133], v129 offset:560
	ds_read_b128 v[134:137], v129 offset:576
	s_waitcnt vmcnt(28) lgkmcnt(1)
	v_fma_f64 v[130:131], v[146:147], v[130:131], v[140:141]
	s_clause 0x7
	buffer_load_dword v141, off, s[0:3], 0 offset:172
	buffer_load_dword v142, off, s[0:3], 0 offset:192
	buffer_load_dword v144, off, s[0:3], 0 offset:184
	buffer_load_dword v146, off, s[0:3], 0 offset:176
	buffer_load_dword v140, off, s[0:3], 0 offset:168
	buffer_load_dword v147, off, s[0:3], 0 offset:180
	buffer_load_dword v145, off, s[0:3], 0 offset:188
	buffer_load_dword v143, off, s[0:3], 0 offset:196
	s_waitcnt vmcnt(34)
	v_fma_f64 v[130:131], v[148:149], v[132:133], v[130:131]
	s_waitcnt vmcnt(32) lgkmcnt(0)
	v_fma_f64 v[130:131], v[150:151], v[134:135], v[130:131]
	s_waitcnt vmcnt(27)
	v_fma_f64 v[148:149], v[152:153], v[136:137], v[130:131]
	;; [unrolled: 19-line block ×11, first 2 shown]
	ds_read_b128 v[130:133], v129 offset:880
	ds_read_b128 v[134:137], v129 offset:896
	s_waitcnt vmcnt(26) lgkmcnt(1)
	v_fma_f64 v[130:131], v[166:167], v[130:131], v[144:145]
	s_clause 0x5
	buffer_load_dword v145, off, s[0:3], 0 offset:492
	buffer_load_dword v148, off, s[0:3], 0 offset:496
	;; [unrolled: 1-line block ×6, first 2 shown]
	s_waitcnt vmcnt(31)
	v_fma_f64 v[130:131], v[154:155], v[132:133], v[130:131]
	s_waitcnt vmcnt(30) lgkmcnt(0)
	v_fma_f64 v[130:131], v[152:153], v[134:135], v[130:131]
	s_waitcnt vmcnt(25)
	v_fma_f64 v[138:139], v[138:139], v[136:137], v[130:131]
	ds_read_b128 v[130:133], v129 offset:912
	ds_read_b128 v[134:137], v129 offset:928
	s_waitcnt vmcnt(24) lgkmcnt(1)
	v_fma_f64 v[130:131], v[172:173], v[130:131], v[138:139]
	s_waitcnt vmcnt(23)
	v_fma_f64 v[130:131], v[160:161], v[132:133], v[130:131]
	s_waitcnt vmcnt(22) lgkmcnt(0)
	v_fma_f64 v[130:131], v[156:157], v[134:135], v[130:131]
	s_waitcnt vmcnt(17)
	v_fma_f64 v[138:139], v[140:141], v[136:137], v[130:131]
	ds_read_b128 v[130:133], v129 offset:944
	ds_read_b128 v[134:137], v129 offset:960
	s_waitcnt vmcnt(16) lgkmcnt(1)
	v_fma_f64 v[130:131], v[170:171], v[130:131], v[138:139]
	;; [unrolled: 10-line block ×3, first 2 shown]
	s_waitcnt vmcnt(7)
	v_fma_f64 v[130:131], v[158:159], v[132:133], v[130:131]
	ds_read_b64 v[132:133], v129 offset:1008
	s_waitcnt vmcnt(6) lgkmcnt(1)
	v_fma_f64 v[130:131], v[146:147], v[134:135], v[130:131]
	s_waitcnt vmcnt(3)
	v_fma_f64 v[130:131], v[144:145], v[136:137], v[130:131]
	s_waitcnt vmcnt(2) lgkmcnt(0)
	v_fma_f64 v[130:131], v[148:149], v[132:133], v[130:131]
	s_waitcnt vmcnt(0)
	v_add_f64 v[130:131], v[150:151], -v[130:131]
	buffer_store_dword v131, off, s[0:3], 0 offset:12
	buffer_store_dword v130, off, s[0:3], 0 offset:8
	v_cmpx_ne_u32_e32 0, v0
	s_cbranch_execz .LBB126_387
; %bb.386:
	s_clause 0x1
	buffer_load_dword v130, off, s[0:3], 0
	buffer_load_dword v131, off, s[0:3], 0 offset:4
	buffer_store_dword v129, off, s[0:3], 0
	buffer_store_dword v129, off, s[0:3], 0 offset:4
	s_waitcnt vmcnt(0)
	ds_write_b64 v127, v[130:131]
.LBB126_387:
	s_or_b32 exec_lo, exec_lo, s4
	s_waitcnt lgkmcnt(0)
	s_waitcnt_vscnt null, 0x0
	s_barrier
	buffer_gl0_inv
	s_clause 0x1c
	buffer_load_dword v127, off, s[0:3], 0 offset:8
	buffer_load_dword v128, off, s[0:3], 0 offset:12
	;; [unrolled: 1-line block ×29, first 2 shown]
	ds_read2_b64 v[130:133], v129 offset0:65 offset1:66
	ds_read2_b64 v[134:137], v129 offset0:67 offset1:68
	s_clause 0x8
	buffer_load_dword v161, off, s[0:3], 0 offset:124
	buffer_load_dword v167, off, s[0:3], 0 offset:132
	;; [unrolled: 1-line block ×9, first 2 shown]
	s_and_b32 vcc_lo, exec_lo, s16
	s_waitcnt vmcnt(36) lgkmcnt(1)
	v_fma_f64 v[127:128], v[127:128], v[130:131], 0
	s_waitcnt vmcnt(34)
	v_fma_f64 v[127:128], v[138:139], v[132:133], v[127:128]
	ds_read2_b64 v[130:133], v129 offset0:69 offset1:70
	s_waitcnt vmcnt(32) lgkmcnt(1)
	v_fma_f64 v[127:128], v[140:141], v[134:135], v[127:128]
	s_waitcnt vmcnt(30)
	v_fma_f64 v[127:128], v[142:143], v[136:137], v[127:128]
	ds_read2_b64 v[134:137], v129 offset0:71 offset1:72
	s_waitcnt vmcnt(28) lgkmcnt(1)
	v_fma_f64 v[127:128], v[144:145], v[130:131], v[127:128]
	s_clause 0x7
	buffer_load_dword v139, off, s[0:3], 0 offset:164
	buffer_load_dword v140, off, s[0:3], 0 offset:184
	buffer_load_dword v142, off, s[0:3], 0 offset:176
	buffer_load_dword v144, off, s[0:3], 0 offset:168
	buffer_load_dword v138, off, s[0:3], 0 offset:160
	buffer_load_dword v145, off, s[0:3], 0 offset:172
	buffer_load_dword v143, off, s[0:3], 0 offset:180
	buffer_load_dword v141, off, s[0:3], 0 offset:188
	s_waitcnt vmcnt(34)
	v_fma_f64 v[127:128], v[146:147], v[132:133], v[127:128]
	ds_read2_b64 v[130:133], v129 offset0:73 offset1:74
	s_waitcnt vmcnt(32) lgkmcnt(1)
	v_fma_f64 v[127:128], v[148:149], v[134:135], v[127:128]
	s_waitcnt vmcnt(27)
	v_fma_f64 v[127:128], v[150:151], v[136:137], v[127:128]
	ds_read2_b64 v[134:137], v129 offset0:75 offset1:76
	s_waitcnt vmcnt(26) lgkmcnt(1)
	v_fma_f64 v[127:128], v[156:157], v[130:131], v[127:128]
	s_clause 0x7
	buffer_load_dword v147, off, s[0:3], 0 offset:196
	buffer_load_dword v148, off, s[0:3], 0 offset:216
	buffer_load_dword v150, off, s[0:3], 0 offset:208
	buffer_load_dword v156, off, s[0:3], 0 offset:200
	buffer_load_dword v146, off, s[0:3], 0 offset:192
	buffer_load_dword v157, off, s[0:3], 0 offset:204
	buffer_load_dword v151, off, s[0:3], 0 offset:212
	buffer_load_dword v149, off, s[0:3], 0 offset:220
	;; [unrolled: 19-line block ×10, first 2 shown]
	s_waitcnt vmcnt(33)
	v_fma_f64 v[127:128], v[146:147], v[132:133], v[127:128]
	ds_read2_b64 v[130:133], v129 offset0:109 offset1:110
	s_waitcnt vmcnt(32) lgkmcnt(1)
	v_fma_f64 v[127:128], v[142:143], v[134:135], v[127:128]
	s_waitcnt vmcnt(27)
	v_fma_f64 v[127:128], v[148:149], v[136:137], v[127:128]
	ds_read2_b64 v[134:137], v129 offset0:111 offset1:112
	s_waitcnt vmcnt(26) lgkmcnt(1)
	v_fma_f64 v[130:131], v[164:165], v[130:131], v[127:128]
	s_clause 0x5
	buffer_load_dword v143, off, s[0:3], 0 offset:484
	buffer_load_dword v146, off, s[0:3], 0 offset:496
	;; [unrolled: 1-line block ×6, first 2 shown]
	s_waitcnt vmcnt(31)
	v_fma_f64 v[130:131], v[152:153], v[132:133], v[130:131]
	s_waitcnt vmcnt(30) lgkmcnt(0)
	v_fma_f64 v[130:131], v[150:151], v[134:135], v[130:131]
	s_waitcnt vmcnt(25)
	v_fma_f64 v[148:149], v[154:155], v[136:137], v[130:131]
	ds_read2_b64 v[130:133], v129 offset0:113 offset1:114
	s_clause 0x1
	buffer_load_dword v150, off, s[0:3], 0
	buffer_load_dword v151, off, s[0:3], 0 offset:4
	ds_read2_b64 v[134:137], v129 offset0:115 offset1:116
	s_waitcnt vmcnt(26) lgkmcnt(1)
	v_fma_f64 v[130:131], v[172:173], v[130:131], v[148:149]
	s_waitcnt vmcnt(25)
	v_fma_f64 v[130:131], v[160:161], v[132:133], v[130:131]
	s_waitcnt vmcnt(24) lgkmcnt(0)
	v_fma_f64 v[130:131], v[158:159], v[134:135], v[130:131]
	s_waitcnt vmcnt(19)
	v_fma_f64 v[138:139], v[138:139], v[136:137], v[130:131]
	ds_read2_b64 v[130:133], v129 offset0:117 offset1:118
	ds_read2_b64 v[134:137], v129 offset0:119 offset1:120
	s_waitcnt vmcnt(18) lgkmcnt(1)
	v_fma_f64 v[130:131], v[170:171], v[130:131], v[138:139]
	s_waitcnt vmcnt(17)
	v_fma_f64 v[130:131], v[166:167], v[132:133], v[130:131]
	s_waitcnt vmcnt(16) lgkmcnt(0)
	v_fma_f64 v[130:131], v[162:163], v[134:135], v[130:131]
	s_waitcnt vmcnt(11)
	v_fma_f64 v[138:139], v[140:141], v[136:137], v[130:131]
	ds_read2_b64 v[130:133], v129 offset0:121 offset1:122
	;; [unrolled: 10-line block ×3, first 2 shown]
	s_waitcnt vmcnt(3) lgkmcnt(0)
	v_fma_f64 v[129:130], v[127:128], v[129:130], v[133:134]
	s_waitcnt vmcnt(2)
	v_fma_f64 v[129:130], v[146:147], v[131:132], v[129:130]
	s_waitcnt vmcnt(0)
	v_add_f64 v[129:130], v[150:151], -v[129:130]
	buffer_store_dword v130, off, s[0:3], 0 offset:4
	buffer_store_dword v129, off, s[0:3], 0
	s_cbranch_vccz .LBB126_512
; %bb.388:
	v_mov_b32_e32 v0, 0
	global_load_dword v129, v0, s[12:13] offset:244
	s_waitcnt vmcnt(0)
	v_add_nc_u32_e32 v129, -1, v129
	v_cmp_ne_u32_e32 vcc_lo, 61, v129
	s_cbranch_vccz .LBB126_390
; %bb.389:
	v_lshlrev_b32_e32 v129, 3, v129
	s_clause 0x1
	buffer_load_dword v130, v129, s[0:3], 0 offen
	buffer_load_dword v131, v129, s[0:3], 0 offen offset:4
	s_waitcnt vmcnt(1)
	buffer_store_dword v130, off, s[0:3], 0 offset:488
	s_waitcnt vmcnt(0)
	buffer_store_dword v131, off, s[0:3], 0 offset:492
	buffer_store_dword v127, v129, s[0:3], 0 offen
	buffer_store_dword v128, v129, s[0:3], 0 offen offset:4
.LBB126_390:
	global_load_dword v0, v0, s[12:13] offset:240
	s_waitcnt vmcnt(0)
	v_add_nc_u32_e32 v0, -1, v0
	v_cmp_eq_u32_e32 vcc_lo, 60, v0
	s_cbranch_vccnz .LBB126_392
; %bb.391:
	v_lshlrev_b32_e32 v0, 3, v0
	s_clause 0x3
	buffer_load_dword v127, v0, s[0:3], 0 offen
	buffer_load_dword v128, v0, s[0:3], 0 offen offset:4
	buffer_load_dword v129, off, s[0:3], 0 offset:484
	buffer_load_dword v130, off, s[0:3], 0 offset:480
	s_waitcnt vmcnt(3)
	buffer_store_dword v127, off, s[0:3], 0 offset:480
	s_waitcnt vmcnt(2)
	buffer_store_dword v128, off, s[0:3], 0 offset:484
	s_waitcnt vmcnt(1)
	buffer_store_dword v129, v0, s[0:3], 0 offen offset:4
	s_waitcnt vmcnt(0)
	buffer_store_dword v130, v0, s[0:3], 0 offen
.LBB126_392:
	v_mov_b32_e32 v0, 0
	global_load_dword v127, v0, s[12:13] offset:236
	s_waitcnt vmcnt(0)
	v_add_nc_u32_e32 v127, -1, v127
	v_cmp_eq_u32_e32 vcc_lo, 59, v127
	s_cbranch_vccnz .LBB126_394
; %bb.393:
	v_lshlrev_b32_e32 v127, 3, v127
	s_clause 0x3
	buffer_load_dword v128, v127, s[0:3], 0 offen
	buffer_load_dword v129, v127, s[0:3], 0 offen offset:4
	buffer_load_dword v130, off, s[0:3], 0 offset:472
	buffer_load_dword v131, off, s[0:3], 0 offset:476
	s_waitcnt vmcnt(3)
	buffer_store_dword v128, off, s[0:3], 0 offset:472
	s_waitcnt vmcnt(2)
	buffer_store_dword v129, off, s[0:3], 0 offset:476
	s_waitcnt vmcnt(1)
	buffer_store_dword v130, v127, s[0:3], 0 offen
	s_waitcnt vmcnt(0)
	buffer_store_dword v131, v127, s[0:3], 0 offen offset:4
.LBB126_394:
	global_load_dword v0, v0, s[12:13] offset:232
	s_waitcnt vmcnt(0)
	v_add_nc_u32_e32 v0, -1, v0
	v_cmp_eq_u32_e32 vcc_lo, 58, v0
	s_cbranch_vccnz .LBB126_396
; %bb.395:
	v_lshlrev_b32_e32 v0, 3, v0
	s_clause 0x3
	buffer_load_dword v127, v0, s[0:3], 0 offen
	buffer_load_dword v128, v0, s[0:3], 0 offen offset:4
	buffer_load_dword v129, off, s[0:3], 0 offset:468
	buffer_load_dword v130, off, s[0:3], 0 offset:464
	s_waitcnt vmcnt(3)
	buffer_store_dword v127, off, s[0:3], 0 offset:464
	s_waitcnt vmcnt(2)
	buffer_store_dword v128, off, s[0:3], 0 offset:468
	s_waitcnt vmcnt(1)
	buffer_store_dword v129, v0, s[0:3], 0 offen offset:4
	s_waitcnt vmcnt(0)
	buffer_store_dword v130, v0, s[0:3], 0 offen
.LBB126_396:
	v_mov_b32_e32 v0, 0
	global_load_dword v127, v0, s[12:13] offset:228
	s_waitcnt vmcnt(0)
	v_add_nc_u32_e32 v127, -1, v127
	v_cmp_eq_u32_e32 vcc_lo, 57, v127
	s_cbranch_vccnz .LBB126_398
; %bb.397:
	v_lshlrev_b32_e32 v127, 3, v127
	s_clause 0x3
	buffer_load_dword v128, v127, s[0:3], 0 offen
	buffer_load_dword v129, v127, s[0:3], 0 offen offset:4
	buffer_load_dword v130, off, s[0:3], 0 offset:456
	buffer_load_dword v131, off, s[0:3], 0 offset:460
	s_waitcnt vmcnt(3)
	buffer_store_dword v128, off, s[0:3], 0 offset:456
	s_waitcnt vmcnt(2)
	buffer_store_dword v129, off, s[0:3], 0 offset:460
	s_waitcnt vmcnt(1)
	buffer_store_dword v130, v127, s[0:3], 0 offen
	s_waitcnt vmcnt(0)
	buffer_store_dword v131, v127, s[0:3], 0 offen offset:4
.LBB126_398:
	;; [unrolled: 43-line block ×30, first 2 shown]
	global_load_dword v0, v0, s[12:13]
	s_clause 0x1
	buffer_load_dword v129, off, s[0:3], 0
	buffer_load_dword v130, off, s[0:3], 0 offset:4
	s_waitcnt vmcnt(2)
	v_add_nc_u32_e32 v0, -1, v0
	v_cmp_eq_u32_e32 vcc_lo, 0, v0
	s_cbranch_vccnz .LBB126_512
; %bb.511:
	v_lshlrev_b32_e32 v0, 3, v0
	s_clause 0x1
	buffer_load_dword v127, v0, s[0:3], 0 offen offset:4
	buffer_load_dword v128, v0, s[0:3], 0 offen
	s_waitcnt vmcnt(1)
	buffer_store_dword v127, off, s[0:3], 0 offset:4
	s_waitcnt vmcnt(0)
	buffer_store_dword v128, off, s[0:3], 0
	buffer_store_dword v130, v0, s[0:3], 0 offen offset:4
	buffer_store_dword v129, v0, s[0:3], 0 offen
	s_clause 0x1
	buffer_load_dword v129, off, s[0:3], 0
	buffer_load_dword v130, off, s[0:3], 0 offset:4
.LBB126_512:
	s_waitcnt vmcnt(0)
	flat_store_dwordx2 v[1:2], v[129:130]
	s_clause 0x1
	buffer_load_dword v0, off, s[0:3], 0 offset:8
	buffer_load_dword v1, off, s[0:3], 0 offset:12
	s_waitcnt vmcnt(0)
	flat_store_dwordx2 v[3:4], v[0:1]
	s_clause 0x1
	buffer_load_dword v0, off, s[0:3], 0 offset:16
	buffer_load_dword v1, off, s[0:3], 0 offset:20
	;; [unrolled: 5-line block ×62, first 2 shown]
	s_waitcnt vmcnt(0)
	flat_store_dwordx2 v[125:126], v[0:1]
	s_endpgm
	.section	.rodata,"a",@progbits
	.p2align	6, 0x0
	.amdhsa_kernel _ZN9rocsolver6v33100L18getri_kernel_smallILi63EdPKPdEEvT1_iilPiilS6_bb
		.amdhsa_group_segment_fixed_size 1016
		.amdhsa_private_segment_fixed_size 512
		.amdhsa_kernarg_size 60
		.amdhsa_user_sgpr_count 6
		.amdhsa_user_sgpr_private_segment_buffer 1
		.amdhsa_user_sgpr_dispatch_ptr 0
		.amdhsa_user_sgpr_queue_ptr 0
		.amdhsa_user_sgpr_kernarg_segment_ptr 1
		.amdhsa_user_sgpr_dispatch_id 0
		.amdhsa_user_sgpr_flat_scratch_init 0
		.amdhsa_user_sgpr_private_segment_size 0
		.amdhsa_wavefront_size32 1
		.amdhsa_uses_dynamic_stack 0
		.amdhsa_system_sgpr_private_segment_wavefront_offset 1
		.amdhsa_system_sgpr_workgroup_id_x 1
		.amdhsa_system_sgpr_workgroup_id_y 0
		.amdhsa_system_sgpr_workgroup_id_z 0
		.amdhsa_system_sgpr_workgroup_info 0
		.amdhsa_system_vgpr_workitem_id 0
		.amdhsa_next_free_vgpr 174
		.amdhsa_next_free_sgpr 20
		.amdhsa_reserve_vcc 1
		.amdhsa_reserve_flat_scratch 0
		.amdhsa_float_round_mode_32 0
		.amdhsa_float_round_mode_16_64 0
		.amdhsa_float_denorm_mode_32 3
		.amdhsa_float_denorm_mode_16_64 3
		.amdhsa_dx10_clamp 1
		.amdhsa_ieee_mode 1
		.amdhsa_fp16_overflow 0
		.amdhsa_workgroup_processor_mode 1
		.amdhsa_memory_ordered 1
		.amdhsa_forward_progress 1
		.amdhsa_shared_vgpr_count 0
		.amdhsa_exception_fp_ieee_invalid_op 0
		.amdhsa_exception_fp_denorm_src 0
		.amdhsa_exception_fp_ieee_div_zero 0
		.amdhsa_exception_fp_ieee_overflow 0
		.amdhsa_exception_fp_ieee_underflow 0
		.amdhsa_exception_fp_ieee_inexact 0
		.amdhsa_exception_int_div_zero 0
	.end_amdhsa_kernel
	.section	.text._ZN9rocsolver6v33100L18getri_kernel_smallILi63EdPKPdEEvT1_iilPiilS6_bb,"axG",@progbits,_ZN9rocsolver6v33100L18getri_kernel_smallILi63EdPKPdEEvT1_iilPiilS6_bb,comdat
.Lfunc_end126:
	.size	_ZN9rocsolver6v33100L18getri_kernel_smallILi63EdPKPdEEvT1_iilPiilS6_bb, .Lfunc_end126-_ZN9rocsolver6v33100L18getri_kernel_smallILi63EdPKPdEEvT1_iilPiilS6_bb
                                        ; -- End function
	.set _ZN9rocsolver6v33100L18getri_kernel_smallILi63EdPKPdEEvT1_iilPiilS6_bb.num_vgpr, 174
	.set _ZN9rocsolver6v33100L18getri_kernel_smallILi63EdPKPdEEvT1_iilPiilS6_bb.num_agpr, 0
	.set _ZN9rocsolver6v33100L18getri_kernel_smallILi63EdPKPdEEvT1_iilPiilS6_bb.numbered_sgpr, 20
	.set _ZN9rocsolver6v33100L18getri_kernel_smallILi63EdPKPdEEvT1_iilPiilS6_bb.num_named_barrier, 0
	.set _ZN9rocsolver6v33100L18getri_kernel_smallILi63EdPKPdEEvT1_iilPiilS6_bb.private_seg_size, 512
	.set _ZN9rocsolver6v33100L18getri_kernel_smallILi63EdPKPdEEvT1_iilPiilS6_bb.uses_vcc, 1
	.set _ZN9rocsolver6v33100L18getri_kernel_smallILi63EdPKPdEEvT1_iilPiilS6_bb.uses_flat_scratch, 0
	.set _ZN9rocsolver6v33100L18getri_kernel_smallILi63EdPKPdEEvT1_iilPiilS6_bb.has_dyn_sized_stack, 0
	.set _ZN9rocsolver6v33100L18getri_kernel_smallILi63EdPKPdEEvT1_iilPiilS6_bb.has_recursion, 0
	.set _ZN9rocsolver6v33100L18getri_kernel_smallILi63EdPKPdEEvT1_iilPiilS6_bb.has_indirect_call, 0
	.section	.AMDGPU.csdata,"",@progbits
; Kernel info:
; codeLenInByte = 99484
; TotalNumSgprs: 22
; NumVgprs: 174
; ScratchSize: 512
; MemoryBound: 1
; FloatMode: 240
; IeeeMode: 1
; LDSByteSize: 1016 bytes/workgroup (compile time only)
; SGPRBlocks: 0
; VGPRBlocks: 21
; NumSGPRsForWavesPerEU: 22
; NumVGPRsForWavesPerEU: 174
; Occupancy: 5
; WaveLimiterHint : 1
; COMPUTE_PGM_RSRC2:SCRATCH_EN: 1
; COMPUTE_PGM_RSRC2:USER_SGPR: 6
; COMPUTE_PGM_RSRC2:TRAP_HANDLER: 0
; COMPUTE_PGM_RSRC2:TGID_X_EN: 1
; COMPUTE_PGM_RSRC2:TGID_Y_EN: 0
; COMPUTE_PGM_RSRC2:TGID_Z_EN: 0
; COMPUTE_PGM_RSRC2:TIDIG_COMP_CNT: 0
	.section	.text._ZN9rocsolver6v33100L18getri_kernel_smallILi64EdPKPdEEvT1_iilPiilS6_bb,"axG",@progbits,_ZN9rocsolver6v33100L18getri_kernel_smallILi64EdPKPdEEvT1_iilPiilS6_bb,comdat
	.globl	_ZN9rocsolver6v33100L18getri_kernel_smallILi64EdPKPdEEvT1_iilPiilS6_bb ; -- Begin function _ZN9rocsolver6v33100L18getri_kernel_smallILi64EdPKPdEEvT1_iilPiilS6_bb
	.p2align	8
	.type	_ZN9rocsolver6v33100L18getri_kernel_smallILi64EdPKPdEEvT1_iilPiilS6_bb,@function
_ZN9rocsolver6v33100L18getri_kernel_smallILi64EdPKPdEEvT1_iilPiilS6_bb: ; @_ZN9rocsolver6v33100L18getri_kernel_smallILi64EdPKPdEEvT1_iilPiilS6_bb
; %bb.0:
	s_add_u32 s0, s0, s7
	s_addc_u32 s1, s1, 0
	s_mov_b32 s7, exec_lo
	v_cmpx_gt_u32_e32 64, v0
	s_cbranch_execz .LBB127_266
; %bb.1:
	s_clause 0x2
	s_load_dword s17, s[4:5], 0x38
	s_load_dwordx2 s[12:13], s[4:5], 0x0
	s_load_dwordx4 s[8:11], s[4:5], 0x28
	s_waitcnt lgkmcnt(0)
	s_bitcmp1_b32 s17, 8
	s_cselect_b32 s16, -1, 0
	s_ashr_i32 s7, s6, 31
	s_lshl_b64 s[14:15], s[6:7], 3
	s_add_u32 s12, s12, s14
	s_addc_u32 s13, s13, s15
	s_load_dwordx2 s[14:15], s[12:13], 0x0
	s_bfe_u32 s12, s17, 0x10008
	s_cmp_eq_u32 s12, 0
                                        ; implicit-def: $sgpr12_sgpr13
	s_cbranch_scc1 .LBB127_3
; %bb.2:
	s_clause 0x1
	s_load_dword s12, s[4:5], 0x20
	s_load_dwordx2 s[18:19], s[4:5], 0x18
	s_mul_i32 s13, s8, s7
	s_mul_hi_u32 s17, s8, s6
	s_mul_i32 s9, s9, s6
	s_add_i32 s13, s17, s13
	s_mul_i32 s8, s8, s6
	s_add_i32 s9, s13, s9
	s_lshl_b64 s[8:9], s[8:9], 2
	s_waitcnt lgkmcnt(0)
	s_ashr_i32 s13, s12, 31
	s_add_u32 s17, s18, s8
	s_addc_u32 s18, s19, s9
	s_lshl_b64 s[8:9], s[12:13], 2
	s_add_u32 s12, s17, s8
	s_addc_u32 s13, s18, s9
.LBB127_3:
	s_clause 0x1
	s_load_dwordx2 s[8:9], s[4:5], 0x8
	s_load_dword s17, s[4:5], 0x38
	v_lshlrev_b32_e32 v131, 3, v0
	s_waitcnt lgkmcnt(0)
	s_ashr_i32 s5, s8, 31
	s_mov_b32 s4, s8
	v_add3_u32 v9, s9, s9, v0
	s_lshl_b64 s[4:5], s[4:5], 3
	s_add_u32 s4, s14, s4
	s_addc_u32 s5, s15, s5
	v_add_co_u32 v1, s8, s4, v131
	v_add_co_ci_u32_e64 v2, null, s5, 0, s8
	s_mov_b32 s14, s9
	s_ashr_i32 s15, s9, 31
	v_ashrrev_i32_e32 v10, 31, v9
	flat_load_dwordx2 v[5:6], v[1:2]
	s_lshl_b64 s[14:15], s[14:15], 3
	v_add_nc_u32_e32 v12, s9, v9
	v_add_co_u32 v3, vcc_lo, v1, s14
	v_add_co_ci_u32_e64 v4, null, s15, v2, vcc_lo
	v_ashrrev_i32_e32 v13, 31, v12
	s_bitcmp0_b32 s17, 0
	s_waitcnt vmcnt(0) lgkmcnt(0)
	buffer_store_dword v6, off, s[0:3], 0 offset:4
	buffer_store_dword v5, off, s[0:3], 0
	flat_load_dwordx2 v[7:8], v[3:4]
	v_lshlrev_b64 v[5:6], 3, v[9:10]
	s_waitcnt vmcnt(0) lgkmcnt(0)
	buffer_store_dword v8, off, s[0:3], 0 offset:12
	buffer_store_dword v7, off, s[0:3], 0 offset:8
	v_add_co_u32 v5, vcc_lo, s4, v5
	v_add_co_ci_u32_e64 v6, null, s5, v6, vcc_lo
	v_lshlrev_b64 v[7:8], 3, v[12:13]
	flat_load_dwordx2 v[10:11], v[5:6]
	s_waitcnt vmcnt(0) lgkmcnt(0)
	buffer_store_dword v11, off, s[0:3], 0 offset:20
	buffer_store_dword v10, off, s[0:3], 0 offset:16
	v_add_co_u32 v7, vcc_lo, s4, v7
	v_add_co_ci_u32_e64 v8, null, s5, v8, vcc_lo
	v_add_nc_u32_e32 v11, s9, v12
	flat_load_dwordx2 v[13:14], v[7:8]
	s_waitcnt vmcnt(0) lgkmcnt(0)
	buffer_store_dword v14, off, s[0:3], 0 offset:28
	buffer_store_dword v13, off, s[0:3], 0 offset:24
	v_ashrrev_i32_e32 v12, 31, v11
	v_add_nc_u32_e32 v15, s9, v11
	v_lshlrev_b64 v[9:10], 3, v[11:12]
	v_ashrrev_i32_e32 v16, 31, v15
	v_add_nc_u32_e32 v18, s9, v15
	v_add_co_u32 v9, vcc_lo, s4, v9
	v_add_co_ci_u32_e64 v10, null, s5, v10, vcc_lo
	v_lshlrev_b64 v[11:12], 3, v[15:16]
	v_ashrrev_i32_e32 v19, 31, v18
	flat_load_dwordx2 v[13:14], v[9:10]
	s_waitcnt vmcnt(0) lgkmcnt(0)
	buffer_store_dword v14, off, s[0:3], 0 offset:36
	buffer_store_dword v13, off, s[0:3], 0 offset:32
	v_add_co_u32 v11, vcc_lo, s4, v11
	v_add_co_ci_u32_e64 v12, null, s5, v12, vcc_lo
	v_lshlrev_b64 v[13:14], 3, v[18:19]
	flat_load_dwordx2 v[16:17], v[11:12]
	s_waitcnt vmcnt(0) lgkmcnt(0)
	buffer_store_dword v17, off, s[0:3], 0 offset:44
	buffer_store_dword v16, off, s[0:3], 0 offset:40
	v_add_co_u32 v13, vcc_lo, s4, v13
	v_add_co_ci_u32_e64 v14, null, s5, v14, vcc_lo
	v_add_nc_u32_e32 v17, s9, v18
	flat_load_dwordx2 v[19:20], v[13:14]
	s_waitcnt vmcnt(0) lgkmcnt(0)
	buffer_store_dword v20, off, s[0:3], 0 offset:52
	buffer_store_dword v19, off, s[0:3], 0 offset:48
	v_ashrrev_i32_e32 v18, 31, v17
	v_add_nc_u32_e32 v21, s9, v17
	v_lshlrev_b64 v[15:16], 3, v[17:18]
	v_ashrrev_i32_e32 v22, 31, v21
	v_add_nc_u32_e32 v24, s9, v21
	v_add_co_u32 v15, vcc_lo, s4, v15
	v_add_co_ci_u32_e64 v16, null, s5, v16, vcc_lo
	v_lshlrev_b64 v[17:18], 3, v[21:22]
	v_ashrrev_i32_e32 v25, 31, v24
	flat_load_dwordx2 v[19:20], v[15:16]
	;; [unrolled: 27-line block ×19, first 2 shown]
	s_waitcnt vmcnt(0) lgkmcnt(0)
	buffer_store_dword v122, off, s[0:3], 0 offset:468
	buffer_store_dword v121, off, s[0:3], 0 offset:464
	v_add_co_u32 v119, vcc_lo, s4, v119
	v_add_co_ci_u32_e64 v120, null, s5, v120, vcc_lo
	v_lshlrev_b64 v[121:122], 3, v[126:127]
	flat_load_dwordx2 v[124:125], v[119:120]
	s_waitcnt vmcnt(0) lgkmcnt(0)
	buffer_store_dword v125, off, s[0:3], 0 offset:476
	buffer_store_dword v124, off, s[0:3], 0 offset:472
	v_add_co_u32 v121, vcc_lo, s4, v121
	v_add_co_ci_u32_e64 v122, null, s5, v122, vcc_lo
	v_add_nc_u32_e32 v125, s9, v126
	flat_load_dwordx2 v[127:128], v[121:122]
	s_waitcnt vmcnt(0) lgkmcnt(0)
	buffer_store_dword v128, off, s[0:3], 0 offset:484
	buffer_store_dword v127, off, s[0:3], 0 offset:480
	v_ashrrev_i32_e32 v126, 31, v125
	v_add_nc_u32_e32 v129, s9, v125
	v_lshlrev_b64 v[123:124], 3, v[125:126]
	v_ashrrev_i32_e32 v130, 31, v129
	v_add_co_u32 v123, vcc_lo, s4, v123
	v_add_co_ci_u32_e64 v124, null, s5, v124, vcc_lo
	v_lshlrev_b64 v[125:126], 3, v[129:130]
	flat_load_dwordx2 v[127:128], v[123:124]
	s_waitcnt vmcnt(0) lgkmcnt(0)
	buffer_store_dword v128, off, s[0:3], 0 offset:492
	buffer_store_dword v127, off, s[0:3], 0 offset:488
	v_add_co_u32 v125, vcc_lo, s4, v125
	v_add_co_ci_u32_e64 v126, null, s5, v126, vcc_lo
	v_add_nc_u32_e32 v127, s9, v129
	flat_load_dwordx2 v[132:133], v[125:126]
	s_waitcnt vmcnt(0) lgkmcnt(0)
	buffer_store_dword v133, off, s[0:3], 0 offset:500
	buffer_store_dword v132, off, s[0:3], 0 offset:496
	v_ashrrev_i32_e32 v128, 31, v127
	v_lshlrev_b64 v[127:128], 3, v[127:128]
	v_add_co_u32 v127, vcc_lo, s4, v127
	v_add_co_ci_u32_e64 v128, null, s5, v128, vcc_lo
	s_mov_b32 s5, -1
	flat_load_dwordx2 v[129:130], v[127:128]
	s_waitcnt vmcnt(0) lgkmcnt(0)
	buffer_store_dword v130, off, s[0:3], 0 offset:508
	buffer_store_dword v129, off, s[0:3], 0 offset:504
	s_cbranch_scc1 .LBB127_264
; %bb.4:
	v_cmp_eq_u32_e64 s4, 0, v0
	s_and_saveexec_b32 s5, s4
; %bb.5:
	v_mov_b32_e32 v129, 0
	ds_write_b32 v129, v129 offset:1024
; %bb.6:
	s_or_b32 exec_lo, exec_lo, s5
	v_lshl_add_u32 v129, v0, 3, 0
	s_waitcnt lgkmcnt(0)
	s_waitcnt_vscnt null, 0x0
	s_barrier
	buffer_gl0_inv
	s_mov_b32 s8, exec_lo
	s_clause 0x1
	buffer_load_dword v132, v129, s[0:3], 0 offen
	buffer_load_dword v133, v129, s[0:3], 0 offen offset:4
	s_waitcnt vmcnt(0)
	v_cmpx_eq_f64_e32 0, v[132:133]
	s_cbranch_execz .LBB127_10
; %bb.7:
	v_mov_b32_e32 v130, 0
	s_mov_b32 s9, 0
	ds_read_b32 v132, v130 offset:1024
	s_waitcnt lgkmcnt(0)
	v_readfirstlane_b32 s5, v132
	v_add_nc_u32_e32 v132, 1, v0
	s_cmp_eq_u32 s5, 0
	v_cmp_gt_i32_e32 vcc_lo, s5, v132
	s_cselect_b32 s14, -1, 0
	s_or_b32 s14, s14, vcc_lo
	s_and_b32 exec_lo, exec_lo, s14
	s_cbranch_execz .LBB127_10
; %bb.8:
	v_mov_b32_e32 v133, s5
.LBB127_9:                              ; =>This Inner Loop Header: Depth=1
	ds_cmpst_rtn_b32 v133, v130, v133, v132 offset:1024
	s_waitcnt lgkmcnt(0)
	v_cmp_ne_u32_e32 vcc_lo, 0, v133
	v_cmp_le_i32_e64 s5, v133, v132
	s_and_b32 s5, vcc_lo, s5
	s_and_b32 s5, exec_lo, s5
	s_or_b32 s9, s5, s9
	s_andn2_b32 exec_lo, exec_lo, s9
	s_cbranch_execnz .LBB127_9
.LBB127_10:
	s_or_b32 exec_lo, exec_lo, s8
	v_mov_b32_e32 v130, 0
	s_barrier
	buffer_gl0_inv
	ds_read_b32 v132, v130 offset:1024
	s_and_saveexec_b32 s5, s4
	s_cbranch_execz .LBB127_12
; %bb.11:
	s_lshl_b64 s[8:9], s[6:7], 2
	s_add_u32 s8, s10, s8
	s_addc_u32 s9, s11, s9
	s_waitcnt lgkmcnt(0)
	global_store_dword v130, v132, s[8:9]
.LBB127_12:
	s_or_b32 exec_lo, exec_lo, s5
	s_waitcnt lgkmcnt(0)
	v_cmp_ne_u32_e32 vcc_lo, 0, v132
	s_mov_b32 s5, 0
	s_cbranch_vccnz .LBB127_264
; %bb.13:
	s_clause 0x1
	buffer_load_dword v132, v129, s[0:3], 0 offen
	buffer_load_dword v133, v129, s[0:3], 0 offen offset:4
	s_waitcnt vmcnt(0)
	v_div_scale_f64 v[134:135], null, v[132:133], v[132:133], 1.0
	v_div_scale_f64 v[140:141], vcc_lo, 1.0, v[132:133], 1.0
	v_rcp_f64_e32 v[136:137], v[134:135]
	v_fma_f64 v[138:139], -v[134:135], v[136:137], 1.0
	v_fma_f64 v[136:137], v[136:137], v[138:139], v[136:137]
	v_fma_f64 v[138:139], -v[134:135], v[136:137], 1.0
	v_fma_f64 v[136:137], v[136:137], v[138:139], v[136:137]
	v_mul_f64 v[138:139], v[140:141], v[136:137]
	v_fma_f64 v[134:135], -v[134:135], v[138:139], v[140:141]
	v_div_fmas_f64 v[134:135], v[134:135], v[136:137], v[138:139]
	v_div_fixup_f64 v[133:134], v[134:135], v[132:133], 1.0
	v_or_b32_e32 v132, 0x200, v131
	buffer_store_dword v134, v129, s[0:3], 0 offen offset:4
	buffer_store_dword v133, v129, s[0:3], 0 offen
	s_clause 0x1
	buffer_load_dword v136, off, s[0:3], 0 offset:12
	buffer_load_dword v135, off, s[0:3], 0 offset:8
	v_xor_b32_e32 v134, 0x80000000, v134
	s_waitcnt vmcnt(0)
	ds_write2st64_b64 v131, v[133:134], v[135:136] offset1:1
	s_waitcnt lgkmcnt(0)
	s_waitcnt_vscnt null, 0x0
	s_barrier
	buffer_gl0_inv
	s_and_saveexec_b32 s5, s4
	s_cbranch_execz .LBB127_15
; %bb.14:
	s_clause 0x1
	buffer_load_dword v133, v129, s[0:3], 0 offen
	buffer_load_dword v134, v129, s[0:3], 0 offen offset:4
	ds_read_b64 v[135:136], v132
	v_mov_b32_e32 v130, 0
	ds_read_b64 v[137:138], v130 offset:8
	s_waitcnt vmcnt(0) lgkmcnt(1)
	v_fma_f64 v[133:134], v[133:134], v[135:136], 0
	s_waitcnt lgkmcnt(0)
	v_mul_f64 v[133:134], v[133:134], v[137:138]
	buffer_store_dword v133, off, s[0:3], 0 offset:8
	buffer_store_dword v134, off, s[0:3], 0 offset:12
.LBB127_15:
	s_or_b32 exec_lo, exec_lo, s5
	s_waitcnt_vscnt null, 0x0
	s_barrier
	buffer_gl0_inv
	s_clause 0x1
	buffer_load_dword v133, off, s[0:3], 0 offset:16
	buffer_load_dword v134, off, s[0:3], 0 offset:20
	s_mov_b32 s5, exec_lo
	s_waitcnt vmcnt(0)
	ds_write_b64 v132, v[133:134]
	s_waitcnt lgkmcnt(0)
	s_barrier
	buffer_gl0_inv
	v_cmpx_gt_u32_e32 2, v0
	s_cbranch_execz .LBB127_19
; %bb.16:
	s_clause 0x1
	buffer_load_dword v133, v129, s[0:3], 0 offen
	buffer_load_dword v134, v129, s[0:3], 0 offen offset:4
	ds_read_b64 v[129:130], v132
	s_waitcnt vmcnt(0) lgkmcnt(0)
	v_fma_f64 v[129:130], v[133:134], v[129:130], 0
	s_and_saveexec_b32 s8, s4
	s_cbranch_execz .LBB127_18
; %bb.17:
	s_clause 0x1
	buffer_load_dword v133, off, s[0:3], 0 offset:8
	buffer_load_dword v134, off, s[0:3], 0 offset:12
	v_mov_b32_e32 v135, 0
	ds_read_b64 v[135:136], v135 offset:520
	s_waitcnt vmcnt(0) lgkmcnt(0)
	v_fma_f64 v[129:130], v[133:134], v[135:136], v[129:130]
.LBB127_18:
	s_or_b32 exec_lo, exec_lo, s8
	v_mov_b32_e32 v133, 0
	ds_read_b64 v[133:134], v133 offset:16
	s_waitcnt lgkmcnt(0)
	v_mul_f64 v[129:130], v[129:130], v[133:134]
	buffer_store_dword v130, off, s[0:3], 0 offset:20
	buffer_store_dword v129, off, s[0:3], 0 offset:16
.LBB127_19:
	s_or_b32 exec_lo, exec_lo, s5
	s_waitcnt_vscnt null, 0x0
	s_barrier
	buffer_gl0_inv
	s_clause 0x1
	buffer_load_dword v129, off, s[0:3], 0 offset:24
	buffer_load_dword v130, off, s[0:3], 0 offset:28
	v_add_nc_u32_e32 v133, -1, v0
	s_mov_b32 s4, exec_lo
	s_waitcnt vmcnt(0)
	ds_write_b64 v132, v[129:130]
	s_waitcnt lgkmcnt(0)
	s_barrier
	buffer_gl0_inv
	v_cmpx_gt_u32_e32 3, v0
	s_cbranch_execz .LBB127_23
; %bb.20:
	v_mov_b32_e32 v129, 0
	v_add_nc_u32_e32 v134, -1, v0
	v_or_b32_e32 v135, 0x200, v131
	v_mov_b32_e32 v130, 0
	v_mov_b32_e32 v136, v131
	s_mov_b32 s5, 0
.LBB127_21:                             ; =>This Inner Loop Header: Depth=1
	s_clause 0x1
	buffer_load_dword v137, v136, s[0:3], 0 offen
	buffer_load_dword v138, v136, s[0:3], 0 offen offset:4
	ds_read_b64 v[139:140], v135
	v_add_nc_u32_e32 v134, 1, v134
	v_add_nc_u32_e32 v135, 8, v135
	v_add_nc_u32_e32 v136, 8, v136
	v_cmp_lt_u32_e32 vcc_lo, 1, v134
	s_or_b32 s5, vcc_lo, s5
	s_waitcnt vmcnt(0) lgkmcnt(0)
	v_fma_f64 v[129:130], v[137:138], v[139:140], v[129:130]
	s_andn2_b32 exec_lo, exec_lo, s5
	s_cbranch_execnz .LBB127_21
; %bb.22:
	s_or_b32 exec_lo, exec_lo, s5
	v_mov_b32_e32 v134, 0
	ds_read_b64 v[134:135], v134 offset:24
	s_waitcnt lgkmcnt(0)
	v_mul_f64 v[129:130], v[129:130], v[134:135]
	buffer_store_dword v130, off, s[0:3], 0 offset:28
	buffer_store_dword v129, off, s[0:3], 0 offset:24
.LBB127_23:
	s_or_b32 exec_lo, exec_lo, s4
	s_waitcnt_vscnt null, 0x0
	s_barrier
	buffer_gl0_inv
	s_clause 0x1
	buffer_load_dword v129, off, s[0:3], 0 offset:32
	buffer_load_dword v130, off, s[0:3], 0 offset:36
	s_mov_b32 s4, exec_lo
	s_waitcnt vmcnt(0)
	ds_write_b64 v132, v[129:130]
	s_waitcnt lgkmcnt(0)
	s_barrier
	buffer_gl0_inv
	v_cmpx_gt_u32_e32 4, v0
	s_cbranch_execz .LBB127_27
; %bb.24:
	v_mov_b32_e32 v129, 0
	v_add_nc_u32_e32 v134, -1, v0
	v_or_b32_e32 v135, 0x200, v131
	v_mov_b32_e32 v130, 0
	v_mov_b32_e32 v136, v131
	s_mov_b32 s5, 0
.LBB127_25:                             ; =>This Inner Loop Header: Depth=1
	s_clause 0x1
	buffer_load_dword v137, v136, s[0:3], 0 offen
	buffer_load_dword v138, v136, s[0:3], 0 offen offset:4
	ds_read_b64 v[139:140], v135
	v_add_nc_u32_e32 v134, 1, v134
	v_add_nc_u32_e32 v135, 8, v135
	v_add_nc_u32_e32 v136, 8, v136
	v_cmp_lt_u32_e32 vcc_lo, 2, v134
	s_or_b32 s5, vcc_lo, s5
	s_waitcnt vmcnt(0) lgkmcnt(0)
	v_fma_f64 v[129:130], v[137:138], v[139:140], v[129:130]
	s_andn2_b32 exec_lo, exec_lo, s5
	s_cbranch_execnz .LBB127_25
; %bb.26:
	s_or_b32 exec_lo, exec_lo, s5
	v_mov_b32_e32 v134, 0
	ds_read_b64 v[134:135], v134 offset:32
	s_waitcnt lgkmcnt(0)
	v_mul_f64 v[129:130], v[129:130], v[134:135]
	buffer_store_dword v130, off, s[0:3], 0 offset:36
	buffer_store_dword v129, off, s[0:3], 0 offset:32
.LBB127_27:
	s_or_b32 exec_lo, exec_lo, s4
	s_waitcnt_vscnt null, 0x0
	s_barrier
	buffer_gl0_inv
	s_clause 0x1
	buffer_load_dword v129, off, s[0:3], 0 offset:40
	buffer_load_dword v130, off, s[0:3], 0 offset:44
	;; [unrolled: 45-line block ×20, first 2 shown]
	s_mov_b32 s4, exec_lo
	s_waitcnt vmcnt(0)
	ds_write_b64 v132, v[129:130]
	s_waitcnt lgkmcnt(0)
	s_barrier
	buffer_gl0_inv
	v_cmpx_gt_u32_e32 23, v0
	s_cbranch_execz .LBB127_103
; %bb.100:
	v_mov_b32_e32 v129, 0
	v_add_nc_u32_e32 v134, -1, v0
	v_or_b32_e32 v135, 0x200, v131
	v_mov_b32_e32 v130, 0
	v_mov_b32_e32 v136, v131
	s_mov_b32 s5, 0
.LBB127_101:                            ; =>This Inner Loop Header: Depth=1
	s_clause 0x1
	buffer_load_dword v137, v136, s[0:3], 0 offen
	buffer_load_dword v138, v136, s[0:3], 0 offen offset:4
	ds_read_b64 v[139:140], v135
	v_add_nc_u32_e32 v134, 1, v134
	v_add_nc_u32_e32 v135, 8, v135
	v_add_nc_u32_e32 v136, 8, v136
	v_cmp_lt_u32_e32 vcc_lo, 21, v134
	s_or_b32 s5, vcc_lo, s5
	s_waitcnt vmcnt(0) lgkmcnt(0)
	v_fma_f64 v[129:130], v[137:138], v[139:140], v[129:130]
	s_andn2_b32 exec_lo, exec_lo, s5
	s_cbranch_execnz .LBB127_101
; %bb.102:
	s_or_b32 exec_lo, exec_lo, s5
	v_mov_b32_e32 v134, 0
	ds_read_b64 v[134:135], v134 offset:184
	s_waitcnt lgkmcnt(0)
	v_mul_f64 v[129:130], v[129:130], v[134:135]
	buffer_store_dword v130, off, s[0:3], 0 offset:188
	buffer_store_dword v129, off, s[0:3], 0 offset:184
.LBB127_103:
	s_or_b32 exec_lo, exec_lo, s4
	s_waitcnt_vscnt null, 0x0
	s_barrier
	buffer_gl0_inv
	s_clause 0x1
	buffer_load_dword v129, off, s[0:3], 0 offset:192
	buffer_load_dword v130, off, s[0:3], 0 offset:196
	s_mov_b32 s4, exec_lo
	s_waitcnt vmcnt(0)
	ds_write_b64 v132, v[129:130]
	s_waitcnt lgkmcnt(0)
	s_barrier
	buffer_gl0_inv
	v_cmpx_gt_u32_e32 24, v0
	s_cbranch_execz .LBB127_107
; %bb.104:
	v_mov_b32_e32 v129, 0
	v_add_nc_u32_e32 v134, -1, v0
	v_or_b32_e32 v135, 0x200, v131
	v_mov_b32_e32 v130, 0
	v_mov_b32_e32 v136, v131
	s_mov_b32 s5, 0
.LBB127_105:                            ; =>This Inner Loop Header: Depth=1
	s_clause 0x1
	buffer_load_dword v137, v136, s[0:3], 0 offen
	buffer_load_dword v138, v136, s[0:3], 0 offen offset:4
	ds_read_b64 v[139:140], v135
	v_add_nc_u32_e32 v134, 1, v134
	v_add_nc_u32_e32 v135, 8, v135
	v_add_nc_u32_e32 v136, 8, v136
	v_cmp_lt_u32_e32 vcc_lo, 22, v134
	s_or_b32 s5, vcc_lo, s5
	s_waitcnt vmcnt(0) lgkmcnt(0)
	v_fma_f64 v[129:130], v[137:138], v[139:140], v[129:130]
	s_andn2_b32 exec_lo, exec_lo, s5
	s_cbranch_execnz .LBB127_105
; %bb.106:
	s_or_b32 exec_lo, exec_lo, s5
	v_mov_b32_e32 v134, 0
	ds_read_b64 v[134:135], v134 offset:192
	s_waitcnt lgkmcnt(0)
	v_mul_f64 v[129:130], v[129:130], v[134:135]
	buffer_store_dword v130, off, s[0:3], 0 offset:196
	buffer_store_dword v129, off, s[0:3], 0 offset:192
.LBB127_107:
	s_or_b32 exec_lo, exec_lo, s4
	s_waitcnt_vscnt null, 0x0
	s_barrier
	buffer_gl0_inv
	s_clause 0x1
	buffer_load_dword v129, off, s[0:3], 0 offset:200
	buffer_load_dword v130, off, s[0:3], 0 offset:204
	;; [unrolled: 45-line block ×40, first 2 shown]
	s_mov_b32 s4, exec_lo
	s_waitcnt vmcnt(0)
	ds_write_b64 v132, v[129:130]
	s_waitcnt lgkmcnt(0)
	s_barrier
	buffer_gl0_inv
	v_cmpx_ne_u32_e32 63, v0
	s_cbranch_execz .LBB127_263
; %bb.260:
	v_mov_b32_e32 v129, 0
	v_mov_b32_e32 v130, 0
	s_mov_b32 s5, 0
.LBB127_261:                            ; =>This Inner Loop Header: Depth=1
	s_clause 0x1
	buffer_load_dword v134, v131, s[0:3], 0 offen
	buffer_load_dword v135, v131, s[0:3], 0 offen offset:4
	ds_read_b64 v[136:137], v132
	v_add_nc_u32_e32 v133, 1, v133
	v_add_nc_u32_e32 v132, 8, v132
	;; [unrolled: 1-line block ×3, first 2 shown]
	v_cmp_lt_u32_e32 vcc_lo, 61, v133
	s_or_b32 s5, vcc_lo, s5
	s_waitcnt vmcnt(0) lgkmcnt(0)
	v_fma_f64 v[129:130], v[134:135], v[136:137], v[129:130]
	s_andn2_b32 exec_lo, exec_lo, s5
	s_cbranch_execnz .LBB127_261
; %bb.262:
	s_or_b32 exec_lo, exec_lo, s5
	v_mov_b32_e32 v131, 0
	ds_read_b64 v[131:132], v131 offset:504
	s_waitcnt lgkmcnt(0)
	v_mul_f64 v[129:130], v[129:130], v[131:132]
	buffer_store_dword v130, off, s[0:3], 0 offset:508
	buffer_store_dword v129, off, s[0:3], 0 offset:504
.LBB127_263:
	s_or_b32 exec_lo, exec_lo, s4
	s_mov_b32 s5, -1
	s_waitcnt_vscnt null, 0x0
	s_barrier
	buffer_gl0_inv
.LBB127_264:
	s_and_b32 vcc_lo, exec_lo, s5
	s_cbranch_vccz .LBB127_266
; %bb.265:
	s_lshl_b64 s[4:5], s[6:7], 2
	v_mov_b32_e32 v129, 0
	s_add_u32 s4, s10, s4
	s_addc_u32 s5, s11, s5
	global_load_dword v129, v129, s[4:5]
	s_waitcnt vmcnt(0)
	v_cmp_ne_u32_e32 vcc_lo, 0, v129
	s_cbranch_vccz .LBB127_267
.LBB127_266:
	s_endpgm
.LBB127_267:
	v_lshl_or_b32 v129, v0, 3, 0x200
	s_mov_b32 s4, exec_lo
	v_cmpx_eq_u32_e32 63, v0
	s_cbranch_execz .LBB127_269
; %bb.268:
	s_clause 0x1
	buffer_load_dword v130, off, s[0:3], 0 offset:496
	buffer_load_dword v131, off, s[0:3], 0 offset:500
	v_mov_b32_e32 v132, 0
	buffer_store_dword v132, off, s[0:3], 0 offset:496
	buffer_store_dword v132, off, s[0:3], 0 offset:500
	s_waitcnt vmcnt(0)
	ds_write_b64 v129, v[130:131]
.LBB127_269:
	s_or_b32 exec_lo, exec_lo, s4
	s_waitcnt lgkmcnt(0)
	s_waitcnt_vscnt null, 0x0
	s_barrier
	buffer_gl0_inv
	s_clause 0x3
	buffer_load_dword v131, off, s[0:3], 0 offset:504
	buffer_load_dword v132, off, s[0:3], 0 offset:508
	;; [unrolled: 1-line block ×4, first 2 shown]
	v_mov_b32_e32 v130, 0
	s_mov_b32 s4, exec_lo
	ds_read_b64 v[135:136], v130 offset:1016
	s_waitcnt vmcnt(2) lgkmcnt(0)
	v_fma_f64 v[131:132], v[131:132], v[135:136], 0
	s_waitcnt vmcnt(0)
	v_add_f64 v[131:132], v[133:134], -v[131:132]
	buffer_store_dword v131, off, s[0:3], 0 offset:496
	buffer_store_dword v132, off, s[0:3], 0 offset:500
	v_cmpx_lt_u32_e32 61, v0
	s_cbranch_execz .LBB127_271
; %bb.270:
	s_clause 0x1
	buffer_load_dword v131, off, s[0:3], 0 offset:488
	buffer_load_dword v132, off, s[0:3], 0 offset:492
	buffer_store_dword v130, off, s[0:3], 0 offset:488
	buffer_store_dword v130, off, s[0:3], 0 offset:492
	s_waitcnt vmcnt(0)
	ds_write_b64 v129, v[131:132]
.LBB127_271:
	s_or_b32 exec_lo, exec_lo, s4
	s_waitcnt lgkmcnt(0)
	s_waitcnt_vscnt null, 0x0
	s_barrier
	buffer_gl0_inv
	s_clause 0x5
	buffer_load_dword v134, off, s[0:3], 0 offset:496
	buffer_load_dword v135, off, s[0:3], 0 offset:500
	;; [unrolled: 1-line block ×6, first 2 shown]
	ds_read_b128 v[130:133], v130 offset:1008
	s_mov_b32 s4, exec_lo
	s_waitcnt vmcnt(4) lgkmcnt(0)
	v_fma_f64 v[130:131], v[134:135], v[130:131], 0
	s_waitcnt vmcnt(2)
	v_fma_f64 v[130:131], v[136:137], v[132:133], v[130:131]
	s_waitcnt vmcnt(0)
	v_add_f64 v[130:131], v[138:139], -v[130:131]
	buffer_store_dword v130, off, s[0:3], 0 offset:488
	buffer_store_dword v131, off, s[0:3], 0 offset:492
	v_cmpx_lt_u32_e32 60, v0
	s_cbranch_execz .LBB127_273
; %bb.272:
	s_clause 0x1
	buffer_load_dword v130, off, s[0:3], 0 offset:480
	buffer_load_dword v131, off, s[0:3], 0 offset:484
	v_mov_b32_e32 v132, 0
	buffer_store_dword v132, off, s[0:3], 0 offset:480
	buffer_store_dword v132, off, s[0:3], 0 offset:484
	s_waitcnt vmcnt(0)
	ds_write_b64 v129, v[130:131]
.LBB127_273:
	s_or_b32 exec_lo, exec_lo, s4
	s_waitcnt lgkmcnt(0)
	s_waitcnt_vscnt null, 0x0
	s_barrier
	buffer_gl0_inv
	s_clause 0x7
	buffer_load_dword v135, off, s[0:3], 0 offset:488
	buffer_load_dword v136, off, s[0:3], 0 offset:492
	;; [unrolled: 1-line block ×8, first 2 shown]
	v_mov_b32_e32 v130, 0
	ds_read2_b64 v[131:134], v130 offset0:125 offset1:126
	ds_read_b64 v[143:144], v130 offset:1016
	s_mov_b32 s4, exec_lo
	s_waitcnt vmcnt(6) lgkmcnt(1)
	v_fma_f64 v[131:132], v[135:136], v[131:132], 0
	s_waitcnt vmcnt(4)
	v_fma_f64 v[131:132], v[137:138], v[133:134], v[131:132]
	s_waitcnt vmcnt(2) lgkmcnt(0)
	v_fma_f64 v[131:132], v[139:140], v[143:144], v[131:132]
	s_waitcnt vmcnt(0)
	v_add_f64 v[131:132], v[141:142], -v[131:132]
	buffer_store_dword v131, off, s[0:3], 0 offset:480
	buffer_store_dword v132, off, s[0:3], 0 offset:484
	v_cmpx_lt_u32_e32 59, v0
	s_cbranch_execz .LBB127_275
; %bb.274:
	s_clause 0x1
	buffer_load_dword v131, off, s[0:3], 0 offset:472
	buffer_load_dword v132, off, s[0:3], 0 offset:476
	buffer_store_dword v130, off, s[0:3], 0 offset:472
	buffer_store_dword v130, off, s[0:3], 0 offset:476
	s_waitcnt vmcnt(0)
	ds_write_b64 v129, v[131:132]
.LBB127_275:
	s_or_b32 exec_lo, exec_lo, s4
	s_waitcnt lgkmcnt(0)
	s_waitcnt_vscnt null, 0x0
	s_barrier
	buffer_gl0_inv
	s_clause 0x9
	buffer_load_dword v139, off, s[0:3], 0 offset:480
	buffer_load_dword v140, off, s[0:3], 0 offset:484
	;; [unrolled: 1-line block ×10, first 2 shown]
	ds_read_b128 v[131:134], v130 offset:992
	ds_read_b128 v[135:138], v130 offset:1008
	s_mov_b32 s4, exec_lo
	s_waitcnt vmcnt(8) lgkmcnt(1)
	v_fma_f64 v[130:131], v[139:140], v[131:132], 0
	s_waitcnt vmcnt(6)
	v_fma_f64 v[130:131], v[141:142], v[133:134], v[130:131]
	s_waitcnt vmcnt(4) lgkmcnt(0)
	v_fma_f64 v[130:131], v[143:144], v[135:136], v[130:131]
	s_waitcnt vmcnt(2)
	v_fma_f64 v[130:131], v[145:146], v[137:138], v[130:131]
	s_waitcnt vmcnt(0)
	v_add_f64 v[130:131], v[147:148], -v[130:131]
	buffer_store_dword v130, off, s[0:3], 0 offset:472
	buffer_store_dword v131, off, s[0:3], 0 offset:476
	v_cmpx_lt_u32_e32 58, v0
	s_cbranch_execz .LBB127_277
; %bb.276:
	s_clause 0x1
	buffer_load_dword v130, off, s[0:3], 0 offset:464
	buffer_load_dword v131, off, s[0:3], 0 offset:468
	v_mov_b32_e32 v132, 0
	buffer_store_dword v132, off, s[0:3], 0 offset:464
	buffer_store_dword v132, off, s[0:3], 0 offset:468
	s_waitcnt vmcnt(0)
	ds_write_b64 v129, v[130:131]
.LBB127_277:
	s_or_b32 exec_lo, exec_lo, s4
	s_waitcnt lgkmcnt(0)
	s_waitcnt_vscnt null, 0x0
	s_barrier
	buffer_gl0_inv
	s_clause 0xb
	buffer_load_dword v139, off, s[0:3], 0 offset:472
	buffer_load_dword v140, off, s[0:3], 0 offset:476
	;; [unrolled: 1-line block ×12, first 2 shown]
	v_mov_b32_e32 v130, 0
	ds_read2_b64 v[131:134], v130 offset0:123 offset1:124
	ds_read2_b64 v[135:138], v130 offset0:125 offset1:126
	s_mov_b32 s4, exec_lo
	s_waitcnt vmcnt(10) lgkmcnt(1)
	v_fma_f64 v[131:132], v[139:140], v[131:132], 0
	s_waitcnt vmcnt(8)
	v_fma_f64 v[131:132], v[141:142], v[133:134], v[131:132]
	ds_read_b64 v[133:134], v130 offset:1016
	s_waitcnt vmcnt(6) lgkmcnt(1)
	v_fma_f64 v[131:132], v[143:144], v[135:136], v[131:132]
	s_waitcnt vmcnt(4)
	v_fma_f64 v[131:132], v[145:146], v[137:138], v[131:132]
	s_waitcnt vmcnt(2) lgkmcnt(0)
	v_fma_f64 v[131:132], v[147:148], v[133:134], v[131:132]
	s_waitcnt vmcnt(0)
	v_add_f64 v[131:132], v[149:150], -v[131:132]
	buffer_store_dword v131, off, s[0:3], 0 offset:464
	buffer_store_dword v132, off, s[0:3], 0 offset:468
	v_cmpx_lt_u32_e32 57, v0
	s_cbranch_execz .LBB127_279
; %bb.278:
	s_clause 0x1
	buffer_load_dword v131, off, s[0:3], 0 offset:456
	buffer_load_dword v132, off, s[0:3], 0 offset:460
	buffer_store_dword v130, off, s[0:3], 0 offset:456
	buffer_store_dword v130, off, s[0:3], 0 offset:460
	s_waitcnt vmcnt(0)
	ds_write_b64 v129, v[131:132]
.LBB127_279:
	s_or_b32 exec_lo, exec_lo, s4
	s_waitcnt lgkmcnt(0)
	s_waitcnt_vscnt null, 0x0
	s_barrier
	buffer_gl0_inv
	s_clause 0xd
	buffer_load_dword v139, off, s[0:3], 0 offset:464
	buffer_load_dword v140, off, s[0:3], 0 offset:468
	;; [unrolled: 1-line block ×14, first 2 shown]
	ds_read_b128 v[131:134], v130 offset:976
	ds_read_b128 v[135:138], v130 offset:992
	s_mov_b32 s4, exec_lo
	s_waitcnt vmcnt(12) lgkmcnt(1)
	v_fma_f64 v[131:132], v[139:140], v[131:132], 0
	s_waitcnt vmcnt(10)
	v_fma_f64 v[131:132], v[141:142], v[133:134], v[131:132]
	s_waitcnt vmcnt(8) lgkmcnt(0)
	v_fma_f64 v[131:132], v[143:144], v[135:136], v[131:132]
	s_waitcnt vmcnt(6)
	v_fma_f64 v[134:135], v[145:146], v[137:138], v[131:132]
	ds_read_b128 v[130:133], v130 offset:1008
	s_waitcnt vmcnt(4) lgkmcnt(0)
	v_fma_f64 v[130:131], v[147:148], v[130:131], v[134:135]
	s_waitcnt vmcnt(2)
	v_fma_f64 v[130:131], v[149:150], v[132:133], v[130:131]
	s_waitcnt vmcnt(0)
	v_add_f64 v[130:131], v[151:152], -v[130:131]
	buffer_store_dword v130, off, s[0:3], 0 offset:456
	buffer_store_dword v131, off, s[0:3], 0 offset:460
	v_cmpx_lt_u32_e32 56, v0
	s_cbranch_execz .LBB127_281
; %bb.280:
	s_clause 0x1
	buffer_load_dword v130, off, s[0:3], 0 offset:448
	buffer_load_dword v131, off, s[0:3], 0 offset:452
	v_mov_b32_e32 v132, 0
	buffer_store_dword v132, off, s[0:3], 0 offset:448
	buffer_store_dword v132, off, s[0:3], 0 offset:452
	s_waitcnt vmcnt(0)
	ds_write_b64 v129, v[130:131]
.LBB127_281:
	s_or_b32 exec_lo, exec_lo, s4
	s_waitcnt lgkmcnt(0)
	s_waitcnt_vscnt null, 0x0
	s_barrier
	buffer_gl0_inv
	s_clause 0xf
	buffer_load_dword v139, off, s[0:3], 0 offset:456
	buffer_load_dword v140, off, s[0:3], 0 offset:460
	;; [unrolled: 1-line block ×16, first 2 shown]
	v_mov_b32_e32 v130, 0
	ds_read2_b64 v[131:134], v130 offset0:121 offset1:122
	ds_read2_b64 v[135:138], v130 offset0:123 offset1:124
	s_mov_b32 s4, exec_lo
	s_waitcnt vmcnt(14) lgkmcnt(1)
	v_fma_f64 v[131:132], v[139:140], v[131:132], 0
	s_waitcnt vmcnt(12)
	v_fma_f64 v[131:132], v[141:142], v[133:134], v[131:132]
	s_waitcnt vmcnt(10) lgkmcnt(0)
	v_fma_f64 v[131:132], v[143:144], v[135:136], v[131:132]
	s_waitcnt vmcnt(8)
	v_fma_f64 v[135:136], v[145:146], v[137:138], v[131:132]
	ds_read2_b64 v[131:134], v130 offset0:125 offset1:126
	ds_read_b64 v[137:138], v130 offset:1016
	s_waitcnt vmcnt(6) lgkmcnt(1)
	v_fma_f64 v[131:132], v[147:148], v[131:132], v[135:136]
	s_waitcnt vmcnt(4)
	v_fma_f64 v[131:132], v[149:150], v[133:134], v[131:132]
	s_waitcnt vmcnt(2) lgkmcnt(0)
	v_fma_f64 v[131:132], v[151:152], v[137:138], v[131:132]
	s_waitcnt vmcnt(0)
	v_add_f64 v[131:132], v[153:154], -v[131:132]
	buffer_store_dword v131, off, s[0:3], 0 offset:448
	buffer_store_dword v132, off, s[0:3], 0 offset:452
	v_cmpx_lt_u32_e32 55, v0
	s_cbranch_execz .LBB127_283
; %bb.282:
	s_clause 0x1
	buffer_load_dword v131, off, s[0:3], 0 offset:440
	buffer_load_dword v132, off, s[0:3], 0 offset:444
	buffer_store_dword v130, off, s[0:3], 0 offset:440
	buffer_store_dword v130, off, s[0:3], 0 offset:444
	s_waitcnt vmcnt(0)
	ds_write_b64 v129, v[131:132]
.LBB127_283:
	s_or_b32 exec_lo, exec_lo, s4
	s_waitcnt lgkmcnt(0)
	s_waitcnt_vscnt null, 0x0
	s_barrier
	buffer_gl0_inv
	s_clause 0x11
	buffer_load_dword v139, off, s[0:3], 0 offset:448
	buffer_load_dword v140, off, s[0:3], 0 offset:452
	;; [unrolled: 1-line block ×18, first 2 shown]
	ds_read_b128 v[131:134], v130 offset:960
	ds_read_b128 v[135:138], v130 offset:976
	s_mov_b32 s4, exec_lo
	s_waitcnt vmcnt(16) lgkmcnt(1)
	v_fma_f64 v[131:132], v[139:140], v[131:132], 0
	s_waitcnt vmcnt(14)
	v_fma_f64 v[131:132], v[141:142], v[133:134], v[131:132]
	s_waitcnt vmcnt(12) lgkmcnt(0)
	v_fma_f64 v[131:132], v[143:144], v[135:136], v[131:132]
	s_waitcnt vmcnt(10)
	v_fma_f64 v[139:140], v[145:146], v[137:138], v[131:132]
	ds_read_b128 v[131:134], v130 offset:992
	ds_read_b128 v[135:138], v130 offset:1008
	s_waitcnt vmcnt(8) lgkmcnt(1)
	v_fma_f64 v[130:131], v[147:148], v[131:132], v[139:140]
	s_waitcnt vmcnt(6)
	v_fma_f64 v[130:131], v[149:150], v[133:134], v[130:131]
	s_waitcnt vmcnt(4) lgkmcnt(0)
	v_fma_f64 v[130:131], v[151:152], v[135:136], v[130:131]
	s_waitcnt vmcnt(2)
	v_fma_f64 v[130:131], v[153:154], v[137:138], v[130:131]
	s_waitcnt vmcnt(0)
	v_add_f64 v[130:131], v[155:156], -v[130:131]
	buffer_store_dword v130, off, s[0:3], 0 offset:440
	buffer_store_dword v131, off, s[0:3], 0 offset:444
	v_cmpx_lt_u32_e32 54, v0
	s_cbranch_execz .LBB127_285
; %bb.284:
	s_clause 0x1
	buffer_load_dword v130, off, s[0:3], 0 offset:432
	buffer_load_dword v131, off, s[0:3], 0 offset:436
	v_mov_b32_e32 v132, 0
	buffer_store_dword v132, off, s[0:3], 0 offset:432
	buffer_store_dword v132, off, s[0:3], 0 offset:436
	s_waitcnt vmcnt(0)
	ds_write_b64 v129, v[130:131]
.LBB127_285:
	s_or_b32 exec_lo, exec_lo, s4
	s_waitcnt lgkmcnt(0)
	s_waitcnt_vscnt null, 0x0
	s_barrier
	buffer_gl0_inv
	s_clause 0x13
	buffer_load_dword v135, off, s[0:3], 0 offset:440
	buffer_load_dword v136, off, s[0:3], 0 offset:444
	;; [unrolled: 1-line block ×20, first 2 shown]
	v_mov_b32_e32 v130, 0
	s_mov_b32 s4, exec_lo
	ds_read2_b64 v[131:134], v130 offset0:119 offset1:120
	s_waitcnt vmcnt(18) lgkmcnt(0)
	v_fma_f64 v[131:132], v[135:136], v[131:132], 0
	s_waitcnt vmcnt(16)
	v_fma_f64 v[135:136], v[137:138], v[133:134], v[131:132]
	ds_read2_b64 v[131:134], v130 offset0:121 offset1:122
	s_waitcnt vmcnt(14) lgkmcnt(0)
	v_fma_f64 v[131:132], v[139:140], v[131:132], v[135:136]
	s_waitcnt vmcnt(12)
	v_fma_f64 v[135:136], v[141:142], v[133:134], v[131:132]
	;; [unrolled: 5-line block ×4, first 2 shown]
	ds_read_b64 v[133:134], v130 offset:1016
	s_waitcnt vmcnt(2) lgkmcnt(0)
	v_fma_f64 v[131:132], v[151:152], v[133:134], v[131:132]
	s_waitcnt vmcnt(0)
	v_add_f64 v[131:132], v[153:154], -v[131:132]
	buffer_store_dword v131, off, s[0:3], 0 offset:432
	buffer_store_dword v132, off, s[0:3], 0 offset:436
	v_cmpx_lt_u32_e32 53, v0
	s_cbranch_execz .LBB127_287
; %bb.286:
	s_clause 0x1
	buffer_load_dword v131, off, s[0:3], 0 offset:424
	buffer_load_dword v132, off, s[0:3], 0 offset:428
	buffer_store_dword v130, off, s[0:3], 0 offset:424
	buffer_store_dword v130, off, s[0:3], 0 offset:428
	s_waitcnt vmcnt(0)
	ds_write_b64 v129, v[131:132]
.LBB127_287:
	s_or_b32 exec_lo, exec_lo, s4
	s_waitcnt lgkmcnt(0)
	s_waitcnt_vscnt null, 0x0
	s_barrier
	buffer_gl0_inv
	s_clause 0x15
	buffer_load_dword v135, off, s[0:3], 0 offset:432
	buffer_load_dword v136, off, s[0:3], 0 offset:436
	;; [unrolled: 1-line block ×22, first 2 shown]
	ds_read_b128 v[131:134], v130 offset:944
	s_mov_b32 s4, exec_lo
	s_waitcnt vmcnt(20) lgkmcnt(0)
	v_fma_f64 v[131:132], v[135:136], v[131:132], 0
	s_waitcnt vmcnt(18)
	v_fma_f64 v[135:136], v[137:138], v[133:134], v[131:132]
	ds_read_b128 v[131:134], v130 offset:960
	s_waitcnt vmcnt(16) lgkmcnt(0)
	v_fma_f64 v[131:132], v[139:140], v[131:132], v[135:136]
	s_waitcnt vmcnt(14)
	v_fma_f64 v[135:136], v[141:142], v[133:134], v[131:132]
	ds_read_b128 v[131:134], v130 offset:976
	;; [unrolled: 5-line block ×4, first 2 shown]
	s_waitcnt vmcnt(4) lgkmcnt(0)
	v_fma_f64 v[130:131], v[151:152], v[130:131], v[134:135]
	s_waitcnt vmcnt(2)
	v_fma_f64 v[130:131], v[153:154], v[132:133], v[130:131]
	s_waitcnt vmcnt(0)
	v_add_f64 v[130:131], v[155:156], -v[130:131]
	buffer_store_dword v130, off, s[0:3], 0 offset:424
	buffer_store_dword v131, off, s[0:3], 0 offset:428
	v_cmpx_lt_u32_e32 52, v0
	s_cbranch_execz .LBB127_289
; %bb.288:
	s_clause 0x1
	buffer_load_dword v130, off, s[0:3], 0 offset:416
	buffer_load_dword v131, off, s[0:3], 0 offset:420
	v_mov_b32_e32 v132, 0
	buffer_store_dword v132, off, s[0:3], 0 offset:416
	buffer_store_dword v132, off, s[0:3], 0 offset:420
	s_waitcnt vmcnt(0)
	ds_write_b64 v129, v[130:131]
.LBB127_289:
	s_or_b32 exec_lo, exec_lo, s4
	s_waitcnt lgkmcnt(0)
	s_waitcnt_vscnt null, 0x0
	s_barrier
	buffer_gl0_inv
	s_clause 0x17
	buffer_load_dword v135, off, s[0:3], 0 offset:424
	buffer_load_dword v136, off, s[0:3], 0 offset:428
	buffer_load_dword v137, off, s[0:3], 0 offset:432
	buffer_load_dword v138, off, s[0:3], 0 offset:436
	buffer_load_dword v139, off, s[0:3], 0 offset:440
	buffer_load_dword v140, off, s[0:3], 0 offset:444
	buffer_load_dword v141, off, s[0:3], 0 offset:448
	buffer_load_dword v142, off, s[0:3], 0 offset:452
	buffer_load_dword v143, off, s[0:3], 0 offset:456
	buffer_load_dword v144, off, s[0:3], 0 offset:460
	buffer_load_dword v145, off, s[0:3], 0 offset:464
	buffer_load_dword v146, off, s[0:3], 0 offset:468
	buffer_load_dword v147, off, s[0:3], 0 offset:472
	buffer_load_dword v148, off, s[0:3], 0 offset:476
	buffer_load_dword v150, off, s[0:3], 0 offset:484
	buffer_load_dword v149, off, s[0:3], 0 offset:480
	buffer_load_dword v151, off, s[0:3], 0 offset:488
	buffer_load_dword v152, off, s[0:3], 0 offset:492
	buffer_load_dword v153, off, s[0:3], 0 offset:496
	buffer_load_dword v154, off, s[0:3], 0 offset:500
	buffer_load_dword v155, off, s[0:3], 0 offset:504
	buffer_load_dword v156, off, s[0:3], 0 offset:508
	buffer_load_dword v157, off, s[0:3], 0 offset:416
	buffer_load_dword v158, off, s[0:3], 0 offset:420
	v_mov_b32_e32 v130, 0
	s_mov_b32 s4, exec_lo
	ds_read2_b64 v[131:134], v130 offset0:117 offset1:118
	s_waitcnt vmcnt(22) lgkmcnt(0)
	v_fma_f64 v[131:132], v[135:136], v[131:132], 0
	s_waitcnt vmcnt(20)
	v_fma_f64 v[135:136], v[137:138], v[133:134], v[131:132]
	ds_read2_b64 v[131:134], v130 offset0:119 offset1:120
	s_waitcnt vmcnt(18) lgkmcnt(0)
	v_fma_f64 v[131:132], v[139:140], v[131:132], v[135:136]
	s_waitcnt vmcnt(16)
	v_fma_f64 v[135:136], v[141:142], v[133:134], v[131:132]
	;; [unrolled: 5-line block ×5, first 2 shown]
	ds_read_b64 v[133:134], v130 offset:1016
	s_waitcnt vmcnt(2) lgkmcnt(0)
	v_fma_f64 v[131:132], v[155:156], v[133:134], v[131:132]
	s_waitcnt vmcnt(0)
	v_add_f64 v[131:132], v[157:158], -v[131:132]
	buffer_store_dword v132, off, s[0:3], 0 offset:420
	buffer_store_dword v131, off, s[0:3], 0 offset:416
	v_cmpx_lt_u32_e32 51, v0
	s_cbranch_execz .LBB127_291
; %bb.290:
	s_clause 0x1
	buffer_load_dword v131, off, s[0:3], 0 offset:408
	buffer_load_dword v132, off, s[0:3], 0 offset:412
	buffer_store_dword v130, off, s[0:3], 0 offset:408
	buffer_store_dword v130, off, s[0:3], 0 offset:412
	s_waitcnt vmcnt(0)
	ds_write_b64 v129, v[131:132]
.LBB127_291:
	s_or_b32 exec_lo, exec_lo, s4
	s_waitcnt lgkmcnt(0)
	s_waitcnt_vscnt null, 0x0
	s_barrier
	buffer_gl0_inv
	s_clause 0x19
	buffer_load_dword v139, off, s[0:3], 0 offset:416
	buffer_load_dword v140, off, s[0:3], 0 offset:420
	;; [unrolled: 1-line block ×26, first 2 shown]
	ds_read_b128 v[131:134], v130 offset:928
	ds_read_b128 v[135:138], v130 offset:944
	s_mov_b32 s4, exec_lo
	s_waitcnt vmcnt(24) lgkmcnt(1)
	v_fma_f64 v[131:132], v[139:140], v[131:132], 0
	s_waitcnt vmcnt(22)
	v_fma_f64 v[131:132], v[141:142], v[133:134], v[131:132]
	s_waitcnt vmcnt(20) lgkmcnt(0)
	v_fma_f64 v[131:132], v[143:144], v[135:136], v[131:132]
	s_waitcnt vmcnt(18)
	v_fma_f64 v[139:140], v[145:146], v[137:138], v[131:132]
	ds_read_b128 v[131:134], v130 offset:960
	ds_read_b128 v[135:138], v130 offset:976
	s_waitcnt vmcnt(16) lgkmcnt(1)
	v_fma_f64 v[131:132], v[147:148], v[131:132], v[139:140]
	s_waitcnt vmcnt(14)
	v_fma_f64 v[131:132], v[149:150], v[133:134], v[131:132]
	s_waitcnt vmcnt(12) lgkmcnt(0)
	v_fma_f64 v[131:132], v[151:152], v[135:136], v[131:132]
	s_waitcnt vmcnt(7)
	v_fma_f64 v[139:140], v[153:154], v[137:138], v[131:132]
	ds_read_b128 v[131:134], v130 offset:992
	ds_read_b128 v[135:138], v130 offset:1008
	s_waitcnt vmcnt(6) lgkmcnt(1)
	v_fma_f64 v[130:131], v[159:160], v[131:132], v[139:140]
	s_waitcnt vmcnt(5)
	v_fma_f64 v[130:131], v[157:158], v[133:134], v[130:131]
	s_waitcnt vmcnt(4) lgkmcnt(0)
	v_fma_f64 v[130:131], v[155:156], v[135:136], v[130:131]
	s_waitcnt vmcnt(2)
	v_fma_f64 v[130:131], v[161:162], v[137:138], v[130:131]
	s_waitcnt vmcnt(0)
	v_add_f64 v[130:131], v[163:164], -v[130:131]
	buffer_store_dword v131, off, s[0:3], 0 offset:412
	buffer_store_dword v130, off, s[0:3], 0 offset:408
	v_cmpx_lt_u32_e32 50, v0
	s_cbranch_execz .LBB127_293
; %bb.292:
	s_clause 0x1
	buffer_load_dword v130, off, s[0:3], 0 offset:400
	buffer_load_dword v131, off, s[0:3], 0 offset:404
	v_mov_b32_e32 v132, 0
	buffer_store_dword v132, off, s[0:3], 0 offset:400
	buffer_store_dword v132, off, s[0:3], 0 offset:404
	s_waitcnt vmcnt(0)
	ds_write_b64 v129, v[130:131]
.LBB127_293:
	s_or_b32 exec_lo, exec_lo, s4
	s_waitcnt lgkmcnt(0)
	s_waitcnt_vscnt null, 0x0
	s_barrier
	buffer_gl0_inv
	s_clause 0x1b
	buffer_load_dword v139, off, s[0:3], 0 offset:408
	buffer_load_dword v140, off, s[0:3], 0 offset:412
	;; [unrolled: 1-line block ×28, first 2 shown]
	v_mov_b32_e32 v130, 0
	ds_read2_b64 v[131:134], v130 offset0:115 offset1:116
	ds_read2_b64 v[135:138], v130 offset0:117 offset1:118
	s_mov_b32 s4, exec_lo
	s_waitcnt vmcnt(26) lgkmcnt(1)
	v_fma_f64 v[131:132], v[139:140], v[131:132], 0
	s_waitcnt vmcnt(24)
	v_fma_f64 v[131:132], v[141:142], v[133:134], v[131:132]
	s_waitcnt vmcnt(22) lgkmcnt(0)
	v_fma_f64 v[131:132], v[143:144], v[135:136], v[131:132]
	s_waitcnt vmcnt(20)
	v_fma_f64 v[139:140], v[145:146], v[137:138], v[131:132]
	ds_read2_b64 v[131:134], v130 offset0:119 offset1:120
	ds_read2_b64 v[135:138], v130 offset0:121 offset1:122
	s_waitcnt vmcnt(18) lgkmcnt(1)
	v_fma_f64 v[131:132], v[147:148], v[131:132], v[139:140]
	s_waitcnt vmcnt(16)
	v_fma_f64 v[131:132], v[149:150], v[133:134], v[131:132]
	s_waitcnt vmcnt(14) lgkmcnt(0)
	v_fma_f64 v[131:132], v[151:152], v[135:136], v[131:132]
	s_waitcnt vmcnt(9)
	v_fma_f64 v[139:140], v[153:154], v[137:138], v[131:132]
	ds_read2_b64 v[131:134], v130 offset0:123 offset1:124
	ds_read2_b64 v[135:138], v130 offset0:125 offset1:126
	s_waitcnt vmcnt(8) lgkmcnt(1)
	v_fma_f64 v[131:132], v[159:160], v[131:132], v[139:140]
	s_waitcnt vmcnt(7)
	v_fma_f64 v[131:132], v[157:158], v[133:134], v[131:132]
	ds_read_b64 v[133:134], v130 offset:1016
	s_waitcnt vmcnt(6) lgkmcnt(1)
	v_fma_f64 v[131:132], v[155:156], v[135:136], v[131:132]
	s_waitcnt vmcnt(3)
	v_fma_f64 v[131:132], v[161:162], v[137:138], v[131:132]
	s_waitcnt vmcnt(2) lgkmcnt(0)
	v_fma_f64 v[131:132], v[163:164], v[133:134], v[131:132]
	s_waitcnt vmcnt(0)
	v_add_f64 v[131:132], v[165:166], -v[131:132]
	buffer_store_dword v132, off, s[0:3], 0 offset:404
	buffer_store_dword v131, off, s[0:3], 0 offset:400
	v_cmpx_lt_u32_e32 49, v0
	s_cbranch_execz .LBB127_295
; %bb.294:
	s_clause 0x1
	buffer_load_dword v131, off, s[0:3], 0 offset:392
	buffer_load_dword v132, off, s[0:3], 0 offset:396
	buffer_store_dword v130, off, s[0:3], 0 offset:392
	buffer_store_dword v130, off, s[0:3], 0 offset:396
	s_waitcnt vmcnt(0)
	ds_write_b64 v129, v[131:132]
.LBB127_295:
	s_or_b32 exec_lo, exec_lo, s4
	s_waitcnt lgkmcnt(0)
	s_waitcnt_vscnt null, 0x0
	s_barrier
	buffer_gl0_inv
	s_clause 0x1b
	buffer_load_dword v139, off, s[0:3], 0 offset:400
	buffer_load_dword v140, off, s[0:3], 0 offset:404
	;; [unrolled: 1-line block ×28, first 2 shown]
	ds_read_b128 v[131:134], v130 offset:912
	s_clause 0x1
	buffer_load_dword v167, off, s[0:3], 0 offset:392
	buffer_load_dword v168, off, s[0:3], 0 offset:396
	ds_read_b128 v[135:138], v130 offset:928
	s_mov_b32 s4, exec_lo
	s_waitcnt vmcnt(28) lgkmcnt(1)
	v_fma_f64 v[131:132], v[139:140], v[131:132], 0
	s_waitcnt vmcnt(26)
	v_fma_f64 v[131:132], v[141:142], v[133:134], v[131:132]
	s_waitcnt vmcnt(24) lgkmcnt(0)
	v_fma_f64 v[131:132], v[143:144], v[135:136], v[131:132]
	s_waitcnt vmcnt(22)
	v_fma_f64 v[139:140], v[145:146], v[137:138], v[131:132]
	ds_read_b128 v[131:134], v130 offset:944
	ds_read_b128 v[135:138], v130 offset:960
	s_waitcnt vmcnt(20) lgkmcnt(1)
	v_fma_f64 v[131:132], v[147:148], v[131:132], v[139:140]
	s_waitcnt vmcnt(18)
	v_fma_f64 v[131:132], v[149:150], v[133:134], v[131:132]
	s_waitcnt vmcnt(16) lgkmcnt(0)
	v_fma_f64 v[131:132], v[151:152], v[135:136], v[131:132]
	s_waitcnt vmcnt(11)
	v_fma_f64 v[139:140], v[153:154], v[137:138], v[131:132]
	ds_read_b128 v[131:134], v130 offset:976
	ds_read_b128 v[135:138], v130 offset:992
	s_waitcnt vmcnt(10) lgkmcnt(1)
	v_fma_f64 v[131:132], v[159:160], v[131:132], v[139:140]
	s_waitcnt vmcnt(9)
	v_fma_f64 v[131:132], v[157:158], v[133:134], v[131:132]
	s_waitcnt vmcnt(8) lgkmcnt(0)
	v_fma_f64 v[131:132], v[155:156], v[135:136], v[131:132]
	s_waitcnt vmcnt(4)
	v_fma_f64 v[134:135], v[161:162], v[137:138], v[131:132]
	ds_read_b128 v[130:133], v130 offset:1008
	s_waitcnt vmcnt(3) lgkmcnt(0)
	v_fma_f64 v[130:131], v[165:166], v[130:131], v[134:135]
	s_waitcnt vmcnt(2)
	v_fma_f64 v[130:131], v[163:164], v[132:133], v[130:131]
	s_waitcnt vmcnt(0)
	v_add_f64 v[130:131], v[167:168], -v[130:131]
	buffer_store_dword v131, off, s[0:3], 0 offset:396
	buffer_store_dword v130, off, s[0:3], 0 offset:392
	v_cmpx_lt_u32_e32 48, v0
	s_cbranch_execz .LBB127_297
; %bb.296:
	s_clause 0x1
	buffer_load_dword v130, off, s[0:3], 0 offset:384
	buffer_load_dword v131, off, s[0:3], 0 offset:388
	v_mov_b32_e32 v132, 0
	buffer_store_dword v132, off, s[0:3], 0 offset:384
	buffer_store_dword v132, off, s[0:3], 0 offset:388
	s_waitcnt vmcnt(0)
	ds_write_b64 v129, v[130:131]
.LBB127_297:
	s_or_b32 exec_lo, exec_lo, s4
	s_waitcnt lgkmcnt(0)
	s_waitcnt_vscnt null, 0x0
	s_barrier
	buffer_gl0_inv
	s_clause 0x1c
	buffer_load_dword v139, off, s[0:3], 0 offset:392
	buffer_load_dword v140, off, s[0:3], 0 offset:396
	;; [unrolled: 1-line block ×29, first 2 shown]
	v_mov_b32_e32 v130, 0
	buffer_load_dword v164, off, s[0:3], 0 offset:508
	s_mov_b32 s4, exec_lo
	ds_read2_b64 v[131:134], v130 offset0:113 offset1:114
	ds_read2_b64 v[135:138], v130 offset0:115 offset1:116
	s_waitcnt vmcnt(28) lgkmcnt(1)
	v_fma_f64 v[131:132], v[139:140], v[131:132], 0
	s_clause 0x1
	buffer_load_dword v139, off, s[0:3], 0 offset:384
	buffer_load_dword v140, off, s[0:3], 0 offset:388
	s_waitcnt vmcnt(28)
	v_fma_f64 v[131:132], v[141:142], v[133:134], v[131:132]
	s_waitcnt vmcnt(26) lgkmcnt(0)
	v_fma_f64 v[131:132], v[143:144], v[135:136], v[131:132]
	s_waitcnt vmcnt(24)
	v_fma_f64 v[141:142], v[145:146], v[137:138], v[131:132]
	ds_read2_b64 v[131:134], v130 offset0:117 offset1:118
	ds_read2_b64 v[135:138], v130 offset0:119 offset1:120
	s_waitcnt vmcnt(22) lgkmcnt(1)
	v_fma_f64 v[131:132], v[147:148], v[131:132], v[141:142]
	s_waitcnt vmcnt(20)
	v_fma_f64 v[131:132], v[149:150], v[133:134], v[131:132]
	s_waitcnt vmcnt(18) lgkmcnt(0)
	v_fma_f64 v[131:132], v[151:152], v[135:136], v[131:132]
	s_waitcnt vmcnt(13)
	v_fma_f64 v[141:142], v[153:154], v[137:138], v[131:132]
	ds_read2_b64 v[131:134], v130 offset0:121 offset1:122
	ds_read2_b64 v[135:138], v130 offset0:123 offset1:124
	s_waitcnt vmcnt(12) lgkmcnt(1)
	v_fma_f64 v[131:132], v[159:160], v[131:132], v[141:142]
	s_waitcnt vmcnt(11)
	v_fma_f64 v[131:132], v[157:158], v[133:134], v[131:132]
	s_waitcnt vmcnt(10) lgkmcnt(0)
	v_fma_f64 v[131:132], v[155:156], v[135:136], v[131:132]
	s_waitcnt vmcnt(5)
	v_fma_f64 v[135:136], v[161:162], v[137:138], v[131:132]
	ds_read2_b64 v[131:134], v130 offset0:125 offset1:126
	ds_read_b64 v[137:138], v130 offset:1016
	s_waitcnt vmcnt(4) lgkmcnt(1)
	v_fma_f64 v[131:132], v[167:168], v[131:132], v[135:136]
	s_waitcnt vmcnt(3)
	v_fma_f64 v[131:132], v[165:166], v[133:134], v[131:132]
	s_waitcnt vmcnt(2) lgkmcnt(0)
	v_fma_f64 v[131:132], v[163:164], v[137:138], v[131:132]
	s_waitcnt vmcnt(0)
	v_add_f64 v[131:132], v[139:140], -v[131:132]
	buffer_store_dword v132, off, s[0:3], 0 offset:388
	buffer_store_dword v131, off, s[0:3], 0 offset:384
	v_cmpx_lt_u32_e32 47, v0
	s_cbranch_execz .LBB127_299
; %bb.298:
	s_clause 0x1
	buffer_load_dword v131, off, s[0:3], 0 offset:376
	buffer_load_dword v132, off, s[0:3], 0 offset:380
	buffer_store_dword v130, off, s[0:3], 0 offset:376
	buffer_store_dword v130, off, s[0:3], 0 offset:380
	s_waitcnt vmcnt(0)
	ds_write_b64 v129, v[131:132]
.LBB127_299:
	s_or_b32 exec_lo, exec_lo, s4
	s_waitcnt lgkmcnt(0)
	s_waitcnt_vscnt null, 0x0
	s_barrier
	buffer_gl0_inv
	s_clause 0x1c
	buffer_load_dword v139, off, s[0:3], 0 offset:384
	buffer_load_dword v140, off, s[0:3], 0 offset:388
	;; [unrolled: 1-line block ×29, first 2 shown]
	ds_read_b128 v[131:134], v130 offset:896
	ds_read_b128 v[135:138], v130 offset:912
	buffer_load_dword v164, off, s[0:3], 0 offset:500
	s_mov_b32 s4, exec_lo
	s_waitcnt vmcnt(28) lgkmcnt(1)
	v_fma_f64 v[131:132], v[139:140], v[131:132], 0
	s_clause 0x1
	buffer_load_dword v140, off, s[0:3], 0 offset:508
	buffer_load_dword v139, off, s[0:3], 0 offset:504
	s_waitcnt vmcnt(28)
	v_fma_f64 v[131:132], v[141:142], v[133:134], v[131:132]
	s_clause 0x1
	buffer_load_dword v141, off, s[0:3], 0 offset:376
	buffer_load_dword v142, off, s[0:3], 0 offset:380
	s_waitcnt vmcnt(28) lgkmcnt(0)
	v_fma_f64 v[131:132], v[143:144], v[135:136], v[131:132]
	s_waitcnt vmcnt(26)
	v_fma_f64 v[143:144], v[145:146], v[137:138], v[131:132]
	ds_read_b128 v[131:134], v130 offset:928
	ds_read_b128 v[135:138], v130 offset:944
	s_waitcnt vmcnt(24) lgkmcnt(1)
	v_fma_f64 v[131:132], v[147:148], v[131:132], v[143:144]
	s_waitcnt vmcnt(22)
	v_fma_f64 v[131:132], v[149:150], v[133:134], v[131:132]
	s_waitcnt vmcnt(20) lgkmcnt(0)
	v_fma_f64 v[131:132], v[151:152], v[135:136], v[131:132]
	s_waitcnt vmcnt(15)
	v_fma_f64 v[143:144], v[153:154], v[137:138], v[131:132]
	ds_read_b128 v[131:134], v130 offset:960
	ds_read_b128 v[135:138], v130 offset:976
	s_waitcnt vmcnt(14) lgkmcnt(1)
	v_fma_f64 v[131:132], v[159:160], v[131:132], v[143:144]
	s_waitcnt vmcnt(13)
	v_fma_f64 v[131:132], v[157:158], v[133:134], v[131:132]
	;; [unrolled: 10-line block ×3, first 2 shown]
	s_waitcnt vmcnt(4) lgkmcnt(0)
	v_fma_f64 v[130:131], v[163:164], v[135:136], v[130:131]
	s_waitcnt vmcnt(2)
	v_fma_f64 v[130:131], v[139:140], v[137:138], v[130:131]
	s_waitcnt vmcnt(0)
	v_add_f64 v[130:131], v[141:142], -v[130:131]
	buffer_store_dword v131, off, s[0:3], 0 offset:380
	buffer_store_dword v130, off, s[0:3], 0 offset:376
	v_cmpx_lt_u32_e32 46, v0
	s_cbranch_execz .LBB127_301
; %bb.300:
	s_clause 0x1
	buffer_load_dword v130, off, s[0:3], 0 offset:368
	buffer_load_dword v131, off, s[0:3], 0 offset:372
	v_mov_b32_e32 v132, 0
	buffer_store_dword v132, off, s[0:3], 0 offset:368
	buffer_store_dword v132, off, s[0:3], 0 offset:372
	s_waitcnt vmcnt(0)
	ds_write_b64 v129, v[130:131]
.LBB127_301:
	s_or_b32 exec_lo, exec_lo, s4
	s_waitcnt lgkmcnt(0)
	s_waitcnt_vscnt null, 0x0
	s_barrier
	buffer_gl0_inv
	s_clause 0x1c
	buffer_load_dword v139, off, s[0:3], 0 offset:376
	buffer_load_dword v140, off, s[0:3], 0 offset:380
	buffer_load_dword v141, off, s[0:3], 0 offset:384
	buffer_load_dword v142, off, s[0:3], 0 offset:388
	buffer_load_dword v143, off, s[0:3], 0 offset:392
	buffer_load_dword v144, off, s[0:3], 0 offset:396
	buffer_load_dword v145, off, s[0:3], 0 offset:400
	buffer_load_dword v146, off, s[0:3], 0 offset:404
	buffer_load_dword v147, off, s[0:3], 0 offset:408
	buffer_load_dword v148, off, s[0:3], 0 offset:412
	buffer_load_dword v149, off, s[0:3], 0 offset:416
	buffer_load_dword v150, off, s[0:3], 0 offset:420
	buffer_load_dword v151, off, s[0:3], 0 offset:424
	buffer_load_dword v152, off, s[0:3], 0 offset:428
	buffer_load_dword v154, off, s[0:3], 0 offset:436
	buffer_load_dword v155, off, s[0:3], 0 offset:456
	buffer_load_dword v157, off, s[0:3], 0 offset:448
	buffer_load_dword v159, off, s[0:3], 0 offset:440
	buffer_load_dword v153, off, s[0:3], 0 offset:432
	buffer_load_dword v160, off, s[0:3], 0 offset:444
	buffer_load_dword v158, off, s[0:3], 0 offset:452
	buffer_load_dword v156, off, s[0:3], 0 offset:460
	buffer_load_dword v162, off, s[0:3], 0 offset:468
	buffer_load_dword v163, off, s[0:3], 0 offset:488
	buffer_load_dword v165, off, s[0:3], 0 offset:480
	buffer_load_dword v167, off, s[0:3], 0 offset:472
	buffer_load_dword v161, off, s[0:3], 0 offset:464
	buffer_load_dword v168, off, s[0:3], 0 offset:476
	buffer_load_dword v166, off, s[0:3], 0 offset:484
	v_mov_b32_e32 v130, 0
	buffer_load_dword v164, off, s[0:3], 0 offset:492
	s_mov_b32 s4, exec_lo
	ds_read2_b64 v[131:134], v130 offset0:111 offset1:112
	ds_read2_b64 v[135:138], v130 offset0:113 offset1:114
	s_waitcnt vmcnt(28) lgkmcnt(1)
	v_fma_f64 v[131:132], v[139:140], v[131:132], 0
	s_clause 0x3
	buffer_load_dword v140, off, s[0:3], 0 offset:500
	buffer_load_dword v169, off, s[0:3], 0 offset:504
	;; [unrolled: 1-line block ×4, first 2 shown]
	s_waitcnt vmcnt(30)
	v_fma_f64 v[131:132], v[141:142], v[133:134], v[131:132]
	s_clause 0x1
	buffer_load_dword v141, off, s[0:3], 0 offset:368
	buffer_load_dword v142, off, s[0:3], 0 offset:372
	s_waitcnt vmcnt(30) lgkmcnt(0)
	v_fma_f64 v[131:132], v[143:144], v[135:136], v[131:132]
	s_waitcnt vmcnt(28)
	v_fma_f64 v[143:144], v[145:146], v[137:138], v[131:132]
	ds_read2_b64 v[131:134], v130 offset0:115 offset1:116
	ds_read2_b64 v[135:138], v130 offset0:117 offset1:118
	s_waitcnt vmcnt(26) lgkmcnt(1)
	v_fma_f64 v[131:132], v[147:148], v[131:132], v[143:144]
	s_waitcnt vmcnt(24)
	v_fma_f64 v[131:132], v[149:150], v[133:134], v[131:132]
	s_waitcnt vmcnt(22) lgkmcnt(0)
	v_fma_f64 v[131:132], v[151:152], v[135:136], v[131:132]
	s_waitcnt vmcnt(17)
	v_fma_f64 v[143:144], v[153:154], v[137:138], v[131:132]
	ds_read2_b64 v[131:134], v130 offset0:119 offset1:120
	ds_read2_b64 v[135:138], v130 offset0:121 offset1:122
	s_waitcnt vmcnt(16) lgkmcnt(1)
	v_fma_f64 v[131:132], v[159:160], v[131:132], v[143:144]
	s_waitcnt vmcnt(15)
	v_fma_f64 v[131:132], v[157:158], v[133:134], v[131:132]
	;; [unrolled: 10-line block ×3, first 2 shown]
	ds_read_b64 v[133:134], v130 offset:1016
	s_waitcnt vmcnt(6) lgkmcnt(1)
	v_fma_f64 v[131:132], v[163:164], v[135:136], v[131:132]
	s_waitcnt vmcnt(3)
	v_fma_f64 v[131:132], v[139:140], v[137:138], v[131:132]
	s_waitcnt vmcnt(2) lgkmcnt(0)
	v_fma_f64 v[131:132], v[169:170], v[133:134], v[131:132]
	s_waitcnt vmcnt(0)
	v_add_f64 v[131:132], v[141:142], -v[131:132]
	buffer_store_dword v132, off, s[0:3], 0 offset:372
	buffer_store_dword v131, off, s[0:3], 0 offset:368
	v_cmpx_lt_u32_e32 45, v0
	s_cbranch_execz .LBB127_303
; %bb.302:
	s_clause 0x1
	buffer_load_dword v131, off, s[0:3], 0 offset:360
	buffer_load_dword v132, off, s[0:3], 0 offset:364
	buffer_store_dword v130, off, s[0:3], 0 offset:360
	buffer_store_dword v130, off, s[0:3], 0 offset:364
	s_waitcnt vmcnt(0)
	ds_write_b64 v129, v[131:132]
.LBB127_303:
	s_or_b32 exec_lo, exec_lo, s4
	s_waitcnt lgkmcnt(0)
	s_waitcnt_vscnt null, 0x0
	s_barrier
	buffer_gl0_inv
	s_clause 0x1c
	buffer_load_dword v139, off, s[0:3], 0 offset:368
	buffer_load_dword v140, off, s[0:3], 0 offset:372
	;; [unrolled: 1-line block ×29, first 2 shown]
	ds_read_b128 v[131:134], v130 offset:880
	ds_read_b128 v[135:138], v130 offset:896
	buffer_load_dword v164, off, s[0:3], 0 offset:484
	s_mov_b32 s4, exec_lo
	s_waitcnt vmcnt(28) lgkmcnt(1)
	v_fma_f64 v[131:132], v[139:140], v[131:132], 0
	s_clause 0x5
	buffer_load_dword v140, off, s[0:3], 0 offset:492
	buffer_load_dword v169, off, s[0:3], 0 offset:504
	;; [unrolled: 1-line block ×6, first 2 shown]
	s_waitcnt vmcnt(32)
	v_fma_f64 v[131:132], v[141:142], v[133:134], v[131:132]
	s_waitcnt vmcnt(30) lgkmcnt(0)
	v_fma_f64 v[131:132], v[143:144], v[135:136], v[131:132]
	s_waitcnt vmcnt(28)
	v_fma_f64 v[141:142], v[145:146], v[137:138], v[131:132]
	ds_read_b128 v[131:134], v130 offset:912
	s_clause 0x1
	buffer_load_dword v143, off, s[0:3], 0 offset:360
	buffer_load_dword v144, off, s[0:3], 0 offset:364
	ds_read_b128 v[135:138], v130 offset:928
	s_waitcnt vmcnt(28) lgkmcnt(1)
	v_fma_f64 v[131:132], v[147:148], v[131:132], v[141:142]
	s_waitcnt vmcnt(26)
	v_fma_f64 v[131:132], v[149:150], v[133:134], v[131:132]
	s_waitcnt vmcnt(24) lgkmcnt(0)
	v_fma_f64 v[131:132], v[151:152], v[135:136], v[131:132]
	s_waitcnt vmcnt(19)
	v_fma_f64 v[141:142], v[153:154], v[137:138], v[131:132]
	ds_read_b128 v[131:134], v130 offset:944
	ds_read_b128 v[135:138], v130 offset:960
	s_waitcnt vmcnt(18) lgkmcnt(1)
	v_fma_f64 v[131:132], v[159:160], v[131:132], v[141:142]
	s_waitcnt vmcnt(17)
	v_fma_f64 v[131:132], v[157:158], v[133:134], v[131:132]
	s_waitcnt vmcnt(16) lgkmcnt(0)
	v_fma_f64 v[131:132], v[155:156], v[135:136], v[131:132]
	s_waitcnt vmcnt(11)
	v_fma_f64 v[141:142], v[161:162], v[137:138], v[131:132]
	ds_read_b128 v[131:134], v130 offset:976
	;; [unrolled: 10-line block ×3, first 2 shown]
	s_waitcnt vmcnt(3) lgkmcnt(0)
	v_fma_f64 v[130:131], v[171:172], v[130:131], v[134:135]
	s_waitcnt vmcnt(2)
	v_fma_f64 v[130:131], v[169:170], v[132:133], v[130:131]
	s_waitcnt vmcnt(0)
	v_add_f64 v[130:131], v[143:144], -v[130:131]
	buffer_store_dword v131, off, s[0:3], 0 offset:364
	buffer_store_dword v130, off, s[0:3], 0 offset:360
	v_cmpx_lt_u32_e32 44, v0
	s_cbranch_execz .LBB127_305
; %bb.304:
	s_clause 0x1
	buffer_load_dword v130, off, s[0:3], 0 offset:352
	buffer_load_dword v131, off, s[0:3], 0 offset:356
	v_mov_b32_e32 v132, 0
	buffer_store_dword v132, off, s[0:3], 0 offset:352
	buffer_store_dword v132, off, s[0:3], 0 offset:356
	s_waitcnt vmcnt(0)
	ds_write_b64 v129, v[130:131]
.LBB127_305:
	s_or_b32 exec_lo, exec_lo, s4
	s_waitcnt lgkmcnt(0)
	s_waitcnt_vscnt null, 0x0
	s_barrier
	buffer_gl0_inv
	s_clause 0x1c
	buffer_load_dword v139, off, s[0:3], 0 offset:360
	buffer_load_dword v140, off, s[0:3], 0 offset:364
	;; [unrolled: 1-line block ×29, first 2 shown]
	v_mov_b32_e32 v130, 0
	buffer_load_dword v164, off, s[0:3], 0 offset:476
	s_mov_b32 s4, exec_lo
	ds_read2_b64 v[131:134], v130 offset0:109 offset1:110
	ds_read2_b64 v[135:138], v130 offset0:111 offset1:112
	s_waitcnt vmcnt(28) lgkmcnt(1)
	v_fma_f64 v[131:132], v[139:140], v[131:132], 0
	s_clause 0x7
	buffer_load_dword v140, off, s[0:3], 0 offset:484
	buffer_load_dword v169, off, s[0:3], 0 offset:504
	;; [unrolled: 1-line block ×8, first 2 shown]
	s_waitcnt vmcnt(34)
	v_fma_f64 v[131:132], v[141:142], v[133:134], v[131:132]
	s_waitcnt vmcnt(32) lgkmcnt(0)
	v_fma_f64 v[131:132], v[143:144], v[135:136], v[131:132]
	s_waitcnt vmcnt(30)
	v_fma_f64 v[141:142], v[145:146], v[137:138], v[131:132]
	ds_read2_b64 v[131:134], v130 offset0:113 offset1:114
	ds_read2_b64 v[135:138], v130 offset0:115 offset1:116
	s_waitcnt vmcnt(28) lgkmcnt(1)
	v_fma_f64 v[131:132], v[147:148], v[131:132], v[141:142]
	s_clause 0x1
	buffer_load_dword v141, off, s[0:3], 0 offset:352
	buffer_load_dword v142, off, s[0:3], 0 offset:356
	s_waitcnt vmcnt(28)
	v_fma_f64 v[131:132], v[149:150], v[133:134], v[131:132]
	s_waitcnt vmcnt(26) lgkmcnt(0)
	v_fma_f64 v[131:132], v[151:152], v[135:136], v[131:132]
	s_waitcnt vmcnt(21)
	v_fma_f64 v[143:144], v[153:154], v[137:138], v[131:132]
	ds_read2_b64 v[131:134], v130 offset0:117 offset1:118
	ds_read2_b64 v[135:138], v130 offset0:119 offset1:120
	s_waitcnt vmcnt(20) lgkmcnt(1)
	v_fma_f64 v[131:132], v[159:160], v[131:132], v[143:144]
	s_waitcnt vmcnt(19)
	v_fma_f64 v[131:132], v[157:158], v[133:134], v[131:132]
	s_waitcnt vmcnt(18) lgkmcnt(0)
	v_fma_f64 v[131:132], v[155:156], v[135:136], v[131:132]
	s_waitcnt vmcnt(13)
	v_fma_f64 v[143:144], v[161:162], v[137:138], v[131:132]
	ds_read2_b64 v[131:134], v130 offset0:121 offset1:122
	ds_read2_b64 v[135:138], v130 offset0:123 offset1:124
	s_waitcnt vmcnt(12) lgkmcnt(1)
	v_fma_f64 v[131:132], v[167:168], v[131:132], v[143:144]
	s_waitcnt vmcnt(11)
	v_fma_f64 v[131:132], v[165:166], v[133:134], v[131:132]
	s_waitcnt vmcnt(10) lgkmcnt(0)
	v_fma_f64 v[131:132], v[163:164], v[135:136], v[131:132]
	s_waitcnt vmcnt(5)
	v_fma_f64 v[135:136], v[139:140], v[137:138], v[131:132]
	ds_read2_b64 v[131:134], v130 offset0:125 offset1:126
	ds_read_b64 v[137:138], v130 offset:1016
	s_waitcnt vmcnt(4) lgkmcnt(1)
	v_fma_f64 v[131:132], v[173:174], v[131:132], v[135:136]
	s_waitcnt vmcnt(3)
	v_fma_f64 v[131:132], v[171:172], v[133:134], v[131:132]
	s_waitcnt vmcnt(2) lgkmcnt(0)
	v_fma_f64 v[131:132], v[169:170], v[137:138], v[131:132]
	s_waitcnt vmcnt(0)
	v_add_f64 v[131:132], v[141:142], -v[131:132]
	buffer_store_dword v132, off, s[0:3], 0 offset:356
	buffer_store_dword v131, off, s[0:3], 0 offset:352
	v_cmpx_lt_u32_e32 43, v0
	s_cbranch_execz .LBB127_307
; %bb.306:
	s_clause 0x1
	buffer_load_dword v131, off, s[0:3], 0 offset:344
	buffer_load_dword v132, off, s[0:3], 0 offset:348
	buffer_store_dword v130, off, s[0:3], 0 offset:344
	buffer_store_dword v130, off, s[0:3], 0 offset:348
	s_waitcnt vmcnt(0)
	ds_write_b64 v129, v[131:132]
.LBB127_307:
	s_or_b32 exec_lo, exec_lo, s4
	s_waitcnt lgkmcnt(0)
	s_waitcnt_vscnt null, 0x0
	s_barrier
	buffer_gl0_inv
	s_clause 0x1c
	buffer_load_dword v139, off, s[0:3], 0 offset:352
	buffer_load_dword v140, off, s[0:3], 0 offset:356
	;; [unrolled: 1-line block ×29, first 2 shown]
	ds_read_b128 v[131:134], v130 offset:864
	ds_read_b128 v[135:138], v130 offset:880
	buffer_load_dword v164, off, s[0:3], 0 offset:468
	s_mov_b32 s4, exec_lo
	s_waitcnt vmcnt(28) lgkmcnt(1)
	v_fma_f64 v[131:132], v[139:140], v[131:132], 0
	s_clause 0x7
	buffer_load_dword v140, off, s[0:3], 0 offset:476
	buffer_load_dword v169, off, s[0:3], 0 offset:496
	buffer_load_dword v171, off, s[0:3], 0 offset:488
	buffer_load_dword v173, off, s[0:3], 0 offset:480
	buffer_load_dword v139, off, s[0:3], 0 offset:472
	buffer_load_dword v174, off, s[0:3], 0 offset:484
	buffer_load_dword v172, off, s[0:3], 0 offset:492
	buffer_load_dword v170, off, s[0:3], 0 offset:500
	s_waitcnt vmcnt(34)
	v_fma_f64 v[131:132], v[141:142], v[133:134], v[131:132]
	s_waitcnt vmcnt(32) lgkmcnt(0)
	v_fma_f64 v[131:132], v[143:144], v[135:136], v[131:132]
	s_waitcnt vmcnt(30)
	v_fma_f64 v[141:142], v[145:146], v[137:138], v[131:132]
	ds_read_b128 v[131:134], v130 offset:896
	ds_read_b128 v[135:138], v130 offset:912
	s_waitcnt vmcnt(28) lgkmcnt(1)
	v_fma_f64 v[131:132], v[147:148], v[131:132], v[141:142]
	s_clause 0x3
	buffer_load_dword v142, off, s[0:3], 0 offset:508
	buffer_load_dword v141, off, s[0:3], 0 offset:504
	;; [unrolled: 1-line block ×4, first 2 shown]
	s_waitcnt vmcnt(30)
	v_fma_f64 v[131:132], v[149:150], v[133:134], v[131:132]
	s_waitcnt vmcnt(28) lgkmcnt(0)
	v_fma_f64 v[131:132], v[151:152], v[135:136], v[131:132]
	s_waitcnt vmcnt(23)
	v_fma_f64 v[145:146], v[153:154], v[137:138], v[131:132]
	ds_read_b128 v[131:134], v130 offset:928
	ds_read_b128 v[135:138], v130 offset:944
	s_waitcnt vmcnt(22) lgkmcnt(1)
	v_fma_f64 v[131:132], v[159:160], v[131:132], v[145:146]
	s_waitcnt vmcnt(21)
	v_fma_f64 v[131:132], v[157:158], v[133:134], v[131:132]
	s_waitcnt vmcnt(20) lgkmcnt(0)
	v_fma_f64 v[131:132], v[155:156], v[135:136], v[131:132]
	s_waitcnt vmcnt(15)
	v_fma_f64 v[145:146], v[161:162], v[137:138], v[131:132]
	ds_read_b128 v[131:134], v130 offset:960
	ds_read_b128 v[135:138], v130 offset:976
	s_waitcnt vmcnt(14) lgkmcnt(1)
	v_fma_f64 v[131:132], v[167:168], v[131:132], v[145:146]
	;; [unrolled: 10-line block ×3, first 2 shown]
	s_waitcnt vmcnt(5)
	v_fma_f64 v[130:131], v[171:172], v[133:134], v[130:131]
	s_waitcnt vmcnt(4) lgkmcnt(0)
	v_fma_f64 v[130:131], v[169:170], v[135:136], v[130:131]
	s_waitcnt vmcnt(2)
	v_fma_f64 v[130:131], v[141:142], v[137:138], v[130:131]
	s_waitcnt vmcnt(0)
	v_add_f64 v[130:131], v[143:144], -v[130:131]
	buffer_store_dword v131, off, s[0:3], 0 offset:348
	buffer_store_dword v130, off, s[0:3], 0 offset:344
	v_cmpx_lt_u32_e32 42, v0
	s_cbranch_execz .LBB127_309
; %bb.308:
	s_clause 0x1
	buffer_load_dword v130, off, s[0:3], 0 offset:336
	buffer_load_dword v131, off, s[0:3], 0 offset:340
	v_mov_b32_e32 v132, 0
	buffer_store_dword v132, off, s[0:3], 0 offset:336
	buffer_store_dword v132, off, s[0:3], 0 offset:340
	s_waitcnt vmcnt(0)
	ds_write_b64 v129, v[130:131]
.LBB127_309:
	s_or_b32 exec_lo, exec_lo, s4
	s_waitcnt lgkmcnt(0)
	s_waitcnt_vscnt null, 0x0
	s_barrier
	buffer_gl0_inv
	s_clause 0x1c
	buffer_load_dword v139, off, s[0:3], 0 offset:344
	buffer_load_dword v140, off, s[0:3], 0 offset:348
	;; [unrolled: 1-line block ×29, first 2 shown]
	v_mov_b32_e32 v130, 0
	buffer_load_dword v164, off, s[0:3], 0 offset:460
	s_mov_b32 s4, exec_lo
	ds_read2_b64 v[131:134], v130 offset0:107 offset1:108
	ds_read2_b64 v[135:138], v130 offset0:109 offset1:110
	s_waitcnt vmcnt(28) lgkmcnt(1)
	v_fma_f64 v[131:132], v[139:140], v[131:132], 0
	s_clause 0x7
	buffer_load_dword v140, off, s[0:3], 0 offset:468
	buffer_load_dword v169, off, s[0:3], 0 offset:488
	;; [unrolled: 1-line block ×8, first 2 shown]
	s_waitcnt vmcnt(34)
	v_fma_f64 v[131:132], v[141:142], v[133:134], v[131:132]
	s_waitcnt vmcnt(32) lgkmcnt(0)
	v_fma_f64 v[131:132], v[143:144], v[135:136], v[131:132]
	s_waitcnt vmcnt(30)
	v_fma_f64 v[141:142], v[145:146], v[137:138], v[131:132]
	ds_read2_b64 v[131:134], v130 offset0:111 offset1:112
	ds_read2_b64 v[135:138], v130 offset0:113 offset1:114
	s_waitcnt vmcnt(28) lgkmcnt(1)
	v_fma_f64 v[131:132], v[147:148], v[131:132], v[141:142]
	s_clause 0x5
	buffer_load_dword v142, off, s[0:3], 0 offset:500
	buffer_load_dword v143, off, s[0:3], 0 offset:504
	;; [unrolled: 1-line block ×6, first 2 shown]
	s_waitcnt vmcnt(32)
	v_fma_f64 v[131:132], v[149:150], v[133:134], v[131:132]
	s_waitcnt vmcnt(30) lgkmcnt(0)
	v_fma_f64 v[131:132], v[151:152], v[135:136], v[131:132]
	s_waitcnt vmcnt(25)
	v_fma_f64 v[147:148], v[153:154], v[137:138], v[131:132]
	ds_read2_b64 v[131:134], v130 offset0:115 offset1:116
	ds_read2_b64 v[135:138], v130 offset0:117 offset1:118
	s_waitcnt vmcnt(24) lgkmcnt(1)
	v_fma_f64 v[131:132], v[159:160], v[131:132], v[147:148]
	s_waitcnt vmcnt(23)
	v_fma_f64 v[131:132], v[157:158], v[133:134], v[131:132]
	s_waitcnt vmcnt(22) lgkmcnt(0)
	v_fma_f64 v[131:132], v[155:156], v[135:136], v[131:132]
	s_waitcnt vmcnt(17)
	v_fma_f64 v[147:148], v[161:162], v[137:138], v[131:132]
	ds_read2_b64 v[131:134], v130 offset0:119 offset1:120
	ds_read2_b64 v[135:138], v130 offset0:121 offset1:122
	s_waitcnt vmcnt(16) lgkmcnt(1)
	v_fma_f64 v[131:132], v[167:168], v[131:132], v[147:148]
	;; [unrolled: 10-line block ×3, first 2 shown]
	s_waitcnt vmcnt(7)
	v_fma_f64 v[131:132], v[171:172], v[133:134], v[131:132]
	ds_read_b64 v[133:134], v130 offset:1016
	s_waitcnt vmcnt(6) lgkmcnt(1)
	v_fma_f64 v[131:132], v[169:170], v[135:136], v[131:132]
	s_waitcnt vmcnt(3)
	v_fma_f64 v[131:132], v[141:142], v[137:138], v[131:132]
	s_waitcnt vmcnt(2) lgkmcnt(0)
	v_fma_f64 v[131:132], v[143:144], v[133:134], v[131:132]
	s_waitcnt vmcnt(0)
	v_add_f64 v[131:132], v[145:146], -v[131:132]
	buffer_store_dword v132, off, s[0:3], 0 offset:340
	buffer_store_dword v131, off, s[0:3], 0 offset:336
	v_cmpx_lt_u32_e32 41, v0
	s_cbranch_execz .LBB127_311
; %bb.310:
	s_clause 0x1
	buffer_load_dword v131, off, s[0:3], 0 offset:328
	buffer_load_dword v132, off, s[0:3], 0 offset:332
	buffer_store_dword v130, off, s[0:3], 0 offset:328
	buffer_store_dword v130, off, s[0:3], 0 offset:332
	s_waitcnt vmcnt(0)
	ds_write_b64 v129, v[131:132]
.LBB127_311:
	s_or_b32 exec_lo, exec_lo, s4
	s_waitcnt lgkmcnt(0)
	s_waitcnt_vscnt null, 0x0
	s_barrier
	buffer_gl0_inv
	s_clause 0x1c
	buffer_load_dword v139, off, s[0:3], 0 offset:336
	buffer_load_dword v140, off, s[0:3], 0 offset:340
	;; [unrolled: 1-line block ×29, first 2 shown]
	ds_read_b128 v[131:134], v130 offset:848
	ds_read_b128 v[135:138], v130 offset:864
	buffer_load_dword v164, off, s[0:3], 0 offset:452
	s_mov_b32 s4, exec_lo
	s_waitcnt vmcnt(28) lgkmcnt(1)
	v_fma_f64 v[131:132], v[139:140], v[131:132], 0
	s_clause 0x7
	buffer_load_dword v140, off, s[0:3], 0 offset:460
	buffer_load_dword v169, off, s[0:3], 0 offset:480
	;; [unrolled: 1-line block ×8, first 2 shown]
	s_waitcnt vmcnt(34)
	v_fma_f64 v[131:132], v[141:142], v[133:134], v[131:132]
	s_waitcnt vmcnt(32) lgkmcnt(0)
	v_fma_f64 v[131:132], v[143:144], v[135:136], v[131:132]
	s_waitcnt vmcnt(30)
	v_fma_f64 v[141:142], v[145:146], v[137:138], v[131:132]
	ds_read_b128 v[131:134], v130 offset:880
	ds_read_b128 v[135:138], v130 offset:896
	s_waitcnt vmcnt(28) lgkmcnt(1)
	v_fma_f64 v[131:132], v[147:148], v[131:132], v[141:142]
	s_clause 0x5
	buffer_load_dword v142, off, s[0:3], 0 offset:492
	buffer_load_dword v143, off, s[0:3], 0 offset:504
	;; [unrolled: 1-line block ×6, first 2 shown]
	s_waitcnt vmcnt(32)
	v_fma_f64 v[131:132], v[149:150], v[133:134], v[131:132]
	s_waitcnt vmcnt(30) lgkmcnt(0)
	v_fma_f64 v[131:132], v[151:152], v[135:136], v[131:132]
	s_waitcnt vmcnt(25)
	v_fma_f64 v[147:148], v[153:154], v[137:138], v[131:132]
	ds_read_b128 v[131:134], v130 offset:912
	s_clause 0x1
	buffer_load_dword v149, off, s[0:3], 0 offset:328
	buffer_load_dword v150, off, s[0:3], 0 offset:332
	ds_read_b128 v[135:138], v130 offset:928
	s_waitcnt vmcnt(26) lgkmcnt(1)
	v_fma_f64 v[131:132], v[159:160], v[131:132], v[147:148]
	s_waitcnt vmcnt(25)
	v_fma_f64 v[131:132], v[157:158], v[133:134], v[131:132]
	s_waitcnt vmcnt(24) lgkmcnt(0)
	v_fma_f64 v[131:132], v[155:156], v[135:136], v[131:132]
	s_waitcnt vmcnt(19)
	v_fma_f64 v[147:148], v[161:162], v[137:138], v[131:132]
	ds_read_b128 v[131:134], v130 offset:944
	ds_read_b128 v[135:138], v130 offset:960
	s_waitcnt vmcnt(18) lgkmcnt(1)
	v_fma_f64 v[131:132], v[167:168], v[131:132], v[147:148]
	s_waitcnt vmcnt(17)
	v_fma_f64 v[131:132], v[165:166], v[133:134], v[131:132]
	s_waitcnt vmcnt(16) lgkmcnt(0)
	v_fma_f64 v[131:132], v[163:164], v[135:136], v[131:132]
	s_waitcnt vmcnt(11)
	v_fma_f64 v[139:140], v[139:140], v[137:138], v[131:132]
	ds_read_b128 v[131:134], v130 offset:976
	;; [unrolled: 10-line block ×3, first 2 shown]
	s_waitcnt vmcnt(3) lgkmcnt(0)
	v_fma_f64 v[130:131], v[145:146], v[130:131], v[134:135]
	s_waitcnt vmcnt(2)
	v_fma_f64 v[130:131], v[143:144], v[132:133], v[130:131]
	s_waitcnt vmcnt(0)
	v_add_f64 v[130:131], v[149:150], -v[130:131]
	buffer_store_dword v131, off, s[0:3], 0 offset:332
	buffer_store_dword v130, off, s[0:3], 0 offset:328
	v_cmpx_lt_u32_e32 40, v0
	s_cbranch_execz .LBB127_313
; %bb.312:
	s_clause 0x1
	buffer_load_dword v130, off, s[0:3], 0 offset:320
	buffer_load_dword v131, off, s[0:3], 0 offset:324
	v_mov_b32_e32 v132, 0
	buffer_store_dword v132, off, s[0:3], 0 offset:320
	buffer_store_dword v132, off, s[0:3], 0 offset:324
	s_waitcnt vmcnt(0)
	ds_write_b64 v129, v[130:131]
.LBB127_313:
	s_or_b32 exec_lo, exec_lo, s4
	s_waitcnt lgkmcnt(0)
	s_waitcnt_vscnt null, 0x0
	s_barrier
	buffer_gl0_inv
	s_clause 0x1c
	buffer_load_dword v139, off, s[0:3], 0 offset:328
	buffer_load_dword v140, off, s[0:3], 0 offset:332
	;; [unrolled: 1-line block ×29, first 2 shown]
	v_mov_b32_e32 v130, 0
	buffer_load_dword v164, off, s[0:3], 0 offset:444
	s_mov_b32 s4, exec_lo
	ds_read2_b64 v[131:134], v130 offset0:105 offset1:106
	ds_read2_b64 v[135:138], v130 offset0:107 offset1:108
	s_waitcnt vmcnt(28) lgkmcnt(1)
	v_fma_f64 v[131:132], v[139:140], v[131:132], 0
	s_clause 0x7
	buffer_load_dword v140, off, s[0:3], 0 offset:452
	buffer_load_dword v169, off, s[0:3], 0 offset:472
	;; [unrolled: 1-line block ×8, first 2 shown]
	s_waitcnt vmcnt(34)
	v_fma_f64 v[131:132], v[141:142], v[133:134], v[131:132]
	s_waitcnt vmcnt(32) lgkmcnt(0)
	v_fma_f64 v[131:132], v[143:144], v[135:136], v[131:132]
	s_waitcnt vmcnt(30)
	v_fma_f64 v[141:142], v[145:146], v[137:138], v[131:132]
	ds_read2_b64 v[131:134], v130 offset0:109 offset1:110
	ds_read2_b64 v[135:138], v130 offset0:111 offset1:112
	s_waitcnt vmcnt(28) lgkmcnt(1)
	v_fma_f64 v[131:132], v[147:148], v[131:132], v[141:142]
	s_clause 0x7
	buffer_load_dword v142, off, s[0:3], 0 offset:484
	buffer_load_dword v143, off, s[0:3], 0 offset:504
	;; [unrolled: 1-line block ×8, first 2 shown]
	s_waitcnt vmcnt(34)
	v_fma_f64 v[131:132], v[149:150], v[133:134], v[131:132]
	s_waitcnt vmcnt(32) lgkmcnt(0)
	v_fma_f64 v[131:132], v[151:152], v[135:136], v[131:132]
	s_waitcnt vmcnt(27)
	v_fma_f64 v[149:150], v[153:154], v[137:138], v[131:132]
	ds_read2_b64 v[131:134], v130 offset0:113 offset1:114
	ds_read2_b64 v[135:138], v130 offset0:115 offset1:116
	s_waitcnt vmcnt(26) lgkmcnt(1)
	v_fma_f64 v[131:132], v[159:160], v[131:132], v[149:150]
	s_clause 0x1
	buffer_load_dword v149, off, s[0:3], 0 offset:320
	buffer_load_dword v150, off, s[0:3], 0 offset:324
	s_waitcnt vmcnt(27)
	v_fma_f64 v[131:132], v[157:158], v[133:134], v[131:132]
	s_waitcnt vmcnt(26) lgkmcnt(0)
	v_fma_f64 v[131:132], v[155:156], v[135:136], v[131:132]
	s_waitcnt vmcnt(21)
	v_fma_f64 v[151:152], v[161:162], v[137:138], v[131:132]
	ds_read2_b64 v[131:134], v130 offset0:117 offset1:118
	ds_read2_b64 v[135:138], v130 offset0:119 offset1:120
	s_waitcnt vmcnt(20) lgkmcnt(1)
	v_fma_f64 v[131:132], v[167:168], v[131:132], v[151:152]
	s_waitcnt vmcnt(19)
	v_fma_f64 v[131:132], v[165:166], v[133:134], v[131:132]
	s_waitcnt vmcnt(18) lgkmcnt(0)
	v_fma_f64 v[131:132], v[163:164], v[135:136], v[131:132]
	s_waitcnt vmcnt(13)
	v_fma_f64 v[139:140], v[139:140], v[137:138], v[131:132]
	ds_read2_b64 v[131:134], v130 offset0:121 offset1:122
	ds_read2_b64 v[135:138], v130 offset0:123 offset1:124
	s_waitcnt vmcnt(12) lgkmcnt(1)
	v_fma_f64 v[131:132], v[173:174], v[131:132], v[139:140]
	s_waitcnt vmcnt(11)
	v_fma_f64 v[131:132], v[171:172], v[133:134], v[131:132]
	s_waitcnt vmcnt(10) lgkmcnt(0)
	v_fma_f64 v[131:132], v[169:170], v[135:136], v[131:132]
	s_waitcnt vmcnt(5)
	v_fma_f64 v[135:136], v[141:142], v[137:138], v[131:132]
	ds_read2_b64 v[131:134], v130 offset0:125 offset1:126
	ds_read_b64 v[137:138], v130 offset:1016
	s_waitcnt vmcnt(4) lgkmcnt(1)
	v_fma_f64 v[131:132], v[147:148], v[131:132], v[135:136]
	s_waitcnt vmcnt(3)
	v_fma_f64 v[131:132], v[145:146], v[133:134], v[131:132]
	s_waitcnt vmcnt(2) lgkmcnt(0)
	v_fma_f64 v[131:132], v[143:144], v[137:138], v[131:132]
	s_waitcnt vmcnt(0)
	v_add_f64 v[131:132], v[149:150], -v[131:132]
	buffer_store_dword v132, off, s[0:3], 0 offset:324
	buffer_store_dword v131, off, s[0:3], 0 offset:320
	v_cmpx_lt_u32_e32 39, v0
	s_cbranch_execz .LBB127_315
; %bb.314:
	s_clause 0x1
	buffer_load_dword v131, off, s[0:3], 0 offset:312
	buffer_load_dword v132, off, s[0:3], 0 offset:316
	buffer_store_dword v130, off, s[0:3], 0 offset:312
	buffer_store_dword v130, off, s[0:3], 0 offset:316
	s_waitcnt vmcnt(0)
	ds_write_b64 v129, v[131:132]
.LBB127_315:
	s_or_b32 exec_lo, exec_lo, s4
	s_waitcnt lgkmcnt(0)
	s_waitcnt_vscnt null, 0x0
	s_barrier
	buffer_gl0_inv
	s_clause 0x1c
	buffer_load_dword v139, off, s[0:3], 0 offset:320
	buffer_load_dword v140, off, s[0:3], 0 offset:324
	;; [unrolled: 1-line block ×29, first 2 shown]
	ds_read_b128 v[131:134], v130 offset:832
	ds_read_b128 v[135:138], v130 offset:848
	buffer_load_dword v164, off, s[0:3], 0 offset:436
	s_mov_b32 s4, exec_lo
	s_waitcnt vmcnt(28) lgkmcnt(1)
	v_fma_f64 v[131:132], v[139:140], v[131:132], 0
	s_clause 0x7
	buffer_load_dword v140, off, s[0:3], 0 offset:444
	buffer_load_dword v169, off, s[0:3], 0 offset:464
	;; [unrolled: 1-line block ×8, first 2 shown]
	s_waitcnt vmcnt(34)
	v_fma_f64 v[131:132], v[141:142], v[133:134], v[131:132]
	s_waitcnt vmcnt(32) lgkmcnt(0)
	v_fma_f64 v[131:132], v[143:144], v[135:136], v[131:132]
	s_waitcnt vmcnt(30)
	v_fma_f64 v[141:142], v[145:146], v[137:138], v[131:132]
	ds_read_b128 v[131:134], v130 offset:864
	ds_read_b128 v[135:138], v130 offset:880
	s_waitcnt vmcnt(28) lgkmcnt(1)
	v_fma_f64 v[131:132], v[147:148], v[131:132], v[141:142]
	s_clause 0x7
	buffer_load_dword v142, off, s[0:3], 0 offset:476
	buffer_load_dword v143, off, s[0:3], 0 offset:496
	;; [unrolled: 1-line block ×8, first 2 shown]
	s_waitcnt vmcnt(34)
	v_fma_f64 v[131:132], v[149:150], v[133:134], v[131:132]
	s_waitcnt vmcnt(32) lgkmcnt(0)
	v_fma_f64 v[131:132], v[151:152], v[135:136], v[131:132]
	s_waitcnt vmcnt(27)
	v_fma_f64 v[149:150], v[153:154], v[137:138], v[131:132]
	ds_read_b128 v[131:134], v130 offset:896
	ds_read_b128 v[135:138], v130 offset:912
	s_waitcnt vmcnt(26) lgkmcnt(1)
	v_fma_f64 v[131:132], v[159:160], v[131:132], v[149:150]
	s_clause 0x3
	buffer_load_dword v150, off, s[0:3], 0 offset:508
	buffer_load_dword v149, off, s[0:3], 0 offset:504
	;; [unrolled: 1-line block ×4, first 2 shown]
	s_waitcnt vmcnt(29)
	v_fma_f64 v[131:132], v[157:158], v[133:134], v[131:132]
	s_waitcnt vmcnt(28) lgkmcnt(0)
	v_fma_f64 v[131:132], v[155:156], v[135:136], v[131:132]
	s_waitcnt vmcnt(23)
	v_fma_f64 v[153:154], v[161:162], v[137:138], v[131:132]
	ds_read_b128 v[131:134], v130 offset:928
	ds_read_b128 v[135:138], v130 offset:944
	s_waitcnt vmcnt(22) lgkmcnt(1)
	v_fma_f64 v[131:132], v[167:168], v[131:132], v[153:154]
	s_waitcnt vmcnt(21)
	v_fma_f64 v[131:132], v[165:166], v[133:134], v[131:132]
	s_waitcnt vmcnt(20) lgkmcnt(0)
	v_fma_f64 v[131:132], v[163:164], v[135:136], v[131:132]
	s_waitcnt vmcnt(15)
	v_fma_f64 v[139:140], v[139:140], v[137:138], v[131:132]
	ds_read_b128 v[131:134], v130 offset:960
	ds_read_b128 v[135:138], v130 offset:976
	s_waitcnt vmcnt(14) lgkmcnt(1)
	v_fma_f64 v[131:132], v[173:174], v[131:132], v[139:140]
	s_waitcnt vmcnt(13)
	v_fma_f64 v[131:132], v[171:172], v[133:134], v[131:132]
	s_waitcnt vmcnt(12) lgkmcnt(0)
	v_fma_f64 v[131:132], v[169:170], v[135:136], v[131:132]
	s_waitcnt vmcnt(7)
	v_fma_f64 v[139:140], v[141:142], v[137:138], v[131:132]
	ds_read_b128 v[131:134], v130 offset:992
	ds_read_b128 v[135:138], v130 offset:1008
	s_waitcnt vmcnt(6) lgkmcnt(1)
	v_fma_f64 v[130:131], v[147:148], v[131:132], v[139:140]
	s_waitcnt vmcnt(5)
	v_fma_f64 v[130:131], v[145:146], v[133:134], v[130:131]
	s_waitcnt vmcnt(4) lgkmcnt(0)
	v_fma_f64 v[130:131], v[143:144], v[135:136], v[130:131]
	s_waitcnt vmcnt(2)
	v_fma_f64 v[130:131], v[149:150], v[137:138], v[130:131]
	s_waitcnt vmcnt(0)
	v_add_f64 v[130:131], v[151:152], -v[130:131]
	buffer_store_dword v131, off, s[0:3], 0 offset:316
	buffer_store_dword v130, off, s[0:3], 0 offset:312
	v_cmpx_lt_u32_e32 38, v0
	s_cbranch_execz .LBB127_317
; %bb.316:
	s_clause 0x1
	buffer_load_dword v130, off, s[0:3], 0 offset:304
	buffer_load_dword v131, off, s[0:3], 0 offset:308
	v_mov_b32_e32 v132, 0
	buffer_store_dword v132, off, s[0:3], 0 offset:304
	buffer_store_dword v132, off, s[0:3], 0 offset:308
	s_waitcnt vmcnt(0)
	ds_write_b64 v129, v[130:131]
.LBB127_317:
	s_or_b32 exec_lo, exec_lo, s4
	s_waitcnt lgkmcnt(0)
	s_waitcnt_vscnt null, 0x0
	s_barrier
	buffer_gl0_inv
	s_clause 0x1c
	buffer_load_dword v139, off, s[0:3], 0 offset:312
	buffer_load_dword v140, off, s[0:3], 0 offset:316
	;; [unrolled: 1-line block ×29, first 2 shown]
	v_mov_b32_e32 v130, 0
	buffer_load_dword v164, off, s[0:3], 0 offset:428
	s_mov_b32 s4, exec_lo
	ds_read2_b64 v[131:134], v130 offset0:103 offset1:104
	ds_read2_b64 v[135:138], v130 offset0:105 offset1:106
	s_waitcnt vmcnt(28) lgkmcnt(1)
	v_fma_f64 v[131:132], v[139:140], v[131:132], 0
	s_clause 0x7
	buffer_load_dword v140, off, s[0:3], 0 offset:436
	buffer_load_dword v169, off, s[0:3], 0 offset:456
	;; [unrolled: 1-line block ×8, first 2 shown]
	s_waitcnt vmcnt(34)
	v_fma_f64 v[131:132], v[141:142], v[133:134], v[131:132]
	s_waitcnt vmcnt(32) lgkmcnt(0)
	v_fma_f64 v[131:132], v[143:144], v[135:136], v[131:132]
	s_waitcnt vmcnt(30)
	v_fma_f64 v[141:142], v[145:146], v[137:138], v[131:132]
	ds_read2_b64 v[131:134], v130 offset0:107 offset1:108
	ds_read2_b64 v[135:138], v130 offset0:109 offset1:110
	s_waitcnt vmcnt(28) lgkmcnt(1)
	v_fma_f64 v[131:132], v[147:148], v[131:132], v[141:142]
	s_clause 0x7
	buffer_load_dword v142, off, s[0:3], 0 offset:468
	buffer_load_dword v143, off, s[0:3], 0 offset:488
	;; [unrolled: 1-line block ×8, first 2 shown]
	s_waitcnt vmcnt(34)
	v_fma_f64 v[131:132], v[149:150], v[133:134], v[131:132]
	s_waitcnt vmcnt(32) lgkmcnt(0)
	v_fma_f64 v[131:132], v[151:152], v[135:136], v[131:132]
	s_waitcnt vmcnt(27)
	v_fma_f64 v[149:150], v[153:154], v[137:138], v[131:132]
	ds_read2_b64 v[131:134], v130 offset0:111 offset1:112
	ds_read2_b64 v[135:138], v130 offset0:113 offset1:114
	s_waitcnt vmcnt(26) lgkmcnt(1)
	v_fma_f64 v[131:132], v[159:160], v[131:132], v[149:150]
	s_clause 0x5
	buffer_load_dword v150, off, s[0:3], 0 offset:500
	buffer_load_dword v151, off, s[0:3], 0 offset:504
	;; [unrolled: 1-line block ×6, first 2 shown]
	s_waitcnt vmcnt(31)
	v_fma_f64 v[131:132], v[157:158], v[133:134], v[131:132]
	s_waitcnt vmcnt(30) lgkmcnt(0)
	v_fma_f64 v[131:132], v[155:156], v[135:136], v[131:132]
	s_waitcnt vmcnt(25)
	v_fma_f64 v[155:156], v[161:162], v[137:138], v[131:132]
	ds_read2_b64 v[131:134], v130 offset0:115 offset1:116
	ds_read2_b64 v[135:138], v130 offset0:117 offset1:118
	s_waitcnt vmcnt(24) lgkmcnt(1)
	v_fma_f64 v[131:132], v[167:168], v[131:132], v[155:156]
	s_waitcnt vmcnt(23)
	v_fma_f64 v[131:132], v[165:166], v[133:134], v[131:132]
	s_waitcnt vmcnt(22) lgkmcnt(0)
	v_fma_f64 v[131:132], v[163:164], v[135:136], v[131:132]
	s_waitcnt vmcnt(17)
	v_fma_f64 v[139:140], v[139:140], v[137:138], v[131:132]
	ds_read2_b64 v[131:134], v130 offset0:119 offset1:120
	ds_read2_b64 v[135:138], v130 offset0:121 offset1:122
	s_waitcnt vmcnt(16) lgkmcnt(1)
	v_fma_f64 v[131:132], v[173:174], v[131:132], v[139:140]
	;; [unrolled: 10-line block ×3, first 2 shown]
	s_waitcnt vmcnt(7)
	v_fma_f64 v[131:132], v[145:146], v[133:134], v[131:132]
	ds_read_b64 v[133:134], v130 offset:1016
	s_waitcnt vmcnt(6) lgkmcnt(1)
	v_fma_f64 v[131:132], v[143:144], v[135:136], v[131:132]
	s_waitcnt vmcnt(3)
	v_fma_f64 v[131:132], v[149:150], v[137:138], v[131:132]
	s_waitcnt vmcnt(2) lgkmcnt(0)
	v_fma_f64 v[131:132], v[151:152], v[133:134], v[131:132]
	s_waitcnt vmcnt(0)
	v_add_f64 v[131:132], v[153:154], -v[131:132]
	buffer_store_dword v132, off, s[0:3], 0 offset:308
	buffer_store_dword v131, off, s[0:3], 0 offset:304
	v_cmpx_lt_u32_e32 37, v0
	s_cbranch_execz .LBB127_319
; %bb.318:
	s_clause 0x1
	buffer_load_dword v131, off, s[0:3], 0 offset:296
	buffer_load_dword v132, off, s[0:3], 0 offset:300
	buffer_store_dword v130, off, s[0:3], 0 offset:296
	buffer_store_dword v130, off, s[0:3], 0 offset:300
	s_waitcnt vmcnt(0)
	ds_write_b64 v129, v[131:132]
.LBB127_319:
	s_or_b32 exec_lo, exec_lo, s4
	s_waitcnt lgkmcnt(0)
	s_waitcnt_vscnt null, 0x0
	s_barrier
	buffer_gl0_inv
	s_clause 0x1c
	buffer_load_dword v139, off, s[0:3], 0 offset:304
	buffer_load_dword v140, off, s[0:3], 0 offset:308
	;; [unrolled: 1-line block ×29, first 2 shown]
	ds_read_b128 v[131:134], v130 offset:816
	ds_read_b128 v[135:138], v130 offset:832
	buffer_load_dword v164, off, s[0:3], 0 offset:420
	s_mov_b32 s4, exec_lo
	s_waitcnt vmcnt(28) lgkmcnt(1)
	v_fma_f64 v[131:132], v[139:140], v[131:132], 0
	s_clause 0x7
	buffer_load_dword v140, off, s[0:3], 0 offset:428
	buffer_load_dword v169, off, s[0:3], 0 offset:448
	;; [unrolled: 1-line block ×8, first 2 shown]
	s_waitcnt vmcnt(34)
	v_fma_f64 v[131:132], v[141:142], v[133:134], v[131:132]
	s_waitcnt vmcnt(32) lgkmcnt(0)
	v_fma_f64 v[131:132], v[143:144], v[135:136], v[131:132]
	s_waitcnt vmcnt(30)
	v_fma_f64 v[141:142], v[145:146], v[137:138], v[131:132]
	ds_read_b128 v[131:134], v130 offset:848
	ds_read_b128 v[135:138], v130 offset:864
	s_waitcnt vmcnt(28) lgkmcnt(1)
	v_fma_f64 v[131:132], v[147:148], v[131:132], v[141:142]
	s_clause 0x7
	buffer_load_dword v142, off, s[0:3], 0 offset:460
	buffer_load_dword v143, off, s[0:3], 0 offset:480
	;; [unrolled: 1-line block ×8, first 2 shown]
	s_waitcnt vmcnt(34)
	v_fma_f64 v[131:132], v[149:150], v[133:134], v[131:132]
	s_waitcnt vmcnt(32) lgkmcnt(0)
	v_fma_f64 v[131:132], v[151:152], v[135:136], v[131:132]
	s_waitcnt vmcnt(27)
	v_fma_f64 v[149:150], v[153:154], v[137:138], v[131:132]
	ds_read_b128 v[131:134], v130 offset:880
	ds_read_b128 v[135:138], v130 offset:896
	s_waitcnt vmcnt(26) lgkmcnt(1)
	v_fma_f64 v[131:132], v[159:160], v[131:132], v[149:150]
	s_clause 0x5
	buffer_load_dword v150, off, s[0:3], 0 offset:492
	buffer_load_dword v151, off, s[0:3], 0 offset:504
	;; [unrolled: 1-line block ×6, first 2 shown]
	s_waitcnt vmcnt(31)
	v_fma_f64 v[131:132], v[157:158], v[133:134], v[131:132]
	s_waitcnt vmcnt(30) lgkmcnt(0)
	v_fma_f64 v[131:132], v[155:156], v[135:136], v[131:132]
	s_waitcnt vmcnt(25)
	v_fma_f64 v[155:156], v[161:162], v[137:138], v[131:132]
	ds_read_b128 v[131:134], v130 offset:912
	s_clause 0x1
	buffer_load_dword v157, off, s[0:3], 0 offset:296
	buffer_load_dword v158, off, s[0:3], 0 offset:300
	ds_read_b128 v[135:138], v130 offset:928
	s_waitcnt vmcnt(26) lgkmcnt(1)
	v_fma_f64 v[131:132], v[167:168], v[131:132], v[155:156]
	s_waitcnt vmcnt(25)
	v_fma_f64 v[131:132], v[165:166], v[133:134], v[131:132]
	s_waitcnt vmcnt(24) lgkmcnt(0)
	v_fma_f64 v[131:132], v[163:164], v[135:136], v[131:132]
	s_waitcnt vmcnt(19)
	v_fma_f64 v[139:140], v[139:140], v[137:138], v[131:132]
	ds_read_b128 v[131:134], v130 offset:944
	ds_read_b128 v[135:138], v130 offset:960
	s_waitcnt vmcnt(18) lgkmcnt(1)
	v_fma_f64 v[131:132], v[173:174], v[131:132], v[139:140]
	s_waitcnt vmcnt(17)
	v_fma_f64 v[131:132], v[171:172], v[133:134], v[131:132]
	s_waitcnt vmcnt(16) lgkmcnt(0)
	v_fma_f64 v[131:132], v[169:170], v[135:136], v[131:132]
	s_waitcnt vmcnt(11)
	v_fma_f64 v[139:140], v[141:142], v[137:138], v[131:132]
	ds_read_b128 v[131:134], v130 offset:976
	;; [unrolled: 10-line block ×3, first 2 shown]
	s_waitcnt vmcnt(3) lgkmcnt(0)
	v_fma_f64 v[130:131], v[153:154], v[130:131], v[134:135]
	s_waitcnt vmcnt(2)
	v_fma_f64 v[130:131], v[151:152], v[132:133], v[130:131]
	s_waitcnt vmcnt(0)
	v_add_f64 v[130:131], v[157:158], -v[130:131]
	buffer_store_dword v131, off, s[0:3], 0 offset:300
	buffer_store_dword v130, off, s[0:3], 0 offset:296
	v_cmpx_lt_u32_e32 36, v0
	s_cbranch_execz .LBB127_321
; %bb.320:
	s_clause 0x1
	buffer_load_dword v130, off, s[0:3], 0 offset:288
	buffer_load_dword v131, off, s[0:3], 0 offset:292
	v_mov_b32_e32 v132, 0
	buffer_store_dword v132, off, s[0:3], 0 offset:288
	buffer_store_dword v132, off, s[0:3], 0 offset:292
	s_waitcnt vmcnt(0)
	ds_write_b64 v129, v[130:131]
.LBB127_321:
	s_or_b32 exec_lo, exec_lo, s4
	s_waitcnt lgkmcnt(0)
	s_waitcnt_vscnt null, 0x0
	s_barrier
	buffer_gl0_inv
	s_clause 0x1c
	buffer_load_dword v139, off, s[0:3], 0 offset:296
	buffer_load_dword v140, off, s[0:3], 0 offset:300
	;; [unrolled: 1-line block ×29, first 2 shown]
	v_mov_b32_e32 v130, 0
	buffer_load_dword v164, off, s[0:3], 0 offset:412
	s_mov_b32 s4, exec_lo
	ds_read2_b64 v[131:134], v130 offset0:101 offset1:102
	ds_read2_b64 v[135:138], v130 offset0:103 offset1:104
	s_waitcnt vmcnt(28) lgkmcnt(1)
	v_fma_f64 v[131:132], v[139:140], v[131:132], 0
	s_clause 0x7
	buffer_load_dword v140, off, s[0:3], 0 offset:420
	buffer_load_dword v169, off, s[0:3], 0 offset:440
	buffer_load_dword v171, off, s[0:3], 0 offset:432
	buffer_load_dword v173, off, s[0:3], 0 offset:424
	buffer_load_dword v139, off, s[0:3], 0 offset:416
	buffer_load_dword v174, off, s[0:3], 0 offset:428
	buffer_load_dword v172, off, s[0:3], 0 offset:436
	buffer_load_dword v170, off, s[0:3], 0 offset:444
	s_waitcnt vmcnt(34)
	v_fma_f64 v[131:132], v[141:142], v[133:134], v[131:132]
	s_waitcnt vmcnt(32) lgkmcnt(0)
	v_fma_f64 v[131:132], v[143:144], v[135:136], v[131:132]
	s_waitcnt vmcnt(30)
	v_fma_f64 v[141:142], v[145:146], v[137:138], v[131:132]
	ds_read2_b64 v[131:134], v130 offset0:105 offset1:106
	ds_read2_b64 v[135:138], v130 offset0:107 offset1:108
	s_waitcnt vmcnt(28) lgkmcnt(1)
	v_fma_f64 v[131:132], v[147:148], v[131:132], v[141:142]
	s_clause 0x7
	buffer_load_dword v142, off, s[0:3], 0 offset:452
	buffer_load_dword v143, off, s[0:3], 0 offset:472
	buffer_load_dword v145, off, s[0:3], 0 offset:464
	buffer_load_dword v147, off, s[0:3], 0 offset:456
	buffer_load_dword v141, off, s[0:3], 0 offset:448
	buffer_load_dword v148, off, s[0:3], 0 offset:460
	buffer_load_dword v146, off, s[0:3], 0 offset:468
	buffer_load_dword v144, off, s[0:3], 0 offset:476
	s_waitcnt vmcnt(34)
	v_fma_f64 v[131:132], v[149:150], v[133:134], v[131:132]
	s_waitcnt vmcnt(32) lgkmcnt(0)
	v_fma_f64 v[131:132], v[151:152], v[135:136], v[131:132]
	s_waitcnt vmcnt(27)
	v_fma_f64 v[149:150], v[153:154], v[137:138], v[131:132]
	;; [unrolled: 19-line block ×3, first 2 shown]
	ds_read2_b64 v[131:134], v130 offset0:113 offset1:114
	ds_read2_b64 v[135:138], v130 offset0:115 offset1:116
	s_waitcnt vmcnt(26) lgkmcnt(1)
	v_fma_f64 v[131:132], v[167:168], v[131:132], v[155:156]
	s_clause 0x1
	buffer_load_dword v155, off, s[0:3], 0 offset:288
	buffer_load_dword v156, off, s[0:3], 0 offset:292
	s_waitcnt vmcnt(27)
	v_fma_f64 v[131:132], v[165:166], v[133:134], v[131:132]
	s_waitcnt vmcnt(26) lgkmcnt(0)
	v_fma_f64 v[131:132], v[163:164], v[135:136], v[131:132]
	s_waitcnt vmcnt(21)
	v_fma_f64 v[139:140], v[139:140], v[137:138], v[131:132]
	ds_read2_b64 v[131:134], v130 offset0:117 offset1:118
	ds_read2_b64 v[135:138], v130 offset0:119 offset1:120
	s_waitcnt vmcnt(20) lgkmcnt(1)
	v_fma_f64 v[131:132], v[173:174], v[131:132], v[139:140]
	s_waitcnt vmcnt(19)
	v_fma_f64 v[131:132], v[171:172], v[133:134], v[131:132]
	s_waitcnt vmcnt(18) lgkmcnt(0)
	v_fma_f64 v[131:132], v[169:170], v[135:136], v[131:132]
	s_waitcnt vmcnt(13)
	v_fma_f64 v[139:140], v[141:142], v[137:138], v[131:132]
	ds_read2_b64 v[131:134], v130 offset0:121 offset1:122
	ds_read2_b64 v[135:138], v130 offset0:123 offset1:124
	s_waitcnt vmcnt(12) lgkmcnt(1)
	v_fma_f64 v[131:132], v[147:148], v[131:132], v[139:140]
	s_waitcnt vmcnt(11)
	v_fma_f64 v[131:132], v[145:146], v[133:134], v[131:132]
	s_waitcnt vmcnt(10) lgkmcnt(0)
	v_fma_f64 v[131:132], v[143:144], v[135:136], v[131:132]
	s_waitcnt vmcnt(5)
	v_fma_f64 v[135:136], v[149:150], v[137:138], v[131:132]
	ds_read2_b64 v[131:134], v130 offset0:125 offset1:126
	ds_read_b64 v[137:138], v130 offset:1016
	s_waitcnt vmcnt(4) lgkmcnt(1)
	v_fma_f64 v[131:132], v[159:160], v[131:132], v[135:136]
	s_waitcnt vmcnt(3)
	v_fma_f64 v[131:132], v[153:154], v[133:134], v[131:132]
	s_waitcnt vmcnt(2) lgkmcnt(0)
	v_fma_f64 v[131:132], v[151:152], v[137:138], v[131:132]
	s_waitcnt vmcnt(0)
	v_add_f64 v[131:132], v[155:156], -v[131:132]
	buffer_store_dword v132, off, s[0:3], 0 offset:292
	buffer_store_dword v131, off, s[0:3], 0 offset:288
	v_cmpx_lt_u32_e32 35, v0
	s_cbranch_execz .LBB127_323
; %bb.322:
	s_clause 0x1
	buffer_load_dword v131, off, s[0:3], 0 offset:280
	buffer_load_dword v132, off, s[0:3], 0 offset:284
	buffer_store_dword v130, off, s[0:3], 0 offset:280
	buffer_store_dword v130, off, s[0:3], 0 offset:284
	s_waitcnt vmcnt(0)
	ds_write_b64 v129, v[131:132]
.LBB127_323:
	s_or_b32 exec_lo, exec_lo, s4
	s_waitcnt lgkmcnt(0)
	s_waitcnt_vscnt null, 0x0
	s_barrier
	buffer_gl0_inv
	s_clause 0x1c
	buffer_load_dword v139, off, s[0:3], 0 offset:288
	buffer_load_dword v140, off, s[0:3], 0 offset:292
	;; [unrolled: 1-line block ×29, first 2 shown]
	ds_read_b128 v[131:134], v130 offset:800
	ds_read_b128 v[135:138], v130 offset:816
	buffer_load_dword v164, off, s[0:3], 0 offset:404
	s_mov_b32 s4, exec_lo
	s_waitcnt vmcnt(28) lgkmcnt(1)
	v_fma_f64 v[131:132], v[139:140], v[131:132], 0
	s_clause 0x7
	buffer_load_dword v140, off, s[0:3], 0 offset:412
	buffer_load_dword v169, off, s[0:3], 0 offset:432
	buffer_load_dword v171, off, s[0:3], 0 offset:424
	buffer_load_dword v173, off, s[0:3], 0 offset:416
	buffer_load_dword v139, off, s[0:3], 0 offset:408
	buffer_load_dword v174, off, s[0:3], 0 offset:420
	buffer_load_dword v172, off, s[0:3], 0 offset:428
	buffer_load_dword v170, off, s[0:3], 0 offset:436
	s_waitcnt vmcnt(34)
	v_fma_f64 v[131:132], v[141:142], v[133:134], v[131:132]
	s_waitcnt vmcnt(32) lgkmcnt(0)
	v_fma_f64 v[131:132], v[143:144], v[135:136], v[131:132]
	s_waitcnt vmcnt(30)
	v_fma_f64 v[141:142], v[145:146], v[137:138], v[131:132]
	ds_read_b128 v[131:134], v130 offset:832
	ds_read_b128 v[135:138], v130 offset:848
	s_waitcnt vmcnt(28) lgkmcnt(1)
	v_fma_f64 v[131:132], v[147:148], v[131:132], v[141:142]
	s_clause 0x7
	buffer_load_dword v142, off, s[0:3], 0 offset:444
	buffer_load_dword v143, off, s[0:3], 0 offset:464
	buffer_load_dword v145, off, s[0:3], 0 offset:456
	buffer_load_dword v147, off, s[0:3], 0 offset:448
	buffer_load_dword v141, off, s[0:3], 0 offset:440
	buffer_load_dword v148, off, s[0:3], 0 offset:452
	buffer_load_dword v146, off, s[0:3], 0 offset:460
	buffer_load_dword v144, off, s[0:3], 0 offset:468
	s_waitcnt vmcnt(34)
	v_fma_f64 v[131:132], v[149:150], v[133:134], v[131:132]
	s_waitcnt vmcnt(32) lgkmcnt(0)
	v_fma_f64 v[131:132], v[151:152], v[135:136], v[131:132]
	s_waitcnt vmcnt(27)
	v_fma_f64 v[149:150], v[153:154], v[137:138], v[131:132]
	ds_read_b128 v[131:134], v130 offset:864
	ds_read_b128 v[135:138], v130 offset:880
	s_waitcnt vmcnt(26) lgkmcnt(1)
	v_fma_f64 v[131:132], v[159:160], v[131:132], v[149:150]
	s_clause 0x7
	buffer_load_dword v150, off, s[0:3], 0 offset:476
	buffer_load_dword v151, off, s[0:3], 0 offset:496
	buffer_load_dword v153, off, s[0:3], 0 offset:488
	buffer_load_dword v159, off, s[0:3], 0 offset:480
	buffer_load_dword v149, off, s[0:3], 0 offset:472
	buffer_load_dword v160, off, s[0:3], 0 offset:484
	buffer_load_dword v154, off, s[0:3], 0 offset:492
	buffer_load_dword v152, off, s[0:3], 0 offset:500
	s_waitcnt vmcnt(33)
	v_fma_f64 v[131:132], v[157:158], v[133:134], v[131:132]
	s_waitcnt vmcnt(32) lgkmcnt(0)
	v_fma_f64 v[131:132], v[155:156], v[135:136], v[131:132]
	s_waitcnt vmcnt(27)
	v_fma_f64 v[155:156], v[161:162], v[137:138], v[131:132]
	ds_read_b128 v[131:134], v130 offset:896
	ds_read_b128 v[135:138], v130 offset:912
	s_waitcnt vmcnt(26) lgkmcnt(1)
	v_fma_f64 v[131:132], v[167:168], v[131:132], v[155:156]
	s_clause 0x3
	buffer_load_dword v156, off, s[0:3], 0 offset:508
	buffer_load_dword v155, off, s[0:3], 0 offset:504
	;; [unrolled: 1-line block ×4, first 2 shown]
	s_waitcnt vmcnt(29)
	v_fma_f64 v[131:132], v[165:166], v[133:134], v[131:132]
	s_waitcnt vmcnt(28) lgkmcnt(0)
	v_fma_f64 v[131:132], v[163:164], v[135:136], v[131:132]
	s_waitcnt vmcnt(23)
	v_fma_f64 v[139:140], v[139:140], v[137:138], v[131:132]
	ds_read_b128 v[131:134], v130 offset:928
	ds_read_b128 v[135:138], v130 offset:944
	s_waitcnt vmcnt(22) lgkmcnt(1)
	v_fma_f64 v[131:132], v[173:174], v[131:132], v[139:140]
	s_waitcnt vmcnt(21)
	v_fma_f64 v[131:132], v[171:172], v[133:134], v[131:132]
	s_waitcnt vmcnt(20) lgkmcnt(0)
	v_fma_f64 v[131:132], v[169:170], v[135:136], v[131:132]
	s_waitcnt vmcnt(15)
	v_fma_f64 v[139:140], v[141:142], v[137:138], v[131:132]
	ds_read_b128 v[131:134], v130 offset:960
	ds_read_b128 v[135:138], v130 offset:976
	s_waitcnt vmcnt(14) lgkmcnt(1)
	v_fma_f64 v[131:132], v[147:148], v[131:132], v[139:140]
	s_waitcnt vmcnt(13)
	v_fma_f64 v[131:132], v[145:146], v[133:134], v[131:132]
	s_waitcnt vmcnt(12) lgkmcnt(0)
	v_fma_f64 v[131:132], v[143:144], v[135:136], v[131:132]
	s_waitcnt vmcnt(7)
	v_fma_f64 v[139:140], v[149:150], v[137:138], v[131:132]
	ds_read_b128 v[131:134], v130 offset:992
	ds_read_b128 v[135:138], v130 offset:1008
	s_waitcnt vmcnt(6) lgkmcnt(1)
	v_fma_f64 v[130:131], v[159:160], v[131:132], v[139:140]
	s_waitcnt vmcnt(5)
	v_fma_f64 v[130:131], v[153:154], v[133:134], v[130:131]
	s_waitcnt vmcnt(4) lgkmcnt(0)
	v_fma_f64 v[130:131], v[151:152], v[135:136], v[130:131]
	s_waitcnt vmcnt(2)
	v_fma_f64 v[130:131], v[155:156], v[137:138], v[130:131]
	s_waitcnt vmcnt(0)
	v_add_f64 v[130:131], v[157:158], -v[130:131]
	buffer_store_dword v131, off, s[0:3], 0 offset:284
	buffer_store_dword v130, off, s[0:3], 0 offset:280
	v_cmpx_lt_u32_e32 34, v0
	s_cbranch_execz .LBB127_325
; %bb.324:
	s_clause 0x1
	buffer_load_dword v130, off, s[0:3], 0 offset:272
	buffer_load_dword v131, off, s[0:3], 0 offset:276
	v_mov_b32_e32 v132, 0
	buffer_store_dword v132, off, s[0:3], 0 offset:272
	buffer_store_dword v132, off, s[0:3], 0 offset:276
	s_waitcnt vmcnt(0)
	ds_write_b64 v129, v[130:131]
.LBB127_325:
	s_or_b32 exec_lo, exec_lo, s4
	s_waitcnt lgkmcnt(0)
	s_waitcnt_vscnt null, 0x0
	s_barrier
	buffer_gl0_inv
	s_clause 0x1c
	buffer_load_dword v139, off, s[0:3], 0 offset:280
	buffer_load_dword v140, off, s[0:3], 0 offset:284
	;; [unrolled: 1-line block ×29, first 2 shown]
	v_mov_b32_e32 v130, 0
	buffer_load_dword v164, off, s[0:3], 0 offset:396
	s_mov_b32 s4, exec_lo
	ds_read2_b64 v[131:134], v130 offset0:99 offset1:100
	ds_read2_b64 v[135:138], v130 offset0:101 offset1:102
	s_waitcnt vmcnt(28) lgkmcnt(1)
	v_fma_f64 v[131:132], v[139:140], v[131:132], 0
	s_clause 0x7
	buffer_load_dword v140, off, s[0:3], 0 offset:404
	buffer_load_dword v169, off, s[0:3], 0 offset:424
	buffer_load_dword v171, off, s[0:3], 0 offset:416
	buffer_load_dword v173, off, s[0:3], 0 offset:408
	buffer_load_dword v139, off, s[0:3], 0 offset:400
	buffer_load_dword v174, off, s[0:3], 0 offset:412
	buffer_load_dword v172, off, s[0:3], 0 offset:420
	buffer_load_dword v170, off, s[0:3], 0 offset:428
	s_waitcnt vmcnt(34)
	v_fma_f64 v[131:132], v[141:142], v[133:134], v[131:132]
	s_waitcnt vmcnt(32) lgkmcnt(0)
	v_fma_f64 v[131:132], v[143:144], v[135:136], v[131:132]
	s_waitcnt vmcnt(30)
	v_fma_f64 v[141:142], v[145:146], v[137:138], v[131:132]
	ds_read2_b64 v[131:134], v130 offset0:103 offset1:104
	ds_read2_b64 v[135:138], v130 offset0:105 offset1:106
	s_waitcnt vmcnt(28) lgkmcnt(1)
	v_fma_f64 v[131:132], v[147:148], v[131:132], v[141:142]
	s_clause 0x7
	buffer_load_dword v142, off, s[0:3], 0 offset:436
	buffer_load_dword v143, off, s[0:3], 0 offset:456
	buffer_load_dword v145, off, s[0:3], 0 offset:448
	buffer_load_dword v147, off, s[0:3], 0 offset:440
	buffer_load_dword v141, off, s[0:3], 0 offset:432
	buffer_load_dword v148, off, s[0:3], 0 offset:444
	buffer_load_dword v146, off, s[0:3], 0 offset:452
	buffer_load_dword v144, off, s[0:3], 0 offset:460
	s_waitcnt vmcnt(34)
	v_fma_f64 v[131:132], v[149:150], v[133:134], v[131:132]
	s_waitcnt vmcnt(32) lgkmcnt(0)
	v_fma_f64 v[131:132], v[151:152], v[135:136], v[131:132]
	s_waitcnt vmcnt(27)
	v_fma_f64 v[149:150], v[153:154], v[137:138], v[131:132]
	;; [unrolled: 19-line block ×3, first 2 shown]
	ds_read2_b64 v[131:134], v130 offset0:111 offset1:112
	ds_read2_b64 v[135:138], v130 offset0:113 offset1:114
	s_waitcnt vmcnt(26) lgkmcnt(1)
	v_fma_f64 v[131:132], v[167:168], v[131:132], v[155:156]
	s_clause 0x5
	buffer_load_dword v156, off, s[0:3], 0 offset:500
	buffer_load_dword v157, off, s[0:3], 0 offset:504
	;; [unrolled: 1-line block ×6, first 2 shown]
	s_waitcnt vmcnt(31)
	v_fma_f64 v[131:132], v[165:166], v[133:134], v[131:132]
	s_waitcnt vmcnt(30) lgkmcnt(0)
	v_fma_f64 v[131:132], v[163:164], v[135:136], v[131:132]
	s_waitcnt vmcnt(25)
	v_fma_f64 v[139:140], v[139:140], v[137:138], v[131:132]
	ds_read2_b64 v[131:134], v130 offset0:115 offset1:116
	ds_read2_b64 v[135:138], v130 offset0:117 offset1:118
	s_waitcnt vmcnt(24) lgkmcnt(1)
	v_fma_f64 v[131:132], v[173:174], v[131:132], v[139:140]
	s_waitcnt vmcnt(23)
	v_fma_f64 v[131:132], v[171:172], v[133:134], v[131:132]
	s_waitcnt vmcnt(22) lgkmcnt(0)
	v_fma_f64 v[131:132], v[169:170], v[135:136], v[131:132]
	s_waitcnt vmcnt(17)
	v_fma_f64 v[139:140], v[141:142], v[137:138], v[131:132]
	ds_read2_b64 v[131:134], v130 offset0:119 offset1:120
	ds_read2_b64 v[135:138], v130 offset0:121 offset1:122
	s_waitcnt vmcnt(16) lgkmcnt(1)
	v_fma_f64 v[131:132], v[147:148], v[131:132], v[139:140]
	;; [unrolled: 10-line block ×3, first 2 shown]
	s_waitcnt vmcnt(7)
	v_fma_f64 v[131:132], v[153:154], v[133:134], v[131:132]
	ds_read_b64 v[133:134], v130 offset:1016
	s_waitcnt vmcnt(6) lgkmcnt(1)
	v_fma_f64 v[131:132], v[151:152], v[135:136], v[131:132]
	s_waitcnt vmcnt(3)
	v_fma_f64 v[131:132], v[155:156], v[137:138], v[131:132]
	s_waitcnt vmcnt(2) lgkmcnt(0)
	v_fma_f64 v[131:132], v[157:158], v[133:134], v[131:132]
	s_waitcnt vmcnt(0)
	v_add_f64 v[131:132], v[161:162], -v[131:132]
	buffer_store_dword v132, off, s[0:3], 0 offset:276
	buffer_store_dword v131, off, s[0:3], 0 offset:272
	v_cmpx_lt_u32_e32 33, v0
	s_cbranch_execz .LBB127_327
; %bb.326:
	s_clause 0x1
	buffer_load_dword v131, off, s[0:3], 0 offset:264
	buffer_load_dword v132, off, s[0:3], 0 offset:268
	buffer_store_dword v130, off, s[0:3], 0 offset:264
	buffer_store_dword v130, off, s[0:3], 0 offset:268
	s_waitcnt vmcnt(0)
	ds_write_b64 v129, v[131:132]
.LBB127_327:
	s_or_b32 exec_lo, exec_lo, s4
	s_waitcnt lgkmcnt(0)
	s_waitcnt_vscnt null, 0x0
	s_barrier
	buffer_gl0_inv
	s_clause 0x1c
	buffer_load_dword v139, off, s[0:3], 0 offset:272
	buffer_load_dword v140, off, s[0:3], 0 offset:276
	;; [unrolled: 1-line block ×29, first 2 shown]
	ds_read_b128 v[131:134], v130 offset:784
	ds_read_b128 v[135:138], v130 offset:800
	buffer_load_dword v164, off, s[0:3], 0 offset:388
	s_mov_b32 s4, exec_lo
	s_waitcnt vmcnt(28) lgkmcnt(1)
	v_fma_f64 v[131:132], v[139:140], v[131:132], 0
	s_clause 0x7
	buffer_load_dword v140, off, s[0:3], 0 offset:396
	buffer_load_dword v169, off, s[0:3], 0 offset:416
	buffer_load_dword v171, off, s[0:3], 0 offset:408
	buffer_load_dword v173, off, s[0:3], 0 offset:400
	buffer_load_dword v139, off, s[0:3], 0 offset:392
	buffer_load_dword v174, off, s[0:3], 0 offset:404
	buffer_load_dword v172, off, s[0:3], 0 offset:412
	buffer_load_dword v170, off, s[0:3], 0 offset:420
	s_waitcnt vmcnt(34)
	v_fma_f64 v[131:132], v[141:142], v[133:134], v[131:132]
	s_waitcnt vmcnt(32) lgkmcnt(0)
	v_fma_f64 v[131:132], v[143:144], v[135:136], v[131:132]
	s_waitcnt vmcnt(30)
	v_fma_f64 v[141:142], v[145:146], v[137:138], v[131:132]
	ds_read_b128 v[131:134], v130 offset:816
	ds_read_b128 v[135:138], v130 offset:832
	s_waitcnt vmcnt(28) lgkmcnt(1)
	v_fma_f64 v[131:132], v[147:148], v[131:132], v[141:142]
	s_clause 0x7
	buffer_load_dword v142, off, s[0:3], 0 offset:428
	buffer_load_dword v143, off, s[0:3], 0 offset:448
	buffer_load_dword v145, off, s[0:3], 0 offset:440
	buffer_load_dword v147, off, s[0:3], 0 offset:432
	buffer_load_dword v141, off, s[0:3], 0 offset:424
	buffer_load_dword v148, off, s[0:3], 0 offset:436
	buffer_load_dword v146, off, s[0:3], 0 offset:444
	buffer_load_dword v144, off, s[0:3], 0 offset:452
	s_waitcnt vmcnt(34)
	v_fma_f64 v[131:132], v[149:150], v[133:134], v[131:132]
	s_waitcnt vmcnt(32) lgkmcnt(0)
	v_fma_f64 v[131:132], v[151:152], v[135:136], v[131:132]
	s_waitcnt vmcnt(27)
	v_fma_f64 v[149:150], v[153:154], v[137:138], v[131:132]
	ds_read_b128 v[131:134], v130 offset:848
	ds_read_b128 v[135:138], v130 offset:864
	;; [unrolled: 19-line block ×3, first 2 shown]
	s_waitcnt vmcnt(26) lgkmcnt(1)
	v_fma_f64 v[131:132], v[167:168], v[131:132], v[155:156]
	s_clause 0x5
	buffer_load_dword v156, off, s[0:3], 0 offset:492
	buffer_load_dword v157, off, s[0:3], 0 offset:504
	;; [unrolled: 1-line block ×6, first 2 shown]
	s_waitcnt vmcnt(31)
	v_fma_f64 v[131:132], v[165:166], v[133:134], v[131:132]
	s_waitcnt vmcnt(30) lgkmcnt(0)
	v_fma_f64 v[131:132], v[163:164], v[135:136], v[131:132]
	s_waitcnt vmcnt(25)
	v_fma_f64 v[139:140], v[139:140], v[137:138], v[131:132]
	ds_read_b128 v[131:134], v130 offset:912
	s_clause 0x1
	buffer_load_dword v163, off, s[0:3], 0 offset:264
	buffer_load_dword v164, off, s[0:3], 0 offset:268
	ds_read_b128 v[135:138], v130 offset:928
	s_waitcnt vmcnt(26) lgkmcnt(1)
	v_fma_f64 v[131:132], v[173:174], v[131:132], v[139:140]
	s_waitcnt vmcnt(25)
	v_fma_f64 v[131:132], v[171:172], v[133:134], v[131:132]
	s_waitcnt vmcnt(24) lgkmcnt(0)
	v_fma_f64 v[131:132], v[169:170], v[135:136], v[131:132]
	s_waitcnt vmcnt(19)
	v_fma_f64 v[139:140], v[141:142], v[137:138], v[131:132]
	ds_read_b128 v[131:134], v130 offset:944
	ds_read_b128 v[135:138], v130 offset:960
	s_waitcnt vmcnt(18) lgkmcnt(1)
	v_fma_f64 v[131:132], v[147:148], v[131:132], v[139:140]
	s_waitcnt vmcnt(17)
	v_fma_f64 v[131:132], v[145:146], v[133:134], v[131:132]
	s_waitcnt vmcnt(16) lgkmcnt(0)
	v_fma_f64 v[131:132], v[143:144], v[135:136], v[131:132]
	s_waitcnt vmcnt(11)
	v_fma_f64 v[139:140], v[149:150], v[137:138], v[131:132]
	ds_read_b128 v[131:134], v130 offset:976
	;; [unrolled: 10-line block ×3, first 2 shown]
	s_waitcnt vmcnt(3) lgkmcnt(0)
	v_fma_f64 v[130:131], v[161:162], v[130:131], v[134:135]
	s_waitcnt vmcnt(2)
	v_fma_f64 v[130:131], v[157:158], v[132:133], v[130:131]
	s_waitcnt vmcnt(0)
	v_add_f64 v[130:131], v[163:164], -v[130:131]
	buffer_store_dword v131, off, s[0:3], 0 offset:268
	buffer_store_dword v130, off, s[0:3], 0 offset:264
	v_cmpx_lt_u32_e32 32, v0
	s_cbranch_execz .LBB127_329
; %bb.328:
	s_clause 0x1
	buffer_load_dword v130, off, s[0:3], 0 offset:256
	buffer_load_dword v131, off, s[0:3], 0 offset:260
	v_mov_b32_e32 v132, 0
	buffer_store_dword v132, off, s[0:3], 0 offset:256
	buffer_store_dword v132, off, s[0:3], 0 offset:260
	s_waitcnt vmcnt(0)
	ds_write_b64 v129, v[130:131]
.LBB127_329:
	s_or_b32 exec_lo, exec_lo, s4
	s_waitcnt lgkmcnt(0)
	s_waitcnt_vscnt null, 0x0
	s_barrier
	buffer_gl0_inv
	s_clause 0x1c
	buffer_load_dword v139, off, s[0:3], 0 offset:264
	buffer_load_dword v140, off, s[0:3], 0 offset:268
	;; [unrolled: 1-line block ×29, first 2 shown]
	v_mov_b32_e32 v130, 0
	buffer_load_dword v164, off, s[0:3], 0 offset:380
	s_mov_b32 s4, exec_lo
	ds_read2_b64 v[131:134], v130 offset0:97 offset1:98
	ds_read2_b64 v[135:138], v130 offset0:99 offset1:100
	s_waitcnt vmcnt(28) lgkmcnt(1)
	v_fma_f64 v[131:132], v[139:140], v[131:132], 0
	s_clause 0x7
	buffer_load_dword v140, off, s[0:3], 0 offset:388
	buffer_load_dword v169, off, s[0:3], 0 offset:408
	buffer_load_dword v171, off, s[0:3], 0 offset:400
	buffer_load_dword v173, off, s[0:3], 0 offset:392
	buffer_load_dword v139, off, s[0:3], 0 offset:384
	buffer_load_dword v174, off, s[0:3], 0 offset:396
	buffer_load_dword v172, off, s[0:3], 0 offset:404
	buffer_load_dword v170, off, s[0:3], 0 offset:412
	s_waitcnt vmcnt(34)
	v_fma_f64 v[131:132], v[141:142], v[133:134], v[131:132]
	s_waitcnt vmcnt(32) lgkmcnt(0)
	v_fma_f64 v[131:132], v[143:144], v[135:136], v[131:132]
	s_waitcnt vmcnt(30)
	v_fma_f64 v[141:142], v[145:146], v[137:138], v[131:132]
	ds_read2_b64 v[131:134], v130 offset0:101 offset1:102
	ds_read2_b64 v[135:138], v130 offset0:103 offset1:104
	s_waitcnt vmcnt(28) lgkmcnt(1)
	v_fma_f64 v[131:132], v[147:148], v[131:132], v[141:142]
	s_clause 0x7
	buffer_load_dword v142, off, s[0:3], 0 offset:420
	buffer_load_dword v143, off, s[0:3], 0 offset:440
	buffer_load_dword v145, off, s[0:3], 0 offset:432
	buffer_load_dword v147, off, s[0:3], 0 offset:424
	buffer_load_dword v141, off, s[0:3], 0 offset:416
	buffer_load_dword v148, off, s[0:3], 0 offset:428
	buffer_load_dword v146, off, s[0:3], 0 offset:436
	buffer_load_dword v144, off, s[0:3], 0 offset:444
	s_waitcnt vmcnt(34)
	v_fma_f64 v[131:132], v[149:150], v[133:134], v[131:132]
	s_waitcnt vmcnt(32) lgkmcnt(0)
	v_fma_f64 v[131:132], v[151:152], v[135:136], v[131:132]
	s_waitcnt vmcnt(27)
	v_fma_f64 v[149:150], v[153:154], v[137:138], v[131:132]
	;; [unrolled: 19-line block ×4, first 2 shown]
	ds_read2_b64 v[131:134], v130 offset0:113 offset1:114
	ds_read2_b64 v[135:138], v130 offset0:115 offset1:116
	s_waitcnt vmcnt(26) lgkmcnt(1)
	v_fma_f64 v[131:132], v[173:174], v[131:132], v[139:140]
	s_clause 0x1
	buffer_load_dword v139, off, s[0:3], 0 offset:256
	buffer_load_dword v140, off, s[0:3], 0 offset:260
	s_waitcnt vmcnt(27)
	v_fma_f64 v[131:132], v[171:172], v[133:134], v[131:132]
	s_waitcnt vmcnt(26) lgkmcnt(0)
	v_fma_f64 v[131:132], v[169:170], v[135:136], v[131:132]
	s_waitcnt vmcnt(21)
	v_fma_f64 v[141:142], v[141:142], v[137:138], v[131:132]
	ds_read2_b64 v[131:134], v130 offset0:117 offset1:118
	ds_read2_b64 v[135:138], v130 offset0:119 offset1:120
	s_waitcnt vmcnt(20) lgkmcnt(1)
	v_fma_f64 v[131:132], v[147:148], v[131:132], v[141:142]
	s_waitcnt vmcnt(19)
	v_fma_f64 v[131:132], v[145:146], v[133:134], v[131:132]
	s_waitcnt vmcnt(18) lgkmcnt(0)
	v_fma_f64 v[131:132], v[143:144], v[135:136], v[131:132]
	s_waitcnt vmcnt(13)
	v_fma_f64 v[141:142], v[149:150], v[137:138], v[131:132]
	ds_read2_b64 v[131:134], v130 offset0:121 offset1:122
	ds_read2_b64 v[135:138], v130 offset0:123 offset1:124
	s_waitcnt vmcnt(12) lgkmcnt(1)
	v_fma_f64 v[131:132], v[159:160], v[131:132], v[141:142]
	s_waitcnt vmcnt(11)
	v_fma_f64 v[131:132], v[153:154], v[133:134], v[131:132]
	s_waitcnt vmcnt(10) lgkmcnt(0)
	v_fma_f64 v[131:132], v[151:152], v[135:136], v[131:132]
	s_waitcnt vmcnt(5)
	v_fma_f64 v[135:136], v[155:156], v[137:138], v[131:132]
	ds_read2_b64 v[131:134], v130 offset0:125 offset1:126
	ds_read_b64 v[137:138], v130 offset:1016
	s_waitcnt vmcnt(4) lgkmcnt(1)
	v_fma_f64 v[131:132], v[167:168], v[131:132], v[135:136]
	s_waitcnt vmcnt(3)
	v_fma_f64 v[131:132], v[161:162], v[133:134], v[131:132]
	s_waitcnt vmcnt(2) lgkmcnt(0)
	v_fma_f64 v[131:132], v[157:158], v[137:138], v[131:132]
	s_waitcnt vmcnt(0)
	v_add_f64 v[131:132], v[139:140], -v[131:132]
	buffer_store_dword v132, off, s[0:3], 0 offset:260
	buffer_store_dword v131, off, s[0:3], 0 offset:256
	v_cmpx_lt_u32_e32 31, v0
	s_cbranch_execz .LBB127_331
; %bb.330:
	s_clause 0x1
	buffer_load_dword v131, off, s[0:3], 0 offset:248
	buffer_load_dword v132, off, s[0:3], 0 offset:252
	buffer_store_dword v130, off, s[0:3], 0 offset:248
	buffer_store_dword v130, off, s[0:3], 0 offset:252
	s_waitcnt vmcnt(0)
	ds_write_b64 v129, v[131:132]
.LBB127_331:
	s_or_b32 exec_lo, exec_lo, s4
	s_waitcnt lgkmcnt(0)
	s_waitcnt_vscnt null, 0x0
	s_barrier
	buffer_gl0_inv
	s_clause 0x1c
	buffer_load_dword v139, off, s[0:3], 0 offset:256
	buffer_load_dword v140, off, s[0:3], 0 offset:260
	;; [unrolled: 1-line block ×29, first 2 shown]
	ds_read_b128 v[131:134], v130 offset:768
	ds_read_b128 v[135:138], v130 offset:784
	buffer_load_dword v164, off, s[0:3], 0 offset:372
	s_mov_b32 s4, exec_lo
	s_waitcnt vmcnt(28) lgkmcnt(1)
	v_fma_f64 v[131:132], v[139:140], v[131:132], 0
	s_clause 0x7
	buffer_load_dword v140, off, s[0:3], 0 offset:380
	buffer_load_dword v169, off, s[0:3], 0 offset:400
	buffer_load_dword v171, off, s[0:3], 0 offset:392
	buffer_load_dword v173, off, s[0:3], 0 offset:384
	buffer_load_dword v139, off, s[0:3], 0 offset:376
	buffer_load_dword v174, off, s[0:3], 0 offset:388
	buffer_load_dword v172, off, s[0:3], 0 offset:396
	buffer_load_dword v170, off, s[0:3], 0 offset:404
	s_waitcnt vmcnt(34)
	v_fma_f64 v[131:132], v[141:142], v[133:134], v[131:132]
	s_waitcnt vmcnt(32) lgkmcnt(0)
	v_fma_f64 v[131:132], v[143:144], v[135:136], v[131:132]
	s_waitcnt vmcnt(30)
	v_fma_f64 v[141:142], v[145:146], v[137:138], v[131:132]
	ds_read_b128 v[131:134], v130 offset:800
	ds_read_b128 v[135:138], v130 offset:816
	s_waitcnt vmcnt(28) lgkmcnt(1)
	v_fma_f64 v[131:132], v[147:148], v[131:132], v[141:142]
	s_clause 0x7
	buffer_load_dword v142, off, s[0:3], 0 offset:412
	buffer_load_dword v143, off, s[0:3], 0 offset:432
	buffer_load_dword v145, off, s[0:3], 0 offset:424
	buffer_load_dword v147, off, s[0:3], 0 offset:416
	buffer_load_dword v141, off, s[0:3], 0 offset:408
	buffer_load_dword v148, off, s[0:3], 0 offset:420
	buffer_load_dword v146, off, s[0:3], 0 offset:428
	buffer_load_dword v144, off, s[0:3], 0 offset:436
	s_waitcnt vmcnt(34)
	v_fma_f64 v[131:132], v[149:150], v[133:134], v[131:132]
	s_waitcnt vmcnt(32) lgkmcnt(0)
	v_fma_f64 v[131:132], v[151:152], v[135:136], v[131:132]
	s_waitcnt vmcnt(27)
	v_fma_f64 v[149:150], v[153:154], v[137:138], v[131:132]
	ds_read_b128 v[131:134], v130 offset:832
	ds_read_b128 v[135:138], v130 offset:848
	;; [unrolled: 19-line block ×4, first 2 shown]
	s_waitcnt vmcnt(26) lgkmcnt(1)
	v_fma_f64 v[131:132], v[173:174], v[131:132], v[139:140]
	s_clause 0x3
	buffer_load_dword v140, off, s[0:3], 0 offset:508
	buffer_load_dword v139, off, s[0:3], 0 offset:504
	buffer_load_dword v163, off, s[0:3], 0 offset:248
	buffer_load_dword v164, off, s[0:3], 0 offset:252
	s_waitcnt vmcnt(29)
	v_fma_f64 v[131:132], v[171:172], v[133:134], v[131:132]
	s_waitcnt vmcnt(28) lgkmcnt(0)
	v_fma_f64 v[131:132], v[169:170], v[135:136], v[131:132]
	s_waitcnt vmcnt(23)
	v_fma_f64 v[141:142], v[141:142], v[137:138], v[131:132]
	ds_read_b128 v[131:134], v130 offset:928
	ds_read_b128 v[135:138], v130 offset:944
	s_waitcnt vmcnt(22) lgkmcnt(1)
	v_fma_f64 v[131:132], v[147:148], v[131:132], v[141:142]
	s_waitcnt vmcnt(21)
	v_fma_f64 v[131:132], v[145:146], v[133:134], v[131:132]
	s_waitcnt vmcnt(20) lgkmcnt(0)
	v_fma_f64 v[131:132], v[143:144], v[135:136], v[131:132]
	s_waitcnt vmcnt(15)
	v_fma_f64 v[141:142], v[149:150], v[137:138], v[131:132]
	ds_read_b128 v[131:134], v130 offset:960
	ds_read_b128 v[135:138], v130 offset:976
	s_waitcnt vmcnt(14) lgkmcnt(1)
	v_fma_f64 v[131:132], v[159:160], v[131:132], v[141:142]
	;; [unrolled: 10-line block ×3, first 2 shown]
	s_waitcnt vmcnt(5)
	v_fma_f64 v[130:131], v[161:162], v[133:134], v[130:131]
	s_waitcnt vmcnt(4) lgkmcnt(0)
	v_fma_f64 v[130:131], v[157:158], v[135:136], v[130:131]
	s_waitcnt vmcnt(2)
	v_fma_f64 v[130:131], v[139:140], v[137:138], v[130:131]
	s_waitcnt vmcnt(0)
	v_add_f64 v[130:131], v[163:164], -v[130:131]
	buffer_store_dword v131, off, s[0:3], 0 offset:252
	buffer_store_dword v130, off, s[0:3], 0 offset:248
	v_cmpx_lt_u32_e32 30, v0
	s_cbranch_execz .LBB127_333
; %bb.332:
	s_clause 0x1
	buffer_load_dword v130, off, s[0:3], 0 offset:240
	buffer_load_dword v131, off, s[0:3], 0 offset:244
	v_mov_b32_e32 v132, 0
	buffer_store_dword v132, off, s[0:3], 0 offset:240
	buffer_store_dword v132, off, s[0:3], 0 offset:244
	s_waitcnt vmcnt(0)
	ds_write_b64 v129, v[130:131]
.LBB127_333:
	s_or_b32 exec_lo, exec_lo, s4
	s_waitcnt lgkmcnt(0)
	s_waitcnt_vscnt null, 0x0
	s_barrier
	buffer_gl0_inv
	s_clause 0x1c
	buffer_load_dword v139, off, s[0:3], 0 offset:248
	buffer_load_dword v140, off, s[0:3], 0 offset:252
	;; [unrolled: 1-line block ×29, first 2 shown]
	v_mov_b32_e32 v130, 0
	buffer_load_dword v164, off, s[0:3], 0 offset:364
	s_mov_b32 s4, exec_lo
	ds_read2_b64 v[131:134], v130 offset0:95 offset1:96
	ds_read2_b64 v[135:138], v130 offset0:97 offset1:98
	s_waitcnt vmcnt(28) lgkmcnt(1)
	v_fma_f64 v[131:132], v[139:140], v[131:132], 0
	s_clause 0x7
	buffer_load_dword v140, off, s[0:3], 0 offset:372
	buffer_load_dword v169, off, s[0:3], 0 offset:392
	buffer_load_dword v171, off, s[0:3], 0 offset:384
	buffer_load_dword v173, off, s[0:3], 0 offset:376
	buffer_load_dword v139, off, s[0:3], 0 offset:368
	buffer_load_dword v174, off, s[0:3], 0 offset:380
	buffer_load_dword v172, off, s[0:3], 0 offset:388
	buffer_load_dword v170, off, s[0:3], 0 offset:396
	s_waitcnt vmcnt(34)
	v_fma_f64 v[131:132], v[141:142], v[133:134], v[131:132]
	s_waitcnt vmcnt(32) lgkmcnt(0)
	v_fma_f64 v[131:132], v[143:144], v[135:136], v[131:132]
	s_waitcnt vmcnt(30)
	v_fma_f64 v[141:142], v[145:146], v[137:138], v[131:132]
	ds_read2_b64 v[131:134], v130 offset0:99 offset1:100
	ds_read2_b64 v[135:138], v130 offset0:101 offset1:102
	s_waitcnt vmcnt(28) lgkmcnt(1)
	v_fma_f64 v[131:132], v[147:148], v[131:132], v[141:142]
	s_clause 0x7
	buffer_load_dword v142, off, s[0:3], 0 offset:404
	buffer_load_dword v143, off, s[0:3], 0 offset:424
	buffer_load_dword v145, off, s[0:3], 0 offset:416
	buffer_load_dword v147, off, s[0:3], 0 offset:408
	buffer_load_dword v141, off, s[0:3], 0 offset:400
	buffer_load_dword v148, off, s[0:3], 0 offset:412
	buffer_load_dword v146, off, s[0:3], 0 offset:420
	buffer_load_dword v144, off, s[0:3], 0 offset:428
	s_waitcnt vmcnt(34)
	v_fma_f64 v[131:132], v[149:150], v[133:134], v[131:132]
	s_waitcnt vmcnt(32) lgkmcnt(0)
	v_fma_f64 v[131:132], v[151:152], v[135:136], v[131:132]
	s_waitcnt vmcnt(27)
	v_fma_f64 v[149:150], v[153:154], v[137:138], v[131:132]
	;; [unrolled: 19-line block ×4, first 2 shown]
	ds_read2_b64 v[131:134], v130 offset0:111 offset1:112
	ds_read2_b64 v[135:138], v130 offset0:113 offset1:114
	s_waitcnt vmcnt(26) lgkmcnt(1)
	v_fma_f64 v[131:132], v[173:174], v[131:132], v[139:140]
	s_clause 0x5
	buffer_load_dword v140, off, s[0:3], 0 offset:500
	buffer_load_dword v163, off, s[0:3], 0 offset:504
	;; [unrolled: 1-line block ×6, first 2 shown]
	s_waitcnt vmcnt(31)
	v_fma_f64 v[131:132], v[171:172], v[133:134], v[131:132]
	s_waitcnt vmcnt(30) lgkmcnt(0)
	v_fma_f64 v[131:132], v[169:170], v[135:136], v[131:132]
	s_waitcnt vmcnt(25)
	v_fma_f64 v[141:142], v[141:142], v[137:138], v[131:132]
	ds_read2_b64 v[131:134], v130 offset0:115 offset1:116
	ds_read2_b64 v[135:138], v130 offset0:117 offset1:118
	s_waitcnt vmcnt(24) lgkmcnt(1)
	v_fma_f64 v[131:132], v[147:148], v[131:132], v[141:142]
	s_waitcnt vmcnt(23)
	v_fma_f64 v[131:132], v[145:146], v[133:134], v[131:132]
	s_waitcnt vmcnt(22) lgkmcnt(0)
	v_fma_f64 v[131:132], v[143:144], v[135:136], v[131:132]
	s_waitcnt vmcnt(17)
	v_fma_f64 v[141:142], v[149:150], v[137:138], v[131:132]
	ds_read2_b64 v[131:134], v130 offset0:119 offset1:120
	ds_read2_b64 v[135:138], v130 offset0:121 offset1:122
	s_waitcnt vmcnt(16) lgkmcnt(1)
	v_fma_f64 v[131:132], v[159:160], v[131:132], v[141:142]
	;; [unrolled: 10-line block ×3, first 2 shown]
	s_waitcnt vmcnt(7)
	v_fma_f64 v[131:132], v[161:162], v[133:134], v[131:132]
	ds_read_b64 v[133:134], v130 offset:1016
	s_waitcnt vmcnt(6) lgkmcnt(1)
	v_fma_f64 v[131:132], v[157:158], v[135:136], v[131:132]
	s_waitcnt vmcnt(3)
	v_fma_f64 v[131:132], v[139:140], v[137:138], v[131:132]
	s_waitcnt vmcnt(2) lgkmcnt(0)
	v_fma_f64 v[131:132], v[163:164], v[133:134], v[131:132]
	s_waitcnt vmcnt(0)
	v_add_f64 v[131:132], v[165:166], -v[131:132]
	buffer_store_dword v132, off, s[0:3], 0 offset:244
	buffer_store_dword v131, off, s[0:3], 0 offset:240
	v_cmpx_lt_u32_e32 29, v0
	s_cbranch_execz .LBB127_335
; %bb.334:
	s_clause 0x1
	buffer_load_dword v131, off, s[0:3], 0 offset:232
	buffer_load_dword v132, off, s[0:3], 0 offset:236
	buffer_store_dword v130, off, s[0:3], 0 offset:232
	buffer_store_dword v130, off, s[0:3], 0 offset:236
	s_waitcnt vmcnt(0)
	ds_write_b64 v129, v[131:132]
.LBB127_335:
	s_or_b32 exec_lo, exec_lo, s4
	s_waitcnt lgkmcnt(0)
	s_waitcnt_vscnt null, 0x0
	s_barrier
	buffer_gl0_inv
	s_clause 0x1c
	buffer_load_dword v139, off, s[0:3], 0 offset:240
	buffer_load_dword v140, off, s[0:3], 0 offset:244
	;; [unrolled: 1-line block ×29, first 2 shown]
	ds_read_b128 v[131:134], v130 offset:752
	ds_read_b128 v[135:138], v130 offset:768
	buffer_load_dword v164, off, s[0:3], 0 offset:356
	s_mov_b32 s4, exec_lo
	s_waitcnt vmcnt(28) lgkmcnt(1)
	v_fma_f64 v[131:132], v[139:140], v[131:132], 0
	s_clause 0x7
	buffer_load_dword v140, off, s[0:3], 0 offset:364
	buffer_load_dword v169, off, s[0:3], 0 offset:384
	buffer_load_dword v171, off, s[0:3], 0 offset:376
	buffer_load_dword v173, off, s[0:3], 0 offset:368
	buffer_load_dword v139, off, s[0:3], 0 offset:360
	buffer_load_dword v174, off, s[0:3], 0 offset:372
	buffer_load_dword v172, off, s[0:3], 0 offset:380
	buffer_load_dword v170, off, s[0:3], 0 offset:388
	s_waitcnt vmcnt(34)
	v_fma_f64 v[131:132], v[141:142], v[133:134], v[131:132]
	s_waitcnt vmcnt(32) lgkmcnt(0)
	v_fma_f64 v[131:132], v[143:144], v[135:136], v[131:132]
	s_waitcnt vmcnt(30)
	v_fma_f64 v[141:142], v[145:146], v[137:138], v[131:132]
	ds_read_b128 v[131:134], v130 offset:784
	ds_read_b128 v[135:138], v130 offset:800
	s_waitcnt vmcnt(28) lgkmcnt(1)
	v_fma_f64 v[131:132], v[147:148], v[131:132], v[141:142]
	s_clause 0x7
	buffer_load_dword v142, off, s[0:3], 0 offset:396
	buffer_load_dword v143, off, s[0:3], 0 offset:416
	buffer_load_dword v145, off, s[0:3], 0 offset:408
	buffer_load_dword v147, off, s[0:3], 0 offset:400
	buffer_load_dword v141, off, s[0:3], 0 offset:392
	buffer_load_dword v148, off, s[0:3], 0 offset:404
	buffer_load_dword v146, off, s[0:3], 0 offset:412
	buffer_load_dword v144, off, s[0:3], 0 offset:420
	s_waitcnt vmcnt(34)
	v_fma_f64 v[131:132], v[149:150], v[133:134], v[131:132]
	s_waitcnt vmcnt(32) lgkmcnt(0)
	v_fma_f64 v[131:132], v[151:152], v[135:136], v[131:132]
	s_waitcnt vmcnt(27)
	v_fma_f64 v[149:150], v[153:154], v[137:138], v[131:132]
	ds_read_b128 v[131:134], v130 offset:816
	ds_read_b128 v[135:138], v130 offset:832
	;; [unrolled: 19-line block ×4, first 2 shown]
	s_waitcnt vmcnt(26) lgkmcnt(1)
	v_fma_f64 v[131:132], v[173:174], v[131:132], v[139:140]
	s_clause 0x5
	buffer_load_dword v140, off, s[0:3], 0 offset:492
	buffer_load_dword v163, off, s[0:3], 0 offset:504
	;; [unrolled: 1-line block ×6, first 2 shown]
	s_waitcnt vmcnt(31)
	v_fma_f64 v[131:132], v[171:172], v[133:134], v[131:132]
	s_waitcnt vmcnt(30) lgkmcnt(0)
	v_fma_f64 v[131:132], v[169:170], v[135:136], v[131:132]
	s_waitcnt vmcnt(25)
	v_fma_f64 v[141:142], v[141:142], v[137:138], v[131:132]
	ds_read_b128 v[131:134], v130 offset:912
	s_clause 0x1
	buffer_load_dword v169, off, s[0:3], 0 offset:232
	buffer_load_dword v170, off, s[0:3], 0 offset:236
	ds_read_b128 v[135:138], v130 offset:928
	s_waitcnt vmcnt(26) lgkmcnt(1)
	v_fma_f64 v[131:132], v[147:148], v[131:132], v[141:142]
	s_waitcnt vmcnt(25)
	v_fma_f64 v[131:132], v[145:146], v[133:134], v[131:132]
	s_waitcnt vmcnt(24) lgkmcnt(0)
	v_fma_f64 v[131:132], v[143:144], v[135:136], v[131:132]
	s_waitcnt vmcnt(19)
	v_fma_f64 v[141:142], v[149:150], v[137:138], v[131:132]
	ds_read_b128 v[131:134], v130 offset:944
	ds_read_b128 v[135:138], v130 offset:960
	s_waitcnt vmcnt(18) lgkmcnt(1)
	v_fma_f64 v[131:132], v[159:160], v[131:132], v[141:142]
	s_waitcnt vmcnt(17)
	v_fma_f64 v[131:132], v[153:154], v[133:134], v[131:132]
	s_waitcnt vmcnt(16) lgkmcnt(0)
	v_fma_f64 v[131:132], v[151:152], v[135:136], v[131:132]
	s_waitcnt vmcnt(11)
	v_fma_f64 v[141:142], v[155:156], v[137:138], v[131:132]
	ds_read_b128 v[131:134], v130 offset:976
	;; [unrolled: 10-line block ×3, first 2 shown]
	s_waitcnt vmcnt(3) lgkmcnt(0)
	v_fma_f64 v[130:131], v[165:166], v[130:131], v[134:135]
	s_waitcnt vmcnt(2)
	v_fma_f64 v[130:131], v[163:164], v[132:133], v[130:131]
	s_waitcnt vmcnt(0)
	v_add_f64 v[130:131], v[169:170], -v[130:131]
	buffer_store_dword v131, off, s[0:3], 0 offset:236
	buffer_store_dword v130, off, s[0:3], 0 offset:232
	v_cmpx_lt_u32_e32 28, v0
	s_cbranch_execz .LBB127_337
; %bb.336:
	s_clause 0x1
	buffer_load_dword v130, off, s[0:3], 0 offset:224
	buffer_load_dword v131, off, s[0:3], 0 offset:228
	v_mov_b32_e32 v132, 0
	buffer_store_dword v132, off, s[0:3], 0 offset:224
	buffer_store_dword v132, off, s[0:3], 0 offset:228
	s_waitcnt vmcnt(0)
	ds_write_b64 v129, v[130:131]
.LBB127_337:
	s_or_b32 exec_lo, exec_lo, s4
	s_waitcnt lgkmcnt(0)
	s_waitcnt_vscnt null, 0x0
	s_barrier
	buffer_gl0_inv
	s_clause 0x1c
	buffer_load_dword v139, off, s[0:3], 0 offset:232
	buffer_load_dword v140, off, s[0:3], 0 offset:236
	buffer_load_dword v141, off, s[0:3], 0 offset:240
	buffer_load_dword v142, off, s[0:3], 0 offset:244
	buffer_load_dword v143, off, s[0:3], 0 offset:248
	buffer_load_dword v144, off, s[0:3], 0 offset:252
	buffer_load_dword v145, off, s[0:3], 0 offset:256
	buffer_load_dword v146, off, s[0:3], 0 offset:260
	buffer_load_dword v147, off, s[0:3], 0 offset:264
	buffer_load_dword v148, off, s[0:3], 0 offset:268
	buffer_load_dword v149, off, s[0:3], 0 offset:272
	buffer_load_dword v150, off, s[0:3], 0 offset:276
	buffer_load_dword v151, off, s[0:3], 0 offset:280
	buffer_load_dword v152, off, s[0:3], 0 offset:284
	buffer_load_dword v154, off, s[0:3], 0 offset:292
	buffer_load_dword v155, off, s[0:3], 0 offset:312
	buffer_load_dword v157, off, s[0:3], 0 offset:304
	buffer_load_dword v159, off, s[0:3], 0 offset:296
	buffer_load_dword v153, off, s[0:3], 0 offset:288
	buffer_load_dword v160, off, s[0:3], 0 offset:300
	buffer_load_dword v158, off, s[0:3], 0 offset:308
	buffer_load_dword v156, off, s[0:3], 0 offset:316
	buffer_load_dword v162, off, s[0:3], 0 offset:324
	buffer_load_dword v163, off, s[0:3], 0 offset:344
	buffer_load_dword v165, off, s[0:3], 0 offset:336
	buffer_load_dword v167, off, s[0:3], 0 offset:328
	buffer_load_dword v161, off, s[0:3], 0 offset:320
	buffer_load_dword v168, off, s[0:3], 0 offset:332
	buffer_load_dword v166, off, s[0:3], 0 offset:340
	v_mov_b32_e32 v130, 0
	buffer_load_dword v164, off, s[0:3], 0 offset:348
	s_mov_b32 s4, exec_lo
	ds_read2_b64 v[131:134], v130 offset0:93 offset1:94
	ds_read2_b64 v[135:138], v130 offset0:95 offset1:96
	s_waitcnt vmcnt(28) lgkmcnt(1)
	v_fma_f64 v[131:132], v[139:140], v[131:132], 0
	s_clause 0x7
	buffer_load_dword v140, off, s[0:3], 0 offset:356
	buffer_load_dword v169, off, s[0:3], 0 offset:376
	buffer_load_dword v171, off, s[0:3], 0 offset:368
	buffer_load_dword v173, off, s[0:3], 0 offset:360
	buffer_load_dword v139, off, s[0:3], 0 offset:352
	buffer_load_dword v174, off, s[0:3], 0 offset:364
	buffer_load_dword v172, off, s[0:3], 0 offset:372
	buffer_load_dword v170, off, s[0:3], 0 offset:380
	s_waitcnt vmcnt(34)
	v_fma_f64 v[131:132], v[141:142], v[133:134], v[131:132]
	s_waitcnt vmcnt(32) lgkmcnt(0)
	v_fma_f64 v[131:132], v[143:144], v[135:136], v[131:132]
	s_waitcnt vmcnt(30)
	v_fma_f64 v[141:142], v[145:146], v[137:138], v[131:132]
	ds_read2_b64 v[131:134], v130 offset0:97 offset1:98
	ds_read2_b64 v[135:138], v130 offset0:99 offset1:100
	s_waitcnt vmcnt(28) lgkmcnt(1)
	v_fma_f64 v[131:132], v[147:148], v[131:132], v[141:142]
	s_clause 0x7
	buffer_load_dword v142, off, s[0:3], 0 offset:388
	buffer_load_dword v143, off, s[0:3], 0 offset:408
	buffer_load_dword v145, off, s[0:3], 0 offset:400
	buffer_load_dword v147, off, s[0:3], 0 offset:392
	buffer_load_dword v141, off, s[0:3], 0 offset:384
	buffer_load_dword v148, off, s[0:3], 0 offset:396
	buffer_load_dword v146, off, s[0:3], 0 offset:404
	buffer_load_dword v144, off, s[0:3], 0 offset:412
	s_waitcnt vmcnt(34)
	v_fma_f64 v[131:132], v[149:150], v[133:134], v[131:132]
	s_waitcnt vmcnt(32) lgkmcnt(0)
	v_fma_f64 v[131:132], v[151:152], v[135:136], v[131:132]
	s_waitcnt vmcnt(27)
	v_fma_f64 v[149:150], v[153:154], v[137:138], v[131:132]
	;; [unrolled: 19-line block ×5, first 2 shown]
	ds_read2_b64 v[131:134], v130 offset0:113 offset1:114
	ds_read2_b64 v[135:138], v130 offset0:115 offset1:116
	s_waitcnt vmcnt(26) lgkmcnt(1)
	v_fma_f64 v[131:132], v[147:148], v[131:132], v[141:142]
	s_clause 0x1
	buffer_load_dword v141, off, s[0:3], 0 offset:224
	buffer_load_dword v142, off, s[0:3], 0 offset:228
	s_waitcnt vmcnt(27)
	v_fma_f64 v[131:132], v[145:146], v[133:134], v[131:132]
	s_waitcnt vmcnt(26) lgkmcnt(0)
	v_fma_f64 v[131:132], v[143:144], v[135:136], v[131:132]
	s_waitcnt vmcnt(21)
	v_fma_f64 v[143:144], v[149:150], v[137:138], v[131:132]
	ds_read2_b64 v[131:134], v130 offset0:117 offset1:118
	ds_read2_b64 v[135:138], v130 offset0:119 offset1:120
	s_waitcnt vmcnt(20) lgkmcnt(1)
	v_fma_f64 v[131:132], v[159:160], v[131:132], v[143:144]
	s_waitcnt vmcnt(19)
	v_fma_f64 v[131:132], v[153:154], v[133:134], v[131:132]
	s_waitcnt vmcnt(18) lgkmcnt(0)
	v_fma_f64 v[131:132], v[151:152], v[135:136], v[131:132]
	s_waitcnt vmcnt(13)
	v_fma_f64 v[143:144], v[155:156], v[137:138], v[131:132]
	ds_read2_b64 v[131:134], v130 offset0:121 offset1:122
	ds_read2_b64 v[135:138], v130 offset0:123 offset1:124
	s_waitcnt vmcnt(12) lgkmcnt(1)
	v_fma_f64 v[131:132], v[167:168], v[131:132], v[143:144]
	s_waitcnt vmcnt(11)
	v_fma_f64 v[131:132], v[161:162], v[133:134], v[131:132]
	s_waitcnt vmcnt(10) lgkmcnt(0)
	v_fma_f64 v[131:132], v[157:158], v[135:136], v[131:132]
	s_waitcnt vmcnt(5)
	v_fma_f64 v[135:136], v[139:140], v[137:138], v[131:132]
	ds_read2_b64 v[131:134], v130 offset0:125 offset1:126
	ds_read_b64 v[137:138], v130 offset:1016
	s_waitcnt vmcnt(4) lgkmcnt(1)
	v_fma_f64 v[131:132], v[173:174], v[131:132], v[135:136]
	s_waitcnt vmcnt(3)
	v_fma_f64 v[131:132], v[165:166], v[133:134], v[131:132]
	s_waitcnt vmcnt(2) lgkmcnt(0)
	v_fma_f64 v[131:132], v[163:164], v[137:138], v[131:132]
	s_waitcnt vmcnt(0)
	v_add_f64 v[131:132], v[141:142], -v[131:132]
	buffer_store_dword v132, off, s[0:3], 0 offset:228
	buffer_store_dword v131, off, s[0:3], 0 offset:224
	v_cmpx_lt_u32_e32 27, v0
	s_cbranch_execz .LBB127_339
; %bb.338:
	s_clause 0x1
	buffer_load_dword v131, off, s[0:3], 0 offset:216
	buffer_load_dword v132, off, s[0:3], 0 offset:220
	buffer_store_dword v130, off, s[0:3], 0 offset:216
	buffer_store_dword v130, off, s[0:3], 0 offset:220
	s_waitcnt vmcnt(0)
	ds_write_b64 v129, v[131:132]
.LBB127_339:
	s_or_b32 exec_lo, exec_lo, s4
	s_waitcnt lgkmcnt(0)
	s_waitcnt_vscnt null, 0x0
	s_barrier
	buffer_gl0_inv
	s_clause 0x1c
	buffer_load_dword v139, off, s[0:3], 0 offset:224
	buffer_load_dword v140, off, s[0:3], 0 offset:228
	buffer_load_dword v141, off, s[0:3], 0 offset:232
	buffer_load_dword v142, off, s[0:3], 0 offset:236
	buffer_load_dword v143, off, s[0:3], 0 offset:240
	buffer_load_dword v144, off, s[0:3], 0 offset:244
	buffer_load_dword v145, off, s[0:3], 0 offset:248
	buffer_load_dword v146, off, s[0:3], 0 offset:252
	buffer_load_dword v147, off, s[0:3], 0 offset:256
	buffer_load_dword v148, off, s[0:3], 0 offset:260
	buffer_load_dword v149, off, s[0:3], 0 offset:264
	buffer_load_dword v150, off, s[0:3], 0 offset:268
	buffer_load_dword v151, off, s[0:3], 0 offset:272
	buffer_load_dword v152, off, s[0:3], 0 offset:276
	buffer_load_dword v154, off, s[0:3], 0 offset:284
	buffer_load_dword v155, off, s[0:3], 0 offset:304
	buffer_load_dword v157, off, s[0:3], 0 offset:296
	buffer_load_dword v159, off, s[0:3], 0 offset:288
	buffer_load_dword v153, off, s[0:3], 0 offset:280
	buffer_load_dword v160, off, s[0:3], 0 offset:292
	buffer_load_dword v158, off, s[0:3], 0 offset:300
	buffer_load_dword v156, off, s[0:3], 0 offset:308
	buffer_load_dword v162, off, s[0:3], 0 offset:316
	buffer_load_dword v163, off, s[0:3], 0 offset:336
	buffer_load_dword v165, off, s[0:3], 0 offset:328
	buffer_load_dword v167, off, s[0:3], 0 offset:320
	buffer_load_dword v161, off, s[0:3], 0 offset:312
	buffer_load_dword v168, off, s[0:3], 0 offset:324
	buffer_load_dword v166, off, s[0:3], 0 offset:332
	ds_read_b128 v[131:134], v130 offset:736
	ds_read_b128 v[135:138], v130 offset:752
	buffer_load_dword v164, off, s[0:3], 0 offset:340
	s_mov_b32 s4, exec_lo
	s_waitcnt vmcnt(28) lgkmcnt(1)
	v_fma_f64 v[131:132], v[139:140], v[131:132], 0
	s_clause 0x7
	buffer_load_dword v140, off, s[0:3], 0 offset:348
	buffer_load_dword v169, off, s[0:3], 0 offset:368
	buffer_load_dword v171, off, s[0:3], 0 offset:360
	buffer_load_dword v173, off, s[0:3], 0 offset:352
	buffer_load_dword v139, off, s[0:3], 0 offset:344
	buffer_load_dword v174, off, s[0:3], 0 offset:356
	buffer_load_dword v172, off, s[0:3], 0 offset:364
	buffer_load_dword v170, off, s[0:3], 0 offset:372
	s_waitcnt vmcnt(34)
	v_fma_f64 v[131:132], v[141:142], v[133:134], v[131:132]
	s_waitcnt vmcnt(32) lgkmcnt(0)
	v_fma_f64 v[131:132], v[143:144], v[135:136], v[131:132]
	s_waitcnt vmcnt(30)
	v_fma_f64 v[141:142], v[145:146], v[137:138], v[131:132]
	ds_read_b128 v[131:134], v130 offset:768
	ds_read_b128 v[135:138], v130 offset:784
	s_waitcnt vmcnt(28) lgkmcnt(1)
	v_fma_f64 v[131:132], v[147:148], v[131:132], v[141:142]
	s_clause 0x7
	buffer_load_dword v142, off, s[0:3], 0 offset:380
	buffer_load_dword v143, off, s[0:3], 0 offset:400
	buffer_load_dword v145, off, s[0:3], 0 offset:392
	buffer_load_dword v147, off, s[0:3], 0 offset:384
	buffer_load_dword v141, off, s[0:3], 0 offset:376
	buffer_load_dword v148, off, s[0:3], 0 offset:388
	buffer_load_dword v146, off, s[0:3], 0 offset:396
	buffer_load_dword v144, off, s[0:3], 0 offset:404
	s_waitcnt vmcnt(34)
	v_fma_f64 v[131:132], v[149:150], v[133:134], v[131:132]
	s_waitcnt vmcnt(32) lgkmcnt(0)
	v_fma_f64 v[131:132], v[151:152], v[135:136], v[131:132]
	s_waitcnt vmcnt(27)
	v_fma_f64 v[149:150], v[153:154], v[137:138], v[131:132]
	ds_read_b128 v[131:134], v130 offset:800
	ds_read_b128 v[135:138], v130 offset:816
	;; [unrolled: 19-line block ×5, first 2 shown]
	s_waitcnt vmcnt(26) lgkmcnt(1)
	v_fma_f64 v[131:132], v[147:148], v[131:132], v[141:142]
	s_clause 0x1
	buffer_load_dword v142, off, s[0:3], 0 offset:508
	buffer_load_dword v141, off, s[0:3], 0 offset:504
	s_waitcnt vmcnt(27)
	v_fma_f64 v[131:132], v[145:146], v[133:134], v[131:132]
	s_clause 0x1
	buffer_load_dword v145, off, s[0:3], 0 offset:216
	buffer_load_dword v146, off, s[0:3], 0 offset:220
	s_waitcnt vmcnt(28) lgkmcnt(0)
	v_fma_f64 v[131:132], v[143:144], v[135:136], v[131:132]
	s_waitcnt vmcnt(23)
	v_fma_f64 v[143:144], v[149:150], v[137:138], v[131:132]
	ds_read_b128 v[131:134], v130 offset:928
	ds_read_b128 v[135:138], v130 offset:944
	s_waitcnt vmcnt(22) lgkmcnt(1)
	v_fma_f64 v[131:132], v[159:160], v[131:132], v[143:144]
	s_waitcnt vmcnt(21)
	v_fma_f64 v[131:132], v[153:154], v[133:134], v[131:132]
	s_waitcnt vmcnt(20) lgkmcnt(0)
	v_fma_f64 v[131:132], v[151:152], v[135:136], v[131:132]
	s_waitcnt vmcnt(15)
	v_fma_f64 v[143:144], v[155:156], v[137:138], v[131:132]
	ds_read_b128 v[131:134], v130 offset:960
	ds_read_b128 v[135:138], v130 offset:976
	s_waitcnt vmcnt(14) lgkmcnt(1)
	v_fma_f64 v[131:132], v[167:168], v[131:132], v[143:144]
	s_waitcnt vmcnt(13)
	v_fma_f64 v[131:132], v[161:162], v[133:134], v[131:132]
	;; [unrolled: 10-line block ×3, first 2 shown]
	s_waitcnt vmcnt(4) lgkmcnt(0)
	v_fma_f64 v[130:131], v[163:164], v[135:136], v[130:131]
	s_waitcnt vmcnt(2)
	v_fma_f64 v[130:131], v[141:142], v[137:138], v[130:131]
	s_waitcnt vmcnt(0)
	v_add_f64 v[130:131], v[145:146], -v[130:131]
	buffer_store_dword v131, off, s[0:3], 0 offset:220
	buffer_store_dword v130, off, s[0:3], 0 offset:216
	v_cmpx_lt_u32_e32 26, v0
	s_cbranch_execz .LBB127_341
; %bb.340:
	s_clause 0x1
	buffer_load_dword v130, off, s[0:3], 0 offset:208
	buffer_load_dword v131, off, s[0:3], 0 offset:212
	v_mov_b32_e32 v132, 0
	buffer_store_dword v132, off, s[0:3], 0 offset:208
	buffer_store_dword v132, off, s[0:3], 0 offset:212
	s_waitcnt vmcnt(0)
	ds_write_b64 v129, v[130:131]
.LBB127_341:
	s_or_b32 exec_lo, exec_lo, s4
	s_waitcnt lgkmcnt(0)
	s_waitcnt_vscnt null, 0x0
	s_barrier
	buffer_gl0_inv
	s_clause 0x1c
	buffer_load_dword v139, off, s[0:3], 0 offset:216
	buffer_load_dword v140, off, s[0:3], 0 offset:220
	;; [unrolled: 1-line block ×29, first 2 shown]
	v_mov_b32_e32 v130, 0
	buffer_load_dword v164, off, s[0:3], 0 offset:332
	s_mov_b32 s4, exec_lo
	ds_read2_b64 v[131:134], v130 offset0:91 offset1:92
	ds_read2_b64 v[135:138], v130 offset0:93 offset1:94
	s_waitcnt vmcnt(28) lgkmcnt(1)
	v_fma_f64 v[131:132], v[139:140], v[131:132], 0
	s_clause 0x7
	buffer_load_dword v140, off, s[0:3], 0 offset:340
	buffer_load_dword v169, off, s[0:3], 0 offset:360
	buffer_load_dword v171, off, s[0:3], 0 offset:352
	buffer_load_dword v173, off, s[0:3], 0 offset:344
	buffer_load_dword v139, off, s[0:3], 0 offset:336
	buffer_load_dword v174, off, s[0:3], 0 offset:348
	buffer_load_dword v172, off, s[0:3], 0 offset:356
	buffer_load_dword v170, off, s[0:3], 0 offset:364
	s_waitcnt vmcnt(34)
	v_fma_f64 v[131:132], v[141:142], v[133:134], v[131:132]
	s_waitcnt vmcnt(32) lgkmcnt(0)
	v_fma_f64 v[131:132], v[143:144], v[135:136], v[131:132]
	s_waitcnt vmcnt(30)
	v_fma_f64 v[141:142], v[145:146], v[137:138], v[131:132]
	ds_read2_b64 v[131:134], v130 offset0:95 offset1:96
	ds_read2_b64 v[135:138], v130 offset0:97 offset1:98
	s_waitcnt vmcnt(28) lgkmcnt(1)
	v_fma_f64 v[131:132], v[147:148], v[131:132], v[141:142]
	s_clause 0x7
	buffer_load_dword v142, off, s[0:3], 0 offset:372
	buffer_load_dword v143, off, s[0:3], 0 offset:392
	buffer_load_dword v145, off, s[0:3], 0 offset:384
	buffer_load_dword v147, off, s[0:3], 0 offset:376
	buffer_load_dword v141, off, s[0:3], 0 offset:368
	buffer_load_dword v148, off, s[0:3], 0 offset:380
	buffer_load_dword v146, off, s[0:3], 0 offset:388
	buffer_load_dword v144, off, s[0:3], 0 offset:396
	s_waitcnt vmcnt(34)
	v_fma_f64 v[131:132], v[149:150], v[133:134], v[131:132]
	s_waitcnt vmcnt(32) lgkmcnt(0)
	v_fma_f64 v[131:132], v[151:152], v[135:136], v[131:132]
	s_waitcnt vmcnt(27)
	v_fma_f64 v[149:150], v[153:154], v[137:138], v[131:132]
	;; [unrolled: 19-line block ×5, first 2 shown]
	ds_read2_b64 v[131:134], v130 offset0:111 offset1:112
	ds_read2_b64 v[135:138], v130 offset0:113 offset1:114
	s_waitcnt vmcnt(26) lgkmcnt(1)
	v_fma_f64 v[131:132], v[147:148], v[131:132], v[141:142]
	s_clause 0x3
	buffer_load_dword v142, off, s[0:3], 0 offset:500
	buffer_load_dword v147, off, s[0:3], 0 offset:504
	;; [unrolled: 1-line block ×4, first 2 shown]
	s_waitcnt vmcnt(29)
	v_fma_f64 v[131:132], v[145:146], v[133:134], v[131:132]
	s_waitcnt vmcnt(28) lgkmcnt(0)
	v_fma_f64 v[131:132], v[143:144], v[135:136], v[131:132]
	s_clause 0x1
	buffer_load_dword v143, off, s[0:3], 0 offset:208
	buffer_load_dword v144, off, s[0:3], 0 offset:212
	s_waitcnt vmcnt(25)
	v_fma_f64 v[145:146], v[149:150], v[137:138], v[131:132]
	ds_read2_b64 v[131:134], v130 offset0:115 offset1:116
	ds_read2_b64 v[135:138], v130 offset0:117 offset1:118
	s_waitcnt vmcnt(24) lgkmcnt(1)
	v_fma_f64 v[131:132], v[159:160], v[131:132], v[145:146]
	s_waitcnt vmcnt(23)
	v_fma_f64 v[131:132], v[153:154], v[133:134], v[131:132]
	s_waitcnt vmcnt(22) lgkmcnt(0)
	v_fma_f64 v[131:132], v[151:152], v[135:136], v[131:132]
	s_waitcnt vmcnt(17)
	v_fma_f64 v[145:146], v[155:156], v[137:138], v[131:132]
	ds_read2_b64 v[131:134], v130 offset0:119 offset1:120
	ds_read2_b64 v[135:138], v130 offset0:121 offset1:122
	s_waitcnt vmcnt(16) lgkmcnt(1)
	v_fma_f64 v[131:132], v[167:168], v[131:132], v[145:146]
	s_waitcnt vmcnt(15)
	v_fma_f64 v[131:132], v[161:162], v[133:134], v[131:132]
	s_waitcnt vmcnt(14) lgkmcnt(0)
	v_fma_f64 v[131:132], v[157:158], v[135:136], v[131:132]
	s_waitcnt vmcnt(9)
	v_fma_f64 v[139:140], v[139:140], v[137:138], v[131:132]
	ds_read2_b64 v[131:134], v130 offset0:123 offset1:124
	ds_read2_b64 v[135:138], v130 offset0:125 offset1:126
	s_waitcnt vmcnt(8) lgkmcnt(1)
	v_fma_f64 v[131:132], v[173:174], v[131:132], v[139:140]
	s_waitcnt vmcnt(7)
	v_fma_f64 v[131:132], v[165:166], v[133:134], v[131:132]
	ds_read_b64 v[133:134], v130 offset:1016
	s_waitcnt vmcnt(6) lgkmcnt(1)
	v_fma_f64 v[131:132], v[163:164], v[135:136], v[131:132]
	s_waitcnt vmcnt(3)
	v_fma_f64 v[131:132], v[141:142], v[137:138], v[131:132]
	s_waitcnt vmcnt(2) lgkmcnt(0)
	v_fma_f64 v[131:132], v[147:148], v[133:134], v[131:132]
	s_waitcnt vmcnt(0)
	v_add_f64 v[131:132], v[143:144], -v[131:132]
	buffer_store_dword v132, off, s[0:3], 0 offset:212
	buffer_store_dword v131, off, s[0:3], 0 offset:208
	v_cmpx_lt_u32_e32 25, v0
	s_cbranch_execz .LBB127_343
; %bb.342:
	s_clause 0x1
	buffer_load_dword v131, off, s[0:3], 0 offset:200
	buffer_load_dword v132, off, s[0:3], 0 offset:204
	buffer_store_dword v130, off, s[0:3], 0 offset:200
	buffer_store_dword v130, off, s[0:3], 0 offset:204
	s_waitcnt vmcnt(0)
	ds_write_b64 v129, v[131:132]
.LBB127_343:
	s_or_b32 exec_lo, exec_lo, s4
	s_waitcnt lgkmcnt(0)
	s_waitcnt_vscnt null, 0x0
	s_barrier
	buffer_gl0_inv
	s_clause 0x1c
	buffer_load_dword v139, off, s[0:3], 0 offset:208
	buffer_load_dword v140, off, s[0:3], 0 offset:212
	;; [unrolled: 1-line block ×29, first 2 shown]
	ds_read_b128 v[131:134], v130 offset:720
	ds_read_b128 v[135:138], v130 offset:736
	buffer_load_dword v164, off, s[0:3], 0 offset:324
	s_mov_b32 s4, exec_lo
	s_waitcnt vmcnt(28) lgkmcnt(1)
	v_fma_f64 v[131:132], v[139:140], v[131:132], 0
	s_clause 0x7
	buffer_load_dword v140, off, s[0:3], 0 offset:332
	buffer_load_dword v169, off, s[0:3], 0 offset:352
	buffer_load_dword v171, off, s[0:3], 0 offset:344
	buffer_load_dword v173, off, s[0:3], 0 offset:336
	buffer_load_dword v139, off, s[0:3], 0 offset:328
	buffer_load_dword v174, off, s[0:3], 0 offset:340
	buffer_load_dword v172, off, s[0:3], 0 offset:348
	buffer_load_dword v170, off, s[0:3], 0 offset:356
	s_waitcnt vmcnt(34)
	v_fma_f64 v[131:132], v[141:142], v[133:134], v[131:132]
	s_waitcnt vmcnt(32) lgkmcnt(0)
	v_fma_f64 v[131:132], v[143:144], v[135:136], v[131:132]
	s_waitcnt vmcnt(30)
	v_fma_f64 v[141:142], v[145:146], v[137:138], v[131:132]
	ds_read_b128 v[131:134], v130 offset:752
	ds_read_b128 v[135:138], v130 offset:768
	s_waitcnt vmcnt(28) lgkmcnt(1)
	v_fma_f64 v[131:132], v[147:148], v[131:132], v[141:142]
	s_clause 0x7
	buffer_load_dword v142, off, s[0:3], 0 offset:364
	buffer_load_dword v143, off, s[0:3], 0 offset:384
	buffer_load_dword v145, off, s[0:3], 0 offset:376
	buffer_load_dword v147, off, s[0:3], 0 offset:368
	buffer_load_dword v141, off, s[0:3], 0 offset:360
	buffer_load_dword v148, off, s[0:3], 0 offset:372
	buffer_load_dword v146, off, s[0:3], 0 offset:380
	buffer_load_dword v144, off, s[0:3], 0 offset:388
	s_waitcnt vmcnt(34)
	v_fma_f64 v[131:132], v[149:150], v[133:134], v[131:132]
	s_waitcnt vmcnt(32) lgkmcnt(0)
	v_fma_f64 v[131:132], v[151:152], v[135:136], v[131:132]
	s_waitcnt vmcnt(27)
	v_fma_f64 v[149:150], v[153:154], v[137:138], v[131:132]
	ds_read_b128 v[131:134], v130 offset:784
	ds_read_b128 v[135:138], v130 offset:800
	;; [unrolled: 19-line block ×5, first 2 shown]
	s_waitcnt vmcnt(26) lgkmcnt(1)
	v_fma_f64 v[131:132], v[147:148], v[131:132], v[141:142]
	s_clause 0x5
	buffer_load_dword v142, off, s[0:3], 0 offset:492
	buffer_load_dword v147, off, s[0:3], 0 offset:504
	;; [unrolled: 1-line block ×6, first 2 shown]
	s_waitcnt vmcnt(31)
	v_fma_f64 v[131:132], v[145:146], v[133:134], v[131:132]
	s_waitcnt vmcnt(30) lgkmcnt(0)
	v_fma_f64 v[131:132], v[143:144], v[135:136], v[131:132]
	s_waitcnt vmcnt(25)
	v_fma_f64 v[143:144], v[149:150], v[137:138], v[131:132]
	ds_read_b128 v[131:134], v130 offset:912
	s_clause 0x1
	buffer_load_dword v145, off, s[0:3], 0 offset:200
	buffer_load_dword v146, off, s[0:3], 0 offset:204
	ds_read_b128 v[135:138], v130 offset:928
	s_waitcnt vmcnt(26) lgkmcnt(1)
	v_fma_f64 v[131:132], v[159:160], v[131:132], v[143:144]
	s_waitcnt vmcnt(25)
	v_fma_f64 v[131:132], v[153:154], v[133:134], v[131:132]
	s_waitcnt vmcnt(24) lgkmcnt(0)
	v_fma_f64 v[131:132], v[151:152], v[135:136], v[131:132]
	s_waitcnt vmcnt(19)
	v_fma_f64 v[143:144], v[155:156], v[137:138], v[131:132]
	ds_read_b128 v[131:134], v130 offset:944
	ds_read_b128 v[135:138], v130 offset:960
	s_waitcnt vmcnt(18) lgkmcnt(1)
	v_fma_f64 v[131:132], v[167:168], v[131:132], v[143:144]
	s_waitcnt vmcnt(17)
	v_fma_f64 v[131:132], v[161:162], v[133:134], v[131:132]
	s_waitcnt vmcnt(16) lgkmcnt(0)
	v_fma_f64 v[131:132], v[157:158], v[135:136], v[131:132]
	s_waitcnt vmcnt(11)
	v_fma_f64 v[139:140], v[139:140], v[137:138], v[131:132]
	ds_read_b128 v[131:134], v130 offset:976
	;; [unrolled: 10-line block ×3, first 2 shown]
	s_waitcnt vmcnt(3) lgkmcnt(0)
	v_fma_f64 v[130:131], v[169:170], v[130:131], v[134:135]
	s_waitcnt vmcnt(2)
	v_fma_f64 v[130:131], v[147:148], v[132:133], v[130:131]
	s_waitcnt vmcnt(0)
	v_add_f64 v[130:131], v[145:146], -v[130:131]
	buffer_store_dword v131, off, s[0:3], 0 offset:204
	buffer_store_dword v130, off, s[0:3], 0 offset:200
	v_cmpx_lt_u32_e32 24, v0
	s_cbranch_execz .LBB127_345
; %bb.344:
	s_clause 0x1
	buffer_load_dword v130, off, s[0:3], 0 offset:192
	buffer_load_dword v131, off, s[0:3], 0 offset:196
	v_mov_b32_e32 v132, 0
	buffer_store_dword v132, off, s[0:3], 0 offset:192
	buffer_store_dword v132, off, s[0:3], 0 offset:196
	s_waitcnt vmcnt(0)
	ds_write_b64 v129, v[130:131]
.LBB127_345:
	s_or_b32 exec_lo, exec_lo, s4
	s_waitcnt lgkmcnt(0)
	s_waitcnt_vscnt null, 0x0
	s_barrier
	buffer_gl0_inv
	s_clause 0x1c
	buffer_load_dword v139, off, s[0:3], 0 offset:200
	buffer_load_dword v140, off, s[0:3], 0 offset:204
	;; [unrolled: 1-line block ×29, first 2 shown]
	v_mov_b32_e32 v130, 0
	buffer_load_dword v164, off, s[0:3], 0 offset:316
	s_mov_b32 s4, exec_lo
	ds_read2_b64 v[131:134], v130 offset0:89 offset1:90
	ds_read2_b64 v[135:138], v130 offset0:91 offset1:92
	s_waitcnt vmcnt(28) lgkmcnt(1)
	v_fma_f64 v[131:132], v[139:140], v[131:132], 0
	s_clause 0x7
	buffer_load_dword v140, off, s[0:3], 0 offset:324
	buffer_load_dword v169, off, s[0:3], 0 offset:344
	buffer_load_dword v171, off, s[0:3], 0 offset:336
	buffer_load_dword v173, off, s[0:3], 0 offset:328
	buffer_load_dword v139, off, s[0:3], 0 offset:320
	buffer_load_dword v174, off, s[0:3], 0 offset:332
	buffer_load_dword v172, off, s[0:3], 0 offset:340
	buffer_load_dword v170, off, s[0:3], 0 offset:348
	s_waitcnt vmcnt(34)
	v_fma_f64 v[131:132], v[141:142], v[133:134], v[131:132]
	s_waitcnt vmcnt(32) lgkmcnt(0)
	v_fma_f64 v[131:132], v[143:144], v[135:136], v[131:132]
	s_waitcnt vmcnt(30)
	v_fma_f64 v[141:142], v[145:146], v[137:138], v[131:132]
	ds_read2_b64 v[131:134], v130 offset0:93 offset1:94
	ds_read2_b64 v[135:138], v130 offset0:95 offset1:96
	s_waitcnt vmcnt(28) lgkmcnt(1)
	v_fma_f64 v[131:132], v[147:148], v[131:132], v[141:142]
	s_clause 0x7
	buffer_load_dword v142, off, s[0:3], 0 offset:356
	buffer_load_dword v143, off, s[0:3], 0 offset:376
	buffer_load_dword v145, off, s[0:3], 0 offset:368
	buffer_load_dword v147, off, s[0:3], 0 offset:360
	buffer_load_dword v141, off, s[0:3], 0 offset:352
	buffer_load_dword v148, off, s[0:3], 0 offset:364
	buffer_load_dword v146, off, s[0:3], 0 offset:372
	buffer_load_dword v144, off, s[0:3], 0 offset:380
	s_waitcnt vmcnt(34)
	v_fma_f64 v[131:132], v[149:150], v[133:134], v[131:132]
	s_waitcnt vmcnt(32) lgkmcnt(0)
	v_fma_f64 v[131:132], v[151:152], v[135:136], v[131:132]
	s_waitcnt vmcnt(27)
	v_fma_f64 v[149:150], v[153:154], v[137:138], v[131:132]
	;; [unrolled: 19-line block ×6, first 2 shown]
	ds_read2_b64 v[131:134], v130 offset0:113 offset1:114
	ds_read2_b64 v[135:138], v130 offset0:115 offset1:116
	s_waitcnt vmcnt(26) lgkmcnt(1)
	v_fma_f64 v[131:132], v[159:160], v[131:132], v[143:144]
	s_clause 0x1
	buffer_load_dword v143, off, s[0:3], 0 offset:192
	buffer_load_dword v144, off, s[0:3], 0 offset:196
	s_waitcnt vmcnt(27)
	v_fma_f64 v[131:132], v[153:154], v[133:134], v[131:132]
	s_waitcnt vmcnt(26) lgkmcnt(0)
	v_fma_f64 v[131:132], v[151:152], v[135:136], v[131:132]
	s_waitcnt vmcnt(21)
	v_fma_f64 v[145:146], v[155:156], v[137:138], v[131:132]
	ds_read2_b64 v[131:134], v130 offset0:117 offset1:118
	ds_read2_b64 v[135:138], v130 offset0:119 offset1:120
	s_waitcnt vmcnt(20) lgkmcnt(1)
	v_fma_f64 v[131:132], v[167:168], v[131:132], v[145:146]
	s_waitcnt vmcnt(19)
	v_fma_f64 v[131:132], v[161:162], v[133:134], v[131:132]
	s_waitcnt vmcnt(18) lgkmcnt(0)
	v_fma_f64 v[131:132], v[157:158], v[135:136], v[131:132]
	s_waitcnt vmcnt(13)
	v_fma_f64 v[139:140], v[139:140], v[137:138], v[131:132]
	ds_read2_b64 v[131:134], v130 offset0:121 offset1:122
	ds_read2_b64 v[135:138], v130 offset0:123 offset1:124
	s_waitcnt vmcnt(12) lgkmcnt(1)
	v_fma_f64 v[131:132], v[173:174], v[131:132], v[139:140]
	s_waitcnt vmcnt(11)
	v_fma_f64 v[131:132], v[165:166], v[133:134], v[131:132]
	s_waitcnt vmcnt(10) lgkmcnt(0)
	v_fma_f64 v[131:132], v[163:164], v[135:136], v[131:132]
	s_waitcnt vmcnt(5)
	v_fma_f64 v[135:136], v[141:142], v[137:138], v[131:132]
	ds_read2_b64 v[131:134], v130 offset0:125 offset1:126
	ds_read_b64 v[137:138], v130 offset:1016
	s_waitcnt vmcnt(4) lgkmcnt(1)
	v_fma_f64 v[131:132], v[171:172], v[131:132], v[135:136]
	s_waitcnt vmcnt(3)
	v_fma_f64 v[131:132], v[169:170], v[133:134], v[131:132]
	s_waitcnt vmcnt(2) lgkmcnt(0)
	v_fma_f64 v[131:132], v[147:148], v[137:138], v[131:132]
	s_waitcnt vmcnt(0)
	v_add_f64 v[131:132], v[143:144], -v[131:132]
	buffer_store_dword v132, off, s[0:3], 0 offset:196
	buffer_store_dword v131, off, s[0:3], 0 offset:192
	v_cmpx_lt_u32_e32 23, v0
	s_cbranch_execz .LBB127_347
; %bb.346:
	s_clause 0x1
	buffer_load_dword v131, off, s[0:3], 0 offset:184
	buffer_load_dword v132, off, s[0:3], 0 offset:188
	buffer_store_dword v130, off, s[0:3], 0 offset:184
	buffer_store_dword v130, off, s[0:3], 0 offset:188
	s_waitcnt vmcnt(0)
	ds_write_b64 v129, v[131:132]
.LBB127_347:
	s_or_b32 exec_lo, exec_lo, s4
	s_waitcnt lgkmcnt(0)
	s_waitcnt_vscnt null, 0x0
	s_barrier
	buffer_gl0_inv
	s_clause 0x1c
	buffer_load_dword v139, off, s[0:3], 0 offset:192
	buffer_load_dword v140, off, s[0:3], 0 offset:196
	;; [unrolled: 1-line block ×29, first 2 shown]
	ds_read_b128 v[131:134], v130 offset:704
	ds_read_b128 v[135:138], v130 offset:720
	buffer_load_dword v164, off, s[0:3], 0 offset:308
	s_mov_b32 s4, exec_lo
	s_waitcnt vmcnt(28) lgkmcnt(1)
	v_fma_f64 v[131:132], v[139:140], v[131:132], 0
	s_clause 0x7
	buffer_load_dword v140, off, s[0:3], 0 offset:316
	buffer_load_dword v169, off, s[0:3], 0 offset:336
	buffer_load_dword v171, off, s[0:3], 0 offset:328
	buffer_load_dword v173, off, s[0:3], 0 offset:320
	buffer_load_dword v139, off, s[0:3], 0 offset:312
	buffer_load_dword v174, off, s[0:3], 0 offset:324
	buffer_load_dword v172, off, s[0:3], 0 offset:332
	buffer_load_dword v170, off, s[0:3], 0 offset:340
	s_waitcnt vmcnt(34)
	v_fma_f64 v[131:132], v[141:142], v[133:134], v[131:132]
	s_waitcnt vmcnt(32) lgkmcnt(0)
	v_fma_f64 v[131:132], v[143:144], v[135:136], v[131:132]
	s_waitcnt vmcnt(30)
	v_fma_f64 v[141:142], v[145:146], v[137:138], v[131:132]
	ds_read_b128 v[131:134], v130 offset:736
	ds_read_b128 v[135:138], v130 offset:752
	s_waitcnt vmcnt(28) lgkmcnt(1)
	v_fma_f64 v[131:132], v[147:148], v[131:132], v[141:142]
	s_clause 0x7
	buffer_load_dword v142, off, s[0:3], 0 offset:348
	buffer_load_dword v143, off, s[0:3], 0 offset:368
	buffer_load_dword v145, off, s[0:3], 0 offset:360
	buffer_load_dword v147, off, s[0:3], 0 offset:352
	buffer_load_dword v141, off, s[0:3], 0 offset:344
	buffer_load_dword v148, off, s[0:3], 0 offset:356
	buffer_load_dword v146, off, s[0:3], 0 offset:364
	buffer_load_dword v144, off, s[0:3], 0 offset:372
	s_waitcnt vmcnt(34)
	v_fma_f64 v[131:132], v[149:150], v[133:134], v[131:132]
	s_waitcnt vmcnt(32) lgkmcnt(0)
	v_fma_f64 v[131:132], v[151:152], v[135:136], v[131:132]
	s_waitcnt vmcnt(27)
	v_fma_f64 v[149:150], v[153:154], v[137:138], v[131:132]
	ds_read_b128 v[131:134], v130 offset:768
	ds_read_b128 v[135:138], v130 offset:784
	;; [unrolled: 19-line block ×6, first 2 shown]
	s_waitcnt vmcnt(26) lgkmcnt(1)
	v_fma_f64 v[131:132], v[159:160], v[131:132], v[143:144]
	s_clause 0x3
	buffer_load_dword v144, off, s[0:3], 0 offset:508
	buffer_load_dword v143, off, s[0:3], 0 offset:504
	;; [unrolled: 1-line block ×4, first 2 shown]
	s_waitcnt vmcnt(29)
	v_fma_f64 v[131:132], v[153:154], v[133:134], v[131:132]
	s_waitcnt vmcnt(28) lgkmcnt(0)
	v_fma_f64 v[131:132], v[151:152], v[135:136], v[131:132]
	s_waitcnt vmcnt(23)
	v_fma_f64 v[149:150], v[155:156], v[137:138], v[131:132]
	ds_read_b128 v[131:134], v130 offset:928
	ds_read_b128 v[135:138], v130 offset:944
	s_waitcnt vmcnt(22) lgkmcnt(1)
	v_fma_f64 v[131:132], v[167:168], v[131:132], v[149:150]
	s_waitcnt vmcnt(21)
	v_fma_f64 v[131:132], v[161:162], v[133:134], v[131:132]
	s_waitcnt vmcnt(20) lgkmcnt(0)
	v_fma_f64 v[131:132], v[157:158], v[135:136], v[131:132]
	s_waitcnt vmcnt(15)
	v_fma_f64 v[139:140], v[139:140], v[137:138], v[131:132]
	ds_read_b128 v[131:134], v130 offset:960
	ds_read_b128 v[135:138], v130 offset:976
	s_waitcnt vmcnt(14) lgkmcnt(1)
	v_fma_f64 v[131:132], v[173:174], v[131:132], v[139:140]
	;; [unrolled: 10-line block ×3, first 2 shown]
	s_waitcnt vmcnt(5)
	v_fma_f64 v[130:131], v[169:170], v[133:134], v[130:131]
	s_waitcnt vmcnt(4) lgkmcnt(0)
	v_fma_f64 v[130:131], v[147:148], v[135:136], v[130:131]
	s_waitcnt vmcnt(2)
	v_fma_f64 v[130:131], v[143:144], v[137:138], v[130:131]
	s_waitcnt vmcnt(0)
	v_add_f64 v[130:131], v[145:146], -v[130:131]
	buffer_store_dword v131, off, s[0:3], 0 offset:188
	buffer_store_dword v130, off, s[0:3], 0 offset:184
	v_cmpx_lt_u32_e32 22, v0
	s_cbranch_execz .LBB127_349
; %bb.348:
	s_clause 0x1
	buffer_load_dword v130, off, s[0:3], 0 offset:176
	buffer_load_dword v131, off, s[0:3], 0 offset:180
	v_mov_b32_e32 v132, 0
	buffer_store_dword v132, off, s[0:3], 0 offset:176
	buffer_store_dword v132, off, s[0:3], 0 offset:180
	s_waitcnt vmcnt(0)
	ds_write_b64 v129, v[130:131]
.LBB127_349:
	s_or_b32 exec_lo, exec_lo, s4
	s_waitcnt lgkmcnt(0)
	s_waitcnt_vscnt null, 0x0
	s_barrier
	buffer_gl0_inv
	s_clause 0x1c
	buffer_load_dword v139, off, s[0:3], 0 offset:184
	buffer_load_dword v140, off, s[0:3], 0 offset:188
	;; [unrolled: 1-line block ×29, first 2 shown]
	v_mov_b32_e32 v130, 0
	buffer_load_dword v164, off, s[0:3], 0 offset:300
	s_mov_b32 s4, exec_lo
	ds_read2_b64 v[131:134], v130 offset0:87 offset1:88
	ds_read2_b64 v[135:138], v130 offset0:89 offset1:90
	s_waitcnt vmcnt(28) lgkmcnt(1)
	v_fma_f64 v[131:132], v[139:140], v[131:132], 0
	s_clause 0x7
	buffer_load_dword v140, off, s[0:3], 0 offset:308
	buffer_load_dword v169, off, s[0:3], 0 offset:328
	buffer_load_dword v171, off, s[0:3], 0 offset:320
	buffer_load_dword v173, off, s[0:3], 0 offset:312
	buffer_load_dword v139, off, s[0:3], 0 offset:304
	buffer_load_dword v174, off, s[0:3], 0 offset:316
	buffer_load_dword v172, off, s[0:3], 0 offset:324
	buffer_load_dword v170, off, s[0:3], 0 offset:332
	s_waitcnt vmcnt(34)
	v_fma_f64 v[131:132], v[141:142], v[133:134], v[131:132]
	s_waitcnt vmcnt(32) lgkmcnt(0)
	v_fma_f64 v[131:132], v[143:144], v[135:136], v[131:132]
	s_waitcnt vmcnt(30)
	v_fma_f64 v[141:142], v[145:146], v[137:138], v[131:132]
	ds_read2_b64 v[131:134], v130 offset0:91 offset1:92
	ds_read2_b64 v[135:138], v130 offset0:93 offset1:94
	s_waitcnt vmcnt(28) lgkmcnt(1)
	v_fma_f64 v[131:132], v[147:148], v[131:132], v[141:142]
	s_clause 0x7
	buffer_load_dword v142, off, s[0:3], 0 offset:340
	buffer_load_dword v143, off, s[0:3], 0 offset:360
	buffer_load_dword v145, off, s[0:3], 0 offset:352
	buffer_load_dword v147, off, s[0:3], 0 offset:344
	buffer_load_dword v141, off, s[0:3], 0 offset:336
	buffer_load_dword v148, off, s[0:3], 0 offset:348
	buffer_load_dword v146, off, s[0:3], 0 offset:356
	buffer_load_dword v144, off, s[0:3], 0 offset:364
	s_waitcnt vmcnt(34)
	v_fma_f64 v[131:132], v[149:150], v[133:134], v[131:132]
	s_waitcnt vmcnt(32) lgkmcnt(0)
	v_fma_f64 v[131:132], v[151:152], v[135:136], v[131:132]
	s_waitcnt vmcnt(27)
	v_fma_f64 v[149:150], v[153:154], v[137:138], v[131:132]
	;; [unrolled: 19-line block ×6, first 2 shown]
	ds_read2_b64 v[131:134], v130 offset0:111 offset1:112
	ds_read2_b64 v[135:138], v130 offset0:113 offset1:114
	s_waitcnt vmcnt(26) lgkmcnt(1)
	v_fma_f64 v[131:132], v[159:160], v[131:132], v[143:144]
	s_clause 0x5
	buffer_load_dword v144, off, s[0:3], 0 offset:500
	buffer_load_dword v145, off, s[0:3], 0 offset:504
	;; [unrolled: 1-line block ×6, first 2 shown]
	s_waitcnt vmcnt(31)
	v_fma_f64 v[131:132], v[153:154], v[133:134], v[131:132]
	s_waitcnt vmcnt(30) lgkmcnt(0)
	v_fma_f64 v[131:132], v[151:152], v[135:136], v[131:132]
	s_waitcnt vmcnt(25)
	v_fma_f64 v[151:152], v[155:156], v[137:138], v[131:132]
	ds_read2_b64 v[131:134], v130 offset0:115 offset1:116
	ds_read2_b64 v[135:138], v130 offset0:117 offset1:118
	s_waitcnt vmcnt(24) lgkmcnt(1)
	v_fma_f64 v[131:132], v[167:168], v[131:132], v[151:152]
	s_waitcnt vmcnt(23)
	v_fma_f64 v[131:132], v[161:162], v[133:134], v[131:132]
	s_waitcnt vmcnt(22) lgkmcnt(0)
	v_fma_f64 v[131:132], v[157:158], v[135:136], v[131:132]
	s_waitcnt vmcnt(17)
	v_fma_f64 v[139:140], v[139:140], v[137:138], v[131:132]
	ds_read2_b64 v[131:134], v130 offset0:119 offset1:120
	ds_read2_b64 v[135:138], v130 offset0:121 offset1:122
	s_waitcnt vmcnt(16) lgkmcnt(1)
	v_fma_f64 v[131:132], v[173:174], v[131:132], v[139:140]
	;; [unrolled: 10-line block ×3, first 2 shown]
	s_waitcnt vmcnt(7)
	v_fma_f64 v[131:132], v[169:170], v[133:134], v[131:132]
	ds_read_b64 v[133:134], v130 offset:1016
	s_waitcnt vmcnt(6) lgkmcnt(1)
	v_fma_f64 v[131:132], v[147:148], v[135:136], v[131:132]
	s_waitcnt vmcnt(3)
	v_fma_f64 v[131:132], v[143:144], v[137:138], v[131:132]
	s_waitcnt vmcnt(2) lgkmcnt(0)
	v_fma_f64 v[131:132], v[145:146], v[133:134], v[131:132]
	s_waitcnt vmcnt(0)
	v_add_f64 v[131:132], v[149:150], -v[131:132]
	buffer_store_dword v132, off, s[0:3], 0 offset:180
	buffer_store_dword v131, off, s[0:3], 0 offset:176
	v_cmpx_lt_u32_e32 21, v0
	s_cbranch_execz .LBB127_351
; %bb.350:
	s_clause 0x1
	buffer_load_dword v131, off, s[0:3], 0 offset:168
	buffer_load_dword v132, off, s[0:3], 0 offset:172
	buffer_store_dword v130, off, s[0:3], 0 offset:168
	buffer_store_dword v130, off, s[0:3], 0 offset:172
	s_waitcnt vmcnt(0)
	ds_write_b64 v129, v[131:132]
.LBB127_351:
	s_or_b32 exec_lo, exec_lo, s4
	s_waitcnt lgkmcnt(0)
	s_waitcnt_vscnt null, 0x0
	s_barrier
	buffer_gl0_inv
	s_clause 0x1c
	buffer_load_dword v139, off, s[0:3], 0 offset:176
	buffer_load_dword v140, off, s[0:3], 0 offset:180
	;; [unrolled: 1-line block ×29, first 2 shown]
	ds_read_b128 v[131:134], v130 offset:688
	ds_read_b128 v[135:138], v130 offset:704
	buffer_load_dword v164, off, s[0:3], 0 offset:292
	s_mov_b32 s4, exec_lo
	s_waitcnt vmcnt(28) lgkmcnt(1)
	v_fma_f64 v[131:132], v[139:140], v[131:132], 0
	s_clause 0x7
	buffer_load_dword v140, off, s[0:3], 0 offset:300
	buffer_load_dword v169, off, s[0:3], 0 offset:320
	buffer_load_dword v171, off, s[0:3], 0 offset:312
	buffer_load_dword v173, off, s[0:3], 0 offset:304
	buffer_load_dword v139, off, s[0:3], 0 offset:296
	buffer_load_dword v174, off, s[0:3], 0 offset:308
	buffer_load_dword v172, off, s[0:3], 0 offset:316
	buffer_load_dword v170, off, s[0:3], 0 offset:324
	s_waitcnt vmcnt(34)
	v_fma_f64 v[131:132], v[141:142], v[133:134], v[131:132]
	s_waitcnt vmcnt(32) lgkmcnt(0)
	v_fma_f64 v[131:132], v[143:144], v[135:136], v[131:132]
	s_waitcnt vmcnt(30)
	v_fma_f64 v[141:142], v[145:146], v[137:138], v[131:132]
	ds_read_b128 v[131:134], v130 offset:720
	ds_read_b128 v[135:138], v130 offset:736
	s_waitcnt vmcnt(28) lgkmcnt(1)
	v_fma_f64 v[131:132], v[147:148], v[131:132], v[141:142]
	s_clause 0x7
	buffer_load_dword v142, off, s[0:3], 0 offset:332
	buffer_load_dword v143, off, s[0:3], 0 offset:352
	buffer_load_dword v145, off, s[0:3], 0 offset:344
	buffer_load_dword v147, off, s[0:3], 0 offset:336
	buffer_load_dword v141, off, s[0:3], 0 offset:328
	buffer_load_dword v148, off, s[0:3], 0 offset:340
	buffer_load_dword v146, off, s[0:3], 0 offset:348
	buffer_load_dword v144, off, s[0:3], 0 offset:356
	s_waitcnt vmcnt(34)
	v_fma_f64 v[131:132], v[149:150], v[133:134], v[131:132]
	s_waitcnt vmcnt(32) lgkmcnt(0)
	v_fma_f64 v[131:132], v[151:152], v[135:136], v[131:132]
	s_waitcnt vmcnt(27)
	v_fma_f64 v[149:150], v[153:154], v[137:138], v[131:132]
	ds_read_b128 v[131:134], v130 offset:752
	ds_read_b128 v[135:138], v130 offset:768
	;; [unrolled: 19-line block ×6, first 2 shown]
	s_waitcnt vmcnt(26) lgkmcnt(1)
	v_fma_f64 v[131:132], v[159:160], v[131:132], v[143:144]
	s_clause 0x5
	buffer_load_dword v144, off, s[0:3], 0 offset:492
	buffer_load_dword v145, off, s[0:3], 0 offset:504
	;; [unrolled: 1-line block ×6, first 2 shown]
	s_waitcnt vmcnt(31)
	v_fma_f64 v[131:132], v[153:154], v[133:134], v[131:132]
	s_waitcnt vmcnt(30) lgkmcnt(0)
	v_fma_f64 v[131:132], v[151:152], v[135:136], v[131:132]
	s_waitcnt vmcnt(25)
	v_fma_f64 v[151:152], v[155:156], v[137:138], v[131:132]
	ds_read_b128 v[131:134], v130 offset:912
	s_clause 0x1
	buffer_load_dword v153, off, s[0:3], 0 offset:168
	buffer_load_dword v154, off, s[0:3], 0 offset:172
	ds_read_b128 v[135:138], v130 offset:928
	s_waitcnt vmcnt(26) lgkmcnt(1)
	v_fma_f64 v[131:132], v[167:168], v[131:132], v[151:152]
	s_waitcnt vmcnt(25)
	v_fma_f64 v[131:132], v[161:162], v[133:134], v[131:132]
	s_waitcnt vmcnt(24) lgkmcnt(0)
	v_fma_f64 v[131:132], v[157:158], v[135:136], v[131:132]
	s_waitcnt vmcnt(19)
	v_fma_f64 v[139:140], v[139:140], v[137:138], v[131:132]
	ds_read_b128 v[131:134], v130 offset:944
	ds_read_b128 v[135:138], v130 offset:960
	s_waitcnt vmcnt(18) lgkmcnt(1)
	v_fma_f64 v[131:132], v[173:174], v[131:132], v[139:140]
	s_waitcnt vmcnt(17)
	v_fma_f64 v[131:132], v[165:166], v[133:134], v[131:132]
	s_waitcnt vmcnt(16) lgkmcnt(0)
	v_fma_f64 v[131:132], v[163:164], v[135:136], v[131:132]
	s_waitcnt vmcnt(11)
	v_fma_f64 v[139:140], v[141:142], v[137:138], v[131:132]
	ds_read_b128 v[131:134], v130 offset:976
	;; [unrolled: 10-line block ×3, first 2 shown]
	s_waitcnt vmcnt(3) lgkmcnt(0)
	v_fma_f64 v[130:131], v[149:150], v[130:131], v[134:135]
	s_waitcnt vmcnt(2)
	v_fma_f64 v[130:131], v[145:146], v[132:133], v[130:131]
	s_waitcnt vmcnt(0)
	v_add_f64 v[130:131], v[153:154], -v[130:131]
	buffer_store_dword v131, off, s[0:3], 0 offset:172
	buffer_store_dword v130, off, s[0:3], 0 offset:168
	v_cmpx_lt_u32_e32 20, v0
	s_cbranch_execz .LBB127_353
; %bb.352:
	s_clause 0x1
	buffer_load_dword v130, off, s[0:3], 0 offset:160
	buffer_load_dword v131, off, s[0:3], 0 offset:164
	v_mov_b32_e32 v132, 0
	buffer_store_dword v132, off, s[0:3], 0 offset:160
	buffer_store_dword v132, off, s[0:3], 0 offset:164
	s_waitcnt vmcnt(0)
	ds_write_b64 v129, v[130:131]
.LBB127_353:
	s_or_b32 exec_lo, exec_lo, s4
	s_waitcnt lgkmcnt(0)
	s_waitcnt_vscnt null, 0x0
	s_barrier
	buffer_gl0_inv
	s_clause 0x1c
	buffer_load_dword v139, off, s[0:3], 0 offset:168
	buffer_load_dword v140, off, s[0:3], 0 offset:172
	;; [unrolled: 1-line block ×29, first 2 shown]
	v_mov_b32_e32 v130, 0
	buffer_load_dword v164, off, s[0:3], 0 offset:284
	s_mov_b32 s4, exec_lo
	ds_read2_b64 v[131:134], v130 offset0:85 offset1:86
	ds_read2_b64 v[135:138], v130 offset0:87 offset1:88
	s_waitcnt vmcnt(28) lgkmcnt(1)
	v_fma_f64 v[131:132], v[139:140], v[131:132], 0
	s_clause 0x7
	buffer_load_dword v140, off, s[0:3], 0 offset:292
	buffer_load_dword v169, off, s[0:3], 0 offset:312
	buffer_load_dword v171, off, s[0:3], 0 offset:304
	buffer_load_dword v173, off, s[0:3], 0 offset:296
	buffer_load_dword v139, off, s[0:3], 0 offset:288
	buffer_load_dword v174, off, s[0:3], 0 offset:300
	buffer_load_dword v172, off, s[0:3], 0 offset:308
	buffer_load_dword v170, off, s[0:3], 0 offset:316
	s_waitcnt vmcnt(34)
	v_fma_f64 v[131:132], v[141:142], v[133:134], v[131:132]
	s_waitcnt vmcnt(32) lgkmcnt(0)
	v_fma_f64 v[131:132], v[143:144], v[135:136], v[131:132]
	s_waitcnt vmcnt(30)
	v_fma_f64 v[141:142], v[145:146], v[137:138], v[131:132]
	ds_read2_b64 v[131:134], v130 offset0:89 offset1:90
	ds_read2_b64 v[135:138], v130 offset0:91 offset1:92
	s_waitcnt vmcnt(28) lgkmcnt(1)
	v_fma_f64 v[131:132], v[147:148], v[131:132], v[141:142]
	s_clause 0x7
	buffer_load_dword v142, off, s[0:3], 0 offset:324
	buffer_load_dword v143, off, s[0:3], 0 offset:344
	buffer_load_dword v145, off, s[0:3], 0 offset:336
	buffer_load_dword v147, off, s[0:3], 0 offset:328
	buffer_load_dword v141, off, s[0:3], 0 offset:320
	buffer_load_dword v148, off, s[0:3], 0 offset:332
	buffer_load_dword v146, off, s[0:3], 0 offset:340
	buffer_load_dword v144, off, s[0:3], 0 offset:348
	s_waitcnt vmcnt(34)
	v_fma_f64 v[131:132], v[149:150], v[133:134], v[131:132]
	s_waitcnt vmcnt(32) lgkmcnt(0)
	v_fma_f64 v[131:132], v[151:152], v[135:136], v[131:132]
	s_waitcnt vmcnt(27)
	v_fma_f64 v[149:150], v[153:154], v[137:138], v[131:132]
	;; [unrolled: 19-line block ×7, first 2 shown]
	ds_read2_b64 v[131:134], v130 offset0:113 offset1:114
	ds_read2_b64 v[135:138], v130 offset0:115 offset1:116
	s_waitcnt vmcnt(26) lgkmcnt(1)
	v_fma_f64 v[131:132], v[167:168], v[131:132], v[151:152]
	s_clause 0x1
	buffer_load_dword v151, off, s[0:3], 0 offset:160
	buffer_load_dword v152, off, s[0:3], 0 offset:164
	s_waitcnt vmcnt(27)
	v_fma_f64 v[131:132], v[161:162], v[133:134], v[131:132]
	s_waitcnt vmcnt(26) lgkmcnt(0)
	v_fma_f64 v[131:132], v[157:158], v[135:136], v[131:132]
	s_waitcnt vmcnt(21)
	v_fma_f64 v[139:140], v[139:140], v[137:138], v[131:132]
	ds_read2_b64 v[131:134], v130 offset0:117 offset1:118
	ds_read2_b64 v[135:138], v130 offset0:119 offset1:120
	s_waitcnt vmcnt(20) lgkmcnt(1)
	v_fma_f64 v[131:132], v[173:174], v[131:132], v[139:140]
	s_waitcnt vmcnt(19)
	v_fma_f64 v[131:132], v[165:166], v[133:134], v[131:132]
	s_waitcnt vmcnt(18) lgkmcnt(0)
	v_fma_f64 v[131:132], v[163:164], v[135:136], v[131:132]
	s_waitcnt vmcnt(13)
	v_fma_f64 v[139:140], v[141:142], v[137:138], v[131:132]
	ds_read2_b64 v[131:134], v130 offset0:121 offset1:122
	ds_read2_b64 v[135:138], v130 offset0:123 offset1:124
	s_waitcnt vmcnt(12) lgkmcnt(1)
	v_fma_f64 v[131:132], v[171:172], v[131:132], v[139:140]
	s_waitcnt vmcnt(11)
	v_fma_f64 v[131:132], v[169:170], v[133:134], v[131:132]
	s_waitcnt vmcnt(10) lgkmcnt(0)
	v_fma_f64 v[131:132], v[147:148], v[135:136], v[131:132]
	s_waitcnt vmcnt(5)
	v_fma_f64 v[135:136], v[143:144], v[137:138], v[131:132]
	ds_read2_b64 v[131:134], v130 offset0:125 offset1:126
	ds_read_b64 v[137:138], v130 offset:1016
	s_waitcnt vmcnt(4) lgkmcnt(1)
	v_fma_f64 v[131:132], v[159:160], v[131:132], v[135:136]
	s_waitcnt vmcnt(3)
	v_fma_f64 v[131:132], v[149:150], v[133:134], v[131:132]
	s_waitcnt vmcnt(2) lgkmcnt(0)
	v_fma_f64 v[131:132], v[145:146], v[137:138], v[131:132]
	s_waitcnt vmcnt(0)
	v_add_f64 v[131:132], v[151:152], -v[131:132]
	buffer_store_dword v132, off, s[0:3], 0 offset:164
	buffer_store_dword v131, off, s[0:3], 0 offset:160
	v_cmpx_lt_u32_e32 19, v0
	s_cbranch_execz .LBB127_355
; %bb.354:
	s_clause 0x1
	buffer_load_dword v131, off, s[0:3], 0 offset:152
	buffer_load_dword v132, off, s[0:3], 0 offset:156
	buffer_store_dword v130, off, s[0:3], 0 offset:152
	buffer_store_dword v130, off, s[0:3], 0 offset:156
	s_waitcnt vmcnt(0)
	ds_write_b64 v129, v[131:132]
.LBB127_355:
	s_or_b32 exec_lo, exec_lo, s4
	s_waitcnt lgkmcnt(0)
	s_waitcnt_vscnt null, 0x0
	s_barrier
	buffer_gl0_inv
	s_clause 0x1c
	buffer_load_dword v139, off, s[0:3], 0 offset:160
	buffer_load_dword v140, off, s[0:3], 0 offset:164
	;; [unrolled: 1-line block ×29, first 2 shown]
	ds_read_b128 v[131:134], v130 offset:672
	ds_read_b128 v[135:138], v130 offset:688
	buffer_load_dword v164, off, s[0:3], 0 offset:276
	s_mov_b32 s4, exec_lo
	s_waitcnt vmcnt(28) lgkmcnt(1)
	v_fma_f64 v[131:132], v[139:140], v[131:132], 0
	s_clause 0x7
	buffer_load_dword v140, off, s[0:3], 0 offset:284
	buffer_load_dword v169, off, s[0:3], 0 offset:304
	buffer_load_dword v171, off, s[0:3], 0 offset:296
	buffer_load_dword v173, off, s[0:3], 0 offset:288
	buffer_load_dword v139, off, s[0:3], 0 offset:280
	buffer_load_dword v174, off, s[0:3], 0 offset:292
	buffer_load_dword v172, off, s[0:3], 0 offset:300
	buffer_load_dword v170, off, s[0:3], 0 offset:308
	s_waitcnt vmcnt(34)
	v_fma_f64 v[131:132], v[141:142], v[133:134], v[131:132]
	s_waitcnt vmcnt(32) lgkmcnt(0)
	v_fma_f64 v[131:132], v[143:144], v[135:136], v[131:132]
	s_waitcnt vmcnt(30)
	v_fma_f64 v[141:142], v[145:146], v[137:138], v[131:132]
	ds_read_b128 v[131:134], v130 offset:704
	ds_read_b128 v[135:138], v130 offset:720
	s_waitcnt vmcnt(28) lgkmcnt(1)
	v_fma_f64 v[131:132], v[147:148], v[131:132], v[141:142]
	s_clause 0x7
	buffer_load_dword v142, off, s[0:3], 0 offset:316
	buffer_load_dword v143, off, s[0:3], 0 offset:336
	buffer_load_dword v145, off, s[0:3], 0 offset:328
	buffer_load_dword v147, off, s[0:3], 0 offset:320
	buffer_load_dword v141, off, s[0:3], 0 offset:312
	buffer_load_dword v148, off, s[0:3], 0 offset:324
	buffer_load_dword v146, off, s[0:3], 0 offset:332
	buffer_load_dword v144, off, s[0:3], 0 offset:340
	s_waitcnt vmcnt(34)
	v_fma_f64 v[131:132], v[149:150], v[133:134], v[131:132]
	s_waitcnt vmcnt(32) lgkmcnt(0)
	v_fma_f64 v[131:132], v[151:152], v[135:136], v[131:132]
	s_waitcnt vmcnt(27)
	v_fma_f64 v[149:150], v[153:154], v[137:138], v[131:132]
	ds_read_b128 v[131:134], v130 offset:736
	ds_read_b128 v[135:138], v130 offset:752
	;; [unrolled: 19-line block ×7, first 2 shown]
	s_waitcnt vmcnt(26) lgkmcnt(1)
	v_fma_f64 v[131:132], v[167:168], v[131:132], v[151:152]
	s_clause 0x3
	buffer_load_dword v152, off, s[0:3], 0 offset:508
	buffer_load_dword v151, off, s[0:3], 0 offset:504
	;; [unrolled: 1-line block ×4, first 2 shown]
	s_waitcnt vmcnt(29)
	v_fma_f64 v[131:132], v[161:162], v[133:134], v[131:132]
	s_waitcnt vmcnt(28) lgkmcnt(0)
	v_fma_f64 v[131:132], v[157:158], v[135:136], v[131:132]
	s_waitcnt vmcnt(23)
	v_fma_f64 v[139:140], v[139:140], v[137:138], v[131:132]
	ds_read_b128 v[131:134], v130 offset:928
	ds_read_b128 v[135:138], v130 offset:944
	s_waitcnt vmcnt(22) lgkmcnt(1)
	v_fma_f64 v[131:132], v[173:174], v[131:132], v[139:140]
	s_waitcnt vmcnt(21)
	v_fma_f64 v[131:132], v[165:166], v[133:134], v[131:132]
	s_waitcnt vmcnt(20) lgkmcnt(0)
	v_fma_f64 v[131:132], v[163:164], v[135:136], v[131:132]
	s_waitcnt vmcnt(15)
	v_fma_f64 v[139:140], v[141:142], v[137:138], v[131:132]
	ds_read_b128 v[131:134], v130 offset:960
	ds_read_b128 v[135:138], v130 offset:976
	s_waitcnt vmcnt(14) lgkmcnt(1)
	v_fma_f64 v[131:132], v[171:172], v[131:132], v[139:140]
	s_waitcnt vmcnt(13)
	v_fma_f64 v[131:132], v[169:170], v[133:134], v[131:132]
	s_waitcnt vmcnt(12) lgkmcnt(0)
	v_fma_f64 v[131:132], v[147:148], v[135:136], v[131:132]
	s_waitcnt vmcnt(7)
	v_fma_f64 v[139:140], v[143:144], v[137:138], v[131:132]
	ds_read_b128 v[131:134], v130 offset:992
	ds_read_b128 v[135:138], v130 offset:1008
	s_waitcnt vmcnt(6) lgkmcnt(1)
	v_fma_f64 v[130:131], v[159:160], v[131:132], v[139:140]
	s_waitcnt vmcnt(5)
	v_fma_f64 v[130:131], v[149:150], v[133:134], v[130:131]
	s_waitcnt vmcnt(4) lgkmcnt(0)
	v_fma_f64 v[130:131], v[145:146], v[135:136], v[130:131]
	s_waitcnt vmcnt(2)
	v_fma_f64 v[130:131], v[151:152], v[137:138], v[130:131]
	s_waitcnt vmcnt(0)
	v_add_f64 v[130:131], v[153:154], -v[130:131]
	buffer_store_dword v131, off, s[0:3], 0 offset:156
	buffer_store_dword v130, off, s[0:3], 0 offset:152
	v_cmpx_lt_u32_e32 18, v0
	s_cbranch_execz .LBB127_357
; %bb.356:
	s_clause 0x1
	buffer_load_dword v130, off, s[0:3], 0 offset:144
	buffer_load_dword v131, off, s[0:3], 0 offset:148
	v_mov_b32_e32 v132, 0
	buffer_store_dword v132, off, s[0:3], 0 offset:144
	buffer_store_dword v132, off, s[0:3], 0 offset:148
	s_waitcnt vmcnt(0)
	ds_write_b64 v129, v[130:131]
.LBB127_357:
	s_or_b32 exec_lo, exec_lo, s4
	s_waitcnt lgkmcnt(0)
	s_waitcnt_vscnt null, 0x0
	s_barrier
	buffer_gl0_inv
	s_clause 0x1c
	buffer_load_dword v139, off, s[0:3], 0 offset:152
	buffer_load_dword v140, off, s[0:3], 0 offset:156
	buffer_load_dword v141, off, s[0:3], 0 offset:160
	buffer_load_dword v142, off, s[0:3], 0 offset:164
	buffer_load_dword v143, off, s[0:3], 0 offset:168
	buffer_load_dword v144, off, s[0:3], 0 offset:172
	buffer_load_dword v145, off, s[0:3], 0 offset:176
	buffer_load_dword v146, off, s[0:3], 0 offset:180
	buffer_load_dword v147, off, s[0:3], 0 offset:184
	buffer_load_dword v148, off, s[0:3], 0 offset:188
	buffer_load_dword v149, off, s[0:3], 0 offset:192
	buffer_load_dword v150, off, s[0:3], 0 offset:196
	buffer_load_dword v151, off, s[0:3], 0 offset:200
	buffer_load_dword v152, off, s[0:3], 0 offset:204
	buffer_load_dword v154, off, s[0:3], 0 offset:212
	buffer_load_dword v155, off, s[0:3], 0 offset:232
	buffer_load_dword v157, off, s[0:3], 0 offset:224
	buffer_load_dword v159, off, s[0:3], 0 offset:216
	buffer_load_dword v153, off, s[0:3], 0 offset:208
	buffer_load_dword v160, off, s[0:3], 0 offset:220
	buffer_load_dword v158, off, s[0:3], 0 offset:228
	buffer_load_dword v156, off, s[0:3], 0 offset:236
	buffer_load_dword v162, off, s[0:3], 0 offset:244
	buffer_load_dword v163, off, s[0:3], 0 offset:264
	buffer_load_dword v165, off, s[0:3], 0 offset:256
	buffer_load_dword v167, off, s[0:3], 0 offset:248
	buffer_load_dword v161, off, s[0:3], 0 offset:240
	buffer_load_dword v168, off, s[0:3], 0 offset:252
	buffer_load_dword v166, off, s[0:3], 0 offset:260
	v_mov_b32_e32 v130, 0
	buffer_load_dword v164, off, s[0:3], 0 offset:268
	s_mov_b32 s4, exec_lo
	ds_read2_b64 v[131:134], v130 offset0:83 offset1:84
	ds_read2_b64 v[135:138], v130 offset0:85 offset1:86
	s_waitcnt vmcnt(28) lgkmcnt(1)
	v_fma_f64 v[131:132], v[139:140], v[131:132], 0
	s_clause 0x7
	buffer_load_dword v140, off, s[0:3], 0 offset:276
	buffer_load_dword v169, off, s[0:3], 0 offset:296
	buffer_load_dword v171, off, s[0:3], 0 offset:288
	buffer_load_dword v173, off, s[0:3], 0 offset:280
	buffer_load_dword v139, off, s[0:3], 0 offset:272
	buffer_load_dword v174, off, s[0:3], 0 offset:284
	buffer_load_dword v172, off, s[0:3], 0 offset:292
	buffer_load_dword v170, off, s[0:3], 0 offset:300
	s_waitcnt vmcnt(34)
	v_fma_f64 v[131:132], v[141:142], v[133:134], v[131:132]
	s_waitcnt vmcnt(32) lgkmcnt(0)
	v_fma_f64 v[131:132], v[143:144], v[135:136], v[131:132]
	s_waitcnt vmcnt(30)
	v_fma_f64 v[141:142], v[145:146], v[137:138], v[131:132]
	ds_read2_b64 v[131:134], v130 offset0:87 offset1:88
	ds_read2_b64 v[135:138], v130 offset0:89 offset1:90
	s_waitcnt vmcnt(28) lgkmcnt(1)
	v_fma_f64 v[131:132], v[147:148], v[131:132], v[141:142]
	s_clause 0x7
	buffer_load_dword v142, off, s[0:3], 0 offset:308
	buffer_load_dword v143, off, s[0:3], 0 offset:328
	buffer_load_dword v145, off, s[0:3], 0 offset:320
	buffer_load_dword v147, off, s[0:3], 0 offset:312
	buffer_load_dword v141, off, s[0:3], 0 offset:304
	buffer_load_dword v148, off, s[0:3], 0 offset:316
	buffer_load_dword v146, off, s[0:3], 0 offset:324
	buffer_load_dword v144, off, s[0:3], 0 offset:332
	s_waitcnt vmcnt(34)
	v_fma_f64 v[131:132], v[149:150], v[133:134], v[131:132]
	s_waitcnt vmcnt(32) lgkmcnt(0)
	v_fma_f64 v[131:132], v[151:152], v[135:136], v[131:132]
	s_waitcnt vmcnt(27)
	v_fma_f64 v[149:150], v[153:154], v[137:138], v[131:132]
	ds_read2_b64 v[131:134], v130 offset0:91 offset1:92
	ds_read2_b64 v[135:138], v130 offset0:93 offset1:94
	s_waitcnt vmcnt(26) lgkmcnt(1)
	v_fma_f64 v[131:132], v[159:160], v[131:132], v[149:150]
	s_clause 0x7
	buffer_load_dword v150, off, s[0:3], 0 offset:340
	buffer_load_dword v151, off, s[0:3], 0 offset:360
	buffer_load_dword v153, off, s[0:3], 0 offset:352
	buffer_load_dword v159, off, s[0:3], 0 offset:344
	buffer_load_dword v149, off, s[0:3], 0 offset:336
	buffer_load_dword v160, off, s[0:3], 0 offset:348
	buffer_load_dword v154, off, s[0:3], 0 offset:356
	buffer_load_dword v152, off, s[0:3], 0 offset:364
	s_waitcnt vmcnt(33)
	v_fma_f64 v[131:132], v[157:158], v[133:134], v[131:132]
	s_waitcnt vmcnt(32) lgkmcnt(0)
	v_fma_f64 v[131:132], v[155:156], v[135:136], v[131:132]
	s_waitcnt vmcnt(27)
	v_fma_f64 v[155:156], v[161:162], v[137:138], v[131:132]
	ds_read2_b64 v[131:134], v130 offset0:95 offset1:96
	ds_read2_b64 v[135:138], v130 offset0:97 offset1:98
	s_waitcnt vmcnt(26) lgkmcnt(1)
	v_fma_f64 v[131:132], v[167:168], v[131:132], v[155:156]
	s_clause 0x7
	buffer_load_dword v156, off, s[0:3], 0 offset:372
	buffer_load_dword v157, off, s[0:3], 0 offset:392
	buffer_load_dword v161, off, s[0:3], 0 offset:384
	buffer_load_dword v167, off, s[0:3], 0 offset:376
	buffer_load_dword v155, off, s[0:3], 0 offset:368
	buffer_load_dword v168, off, s[0:3], 0 offset:380
	buffer_load_dword v162, off, s[0:3], 0 offset:388
	buffer_load_dword v158, off, s[0:3], 0 offset:396
	s_waitcnt vmcnt(33)
	v_fma_f64 v[131:132], v[165:166], v[133:134], v[131:132]
	s_waitcnt vmcnt(32) lgkmcnt(0)
	v_fma_f64 v[131:132], v[163:164], v[135:136], v[131:132]
	s_waitcnt vmcnt(27)
	v_fma_f64 v[139:140], v[139:140], v[137:138], v[131:132]
	ds_read2_b64 v[131:134], v130 offset0:99 offset1:100
	ds_read2_b64 v[135:138], v130 offset0:101 offset1:102
	s_waitcnt vmcnt(26) lgkmcnt(1)
	v_fma_f64 v[131:132], v[173:174], v[131:132], v[139:140]
	s_clause 0x7
	buffer_load_dword v140, off, s[0:3], 0 offset:404
	buffer_load_dword v163, off, s[0:3], 0 offset:424
	buffer_load_dword v165, off, s[0:3], 0 offset:416
	buffer_load_dword v173, off, s[0:3], 0 offset:408
	buffer_load_dword v139, off, s[0:3], 0 offset:400
	buffer_load_dword v174, off, s[0:3], 0 offset:412
	buffer_load_dword v166, off, s[0:3], 0 offset:420
	buffer_load_dword v164, off, s[0:3], 0 offset:428
	s_waitcnt vmcnt(33)
	v_fma_f64 v[131:132], v[171:172], v[133:134], v[131:132]
	s_waitcnt vmcnt(32) lgkmcnt(0)
	v_fma_f64 v[131:132], v[169:170], v[135:136], v[131:132]
	s_waitcnt vmcnt(27)
	v_fma_f64 v[141:142], v[141:142], v[137:138], v[131:132]
	ds_read2_b64 v[131:134], v130 offset0:103 offset1:104
	ds_read2_b64 v[135:138], v130 offset0:105 offset1:106
	s_waitcnt vmcnt(26) lgkmcnt(1)
	v_fma_f64 v[131:132], v[147:148], v[131:132], v[141:142]
	s_clause 0x7
	buffer_load_dword v142, off, s[0:3], 0 offset:436
	buffer_load_dword v147, off, s[0:3], 0 offset:456
	buffer_load_dword v169, off, s[0:3], 0 offset:448
	buffer_load_dword v171, off, s[0:3], 0 offset:440
	buffer_load_dword v141, off, s[0:3], 0 offset:432
	buffer_load_dword v172, off, s[0:3], 0 offset:444
	buffer_load_dword v170, off, s[0:3], 0 offset:452
	buffer_load_dword v148, off, s[0:3], 0 offset:460
	s_waitcnt vmcnt(33)
	v_fma_f64 v[131:132], v[145:146], v[133:134], v[131:132]
	s_waitcnt vmcnt(32) lgkmcnt(0)
	v_fma_f64 v[131:132], v[143:144], v[135:136], v[131:132]
	s_waitcnt vmcnt(27)
	v_fma_f64 v[143:144], v[149:150], v[137:138], v[131:132]
	ds_read2_b64 v[131:134], v130 offset0:107 offset1:108
	ds_read2_b64 v[135:138], v130 offset0:109 offset1:110
	s_waitcnt vmcnt(26) lgkmcnt(1)
	v_fma_f64 v[131:132], v[159:160], v[131:132], v[143:144]
	s_clause 0x7
	buffer_load_dword v144, off, s[0:3], 0 offset:468
	buffer_load_dword v145, off, s[0:3], 0 offset:488
	buffer_load_dword v149, off, s[0:3], 0 offset:480
	buffer_load_dword v159, off, s[0:3], 0 offset:472
	buffer_load_dword v143, off, s[0:3], 0 offset:464
	buffer_load_dword v160, off, s[0:3], 0 offset:476
	buffer_load_dword v150, off, s[0:3], 0 offset:484
	buffer_load_dword v146, off, s[0:3], 0 offset:492
	s_waitcnt vmcnt(33)
	v_fma_f64 v[131:132], v[153:154], v[133:134], v[131:132]
	s_waitcnt vmcnt(32) lgkmcnt(0)
	v_fma_f64 v[131:132], v[151:152], v[135:136], v[131:132]
	s_waitcnt vmcnt(27)
	v_fma_f64 v[151:152], v[155:156], v[137:138], v[131:132]
	ds_read2_b64 v[131:134], v130 offset0:111 offset1:112
	ds_read2_b64 v[135:138], v130 offset0:113 offset1:114
	s_waitcnt vmcnt(26) lgkmcnt(1)
	v_fma_f64 v[131:132], v[167:168], v[131:132], v[151:152]
	s_clause 0x5
	buffer_load_dword v152, off, s[0:3], 0 offset:500
	buffer_load_dword v153, off, s[0:3], 0 offset:504
	;; [unrolled: 1-line block ×6, first 2 shown]
	s_waitcnt vmcnt(31)
	v_fma_f64 v[131:132], v[161:162], v[133:134], v[131:132]
	s_waitcnt vmcnt(30) lgkmcnt(0)
	v_fma_f64 v[131:132], v[157:158], v[135:136], v[131:132]
	s_waitcnt vmcnt(25)
	v_fma_f64 v[139:140], v[139:140], v[137:138], v[131:132]
	ds_read2_b64 v[131:134], v130 offset0:115 offset1:116
	ds_read2_b64 v[135:138], v130 offset0:117 offset1:118
	s_waitcnt vmcnt(24) lgkmcnt(1)
	v_fma_f64 v[131:132], v[173:174], v[131:132], v[139:140]
	s_waitcnt vmcnt(23)
	v_fma_f64 v[131:132], v[165:166], v[133:134], v[131:132]
	s_waitcnt vmcnt(22) lgkmcnt(0)
	v_fma_f64 v[131:132], v[163:164], v[135:136], v[131:132]
	s_waitcnt vmcnt(17)
	v_fma_f64 v[139:140], v[141:142], v[137:138], v[131:132]
	ds_read2_b64 v[131:134], v130 offset0:119 offset1:120
	ds_read2_b64 v[135:138], v130 offset0:121 offset1:122
	s_waitcnt vmcnt(16) lgkmcnt(1)
	v_fma_f64 v[131:132], v[171:172], v[131:132], v[139:140]
	;; [unrolled: 10-line block ×3, first 2 shown]
	s_waitcnt vmcnt(7)
	v_fma_f64 v[131:132], v[149:150], v[133:134], v[131:132]
	ds_read_b64 v[133:134], v130 offset:1016
	s_waitcnt vmcnt(6) lgkmcnt(1)
	v_fma_f64 v[131:132], v[145:146], v[135:136], v[131:132]
	s_waitcnt vmcnt(3)
	v_fma_f64 v[131:132], v[151:152], v[137:138], v[131:132]
	s_waitcnt vmcnt(2) lgkmcnt(0)
	v_fma_f64 v[131:132], v[153:154], v[133:134], v[131:132]
	s_waitcnt vmcnt(0)
	v_add_f64 v[131:132], v[155:156], -v[131:132]
	buffer_store_dword v132, off, s[0:3], 0 offset:148
	buffer_store_dword v131, off, s[0:3], 0 offset:144
	v_cmpx_lt_u32_e32 17, v0
	s_cbranch_execz .LBB127_359
; %bb.358:
	s_clause 0x1
	buffer_load_dword v131, off, s[0:3], 0 offset:136
	buffer_load_dword v132, off, s[0:3], 0 offset:140
	buffer_store_dword v130, off, s[0:3], 0 offset:136
	buffer_store_dword v130, off, s[0:3], 0 offset:140
	s_waitcnt vmcnt(0)
	ds_write_b64 v129, v[131:132]
.LBB127_359:
	s_or_b32 exec_lo, exec_lo, s4
	s_waitcnt lgkmcnt(0)
	s_waitcnt_vscnt null, 0x0
	s_barrier
	buffer_gl0_inv
	s_clause 0x1c
	buffer_load_dword v139, off, s[0:3], 0 offset:144
	buffer_load_dword v140, off, s[0:3], 0 offset:148
	;; [unrolled: 1-line block ×29, first 2 shown]
	ds_read_b128 v[131:134], v130 offset:656
	ds_read_b128 v[135:138], v130 offset:672
	buffer_load_dword v164, off, s[0:3], 0 offset:260
	s_mov_b32 s4, exec_lo
	s_waitcnt vmcnt(28) lgkmcnt(1)
	v_fma_f64 v[131:132], v[139:140], v[131:132], 0
	s_clause 0x7
	buffer_load_dword v140, off, s[0:3], 0 offset:268
	buffer_load_dword v169, off, s[0:3], 0 offset:288
	buffer_load_dword v171, off, s[0:3], 0 offset:280
	buffer_load_dword v173, off, s[0:3], 0 offset:272
	buffer_load_dword v139, off, s[0:3], 0 offset:264
	buffer_load_dword v174, off, s[0:3], 0 offset:276
	buffer_load_dword v172, off, s[0:3], 0 offset:284
	buffer_load_dword v170, off, s[0:3], 0 offset:292
	s_waitcnt vmcnt(34)
	v_fma_f64 v[131:132], v[141:142], v[133:134], v[131:132]
	s_waitcnt vmcnt(32) lgkmcnt(0)
	v_fma_f64 v[131:132], v[143:144], v[135:136], v[131:132]
	s_waitcnt vmcnt(30)
	v_fma_f64 v[141:142], v[145:146], v[137:138], v[131:132]
	ds_read_b128 v[131:134], v130 offset:688
	ds_read_b128 v[135:138], v130 offset:704
	s_waitcnt vmcnt(28) lgkmcnt(1)
	v_fma_f64 v[131:132], v[147:148], v[131:132], v[141:142]
	s_clause 0x7
	buffer_load_dword v142, off, s[0:3], 0 offset:300
	buffer_load_dword v143, off, s[0:3], 0 offset:320
	buffer_load_dword v145, off, s[0:3], 0 offset:312
	buffer_load_dword v147, off, s[0:3], 0 offset:304
	buffer_load_dword v141, off, s[0:3], 0 offset:296
	buffer_load_dword v148, off, s[0:3], 0 offset:308
	buffer_load_dword v146, off, s[0:3], 0 offset:316
	buffer_load_dword v144, off, s[0:3], 0 offset:324
	s_waitcnt vmcnt(34)
	v_fma_f64 v[131:132], v[149:150], v[133:134], v[131:132]
	s_waitcnt vmcnt(32) lgkmcnt(0)
	v_fma_f64 v[131:132], v[151:152], v[135:136], v[131:132]
	s_waitcnt vmcnt(27)
	v_fma_f64 v[149:150], v[153:154], v[137:138], v[131:132]
	ds_read_b128 v[131:134], v130 offset:720
	ds_read_b128 v[135:138], v130 offset:736
	;; [unrolled: 19-line block ×7, first 2 shown]
	s_waitcnt vmcnt(26) lgkmcnt(1)
	v_fma_f64 v[131:132], v[167:168], v[131:132], v[151:152]
	s_clause 0x5
	buffer_load_dword v152, off, s[0:3], 0 offset:492
	buffer_load_dword v153, off, s[0:3], 0 offset:504
	;; [unrolled: 1-line block ×6, first 2 shown]
	s_waitcnt vmcnt(31)
	v_fma_f64 v[131:132], v[161:162], v[133:134], v[131:132]
	s_waitcnt vmcnt(30) lgkmcnt(0)
	v_fma_f64 v[131:132], v[157:158], v[135:136], v[131:132]
	s_waitcnt vmcnt(25)
	v_fma_f64 v[139:140], v[139:140], v[137:138], v[131:132]
	ds_read_b128 v[131:134], v130 offset:912
	s_clause 0x1
	buffer_load_dword v157, off, s[0:3], 0 offset:136
	buffer_load_dword v158, off, s[0:3], 0 offset:140
	ds_read_b128 v[135:138], v130 offset:928
	s_waitcnt vmcnt(26) lgkmcnt(1)
	v_fma_f64 v[131:132], v[173:174], v[131:132], v[139:140]
	s_waitcnt vmcnt(25)
	v_fma_f64 v[131:132], v[165:166], v[133:134], v[131:132]
	s_waitcnt vmcnt(24) lgkmcnt(0)
	v_fma_f64 v[131:132], v[163:164], v[135:136], v[131:132]
	s_waitcnt vmcnt(19)
	v_fma_f64 v[139:140], v[141:142], v[137:138], v[131:132]
	ds_read_b128 v[131:134], v130 offset:944
	ds_read_b128 v[135:138], v130 offset:960
	s_waitcnt vmcnt(18) lgkmcnt(1)
	v_fma_f64 v[131:132], v[171:172], v[131:132], v[139:140]
	s_waitcnt vmcnt(17)
	v_fma_f64 v[131:132], v[169:170], v[133:134], v[131:132]
	s_waitcnt vmcnt(16) lgkmcnt(0)
	v_fma_f64 v[131:132], v[147:148], v[135:136], v[131:132]
	s_waitcnt vmcnt(11)
	v_fma_f64 v[139:140], v[143:144], v[137:138], v[131:132]
	ds_read_b128 v[131:134], v130 offset:976
	ds_read_b128 v[135:138], v130 offset:992
	s_waitcnt vmcnt(10) lgkmcnt(1)
	v_fma_f64 v[131:132], v[159:160], v[131:132], v[139:140]
	s_waitcnt vmcnt(9)
	v_fma_f64 v[131:132], v[149:150], v[133:134], v[131:132]
	s_waitcnt vmcnt(8) lgkmcnt(0)
	v_fma_f64 v[131:132], v[145:146], v[135:136], v[131:132]
	s_waitcnt vmcnt(4)
	v_fma_f64 v[134:135], v[151:152], v[137:138], v[131:132]
	ds_read_b128 v[130:133], v130 offset:1008
	s_waitcnt vmcnt(3) lgkmcnt(0)
	v_fma_f64 v[130:131], v[155:156], v[130:131], v[134:135]
	s_waitcnt vmcnt(2)
	v_fma_f64 v[130:131], v[153:154], v[132:133], v[130:131]
	s_waitcnt vmcnt(0)
	v_add_f64 v[130:131], v[157:158], -v[130:131]
	buffer_store_dword v131, off, s[0:3], 0 offset:140
	buffer_store_dword v130, off, s[0:3], 0 offset:136
	v_cmpx_lt_u32_e32 16, v0
	s_cbranch_execz .LBB127_361
; %bb.360:
	s_clause 0x1
	buffer_load_dword v130, off, s[0:3], 0 offset:128
	buffer_load_dword v131, off, s[0:3], 0 offset:132
	v_mov_b32_e32 v132, 0
	buffer_store_dword v132, off, s[0:3], 0 offset:128
	buffer_store_dword v132, off, s[0:3], 0 offset:132
	s_waitcnt vmcnt(0)
	ds_write_b64 v129, v[130:131]
.LBB127_361:
	s_or_b32 exec_lo, exec_lo, s4
	s_waitcnt lgkmcnt(0)
	s_waitcnt_vscnt null, 0x0
	s_barrier
	buffer_gl0_inv
	s_clause 0x1c
	buffer_load_dword v139, off, s[0:3], 0 offset:136
	buffer_load_dword v140, off, s[0:3], 0 offset:140
	;; [unrolled: 1-line block ×29, first 2 shown]
	v_mov_b32_e32 v130, 0
	buffer_load_dword v164, off, s[0:3], 0 offset:252
	s_mov_b32 s4, exec_lo
	ds_read2_b64 v[131:134], v130 offset0:81 offset1:82
	ds_read2_b64 v[135:138], v130 offset0:83 offset1:84
	s_waitcnt vmcnt(28) lgkmcnt(1)
	v_fma_f64 v[131:132], v[139:140], v[131:132], 0
	s_clause 0x7
	buffer_load_dword v140, off, s[0:3], 0 offset:260
	buffer_load_dword v169, off, s[0:3], 0 offset:280
	buffer_load_dword v171, off, s[0:3], 0 offset:272
	buffer_load_dword v173, off, s[0:3], 0 offset:264
	buffer_load_dword v139, off, s[0:3], 0 offset:256
	buffer_load_dword v174, off, s[0:3], 0 offset:268
	buffer_load_dword v172, off, s[0:3], 0 offset:276
	buffer_load_dword v170, off, s[0:3], 0 offset:284
	s_waitcnt vmcnt(34)
	v_fma_f64 v[131:132], v[141:142], v[133:134], v[131:132]
	s_waitcnt vmcnt(32) lgkmcnt(0)
	v_fma_f64 v[131:132], v[143:144], v[135:136], v[131:132]
	s_waitcnt vmcnt(30)
	v_fma_f64 v[141:142], v[145:146], v[137:138], v[131:132]
	ds_read2_b64 v[131:134], v130 offset0:85 offset1:86
	ds_read2_b64 v[135:138], v130 offset0:87 offset1:88
	s_waitcnt vmcnt(28) lgkmcnt(1)
	v_fma_f64 v[131:132], v[147:148], v[131:132], v[141:142]
	s_clause 0x7
	buffer_load_dword v142, off, s[0:3], 0 offset:292
	buffer_load_dword v143, off, s[0:3], 0 offset:312
	buffer_load_dword v145, off, s[0:3], 0 offset:304
	buffer_load_dword v147, off, s[0:3], 0 offset:296
	buffer_load_dword v141, off, s[0:3], 0 offset:288
	buffer_load_dword v148, off, s[0:3], 0 offset:300
	buffer_load_dword v146, off, s[0:3], 0 offset:308
	buffer_load_dword v144, off, s[0:3], 0 offset:316
	s_waitcnt vmcnt(34)
	v_fma_f64 v[131:132], v[149:150], v[133:134], v[131:132]
	s_waitcnt vmcnt(32) lgkmcnt(0)
	v_fma_f64 v[131:132], v[151:152], v[135:136], v[131:132]
	s_waitcnt vmcnt(27)
	v_fma_f64 v[149:150], v[153:154], v[137:138], v[131:132]
	;; [unrolled: 19-line block ×8, first 2 shown]
	ds_read2_b64 v[131:134], v130 offset0:113 offset1:114
	ds_read2_b64 v[135:138], v130 offset0:115 offset1:116
	s_waitcnt vmcnt(26) lgkmcnt(1)
	v_fma_f64 v[131:132], v[173:174], v[131:132], v[139:140]
	s_clause 0x1
	buffer_load_dword v139, off, s[0:3], 0 offset:128
	buffer_load_dword v140, off, s[0:3], 0 offset:132
	s_waitcnt vmcnt(27)
	v_fma_f64 v[131:132], v[165:166], v[133:134], v[131:132]
	s_waitcnt vmcnt(26) lgkmcnt(0)
	v_fma_f64 v[131:132], v[163:164], v[135:136], v[131:132]
	s_waitcnt vmcnt(21)
	v_fma_f64 v[141:142], v[141:142], v[137:138], v[131:132]
	ds_read2_b64 v[131:134], v130 offset0:117 offset1:118
	ds_read2_b64 v[135:138], v130 offset0:119 offset1:120
	s_waitcnt vmcnt(20) lgkmcnt(1)
	v_fma_f64 v[131:132], v[171:172], v[131:132], v[141:142]
	s_waitcnt vmcnt(19)
	v_fma_f64 v[131:132], v[169:170], v[133:134], v[131:132]
	s_waitcnt vmcnt(18) lgkmcnt(0)
	v_fma_f64 v[131:132], v[147:148], v[135:136], v[131:132]
	s_waitcnt vmcnt(13)
	v_fma_f64 v[141:142], v[143:144], v[137:138], v[131:132]
	ds_read2_b64 v[131:134], v130 offset0:121 offset1:122
	ds_read2_b64 v[135:138], v130 offset0:123 offset1:124
	s_waitcnt vmcnt(12) lgkmcnt(1)
	v_fma_f64 v[131:132], v[159:160], v[131:132], v[141:142]
	s_waitcnt vmcnt(11)
	v_fma_f64 v[131:132], v[149:150], v[133:134], v[131:132]
	s_waitcnt vmcnt(10) lgkmcnt(0)
	v_fma_f64 v[131:132], v[145:146], v[135:136], v[131:132]
	s_waitcnt vmcnt(5)
	v_fma_f64 v[135:136], v[151:152], v[137:138], v[131:132]
	ds_read2_b64 v[131:134], v130 offset0:125 offset1:126
	ds_read_b64 v[137:138], v130 offset:1016
	s_waitcnt vmcnt(4) lgkmcnt(1)
	v_fma_f64 v[131:132], v[167:168], v[131:132], v[135:136]
	s_waitcnt vmcnt(3)
	v_fma_f64 v[131:132], v[155:156], v[133:134], v[131:132]
	s_waitcnt vmcnt(2) lgkmcnt(0)
	v_fma_f64 v[131:132], v[153:154], v[137:138], v[131:132]
	s_waitcnt vmcnt(0)
	v_add_f64 v[131:132], v[139:140], -v[131:132]
	buffer_store_dword v132, off, s[0:3], 0 offset:132
	buffer_store_dword v131, off, s[0:3], 0 offset:128
	v_cmpx_lt_u32_e32 15, v0
	s_cbranch_execz .LBB127_363
; %bb.362:
	s_clause 0x1
	buffer_load_dword v131, off, s[0:3], 0 offset:120
	buffer_load_dword v132, off, s[0:3], 0 offset:124
	buffer_store_dword v130, off, s[0:3], 0 offset:120
	buffer_store_dword v130, off, s[0:3], 0 offset:124
	s_waitcnt vmcnt(0)
	ds_write_b64 v129, v[131:132]
.LBB127_363:
	s_or_b32 exec_lo, exec_lo, s4
	s_waitcnt lgkmcnt(0)
	s_waitcnt_vscnt null, 0x0
	s_barrier
	buffer_gl0_inv
	s_clause 0x1c
	buffer_load_dword v139, off, s[0:3], 0 offset:128
	buffer_load_dword v140, off, s[0:3], 0 offset:132
	;; [unrolled: 1-line block ×29, first 2 shown]
	ds_read_b128 v[131:134], v130 offset:640
	ds_read_b128 v[135:138], v130 offset:656
	buffer_load_dword v164, off, s[0:3], 0 offset:244
	s_mov_b32 s4, exec_lo
	s_waitcnt vmcnt(28) lgkmcnt(1)
	v_fma_f64 v[131:132], v[139:140], v[131:132], 0
	s_clause 0x7
	buffer_load_dword v140, off, s[0:3], 0 offset:252
	buffer_load_dword v169, off, s[0:3], 0 offset:272
	buffer_load_dword v171, off, s[0:3], 0 offset:264
	buffer_load_dword v173, off, s[0:3], 0 offset:256
	buffer_load_dword v139, off, s[0:3], 0 offset:248
	buffer_load_dword v174, off, s[0:3], 0 offset:260
	buffer_load_dword v172, off, s[0:3], 0 offset:268
	buffer_load_dword v170, off, s[0:3], 0 offset:276
	s_waitcnt vmcnt(34)
	v_fma_f64 v[131:132], v[141:142], v[133:134], v[131:132]
	s_waitcnt vmcnt(32) lgkmcnt(0)
	v_fma_f64 v[131:132], v[143:144], v[135:136], v[131:132]
	s_waitcnt vmcnt(30)
	v_fma_f64 v[141:142], v[145:146], v[137:138], v[131:132]
	ds_read_b128 v[131:134], v130 offset:672
	ds_read_b128 v[135:138], v130 offset:688
	s_waitcnt vmcnt(28) lgkmcnt(1)
	v_fma_f64 v[131:132], v[147:148], v[131:132], v[141:142]
	s_clause 0x7
	buffer_load_dword v142, off, s[0:3], 0 offset:284
	buffer_load_dword v143, off, s[0:3], 0 offset:304
	buffer_load_dword v145, off, s[0:3], 0 offset:296
	buffer_load_dword v147, off, s[0:3], 0 offset:288
	buffer_load_dword v141, off, s[0:3], 0 offset:280
	buffer_load_dword v148, off, s[0:3], 0 offset:292
	buffer_load_dword v146, off, s[0:3], 0 offset:300
	buffer_load_dword v144, off, s[0:3], 0 offset:308
	s_waitcnt vmcnt(34)
	v_fma_f64 v[131:132], v[149:150], v[133:134], v[131:132]
	s_waitcnt vmcnt(32) lgkmcnt(0)
	v_fma_f64 v[131:132], v[151:152], v[135:136], v[131:132]
	s_waitcnt vmcnt(27)
	v_fma_f64 v[149:150], v[153:154], v[137:138], v[131:132]
	ds_read_b128 v[131:134], v130 offset:704
	ds_read_b128 v[135:138], v130 offset:720
	;; [unrolled: 19-line block ×8, first 2 shown]
	s_waitcnt vmcnt(26) lgkmcnt(1)
	v_fma_f64 v[131:132], v[173:174], v[131:132], v[139:140]
	s_clause 0x3
	buffer_load_dword v140, off, s[0:3], 0 offset:508
	buffer_load_dword v139, off, s[0:3], 0 offset:504
	;; [unrolled: 1-line block ×4, first 2 shown]
	s_waitcnt vmcnt(29)
	v_fma_f64 v[131:132], v[165:166], v[133:134], v[131:132]
	s_waitcnt vmcnt(28) lgkmcnt(0)
	v_fma_f64 v[131:132], v[163:164], v[135:136], v[131:132]
	s_waitcnt vmcnt(23)
	v_fma_f64 v[141:142], v[141:142], v[137:138], v[131:132]
	ds_read_b128 v[131:134], v130 offset:928
	ds_read_b128 v[135:138], v130 offset:944
	s_waitcnt vmcnt(22) lgkmcnt(1)
	v_fma_f64 v[131:132], v[171:172], v[131:132], v[141:142]
	s_waitcnt vmcnt(21)
	v_fma_f64 v[131:132], v[169:170], v[133:134], v[131:132]
	s_waitcnt vmcnt(20) lgkmcnt(0)
	v_fma_f64 v[131:132], v[147:148], v[135:136], v[131:132]
	s_waitcnt vmcnt(15)
	v_fma_f64 v[141:142], v[143:144], v[137:138], v[131:132]
	ds_read_b128 v[131:134], v130 offset:960
	ds_read_b128 v[135:138], v130 offset:976
	s_waitcnt vmcnt(14) lgkmcnt(1)
	v_fma_f64 v[131:132], v[159:160], v[131:132], v[141:142]
	;; [unrolled: 10-line block ×3, first 2 shown]
	s_waitcnt vmcnt(5)
	v_fma_f64 v[130:131], v[155:156], v[133:134], v[130:131]
	s_waitcnt vmcnt(4) lgkmcnt(0)
	v_fma_f64 v[130:131], v[153:154], v[135:136], v[130:131]
	s_waitcnt vmcnt(2)
	v_fma_f64 v[130:131], v[139:140], v[137:138], v[130:131]
	s_waitcnt vmcnt(0)
	v_add_f64 v[130:131], v[157:158], -v[130:131]
	buffer_store_dword v131, off, s[0:3], 0 offset:124
	buffer_store_dword v130, off, s[0:3], 0 offset:120
	v_cmpx_lt_u32_e32 14, v0
	s_cbranch_execz .LBB127_365
; %bb.364:
	s_clause 0x1
	buffer_load_dword v130, off, s[0:3], 0 offset:112
	buffer_load_dword v131, off, s[0:3], 0 offset:116
	v_mov_b32_e32 v132, 0
	buffer_store_dword v132, off, s[0:3], 0 offset:112
	buffer_store_dword v132, off, s[0:3], 0 offset:116
	s_waitcnt vmcnt(0)
	ds_write_b64 v129, v[130:131]
.LBB127_365:
	s_or_b32 exec_lo, exec_lo, s4
	s_waitcnt lgkmcnt(0)
	s_waitcnt_vscnt null, 0x0
	s_barrier
	buffer_gl0_inv
	s_clause 0x1c
	buffer_load_dword v139, off, s[0:3], 0 offset:120
	buffer_load_dword v140, off, s[0:3], 0 offset:124
	;; [unrolled: 1-line block ×29, first 2 shown]
	v_mov_b32_e32 v130, 0
	buffer_load_dword v164, off, s[0:3], 0 offset:236
	s_mov_b32 s4, exec_lo
	ds_read2_b64 v[131:134], v130 offset0:79 offset1:80
	ds_read2_b64 v[135:138], v130 offset0:81 offset1:82
	s_waitcnt vmcnt(28) lgkmcnt(1)
	v_fma_f64 v[131:132], v[139:140], v[131:132], 0
	s_clause 0x7
	buffer_load_dword v140, off, s[0:3], 0 offset:244
	buffer_load_dword v169, off, s[0:3], 0 offset:264
	buffer_load_dword v171, off, s[0:3], 0 offset:256
	buffer_load_dword v173, off, s[0:3], 0 offset:248
	buffer_load_dword v139, off, s[0:3], 0 offset:240
	buffer_load_dword v174, off, s[0:3], 0 offset:252
	buffer_load_dword v172, off, s[0:3], 0 offset:260
	buffer_load_dword v170, off, s[0:3], 0 offset:268
	s_waitcnt vmcnt(34)
	v_fma_f64 v[131:132], v[141:142], v[133:134], v[131:132]
	s_waitcnt vmcnt(32) lgkmcnt(0)
	v_fma_f64 v[131:132], v[143:144], v[135:136], v[131:132]
	s_waitcnt vmcnt(30)
	v_fma_f64 v[141:142], v[145:146], v[137:138], v[131:132]
	ds_read2_b64 v[131:134], v130 offset0:83 offset1:84
	ds_read2_b64 v[135:138], v130 offset0:85 offset1:86
	s_waitcnt vmcnt(28) lgkmcnt(1)
	v_fma_f64 v[131:132], v[147:148], v[131:132], v[141:142]
	s_clause 0x7
	buffer_load_dword v142, off, s[0:3], 0 offset:276
	buffer_load_dword v143, off, s[0:3], 0 offset:296
	buffer_load_dword v145, off, s[0:3], 0 offset:288
	buffer_load_dword v147, off, s[0:3], 0 offset:280
	buffer_load_dword v141, off, s[0:3], 0 offset:272
	buffer_load_dword v148, off, s[0:3], 0 offset:284
	buffer_load_dword v146, off, s[0:3], 0 offset:292
	buffer_load_dword v144, off, s[0:3], 0 offset:300
	s_waitcnt vmcnt(34)
	v_fma_f64 v[131:132], v[149:150], v[133:134], v[131:132]
	s_waitcnt vmcnt(32) lgkmcnt(0)
	v_fma_f64 v[131:132], v[151:152], v[135:136], v[131:132]
	s_waitcnt vmcnt(27)
	v_fma_f64 v[149:150], v[153:154], v[137:138], v[131:132]
	;; [unrolled: 19-line block ×8, first 2 shown]
	ds_read2_b64 v[131:134], v130 offset0:111 offset1:112
	ds_read2_b64 v[135:138], v130 offset0:113 offset1:114
	s_waitcnt vmcnt(26) lgkmcnt(1)
	v_fma_f64 v[131:132], v[173:174], v[131:132], v[139:140]
	s_clause 0x5
	buffer_load_dword v140, off, s[0:3], 0 offset:500
	buffer_load_dword v157, off, s[0:3], 0 offset:504
	;; [unrolled: 1-line block ×6, first 2 shown]
	s_waitcnt vmcnt(31)
	v_fma_f64 v[131:132], v[165:166], v[133:134], v[131:132]
	s_waitcnt vmcnt(30) lgkmcnt(0)
	v_fma_f64 v[131:132], v[163:164], v[135:136], v[131:132]
	s_waitcnt vmcnt(25)
	v_fma_f64 v[141:142], v[141:142], v[137:138], v[131:132]
	ds_read2_b64 v[131:134], v130 offset0:115 offset1:116
	ds_read2_b64 v[135:138], v130 offset0:117 offset1:118
	s_waitcnt vmcnt(24) lgkmcnt(1)
	v_fma_f64 v[131:132], v[171:172], v[131:132], v[141:142]
	s_waitcnt vmcnt(23)
	v_fma_f64 v[131:132], v[169:170], v[133:134], v[131:132]
	s_waitcnt vmcnt(22) lgkmcnt(0)
	v_fma_f64 v[131:132], v[147:148], v[135:136], v[131:132]
	s_waitcnt vmcnt(17)
	v_fma_f64 v[141:142], v[143:144], v[137:138], v[131:132]
	ds_read2_b64 v[131:134], v130 offset0:119 offset1:120
	ds_read2_b64 v[135:138], v130 offset0:121 offset1:122
	s_waitcnt vmcnt(16) lgkmcnt(1)
	v_fma_f64 v[131:132], v[159:160], v[131:132], v[141:142]
	;; [unrolled: 10-line block ×3, first 2 shown]
	s_waitcnt vmcnt(7)
	v_fma_f64 v[131:132], v[155:156], v[133:134], v[131:132]
	ds_read_b64 v[133:134], v130 offset:1016
	s_waitcnt vmcnt(6) lgkmcnt(1)
	v_fma_f64 v[131:132], v[153:154], v[135:136], v[131:132]
	s_waitcnt vmcnt(3)
	v_fma_f64 v[131:132], v[139:140], v[137:138], v[131:132]
	s_waitcnt vmcnt(2) lgkmcnt(0)
	v_fma_f64 v[131:132], v[157:158], v[133:134], v[131:132]
	s_waitcnt vmcnt(0)
	v_add_f64 v[131:132], v[161:162], -v[131:132]
	buffer_store_dword v132, off, s[0:3], 0 offset:116
	buffer_store_dword v131, off, s[0:3], 0 offset:112
	v_cmpx_lt_u32_e32 13, v0
	s_cbranch_execz .LBB127_367
; %bb.366:
	s_clause 0x1
	buffer_load_dword v131, off, s[0:3], 0 offset:104
	buffer_load_dword v132, off, s[0:3], 0 offset:108
	buffer_store_dword v130, off, s[0:3], 0 offset:104
	buffer_store_dword v130, off, s[0:3], 0 offset:108
	s_waitcnt vmcnt(0)
	ds_write_b64 v129, v[131:132]
.LBB127_367:
	s_or_b32 exec_lo, exec_lo, s4
	s_waitcnt lgkmcnt(0)
	s_waitcnt_vscnt null, 0x0
	s_barrier
	buffer_gl0_inv
	s_clause 0x1c
	buffer_load_dword v139, off, s[0:3], 0 offset:112
	buffer_load_dword v140, off, s[0:3], 0 offset:116
	;; [unrolled: 1-line block ×29, first 2 shown]
	ds_read_b128 v[131:134], v130 offset:624
	ds_read_b128 v[135:138], v130 offset:640
	buffer_load_dword v164, off, s[0:3], 0 offset:228
	s_mov_b32 s4, exec_lo
	s_waitcnt vmcnt(28) lgkmcnt(1)
	v_fma_f64 v[131:132], v[139:140], v[131:132], 0
	s_clause 0x7
	buffer_load_dword v140, off, s[0:3], 0 offset:236
	buffer_load_dword v169, off, s[0:3], 0 offset:256
	buffer_load_dword v171, off, s[0:3], 0 offset:248
	buffer_load_dword v173, off, s[0:3], 0 offset:240
	buffer_load_dword v139, off, s[0:3], 0 offset:232
	buffer_load_dword v174, off, s[0:3], 0 offset:244
	buffer_load_dword v172, off, s[0:3], 0 offset:252
	buffer_load_dword v170, off, s[0:3], 0 offset:260
	s_waitcnt vmcnt(34)
	v_fma_f64 v[131:132], v[141:142], v[133:134], v[131:132]
	s_waitcnt vmcnt(32) lgkmcnt(0)
	v_fma_f64 v[131:132], v[143:144], v[135:136], v[131:132]
	s_waitcnt vmcnt(30)
	v_fma_f64 v[141:142], v[145:146], v[137:138], v[131:132]
	ds_read_b128 v[131:134], v130 offset:656
	ds_read_b128 v[135:138], v130 offset:672
	s_waitcnt vmcnt(28) lgkmcnt(1)
	v_fma_f64 v[131:132], v[147:148], v[131:132], v[141:142]
	s_clause 0x7
	buffer_load_dword v142, off, s[0:3], 0 offset:268
	buffer_load_dword v143, off, s[0:3], 0 offset:288
	buffer_load_dword v145, off, s[0:3], 0 offset:280
	buffer_load_dword v147, off, s[0:3], 0 offset:272
	buffer_load_dword v141, off, s[0:3], 0 offset:264
	buffer_load_dword v148, off, s[0:3], 0 offset:276
	buffer_load_dword v146, off, s[0:3], 0 offset:284
	buffer_load_dword v144, off, s[0:3], 0 offset:292
	s_waitcnt vmcnt(34)
	v_fma_f64 v[131:132], v[149:150], v[133:134], v[131:132]
	s_waitcnt vmcnt(32) lgkmcnt(0)
	v_fma_f64 v[131:132], v[151:152], v[135:136], v[131:132]
	s_waitcnt vmcnt(27)
	v_fma_f64 v[149:150], v[153:154], v[137:138], v[131:132]
	ds_read_b128 v[131:134], v130 offset:688
	ds_read_b128 v[135:138], v130 offset:704
	;; [unrolled: 19-line block ×8, first 2 shown]
	s_waitcnt vmcnt(26) lgkmcnt(1)
	v_fma_f64 v[131:132], v[173:174], v[131:132], v[139:140]
	s_clause 0x5
	buffer_load_dword v140, off, s[0:3], 0 offset:492
	buffer_load_dword v157, off, s[0:3], 0 offset:504
	buffer_load_dword v161, off, s[0:3], 0 offset:496
	buffer_load_dword v139, off, s[0:3], 0 offset:488
	buffer_load_dword v162, off, s[0:3], 0 offset:500
	buffer_load_dword v158, off, s[0:3], 0 offset:508
	s_waitcnt vmcnt(31)
	v_fma_f64 v[131:132], v[165:166], v[133:134], v[131:132]
	s_waitcnt vmcnt(30) lgkmcnt(0)
	v_fma_f64 v[131:132], v[163:164], v[135:136], v[131:132]
	s_waitcnt vmcnt(25)
	v_fma_f64 v[141:142], v[141:142], v[137:138], v[131:132]
	ds_read_b128 v[131:134], v130 offset:912
	s_clause 0x1
	buffer_load_dword v163, off, s[0:3], 0 offset:104
	buffer_load_dword v164, off, s[0:3], 0 offset:108
	ds_read_b128 v[135:138], v130 offset:928
	s_waitcnt vmcnt(26) lgkmcnt(1)
	v_fma_f64 v[131:132], v[171:172], v[131:132], v[141:142]
	s_waitcnt vmcnt(25)
	v_fma_f64 v[131:132], v[169:170], v[133:134], v[131:132]
	s_waitcnt vmcnt(24) lgkmcnt(0)
	v_fma_f64 v[131:132], v[147:148], v[135:136], v[131:132]
	s_waitcnt vmcnt(19)
	v_fma_f64 v[141:142], v[143:144], v[137:138], v[131:132]
	ds_read_b128 v[131:134], v130 offset:944
	ds_read_b128 v[135:138], v130 offset:960
	s_waitcnt vmcnt(18) lgkmcnt(1)
	v_fma_f64 v[131:132], v[159:160], v[131:132], v[141:142]
	s_waitcnt vmcnt(17)
	v_fma_f64 v[131:132], v[149:150], v[133:134], v[131:132]
	s_waitcnt vmcnt(16) lgkmcnt(0)
	v_fma_f64 v[131:132], v[145:146], v[135:136], v[131:132]
	s_waitcnt vmcnt(11)
	v_fma_f64 v[141:142], v[151:152], v[137:138], v[131:132]
	ds_read_b128 v[131:134], v130 offset:976
	;; [unrolled: 10-line block ×3, first 2 shown]
	s_waitcnt vmcnt(3) lgkmcnt(0)
	v_fma_f64 v[130:131], v[161:162], v[130:131], v[134:135]
	s_waitcnt vmcnt(2)
	v_fma_f64 v[130:131], v[157:158], v[132:133], v[130:131]
	s_waitcnt vmcnt(0)
	v_add_f64 v[130:131], v[163:164], -v[130:131]
	buffer_store_dword v131, off, s[0:3], 0 offset:108
	buffer_store_dword v130, off, s[0:3], 0 offset:104
	v_cmpx_lt_u32_e32 12, v0
	s_cbranch_execz .LBB127_369
; %bb.368:
	s_clause 0x1
	buffer_load_dword v130, off, s[0:3], 0 offset:96
	buffer_load_dword v131, off, s[0:3], 0 offset:100
	v_mov_b32_e32 v132, 0
	buffer_store_dword v132, off, s[0:3], 0 offset:96
	buffer_store_dword v132, off, s[0:3], 0 offset:100
	s_waitcnt vmcnt(0)
	ds_write_b64 v129, v[130:131]
.LBB127_369:
	s_or_b32 exec_lo, exec_lo, s4
	s_waitcnt lgkmcnt(0)
	s_waitcnt_vscnt null, 0x0
	s_barrier
	buffer_gl0_inv
	s_clause 0x1c
	buffer_load_dword v139, off, s[0:3], 0 offset:104
	buffer_load_dword v140, off, s[0:3], 0 offset:108
	;; [unrolled: 1-line block ×29, first 2 shown]
	v_mov_b32_e32 v130, 0
	buffer_load_dword v164, off, s[0:3], 0 offset:220
	s_mov_b32 s4, exec_lo
	ds_read2_b64 v[131:134], v130 offset0:77 offset1:78
	ds_read2_b64 v[135:138], v130 offset0:79 offset1:80
	s_waitcnt vmcnt(28) lgkmcnt(1)
	v_fma_f64 v[131:132], v[139:140], v[131:132], 0
	s_clause 0x7
	buffer_load_dword v140, off, s[0:3], 0 offset:228
	buffer_load_dword v169, off, s[0:3], 0 offset:248
	buffer_load_dword v171, off, s[0:3], 0 offset:240
	buffer_load_dword v173, off, s[0:3], 0 offset:232
	buffer_load_dword v139, off, s[0:3], 0 offset:224
	buffer_load_dword v174, off, s[0:3], 0 offset:236
	buffer_load_dword v172, off, s[0:3], 0 offset:244
	buffer_load_dword v170, off, s[0:3], 0 offset:252
	s_waitcnt vmcnt(34)
	v_fma_f64 v[131:132], v[141:142], v[133:134], v[131:132]
	s_waitcnt vmcnt(32) lgkmcnt(0)
	v_fma_f64 v[131:132], v[143:144], v[135:136], v[131:132]
	s_waitcnt vmcnt(30)
	v_fma_f64 v[141:142], v[145:146], v[137:138], v[131:132]
	ds_read2_b64 v[131:134], v130 offset0:81 offset1:82
	ds_read2_b64 v[135:138], v130 offset0:83 offset1:84
	s_waitcnt vmcnt(28) lgkmcnt(1)
	v_fma_f64 v[131:132], v[147:148], v[131:132], v[141:142]
	s_clause 0x7
	buffer_load_dword v142, off, s[0:3], 0 offset:260
	buffer_load_dword v143, off, s[0:3], 0 offset:280
	buffer_load_dword v145, off, s[0:3], 0 offset:272
	buffer_load_dword v147, off, s[0:3], 0 offset:264
	buffer_load_dword v141, off, s[0:3], 0 offset:256
	buffer_load_dword v148, off, s[0:3], 0 offset:268
	buffer_load_dword v146, off, s[0:3], 0 offset:276
	buffer_load_dword v144, off, s[0:3], 0 offset:284
	s_waitcnt vmcnt(34)
	v_fma_f64 v[131:132], v[149:150], v[133:134], v[131:132]
	s_waitcnt vmcnt(32) lgkmcnt(0)
	v_fma_f64 v[131:132], v[151:152], v[135:136], v[131:132]
	s_waitcnt vmcnt(27)
	v_fma_f64 v[149:150], v[153:154], v[137:138], v[131:132]
	;; [unrolled: 19-line block ×9, first 2 shown]
	ds_read2_b64 v[131:134], v130 offset0:113 offset1:114
	ds_read2_b64 v[135:138], v130 offset0:115 offset1:116
	s_waitcnt vmcnt(26) lgkmcnt(1)
	v_fma_f64 v[131:132], v[171:172], v[131:132], v[141:142]
	s_clause 0x1
	buffer_load_dword v141, off, s[0:3], 0 offset:96
	buffer_load_dword v142, off, s[0:3], 0 offset:100
	s_waitcnt vmcnt(27)
	v_fma_f64 v[131:132], v[169:170], v[133:134], v[131:132]
	s_waitcnt vmcnt(26) lgkmcnt(0)
	v_fma_f64 v[131:132], v[147:148], v[135:136], v[131:132]
	s_waitcnt vmcnt(21)
	v_fma_f64 v[143:144], v[143:144], v[137:138], v[131:132]
	ds_read2_b64 v[131:134], v130 offset0:117 offset1:118
	ds_read2_b64 v[135:138], v130 offset0:119 offset1:120
	s_waitcnt vmcnt(20) lgkmcnt(1)
	v_fma_f64 v[131:132], v[159:160], v[131:132], v[143:144]
	s_waitcnt vmcnt(19)
	v_fma_f64 v[131:132], v[149:150], v[133:134], v[131:132]
	s_waitcnt vmcnt(18) lgkmcnt(0)
	v_fma_f64 v[131:132], v[145:146], v[135:136], v[131:132]
	s_waitcnt vmcnt(13)
	v_fma_f64 v[143:144], v[151:152], v[137:138], v[131:132]
	ds_read2_b64 v[131:134], v130 offset0:121 offset1:122
	ds_read2_b64 v[135:138], v130 offset0:123 offset1:124
	s_waitcnt vmcnt(12) lgkmcnt(1)
	v_fma_f64 v[131:132], v[167:168], v[131:132], v[143:144]
	s_waitcnt vmcnt(11)
	v_fma_f64 v[131:132], v[155:156], v[133:134], v[131:132]
	s_waitcnt vmcnt(10) lgkmcnt(0)
	v_fma_f64 v[131:132], v[153:154], v[135:136], v[131:132]
	s_waitcnt vmcnt(5)
	v_fma_f64 v[135:136], v[139:140], v[137:138], v[131:132]
	ds_read2_b64 v[131:134], v130 offset0:125 offset1:126
	ds_read_b64 v[137:138], v130 offset:1016
	s_waitcnt vmcnt(4) lgkmcnt(1)
	v_fma_f64 v[131:132], v[173:174], v[131:132], v[135:136]
	s_waitcnt vmcnt(3)
	v_fma_f64 v[131:132], v[161:162], v[133:134], v[131:132]
	s_waitcnt vmcnt(2) lgkmcnt(0)
	v_fma_f64 v[131:132], v[157:158], v[137:138], v[131:132]
	s_waitcnt vmcnt(0)
	v_add_f64 v[131:132], v[141:142], -v[131:132]
	buffer_store_dword v132, off, s[0:3], 0 offset:100
	buffer_store_dword v131, off, s[0:3], 0 offset:96
	v_cmpx_lt_u32_e32 11, v0
	s_cbranch_execz .LBB127_371
; %bb.370:
	s_clause 0x1
	buffer_load_dword v131, off, s[0:3], 0 offset:88
	buffer_load_dword v132, off, s[0:3], 0 offset:92
	buffer_store_dword v130, off, s[0:3], 0 offset:88
	buffer_store_dword v130, off, s[0:3], 0 offset:92
	s_waitcnt vmcnt(0)
	ds_write_b64 v129, v[131:132]
.LBB127_371:
	s_or_b32 exec_lo, exec_lo, s4
	s_waitcnt lgkmcnt(0)
	s_waitcnt_vscnt null, 0x0
	s_barrier
	buffer_gl0_inv
	s_clause 0x1c
	buffer_load_dword v139, off, s[0:3], 0 offset:96
	buffer_load_dword v140, off, s[0:3], 0 offset:100
	;; [unrolled: 1-line block ×29, first 2 shown]
	ds_read_b128 v[131:134], v130 offset:608
	ds_read_b128 v[135:138], v130 offset:624
	buffer_load_dword v164, off, s[0:3], 0 offset:212
	s_mov_b32 s4, exec_lo
	s_waitcnt vmcnt(28) lgkmcnt(1)
	v_fma_f64 v[131:132], v[139:140], v[131:132], 0
	s_clause 0x7
	buffer_load_dword v140, off, s[0:3], 0 offset:220
	buffer_load_dword v169, off, s[0:3], 0 offset:240
	buffer_load_dword v171, off, s[0:3], 0 offset:232
	buffer_load_dword v173, off, s[0:3], 0 offset:224
	buffer_load_dword v139, off, s[0:3], 0 offset:216
	buffer_load_dword v174, off, s[0:3], 0 offset:228
	buffer_load_dword v172, off, s[0:3], 0 offset:236
	buffer_load_dword v170, off, s[0:3], 0 offset:244
	s_waitcnt vmcnt(34)
	v_fma_f64 v[131:132], v[141:142], v[133:134], v[131:132]
	s_waitcnt vmcnt(32) lgkmcnt(0)
	v_fma_f64 v[131:132], v[143:144], v[135:136], v[131:132]
	s_waitcnt vmcnt(30)
	v_fma_f64 v[141:142], v[145:146], v[137:138], v[131:132]
	ds_read_b128 v[131:134], v130 offset:640
	ds_read_b128 v[135:138], v130 offset:656
	s_waitcnt vmcnt(28) lgkmcnt(1)
	v_fma_f64 v[131:132], v[147:148], v[131:132], v[141:142]
	s_clause 0x7
	buffer_load_dword v142, off, s[0:3], 0 offset:252
	buffer_load_dword v143, off, s[0:3], 0 offset:272
	buffer_load_dword v145, off, s[0:3], 0 offset:264
	buffer_load_dword v147, off, s[0:3], 0 offset:256
	buffer_load_dword v141, off, s[0:3], 0 offset:248
	buffer_load_dword v148, off, s[0:3], 0 offset:260
	buffer_load_dword v146, off, s[0:3], 0 offset:268
	buffer_load_dword v144, off, s[0:3], 0 offset:276
	s_waitcnt vmcnt(34)
	v_fma_f64 v[131:132], v[149:150], v[133:134], v[131:132]
	s_waitcnt vmcnt(32) lgkmcnt(0)
	v_fma_f64 v[131:132], v[151:152], v[135:136], v[131:132]
	s_waitcnt vmcnt(27)
	v_fma_f64 v[149:150], v[153:154], v[137:138], v[131:132]
	ds_read_b128 v[131:134], v130 offset:672
	ds_read_b128 v[135:138], v130 offset:688
	;; [unrolled: 19-line block ×9, first 2 shown]
	s_waitcnt vmcnt(26) lgkmcnt(1)
	v_fma_f64 v[131:132], v[171:172], v[131:132], v[141:142]
	s_clause 0x3
	buffer_load_dword v142, off, s[0:3], 0 offset:508
	buffer_load_dword v141, off, s[0:3], 0 offset:504
	;; [unrolled: 1-line block ×4, first 2 shown]
	s_waitcnt vmcnt(29)
	v_fma_f64 v[131:132], v[169:170], v[133:134], v[131:132]
	s_waitcnt vmcnt(28) lgkmcnt(0)
	v_fma_f64 v[131:132], v[147:148], v[135:136], v[131:132]
	s_waitcnt vmcnt(23)
	v_fma_f64 v[143:144], v[143:144], v[137:138], v[131:132]
	ds_read_b128 v[131:134], v130 offset:928
	ds_read_b128 v[135:138], v130 offset:944
	s_waitcnt vmcnt(22) lgkmcnt(1)
	v_fma_f64 v[131:132], v[159:160], v[131:132], v[143:144]
	s_waitcnt vmcnt(21)
	v_fma_f64 v[131:132], v[149:150], v[133:134], v[131:132]
	s_waitcnt vmcnt(20) lgkmcnt(0)
	v_fma_f64 v[131:132], v[145:146], v[135:136], v[131:132]
	s_waitcnt vmcnt(15)
	v_fma_f64 v[143:144], v[151:152], v[137:138], v[131:132]
	ds_read_b128 v[131:134], v130 offset:960
	ds_read_b128 v[135:138], v130 offset:976
	s_waitcnt vmcnt(14) lgkmcnt(1)
	v_fma_f64 v[131:132], v[167:168], v[131:132], v[143:144]
	;; [unrolled: 10-line block ×3, first 2 shown]
	s_waitcnt vmcnt(5)
	v_fma_f64 v[130:131], v[161:162], v[133:134], v[130:131]
	s_waitcnt vmcnt(4) lgkmcnt(0)
	v_fma_f64 v[130:131], v[157:158], v[135:136], v[130:131]
	s_waitcnt vmcnt(2)
	v_fma_f64 v[130:131], v[141:142], v[137:138], v[130:131]
	s_waitcnt vmcnt(0)
	v_add_f64 v[130:131], v[163:164], -v[130:131]
	buffer_store_dword v131, off, s[0:3], 0 offset:92
	buffer_store_dword v130, off, s[0:3], 0 offset:88
	v_cmpx_lt_u32_e32 10, v0
	s_cbranch_execz .LBB127_373
; %bb.372:
	s_clause 0x1
	buffer_load_dword v130, off, s[0:3], 0 offset:80
	buffer_load_dword v131, off, s[0:3], 0 offset:84
	v_mov_b32_e32 v132, 0
	buffer_store_dword v132, off, s[0:3], 0 offset:80
	buffer_store_dword v132, off, s[0:3], 0 offset:84
	s_waitcnt vmcnt(0)
	ds_write_b64 v129, v[130:131]
.LBB127_373:
	s_or_b32 exec_lo, exec_lo, s4
	s_waitcnt lgkmcnt(0)
	s_waitcnt_vscnt null, 0x0
	s_barrier
	buffer_gl0_inv
	s_clause 0x1c
	buffer_load_dword v139, off, s[0:3], 0 offset:88
	buffer_load_dword v140, off, s[0:3], 0 offset:92
	;; [unrolled: 1-line block ×29, first 2 shown]
	v_mov_b32_e32 v130, 0
	buffer_load_dword v164, off, s[0:3], 0 offset:204
	s_mov_b32 s4, exec_lo
	ds_read2_b64 v[131:134], v130 offset0:75 offset1:76
	ds_read2_b64 v[135:138], v130 offset0:77 offset1:78
	s_waitcnt vmcnt(28) lgkmcnt(1)
	v_fma_f64 v[131:132], v[139:140], v[131:132], 0
	s_clause 0x7
	buffer_load_dword v140, off, s[0:3], 0 offset:212
	buffer_load_dword v169, off, s[0:3], 0 offset:232
	buffer_load_dword v171, off, s[0:3], 0 offset:224
	buffer_load_dword v173, off, s[0:3], 0 offset:216
	buffer_load_dword v139, off, s[0:3], 0 offset:208
	buffer_load_dword v174, off, s[0:3], 0 offset:220
	buffer_load_dword v172, off, s[0:3], 0 offset:228
	buffer_load_dword v170, off, s[0:3], 0 offset:236
	s_waitcnt vmcnt(34)
	v_fma_f64 v[131:132], v[141:142], v[133:134], v[131:132]
	s_waitcnt vmcnt(32) lgkmcnt(0)
	v_fma_f64 v[131:132], v[143:144], v[135:136], v[131:132]
	s_waitcnt vmcnt(30)
	v_fma_f64 v[141:142], v[145:146], v[137:138], v[131:132]
	ds_read2_b64 v[131:134], v130 offset0:79 offset1:80
	ds_read2_b64 v[135:138], v130 offset0:81 offset1:82
	s_waitcnt vmcnt(28) lgkmcnt(1)
	v_fma_f64 v[131:132], v[147:148], v[131:132], v[141:142]
	s_clause 0x7
	buffer_load_dword v142, off, s[0:3], 0 offset:244
	buffer_load_dword v143, off, s[0:3], 0 offset:264
	buffer_load_dword v145, off, s[0:3], 0 offset:256
	buffer_load_dword v147, off, s[0:3], 0 offset:248
	buffer_load_dword v141, off, s[0:3], 0 offset:240
	buffer_load_dword v148, off, s[0:3], 0 offset:252
	buffer_load_dword v146, off, s[0:3], 0 offset:260
	buffer_load_dword v144, off, s[0:3], 0 offset:268
	s_waitcnt vmcnt(34)
	v_fma_f64 v[131:132], v[149:150], v[133:134], v[131:132]
	s_waitcnt vmcnt(32) lgkmcnt(0)
	v_fma_f64 v[131:132], v[151:152], v[135:136], v[131:132]
	s_waitcnt vmcnt(27)
	v_fma_f64 v[149:150], v[153:154], v[137:138], v[131:132]
	;; [unrolled: 19-line block ×9, first 2 shown]
	ds_read2_b64 v[131:134], v130 offset0:111 offset1:112
	ds_read2_b64 v[135:138], v130 offset0:113 offset1:114
	s_waitcnt vmcnt(26) lgkmcnt(1)
	v_fma_f64 v[131:132], v[171:172], v[131:132], v[141:142]
	s_clause 0x3
	buffer_load_dword v142, off, s[0:3], 0 offset:500
	buffer_load_dword v163, off, s[0:3], 0 offset:504
	;; [unrolled: 1-line block ×4, first 2 shown]
	s_waitcnt vmcnt(29)
	v_fma_f64 v[131:132], v[169:170], v[133:134], v[131:132]
	s_waitcnt vmcnt(28) lgkmcnt(0)
	v_fma_f64 v[131:132], v[147:148], v[135:136], v[131:132]
	s_clause 0x1
	buffer_load_dword v147, off, s[0:3], 0 offset:80
	buffer_load_dword v148, off, s[0:3], 0 offset:84
	s_waitcnt vmcnt(25)
	v_fma_f64 v[143:144], v[143:144], v[137:138], v[131:132]
	ds_read2_b64 v[131:134], v130 offset0:115 offset1:116
	ds_read2_b64 v[135:138], v130 offset0:117 offset1:118
	s_waitcnt vmcnt(24) lgkmcnt(1)
	v_fma_f64 v[131:132], v[159:160], v[131:132], v[143:144]
	s_waitcnt vmcnt(23)
	v_fma_f64 v[131:132], v[149:150], v[133:134], v[131:132]
	s_waitcnt vmcnt(22) lgkmcnt(0)
	v_fma_f64 v[131:132], v[145:146], v[135:136], v[131:132]
	s_waitcnt vmcnt(17)
	v_fma_f64 v[143:144], v[151:152], v[137:138], v[131:132]
	ds_read2_b64 v[131:134], v130 offset0:119 offset1:120
	ds_read2_b64 v[135:138], v130 offset0:121 offset1:122
	s_waitcnt vmcnt(16) lgkmcnt(1)
	v_fma_f64 v[131:132], v[167:168], v[131:132], v[143:144]
	s_waitcnt vmcnt(15)
	v_fma_f64 v[131:132], v[155:156], v[133:134], v[131:132]
	s_waitcnt vmcnt(14) lgkmcnt(0)
	v_fma_f64 v[131:132], v[153:154], v[135:136], v[131:132]
	s_waitcnt vmcnt(9)
	v_fma_f64 v[139:140], v[139:140], v[137:138], v[131:132]
	ds_read2_b64 v[131:134], v130 offset0:123 offset1:124
	ds_read2_b64 v[135:138], v130 offset0:125 offset1:126
	s_waitcnt vmcnt(8) lgkmcnt(1)
	v_fma_f64 v[131:132], v[173:174], v[131:132], v[139:140]
	s_waitcnt vmcnt(7)
	v_fma_f64 v[131:132], v[161:162], v[133:134], v[131:132]
	ds_read_b64 v[133:134], v130 offset:1016
	s_waitcnt vmcnt(6) lgkmcnt(1)
	v_fma_f64 v[131:132], v[157:158], v[135:136], v[131:132]
	s_waitcnt vmcnt(3)
	v_fma_f64 v[131:132], v[141:142], v[137:138], v[131:132]
	s_waitcnt vmcnt(2) lgkmcnt(0)
	v_fma_f64 v[131:132], v[163:164], v[133:134], v[131:132]
	s_waitcnt vmcnt(0)
	v_add_f64 v[131:132], v[147:148], -v[131:132]
	buffer_store_dword v132, off, s[0:3], 0 offset:84
	buffer_store_dword v131, off, s[0:3], 0 offset:80
	v_cmpx_lt_u32_e32 9, v0
	s_cbranch_execz .LBB127_375
; %bb.374:
	s_clause 0x1
	buffer_load_dword v131, off, s[0:3], 0 offset:72
	buffer_load_dword v132, off, s[0:3], 0 offset:76
	buffer_store_dword v130, off, s[0:3], 0 offset:72
	buffer_store_dword v130, off, s[0:3], 0 offset:76
	s_waitcnt vmcnt(0)
	ds_write_b64 v129, v[131:132]
.LBB127_375:
	s_or_b32 exec_lo, exec_lo, s4
	s_waitcnt lgkmcnt(0)
	s_waitcnt_vscnt null, 0x0
	s_barrier
	buffer_gl0_inv
	s_clause 0x1c
	buffer_load_dword v139, off, s[0:3], 0 offset:80
	buffer_load_dword v140, off, s[0:3], 0 offset:84
	;; [unrolled: 1-line block ×29, first 2 shown]
	ds_read_b128 v[131:134], v130 offset:592
	ds_read_b128 v[135:138], v130 offset:608
	buffer_load_dword v164, off, s[0:3], 0 offset:196
	s_mov_b32 s4, exec_lo
	s_waitcnt vmcnt(28) lgkmcnt(1)
	v_fma_f64 v[131:132], v[139:140], v[131:132], 0
	s_clause 0x7
	buffer_load_dword v140, off, s[0:3], 0 offset:204
	buffer_load_dword v169, off, s[0:3], 0 offset:224
	buffer_load_dword v171, off, s[0:3], 0 offset:216
	buffer_load_dword v173, off, s[0:3], 0 offset:208
	buffer_load_dword v139, off, s[0:3], 0 offset:200
	buffer_load_dword v174, off, s[0:3], 0 offset:212
	buffer_load_dword v172, off, s[0:3], 0 offset:220
	buffer_load_dword v170, off, s[0:3], 0 offset:228
	s_waitcnt vmcnt(34)
	v_fma_f64 v[131:132], v[141:142], v[133:134], v[131:132]
	s_waitcnt vmcnt(32) lgkmcnt(0)
	v_fma_f64 v[131:132], v[143:144], v[135:136], v[131:132]
	s_waitcnt vmcnt(30)
	v_fma_f64 v[141:142], v[145:146], v[137:138], v[131:132]
	ds_read_b128 v[131:134], v130 offset:624
	ds_read_b128 v[135:138], v130 offset:640
	s_waitcnt vmcnt(28) lgkmcnt(1)
	v_fma_f64 v[131:132], v[147:148], v[131:132], v[141:142]
	s_clause 0x7
	buffer_load_dword v142, off, s[0:3], 0 offset:236
	buffer_load_dword v143, off, s[0:3], 0 offset:256
	buffer_load_dword v145, off, s[0:3], 0 offset:248
	buffer_load_dword v147, off, s[0:3], 0 offset:240
	buffer_load_dword v141, off, s[0:3], 0 offset:232
	buffer_load_dword v148, off, s[0:3], 0 offset:244
	buffer_load_dword v146, off, s[0:3], 0 offset:252
	buffer_load_dword v144, off, s[0:3], 0 offset:260
	s_waitcnt vmcnt(34)
	v_fma_f64 v[131:132], v[149:150], v[133:134], v[131:132]
	s_waitcnt vmcnt(32) lgkmcnt(0)
	v_fma_f64 v[131:132], v[151:152], v[135:136], v[131:132]
	s_waitcnt vmcnt(27)
	v_fma_f64 v[149:150], v[153:154], v[137:138], v[131:132]
	ds_read_b128 v[131:134], v130 offset:656
	ds_read_b128 v[135:138], v130 offset:672
	;; [unrolled: 19-line block ×9, first 2 shown]
	s_waitcnt vmcnt(26) lgkmcnt(1)
	v_fma_f64 v[131:132], v[171:172], v[131:132], v[141:142]
	s_clause 0x5
	buffer_load_dword v142, off, s[0:3], 0 offset:492
	buffer_load_dword v163, off, s[0:3], 0 offset:504
	;; [unrolled: 1-line block ×6, first 2 shown]
	s_waitcnt vmcnt(31)
	v_fma_f64 v[131:132], v[169:170], v[133:134], v[131:132]
	s_waitcnt vmcnt(30) lgkmcnt(0)
	v_fma_f64 v[131:132], v[147:148], v[135:136], v[131:132]
	s_waitcnt vmcnt(25)
	v_fma_f64 v[143:144], v[143:144], v[137:138], v[131:132]
	ds_read_b128 v[131:134], v130 offset:912
	s_clause 0x1
	buffer_load_dword v147, off, s[0:3], 0 offset:72
	buffer_load_dword v148, off, s[0:3], 0 offset:76
	ds_read_b128 v[135:138], v130 offset:928
	s_waitcnt vmcnt(26) lgkmcnt(1)
	v_fma_f64 v[131:132], v[159:160], v[131:132], v[143:144]
	s_waitcnt vmcnt(25)
	v_fma_f64 v[131:132], v[149:150], v[133:134], v[131:132]
	s_waitcnt vmcnt(24) lgkmcnt(0)
	v_fma_f64 v[131:132], v[145:146], v[135:136], v[131:132]
	s_waitcnt vmcnt(19)
	v_fma_f64 v[143:144], v[151:152], v[137:138], v[131:132]
	ds_read_b128 v[131:134], v130 offset:944
	ds_read_b128 v[135:138], v130 offset:960
	s_waitcnt vmcnt(18) lgkmcnt(1)
	v_fma_f64 v[131:132], v[167:168], v[131:132], v[143:144]
	s_waitcnt vmcnt(17)
	v_fma_f64 v[131:132], v[155:156], v[133:134], v[131:132]
	s_waitcnt vmcnt(16) lgkmcnt(0)
	v_fma_f64 v[131:132], v[153:154], v[135:136], v[131:132]
	s_waitcnt vmcnt(11)
	v_fma_f64 v[139:140], v[139:140], v[137:138], v[131:132]
	ds_read_b128 v[131:134], v130 offset:976
	;; [unrolled: 10-line block ×3, first 2 shown]
	s_waitcnt vmcnt(3) lgkmcnt(0)
	v_fma_f64 v[130:131], v[165:166], v[130:131], v[134:135]
	s_waitcnt vmcnt(2)
	v_fma_f64 v[130:131], v[163:164], v[132:133], v[130:131]
	s_waitcnt vmcnt(0)
	v_add_f64 v[130:131], v[147:148], -v[130:131]
	buffer_store_dword v131, off, s[0:3], 0 offset:76
	buffer_store_dword v130, off, s[0:3], 0 offset:72
	v_cmpx_lt_u32_e32 8, v0
	s_cbranch_execz .LBB127_377
; %bb.376:
	s_clause 0x1
	buffer_load_dword v130, off, s[0:3], 0 offset:64
	buffer_load_dword v131, off, s[0:3], 0 offset:68
	v_mov_b32_e32 v132, 0
	buffer_store_dword v132, off, s[0:3], 0 offset:64
	buffer_store_dword v132, off, s[0:3], 0 offset:68
	s_waitcnt vmcnt(0)
	ds_write_b64 v129, v[130:131]
.LBB127_377:
	s_or_b32 exec_lo, exec_lo, s4
	s_waitcnt lgkmcnt(0)
	s_waitcnt_vscnt null, 0x0
	s_barrier
	buffer_gl0_inv
	s_clause 0x1c
	buffer_load_dword v139, off, s[0:3], 0 offset:72
	buffer_load_dword v140, off, s[0:3], 0 offset:76
	;; [unrolled: 1-line block ×29, first 2 shown]
	v_mov_b32_e32 v130, 0
	buffer_load_dword v164, off, s[0:3], 0 offset:188
	s_mov_b32 s4, exec_lo
	ds_read2_b64 v[131:134], v130 offset0:73 offset1:74
	ds_read2_b64 v[135:138], v130 offset0:75 offset1:76
	s_waitcnt vmcnt(28) lgkmcnt(1)
	v_fma_f64 v[131:132], v[139:140], v[131:132], 0
	s_clause 0x7
	buffer_load_dword v140, off, s[0:3], 0 offset:196
	buffer_load_dword v169, off, s[0:3], 0 offset:216
	buffer_load_dword v171, off, s[0:3], 0 offset:208
	buffer_load_dword v173, off, s[0:3], 0 offset:200
	buffer_load_dword v139, off, s[0:3], 0 offset:192
	buffer_load_dword v174, off, s[0:3], 0 offset:204
	buffer_load_dword v172, off, s[0:3], 0 offset:212
	buffer_load_dword v170, off, s[0:3], 0 offset:220
	s_waitcnt vmcnt(34)
	v_fma_f64 v[131:132], v[141:142], v[133:134], v[131:132]
	s_waitcnt vmcnt(32) lgkmcnt(0)
	v_fma_f64 v[131:132], v[143:144], v[135:136], v[131:132]
	s_waitcnt vmcnt(30)
	v_fma_f64 v[141:142], v[145:146], v[137:138], v[131:132]
	ds_read2_b64 v[131:134], v130 offset0:77 offset1:78
	ds_read2_b64 v[135:138], v130 offset0:79 offset1:80
	s_waitcnt vmcnt(28) lgkmcnt(1)
	v_fma_f64 v[131:132], v[147:148], v[131:132], v[141:142]
	s_clause 0x7
	buffer_load_dword v142, off, s[0:3], 0 offset:228
	buffer_load_dword v143, off, s[0:3], 0 offset:248
	buffer_load_dword v145, off, s[0:3], 0 offset:240
	buffer_load_dword v147, off, s[0:3], 0 offset:232
	buffer_load_dword v141, off, s[0:3], 0 offset:224
	buffer_load_dword v148, off, s[0:3], 0 offset:236
	buffer_load_dword v146, off, s[0:3], 0 offset:244
	buffer_load_dword v144, off, s[0:3], 0 offset:252
	s_waitcnt vmcnt(34)
	v_fma_f64 v[131:132], v[149:150], v[133:134], v[131:132]
	s_waitcnt vmcnt(32) lgkmcnt(0)
	v_fma_f64 v[131:132], v[151:152], v[135:136], v[131:132]
	s_waitcnt vmcnt(27)
	v_fma_f64 v[149:150], v[153:154], v[137:138], v[131:132]
	;; [unrolled: 19-line block ×10, first 2 shown]
	ds_read2_b64 v[131:134], v130 offset0:113 offset1:114
	ds_read2_b64 v[135:138], v130 offset0:115 offset1:116
	s_waitcnt vmcnt(26) lgkmcnt(1)
	v_fma_f64 v[131:132], v[159:160], v[131:132], v[143:144]
	s_clause 0x1
	buffer_load_dword v143, off, s[0:3], 0 offset:64
	buffer_load_dword v144, off, s[0:3], 0 offset:68
	s_waitcnt vmcnt(27)
	v_fma_f64 v[131:132], v[149:150], v[133:134], v[131:132]
	s_waitcnt vmcnt(26) lgkmcnt(0)
	v_fma_f64 v[131:132], v[145:146], v[135:136], v[131:132]
	s_waitcnt vmcnt(21)
	v_fma_f64 v[145:146], v[151:152], v[137:138], v[131:132]
	ds_read2_b64 v[131:134], v130 offset0:117 offset1:118
	ds_read2_b64 v[135:138], v130 offset0:119 offset1:120
	s_waitcnt vmcnt(20) lgkmcnt(1)
	v_fma_f64 v[131:132], v[167:168], v[131:132], v[145:146]
	s_waitcnt vmcnt(19)
	v_fma_f64 v[131:132], v[155:156], v[133:134], v[131:132]
	s_waitcnt vmcnt(18) lgkmcnt(0)
	v_fma_f64 v[131:132], v[153:154], v[135:136], v[131:132]
	s_waitcnt vmcnt(13)
	v_fma_f64 v[139:140], v[139:140], v[137:138], v[131:132]
	ds_read2_b64 v[131:134], v130 offset0:121 offset1:122
	ds_read2_b64 v[135:138], v130 offset0:123 offset1:124
	s_waitcnt vmcnt(12) lgkmcnt(1)
	v_fma_f64 v[131:132], v[173:174], v[131:132], v[139:140]
	s_waitcnt vmcnt(11)
	v_fma_f64 v[131:132], v[161:162], v[133:134], v[131:132]
	s_waitcnt vmcnt(10) lgkmcnt(0)
	v_fma_f64 v[131:132], v[157:158], v[135:136], v[131:132]
	s_waitcnt vmcnt(5)
	v_fma_f64 v[135:136], v[141:142], v[137:138], v[131:132]
	ds_read2_b64 v[131:134], v130 offset0:125 offset1:126
	ds_read_b64 v[137:138], v130 offset:1016
	s_waitcnt vmcnt(4) lgkmcnt(1)
	v_fma_f64 v[131:132], v[171:172], v[131:132], v[135:136]
	s_waitcnt vmcnt(3)
	v_fma_f64 v[131:132], v[165:166], v[133:134], v[131:132]
	s_waitcnt vmcnt(2) lgkmcnt(0)
	v_fma_f64 v[131:132], v[163:164], v[137:138], v[131:132]
	s_waitcnt vmcnt(0)
	v_add_f64 v[131:132], v[143:144], -v[131:132]
	buffer_store_dword v132, off, s[0:3], 0 offset:68
	buffer_store_dword v131, off, s[0:3], 0 offset:64
	v_cmpx_lt_u32_e32 7, v0
	s_cbranch_execz .LBB127_379
; %bb.378:
	s_clause 0x1
	buffer_load_dword v131, off, s[0:3], 0 offset:56
	buffer_load_dword v132, off, s[0:3], 0 offset:60
	buffer_store_dword v130, off, s[0:3], 0 offset:56
	buffer_store_dword v130, off, s[0:3], 0 offset:60
	s_waitcnt vmcnt(0)
	ds_write_b64 v129, v[131:132]
.LBB127_379:
	s_or_b32 exec_lo, exec_lo, s4
	s_waitcnt lgkmcnt(0)
	s_waitcnt_vscnt null, 0x0
	s_barrier
	buffer_gl0_inv
	s_clause 0x1c
	buffer_load_dword v139, off, s[0:3], 0 offset:64
	buffer_load_dword v140, off, s[0:3], 0 offset:68
	buffer_load_dword v141, off, s[0:3], 0 offset:72
	buffer_load_dword v142, off, s[0:3], 0 offset:76
	buffer_load_dword v143, off, s[0:3], 0 offset:80
	buffer_load_dword v144, off, s[0:3], 0 offset:84
	buffer_load_dword v145, off, s[0:3], 0 offset:88
	buffer_load_dword v146, off, s[0:3], 0 offset:92
	buffer_load_dword v147, off, s[0:3], 0 offset:96
	buffer_load_dword v148, off, s[0:3], 0 offset:100
	buffer_load_dword v149, off, s[0:3], 0 offset:104
	buffer_load_dword v150, off, s[0:3], 0 offset:108
	buffer_load_dword v151, off, s[0:3], 0 offset:112
	buffer_load_dword v152, off, s[0:3], 0 offset:116
	buffer_load_dword v154, off, s[0:3], 0 offset:124
	buffer_load_dword v155, off, s[0:3], 0 offset:144
	buffer_load_dword v157, off, s[0:3], 0 offset:136
	buffer_load_dword v159, off, s[0:3], 0 offset:128
	buffer_load_dword v153, off, s[0:3], 0 offset:120
	buffer_load_dword v160, off, s[0:3], 0 offset:132
	buffer_load_dword v158, off, s[0:3], 0 offset:140
	buffer_load_dword v156, off, s[0:3], 0 offset:148
	buffer_load_dword v162, off, s[0:3], 0 offset:156
	buffer_load_dword v163, off, s[0:3], 0 offset:176
	buffer_load_dword v165, off, s[0:3], 0 offset:168
	buffer_load_dword v167, off, s[0:3], 0 offset:160
	buffer_load_dword v161, off, s[0:3], 0 offset:152
	buffer_load_dword v168, off, s[0:3], 0 offset:164
	buffer_load_dword v166, off, s[0:3], 0 offset:172
	ds_read_b128 v[131:134], v130 offset:576
	ds_read_b128 v[135:138], v130 offset:592
	buffer_load_dword v164, off, s[0:3], 0 offset:180
	s_mov_b32 s4, exec_lo
	s_waitcnt vmcnt(28) lgkmcnt(1)
	v_fma_f64 v[131:132], v[139:140], v[131:132], 0
	s_clause 0x7
	buffer_load_dword v140, off, s[0:3], 0 offset:188
	buffer_load_dword v169, off, s[0:3], 0 offset:208
	buffer_load_dword v171, off, s[0:3], 0 offset:200
	buffer_load_dword v173, off, s[0:3], 0 offset:192
	buffer_load_dword v139, off, s[0:3], 0 offset:184
	buffer_load_dword v174, off, s[0:3], 0 offset:196
	buffer_load_dword v172, off, s[0:3], 0 offset:204
	buffer_load_dword v170, off, s[0:3], 0 offset:212
	s_waitcnt vmcnt(34)
	v_fma_f64 v[131:132], v[141:142], v[133:134], v[131:132]
	s_waitcnt vmcnt(32) lgkmcnt(0)
	v_fma_f64 v[131:132], v[143:144], v[135:136], v[131:132]
	s_waitcnt vmcnt(30)
	v_fma_f64 v[141:142], v[145:146], v[137:138], v[131:132]
	ds_read_b128 v[131:134], v130 offset:608
	ds_read_b128 v[135:138], v130 offset:624
	s_waitcnt vmcnt(28) lgkmcnt(1)
	v_fma_f64 v[131:132], v[147:148], v[131:132], v[141:142]
	s_clause 0x7
	buffer_load_dword v142, off, s[0:3], 0 offset:220
	buffer_load_dword v143, off, s[0:3], 0 offset:240
	buffer_load_dword v145, off, s[0:3], 0 offset:232
	buffer_load_dword v147, off, s[0:3], 0 offset:224
	buffer_load_dword v141, off, s[0:3], 0 offset:216
	buffer_load_dword v148, off, s[0:3], 0 offset:228
	buffer_load_dword v146, off, s[0:3], 0 offset:236
	buffer_load_dword v144, off, s[0:3], 0 offset:244
	s_waitcnt vmcnt(34)
	v_fma_f64 v[131:132], v[149:150], v[133:134], v[131:132]
	s_waitcnt vmcnt(32) lgkmcnt(0)
	v_fma_f64 v[131:132], v[151:152], v[135:136], v[131:132]
	s_waitcnt vmcnt(27)
	v_fma_f64 v[149:150], v[153:154], v[137:138], v[131:132]
	ds_read_b128 v[131:134], v130 offset:640
	ds_read_b128 v[135:138], v130 offset:656
	;; [unrolled: 19-line block ×10, first 2 shown]
	s_waitcnt vmcnt(26) lgkmcnt(1)
	v_fma_f64 v[131:132], v[159:160], v[131:132], v[143:144]
	s_clause 0x3
	buffer_load_dword v144, off, s[0:3], 0 offset:508
	buffer_load_dword v143, off, s[0:3], 0 offset:504
	;; [unrolled: 1-line block ×4, first 2 shown]
	s_waitcnt vmcnt(29)
	v_fma_f64 v[131:132], v[149:150], v[133:134], v[131:132]
	s_waitcnt vmcnt(28) lgkmcnt(0)
	v_fma_f64 v[131:132], v[145:146], v[135:136], v[131:132]
	s_waitcnt vmcnt(23)
	v_fma_f64 v[145:146], v[151:152], v[137:138], v[131:132]
	ds_read_b128 v[131:134], v130 offset:928
	ds_read_b128 v[135:138], v130 offset:944
	s_waitcnt vmcnt(22) lgkmcnt(1)
	v_fma_f64 v[131:132], v[167:168], v[131:132], v[145:146]
	s_waitcnt vmcnt(21)
	v_fma_f64 v[131:132], v[155:156], v[133:134], v[131:132]
	s_waitcnt vmcnt(20) lgkmcnt(0)
	v_fma_f64 v[131:132], v[153:154], v[135:136], v[131:132]
	s_waitcnt vmcnt(15)
	v_fma_f64 v[139:140], v[139:140], v[137:138], v[131:132]
	ds_read_b128 v[131:134], v130 offset:960
	ds_read_b128 v[135:138], v130 offset:976
	s_waitcnt vmcnt(14) lgkmcnt(1)
	v_fma_f64 v[131:132], v[173:174], v[131:132], v[139:140]
	;; [unrolled: 10-line block ×3, first 2 shown]
	s_waitcnt vmcnt(5)
	v_fma_f64 v[130:131], v[165:166], v[133:134], v[130:131]
	s_waitcnt vmcnt(4) lgkmcnt(0)
	v_fma_f64 v[130:131], v[163:164], v[135:136], v[130:131]
	s_waitcnt vmcnt(2)
	v_fma_f64 v[130:131], v[143:144], v[137:138], v[130:131]
	s_waitcnt vmcnt(0)
	v_add_f64 v[130:131], v[147:148], -v[130:131]
	buffer_store_dword v131, off, s[0:3], 0 offset:60
	buffer_store_dword v130, off, s[0:3], 0 offset:56
	v_cmpx_lt_u32_e32 6, v0
	s_cbranch_execz .LBB127_381
; %bb.380:
	s_clause 0x1
	buffer_load_dword v130, off, s[0:3], 0 offset:48
	buffer_load_dword v131, off, s[0:3], 0 offset:52
	v_mov_b32_e32 v132, 0
	buffer_store_dword v132, off, s[0:3], 0 offset:48
	buffer_store_dword v132, off, s[0:3], 0 offset:52
	s_waitcnt vmcnt(0)
	ds_write_b64 v129, v[130:131]
.LBB127_381:
	s_or_b32 exec_lo, exec_lo, s4
	s_waitcnt lgkmcnt(0)
	s_waitcnt_vscnt null, 0x0
	s_barrier
	buffer_gl0_inv
	s_clause 0x1c
	buffer_load_dword v139, off, s[0:3], 0 offset:56
	buffer_load_dword v140, off, s[0:3], 0 offset:60
	;; [unrolled: 1-line block ×29, first 2 shown]
	v_mov_b32_e32 v130, 0
	buffer_load_dword v164, off, s[0:3], 0 offset:172
	s_mov_b32 s4, exec_lo
	ds_read2_b64 v[131:134], v130 offset0:71 offset1:72
	ds_read2_b64 v[135:138], v130 offset0:73 offset1:74
	s_waitcnt vmcnt(28) lgkmcnt(1)
	v_fma_f64 v[131:132], v[139:140], v[131:132], 0
	s_clause 0x7
	buffer_load_dword v140, off, s[0:3], 0 offset:180
	buffer_load_dword v169, off, s[0:3], 0 offset:200
	buffer_load_dword v171, off, s[0:3], 0 offset:192
	buffer_load_dword v173, off, s[0:3], 0 offset:184
	buffer_load_dword v139, off, s[0:3], 0 offset:176
	buffer_load_dword v174, off, s[0:3], 0 offset:188
	buffer_load_dword v172, off, s[0:3], 0 offset:196
	buffer_load_dword v170, off, s[0:3], 0 offset:204
	s_waitcnt vmcnt(34)
	v_fma_f64 v[131:132], v[141:142], v[133:134], v[131:132]
	s_waitcnt vmcnt(32) lgkmcnt(0)
	v_fma_f64 v[131:132], v[143:144], v[135:136], v[131:132]
	s_waitcnt vmcnt(30)
	v_fma_f64 v[141:142], v[145:146], v[137:138], v[131:132]
	ds_read2_b64 v[131:134], v130 offset0:75 offset1:76
	ds_read2_b64 v[135:138], v130 offset0:77 offset1:78
	s_waitcnt vmcnt(28) lgkmcnt(1)
	v_fma_f64 v[131:132], v[147:148], v[131:132], v[141:142]
	s_clause 0x7
	buffer_load_dword v142, off, s[0:3], 0 offset:212
	buffer_load_dword v143, off, s[0:3], 0 offset:232
	buffer_load_dword v145, off, s[0:3], 0 offset:224
	buffer_load_dword v147, off, s[0:3], 0 offset:216
	buffer_load_dword v141, off, s[0:3], 0 offset:208
	buffer_load_dword v148, off, s[0:3], 0 offset:220
	buffer_load_dword v146, off, s[0:3], 0 offset:228
	buffer_load_dword v144, off, s[0:3], 0 offset:236
	s_waitcnt vmcnt(34)
	v_fma_f64 v[131:132], v[149:150], v[133:134], v[131:132]
	s_waitcnt vmcnt(32) lgkmcnt(0)
	v_fma_f64 v[131:132], v[151:152], v[135:136], v[131:132]
	s_waitcnt vmcnt(27)
	v_fma_f64 v[149:150], v[153:154], v[137:138], v[131:132]
	;; [unrolled: 19-line block ×10, first 2 shown]
	ds_read2_b64 v[131:134], v130 offset0:111 offset1:112
	ds_read2_b64 v[135:138], v130 offset0:113 offset1:114
	s_waitcnt vmcnt(26) lgkmcnt(1)
	v_fma_f64 v[131:132], v[159:160], v[131:132], v[143:144]
	s_clause 0x3
	buffer_load_dword v144, off, s[0:3], 0 offset:500
	buffer_load_dword v147, off, s[0:3], 0 offset:504
	;; [unrolled: 1-line block ×4, first 2 shown]
	s_waitcnt vmcnt(29)
	v_fma_f64 v[131:132], v[149:150], v[133:134], v[131:132]
	s_waitcnt vmcnt(28) lgkmcnt(0)
	v_fma_f64 v[131:132], v[145:146], v[135:136], v[131:132]
	s_clause 0x1
	buffer_load_dword v145, off, s[0:3], 0 offset:48
	buffer_load_dword v146, off, s[0:3], 0 offset:52
	s_waitcnt vmcnt(25)
	v_fma_f64 v[149:150], v[151:152], v[137:138], v[131:132]
	ds_read2_b64 v[131:134], v130 offset0:115 offset1:116
	ds_read2_b64 v[135:138], v130 offset0:117 offset1:118
	s_waitcnt vmcnt(24) lgkmcnt(1)
	v_fma_f64 v[131:132], v[167:168], v[131:132], v[149:150]
	s_waitcnt vmcnt(23)
	v_fma_f64 v[131:132], v[155:156], v[133:134], v[131:132]
	s_waitcnt vmcnt(22) lgkmcnt(0)
	v_fma_f64 v[131:132], v[153:154], v[135:136], v[131:132]
	s_waitcnt vmcnt(17)
	v_fma_f64 v[139:140], v[139:140], v[137:138], v[131:132]
	ds_read2_b64 v[131:134], v130 offset0:119 offset1:120
	ds_read2_b64 v[135:138], v130 offset0:121 offset1:122
	s_waitcnt vmcnt(16) lgkmcnt(1)
	v_fma_f64 v[131:132], v[173:174], v[131:132], v[139:140]
	s_waitcnt vmcnt(15)
	v_fma_f64 v[131:132], v[161:162], v[133:134], v[131:132]
	s_waitcnt vmcnt(14) lgkmcnt(0)
	v_fma_f64 v[131:132], v[157:158], v[135:136], v[131:132]
	s_waitcnt vmcnt(9)
	v_fma_f64 v[139:140], v[141:142], v[137:138], v[131:132]
	ds_read2_b64 v[131:134], v130 offset0:123 offset1:124
	ds_read2_b64 v[135:138], v130 offset0:125 offset1:126
	s_waitcnt vmcnt(8) lgkmcnt(1)
	v_fma_f64 v[131:132], v[171:172], v[131:132], v[139:140]
	s_waitcnt vmcnt(7)
	v_fma_f64 v[131:132], v[165:166], v[133:134], v[131:132]
	ds_read_b64 v[133:134], v130 offset:1016
	s_waitcnt vmcnt(6) lgkmcnt(1)
	v_fma_f64 v[131:132], v[163:164], v[135:136], v[131:132]
	s_waitcnt vmcnt(3)
	v_fma_f64 v[131:132], v[143:144], v[137:138], v[131:132]
	s_waitcnt vmcnt(2) lgkmcnt(0)
	v_fma_f64 v[131:132], v[147:148], v[133:134], v[131:132]
	s_waitcnt vmcnt(0)
	v_add_f64 v[131:132], v[145:146], -v[131:132]
	buffer_store_dword v132, off, s[0:3], 0 offset:52
	buffer_store_dword v131, off, s[0:3], 0 offset:48
	v_cmpx_lt_u32_e32 5, v0
	s_cbranch_execz .LBB127_383
; %bb.382:
	s_clause 0x1
	buffer_load_dword v131, off, s[0:3], 0 offset:40
	buffer_load_dword v132, off, s[0:3], 0 offset:44
	buffer_store_dword v130, off, s[0:3], 0 offset:40
	buffer_store_dword v130, off, s[0:3], 0 offset:44
	s_waitcnt vmcnt(0)
	ds_write_b64 v129, v[131:132]
.LBB127_383:
	s_or_b32 exec_lo, exec_lo, s4
	s_waitcnt lgkmcnt(0)
	s_waitcnt_vscnt null, 0x0
	s_barrier
	buffer_gl0_inv
	s_clause 0x1c
	buffer_load_dword v139, off, s[0:3], 0 offset:48
	buffer_load_dword v140, off, s[0:3], 0 offset:52
	;; [unrolled: 1-line block ×29, first 2 shown]
	ds_read_b128 v[131:134], v130 offset:560
	ds_read_b128 v[135:138], v130 offset:576
	buffer_load_dword v164, off, s[0:3], 0 offset:164
	s_mov_b32 s4, exec_lo
	s_waitcnt vmcnt(28) lgkmcnt(1)
	v_fma_f64 v[131:132], v[139:140], v[131:132], 0
	s_clause 0x7
	buffer_load_dword v140, off, s[0:3], 0 offset:172
	buffer_load_dword v169, off, s[0:3], 0 offset:192
	buffer_load_dword v171, off, s[0:3], 0 offset:184
	buffer_load_dword v173, off, s[0:3], 0 offset:176
	buffer_load_dword v139, off, s[0:3], 0 offset:168
	buffer_load_dword v174, off, s[0:3], 0 offset:180
	buffer_load_dword v172, off, s[0:3], 0 offset:188
	buffer_load_dword v170, off, s[0:3], 0 offset:196
	s_waitcnt vmcnt(34)
	v_fma_f64 v[131:132], v[141:142], v[133:134], v[131:132]
	s_waitcnt vmcnt(32) lgkmcnt(0)
	v_fma_f64 v[131:132], v[143:144], v[135:136], v[131:132]
	s_waitcnt vmcnt(30)
	v_fma_f64 v[141:142], v[145:146], v[137:138], v[131:132]
	ds_read_b128 v[131:134], v130 offset:592
	ds_read_b128 v[135:138], v130 offset:608
	s_waitcnt vmcnt(28) lgkmcnt(1)
	v_fma_f64 v[131:132], v[147:148], v[131:132], v[141:142]
	s_clause 0x7
	buffer_load_dword v142, off, s[0:3], 0 offset:204
	buffer_load_dword v143, off, s[0:3], 0 offset:224
	buffer_load_dword v145, off, s[0:3], 0 offset:216
	buffer_load_dword v147, off, s[0:3], 0 offset:208
	buffer_load_dword v141, off, s[0:3], 0 offset:200
	buffer_load_dword v148, off, s[0:3], 0 offset:212
	buffer_load_dword v146, off, s[0:3], 0 offset:220
	buffer_load_dword v144, off, s[0:3], 0 offset:228
	s_waitcnt vmcnt(34)
	v_fma_f64 v[131:132], v[149:150], v[133:134], v[131:132]
	s_waitcnt vmcnt(32) lgkmcnt(0)
	v_fma_f64 v[131:132], v[151:152], v[135:136], v[131:132]
	s_waitcnt vmcnt(27)
	v_fma_f64 v[149:150], v[153:154], v[137:138], v[131:132]
	ds_read_b128 v[131:134], v130 offset:624
	ds_read_b128 v[135:138], v130 offset:640
	;; [unrolled: 19-line block ×10, first 2 shown]
	s_waitcnt vmcnt(26) lgkmcnt(1)
	v_fma_f64 v[131:132], v[159:160], v[131:132], v[143:144]
	s_clause 0x5
	buffer_load_dword v144, off, s[0:3], 0 offset:492
	buffer_load_dword v147, off, s[0:3], 0 offset:504
	;; [unrolled: 1-line block ×6, first 2 shown]
	s_waitcnt vmcnt(31)
	v_fma_f64 v[131:132], v[149:150], v[133:134], v[131:132]
	s_waitcnt vmcnt(30) lgkmcnt(0)
	v_fma_f64 v[131:132], v[145:146], v[135:136], v[131:132]
	s_waitcnt vmcnt(25)
	v_fma_f64 v[145:146], v[151:152], v[137:138], v[131:132]
	ds_read_b128 v[131:134], v130 offset:912
	s_clause 0x1
	buffer_load_dword v149, off, s[0:3], 0 offset:40
	buffer_load_dword v150, off, s[0:3], 0 offset:44
	ds_read_b128 v[135:138], v130 offset:928
	s_waitcnt vmcnt(26) lgkmcnt(1)
	v_fma_f64 v[131:132], v[167:168], v[131:132], v[145:146]
	s_waitcnt vmcnt(25)
	v_fma_f64 v[131:132], v[155:156], v[133:134], v[131:132]
	s_waitcnt vmcnt(24) lgkmcnt(0)
	v_fma_f64 v[131:132], v[153:154], v[135:136], v[131:132]
	s_waitcnt vmcnt(19)
	v_fma_f64 v[139:140], v[139:140], v[137:138], v[131:132]
	ds_read_b128 v[131:134], v130 offset:944
	ds_read_b128 v[135:138], v130 offset:960
	s_waitcnt vmcnt(18) lgkmcnt(1)
	v_fma_f64 v[131:132], v[173:174], v[131:132], v[139:140]
	s_waitcnt vmcnt(17)
	v_fma_f64 v[131:132], v[161:162], v[133:134], v[131:132]
	s_waitcnt vmcnt(16) lgkmcnt(0)
	v_fma_f64 v[131:132], v[157:158], v[135:136], v[131:132]
	s_waitcnt vmcnt(11)
	v_fma_f64 v[139:140], v[141:142], v[137:138], v[131:132]
	ds_read_b128 v[131:134], v130 offset:976
	;; [unrolled: 10-line block ×3, first 2 shown]
	s_waitcnt vmcnt(3) lgkmcnt(0)
	v_fma_f64 v[130:131], v[159:160], v[130:131], v[134:135]
	s_waitcnt vmcnt(2)
	v_fma_f64 v[130:131], v[147:148], v[132:133], v[130:131]
	s_waitcnt vmcnt(0)
	v_add_f64 v[130:131], v[149:150], -v[130:131]
	buffer_store_dword v131, off, s[0:3], 0 offset:44
	buffer_store_dword v130, off, s[0:3], 0 offset:40
	v_cmpx_lt_u32_e32 4, v0
	s_cbranch_execz .LBB127_385
; %bb.384:
	s_clause 0x1
	buffer_load_dword v130, off, s[0:3], 0 offset:32
	buffer_load_dword v131, off, s[0:3], 0 offset:36
	v_mov_b32_e32 v132, 0
	buffer_store_dword v132, off, s[0:3], 0 offset:32
	buffer_store_dword v132, off, s[0:3], 0 offset:36
	s_waitcnt vmcnt(0)
	ds_write_b64 v129, v[130:131]
.LBB127_385:
	s_or_b32 exec_lo, exec_lo, s4
	s_waitcnt lgkmcnt(0)
	s_waitcnt_vscnt null, 0x0
	s_barrier
	buffer_gl0_inv
	s_clause 0x1c
	buffer_load_dword v139, off, s[0:3], 0 offset:40
	buffer_load_dword v140, off, s[0:3], 0 offset:44
	;; [unrolled: 1-line block ×29, first 2 shown]
	v_mov_b32_e32 v130, 0
	buffer_load_dword v164, off, s[0:3], 0 offset:156
	s_mov_b32 s4, exec_lo
	ds_read2_b64 v[131:134], v130 offset0:69 offset1:70
	ds_read2_b64 v[135:138], v130 offset0:71 offset1:72
	s_waitcnt vmcnt(28) lgkmcnt(1)
	v_fma_f64 v[131:132], v[139:140], v[131:132], 0
	s_clause 0x7
	buffer_load_dword v140, off, s[0:3], 0 offset:164
	buffer_load_dword v169, off, s[0:3], 0 offset:184
	buffer_load_dword v171, off, s[0:3], 0 offset:176
	buffer_load_dword v173, off, s[0:3], 0 offset:168
	buffer_load_dword v139, off, s[0:3], 0 offset:160
	buffer_load_dword v174, off, s[0:3], 0 offset:172
	buffer_load_dword v172, off, s[0:3], 0 offset:180
	buffer_load_dword v170, off, s[0:3], 0 offset:188
	s_waitcnt vmcnt(34)
	v_fma_f64 v[131:132], v[141:142], v[133:134], v[131:132]
	s_waitcnt vmcnt(32) lgkmcnt(0)
	v_fma_f64 v[131:132], v[143:144], v[135:136], v[131:132]
	s_waitcnt vmcnt(30)
	v_fma_f64 v[141:142], v[145:146], v[137:138], v[131:132]
	ds_read2_b64 v[131:134], v130 offset0:73 offset1:74
	ds_read2_b64 v[135:138], v130 offset0:75 offset1:76
	s_waitcnt vmcnt(28) lgkmcnt(1)
	v_fma_f64 v[131:132], v[147:148], v[131:132], v[141:142]
	s_clause 0x7
	buffer_load_dword v142, off, s[0:3], 0 offset:196
	buffer_load_dword v143, off, s[0:3], 0 offset:216
	buffer_load_dword v145, off, s[0:3], 0 offset:208
	buffer_load_dword v147, off, s[0:3], 0 offset:200
	buffer_load_dword v141, off, s[0:3], 0 offset:192
	buffer_load_dword v148, off, s[0:3], 0 offset:204
	buffer_load_dword v146, off, s[0:3], 0 offset:212
	buffer_load_dword v144, off, s[0:3], 0 offset:220
	s_waitcnt vmcnt(34)
	v_fma_f64 v[131:132], v[149:150], v[133:134], v[131:132]
	s_waitcnt vmcnt(32) lgkmcnt(0)
	v_fma_f64 v[131:132], v[151:152], v[135:136], v[131:132]
	s_waitcnt vmcnt(27)
	v_fma_f64 v[149:150], v[153:154], v[137:138], v[131:132]
	;; [unrolled: 19-line block ×11, first 2 shown]
	ds_read2_b64 v[131:134], v130 offset0:113 offset1:114
	ds_read2_b64 v[135:138], v130 offset0:115 offset1:116
	s_waitcnt vmcnt(26) lgkmcnt(1)
	v_fma_f64 v[131:132], v[167:168], v[131:132], v[145:146]
	s_clause 0x1
	buffer_load_dword v145, off, s[0:3], 0 offset:32
	buffer_load_dword v146, off, s[0:3], 0 offset:36
	s_waitcnt vmcnt(27)
	v_fma_f64 v[131:132], v[155:156], v[133:134], v[131:132]
	s_waitcnt vmcnt(26) lgkmcnt(0)
	v_fma_f64 v[131:132], v[153:154], v[135:136], v[131:132]
	s_waitcnt vmcnt(21)
	v_fma_f64 v[139:140], v[139:140], v[137:138], v[131:132]
	ds_read2_b64 v[131:134], v130 offset0:117 offset1:118
	ds_read2_b64 v[135:138], v130 offset0:119 offset1:120
	s_waitcnt vmcnt(20) lgkmcnt(1)
	v_fma_f64 v[131:132], v[173:174], v[131:132], v[139:140]
	s_waitcnt vmcnt(19)
	v_fma_f64 v[131:132], v[161:162], v[133:134], v[131:132]
	s_waitcnt vmcnt(18) lgkmcnt(0)
	v_fma_f64 v[131:132], v[157:158], v[135:136], v[131:132]
	s_waitcnt vmcnt(13)
	v_fma_f64 v[139:140], v[141:142], v[137:138], v[131:132]
	ds_read2_b64 v[131:134], v130 offset0:121 offset1:122
	ds_read2_b64 v[135:138], v130 offset0:123 offset1:124
	s_waitcnt vmcnt(12) lgkmcnt(1)
	v_fma_f64 v[131:132], v[171:172], v[131:132], v[139:140]
	s_waitcnt vmcnt(11)
	v_fma_f64 v[131:132], v[165:166], v[133:134], v[131:132]
	s_waitcnt vmcnt(10) lgkmcnt(0)
	v_fma_f64 v[131:132], v[163:164], v[135:136], v[131:132]
	s_waitcnt vmcnt(5)
	v_fma_f64 v[135:136], v[143:144], v[137:138], v[131:132]
	ds_read2_b64 v[131:134], v130 offset0:125 offset1:126
	ds_read_b64 v[137:138], v130 offset:1016
	s_waitcnt vmcnt(4) lgkmcnt(1)
	v_fma_f64 v[131:132], v[169:170], v[131:132], v[135:136]
	s_waitcnt vmcnt(3)
	v_fma_f64 v[131:132], v[159:160], v[133:134], v[131:132]
	s_waitcnt vmcnt(2) lgkmcnt(0)
	v_fma_f64 v[131:132], v[147:148], v[137:138], v[131:132]
	s_waitcnt vmcnt(0)
	v_add_f64 v[131:132], v[145:146], -v[131:132]
	buffer_store_dword v132, off, s[0:3], 0 offset:36
	buffer_store_dword v131, off, s[0:3], 0 offset:32
	v_cmpx_lt_u32_e32 3, v0
	s_cbranch_execz .LBB127_387
; %bb.386:
	s_clause 0x1
	buffer_load_dword v131, off, s[0:3], 0 offset:24
	buffer_load_dword v132, off, s[0:3], 0 offset:28
	buffer_store_dword v130, off, s[0:3], 0 offset:24
	buffer_store_dword v130, off, s[0:3], 0 offset:28
	s_waitcnt vmcnt(0)
	ds_write_b64 v129, v[131:132]
.LBB127_387:
	s_or_b32 exec_lo, exec_lo, s4
	s_waitcnt lgkmcnt(0)
	s_waitcnt_vscnt null, 0x0
	s_barrier
	buffer_gl0_inv
	s_clause 0x1c
	buffer_load_dword v139, off, s[0:3], 0 offset:32
	buffer_load_dword v140, off, s[0:3], 0 offset:36
	buffer_load_dword v141, off, s[0:3], 0 offset:40
	buffer_load_dword v142, off, s[0:3], 0 offset:44
	buffer_load_dword v143, off, s[0:3], 0 offset:48
	buffer_load_dword v144, off, s[0:3], 0 offset:52
	buffer_load_dword v145, off, s[0:3], 0 offset:56
	buffer_load_dword v146, off, s[0:3], 0 offset:60
	buffer_load_dword v147, off, s[0:3], 0 offset:64
	buffer_load_dword v148, off, s[0:3], 0 offset:68
	buffer_load_dword v149, off, s[0:3], 0 offset:72
	buffer_load_dword v150, off, s[0:3], 0 offset:76
	buffer_load_dword v151, off, s[0:3], 0 offset:80
	buffer_load_dword v152, off, s[0:3], 0 offset:84
	buffer_load_dword v154, off, s[0:3], 0 offset:92
	buffer_load_dword v155, off, s[0:3], 0 offset:112
	buffer_load_dword v157, off, s[0:3], 0 offset:104
	buffer_load_dword v159, off, s[0:3], 0 offset:96
	buffer_load_dword v153, off, s[0:3], 0 offset:88
	buffer_load_dword v160, off, s[0:3], 0 offset:100
	buffer_load_dword v158, off, s[0:3], 0 offset:108
	buffer_load_dword v156, off, s[0:3], 0 offset:116
	buffer_load_dword v162, off, s[0:3], 0 offset:124
	buffer_load_dword v163, off, s[0:3], 0 offset:144
	buffer_load_dword v165, off, s[0:3], 0 offset:136
	buffer_load_dword v167, off, s[0:3], 0 offset:128
	buffer_load_dword v161, off, s[0:3], 0 offset:120
	buffer_load_dword v168, off, s[0:3], 0 offset:132
	buffer_load_dword v166, off, s[0:3], 0 offset:140
	ds_read_b128 v[131:134], v130 offset:544
	ds_read_b128 v[135:138], v130 offset:560
	buffer_load_dword v164, off, s[0:3], 0 offset:148
	s_mov_b32 s4, exec_lo
	s_waitcnt vmcnt(28) lgkmcnt(1)
	v_fma_f64 v[131:132], v[139:140], v[131:132], 0
	s_clause 0x7
	buffer_load_dword v140, off, s[0:3], 0 offset:156
	buffer_load_dword v169, off, s[0:3], 0 offset:176
	buffer_load_dword v171, off, s[0:3], 0 offset:168
	buffer_load_dword v173, off, s[0:3], 0 offset:160
	buffer_load_dword v139, off, s[0:3], 0 offset:152
	buffer_load_dword v174, off, s[0:3], 0 offset:164
	buffer_load_dword v172, off, s[0:3], 0 offset:172
	buffer_load_dword v170, off, s[0:3], 0 offset:180
	s_waitcnt vmcnt(34)
	v_fma_f64 v[131:132], v[141:142], v[133:134], v[131:132]
	s_waitcnt vmcnt(32) lgkmcnt(0)
	v_fma_f64 v[131:132], v[143:144], v[135:136], v[131:132]
	s_waitcnt vmcnt(30)
	v_fma_f64 v[141:142], v[145:146], v[137:138], v[131:132]
	ds_read_b128 v[131:134], v130 offset:576
	ds_read_b128 v[135:138], v130 offset:592
	s_waitcnt vmcnt(28) lgkmcnt(1)
	v_fma_f64 v[131:132], v[147:148], v[131:132], v[141:142]
	s_clause 0x7
	buffer_load_dword v142, off, s[0:3], 0 offset:188
	buffer_load_dword v143, off, s[0:3], 0 offset:208
	buffer_load_dword v145, off, s[0:3], 0 offset:200
	buffer_load_dword v147, off, s[0:3], 0 offset:192
	buffer_load_dword v141, off, s[0:3], 0 offset:184
	buffer_load_dword v148, off, s[0:3], 0 offset:196
	buffer_load_dword v146, off, s[0:3], 0 offset:204
	buffer_load_dword v144, off, s[0:3], 0 offset:212
	s_waitcnt vmcnt(34)
	v_fma_f64 v[131:132], v[149:150], v[133:134], v[131:132]
	s_waitcnt vmcnt(32) lgkmcnt(0)
	v_fma_f64 v[131:132], v[151:152], v[135:136], v[131:132]
	s_waitcnt vmcnt(27)
	v_fma_f64 v[149:150], v[153:154], v[137:138], v[131:132]
	ds_read_b128 v[131:134], v130 offset:608
	ds_read_b128 v[135:138], v130 offset:624
	;; [unrolled: 19-line block ×11, first 2 shown]
	s_waitcnt vmcnt(26) lgkmcnt(1)
	v_fma_f64 v[131:132], v[167:168], v[131:132], v[145:146]
	s_clause 0x3
	buffer_load_dword v146, off, s[0:3], 0 offset:508
	buffer_load_dword v145, off, s[0:3], 0 offset:504
	;; [unrolled: 1-line block ×4, first 2 shown]
	s_waitcnt vmcnt(29)
	v_fma_f64 v[131:132], v[155:156], v[133:134], v[131:132]
	s_waitcnt vmcnt(28) lgkmcnt(0)
	v_fma_f64 v[131:132], v[153:154], v[135:136], v[131:132]
	s_waitcnt vmcnt(23)
	v_fma_f64 v[139:140], v[139:140], v[137:138], v[131:132]
	ds_read_b128 v[131:134], v130 offset:928
	ds_read_b128 v[135:138], v130 offset:944
	s_waitcnt vmcnt(22) lgkmcnt(1)
	v_fma_f64 v[131:132], v[173:174], v[131:132], v[139:140]
	s_waitcnt vmcnt(21)
	v_fma_f64 v[131:132], v[161:162], v[133:134], v[131:132]
	s_waitcnt vmcnt(20) lgkmcnt(0)
	v_fma_f64 v[131:132], v[157:158], v[135:136], v[131:132]
	s_waitcnt vmcnt(15)
	v_fma_f64 v[139:140], v[141:142], v[137:138], v[131:132]
	ds_read_b128 v[131:134], v130 offset:960
	ds_read_b128 v[135:138], v130 offset:976
	s_waitcnt vmcnt(14) lgkmcnt(1)
	v_fma_f64 v[131:132], v[171:172], v[131:132], v[139:140]
	;; [unrolled: 10-line block ×3, first 2 shown]
	s_waitcnt vmcnt(5)
	v_fma_f64 v[130:131], v[159:160], v[133:134], v[130:131]
	s_waitcnt vmcnt(4) lgkmcnt(0)
	v_fma_f64 v[130:131], v[147:148], v[135:136], v[130:131]
	s_waitcnt vmcnt(2)
	v_fma_f64 v[130:131], v[145:146], v[137:138], v[130:131]
	s_waitcnt vmcnt(0)
	v_add_f64 v[130:131], v[149:150], -v[130:131]
	buffer_store_dword v131, off, s[0:3], 0 offset:28
	buffer_store_dword v130, off, s[0:3], 0 offset:24
	v_cmpx_lt_u32_e32 2, v0
	s_cbranch_execz .LBB127_389
; %bb.388:
	s_clause 0x1
	buffer_load_dword v130, off, s[0:3], 0 offset:16
	buffer_load_dword v131, off, s[0:3], 0 offset:20
	v_mov_b32_e32 v132, 0
	buffer_store_dword v132, off, s[0:3], 0 offset:16
	buffer_store_dword v132, off, s[0:3], 0 offset:20
	s_waitcnt vmcnt(0)
	ds_write_b64 v129, v[130:131]
.LBB127_389:
	s_or_b32 exec_lo, exec_lo, s4
	s_waitcnt lgkmcnt(0)
	s_waitcnt_vscnt null, 0x0
	s_barrier
	buffer_gl0_inv
	s_clause 0x1c
	buffer_load_dword v139, off, s[0:3], 0 offset:24
	buffer_load_dword v140, off, s[0:3], 0 offset:28
	;; [unrolled: 1-line block ×29, first 2 shown]
	v_mov_b32_e32 v130, 0
	buffer_load_dword v164, off, s[0:3], 0 offset:140
	s_mov_b32 s4, exec_lo
	ds_read2_b64 v[131:134], v130 offset0:67 offset1:68
	ds_read2_b64 v[135:138], v130 offset0:69 offset1:70
	s_waitcnt vmcnt(28) lgkmcnt(1)
	v_fma_f64 v[131:132], v[139:140], v[131:132], 0
	s_clause 0x7
	buffer_load_dword v140, off, s[0:3], 0 offset:148
	buffer_load_dword v169, off, s[0:3], 0 offset:168
	buffer_load_dword v171, off, s[0:3], 0 offset:160
	buffer_load_dword v173, off, s[0:3], 0 offset:152
	buffer_load_dword v139, off, s[0:3], 0 offset:144
	buffer_load_dword v174, off, s[0:3], 0 offset:156
	buffer_load_dword v172, off, s[0:3], 0 offset:164
	buffer_load_dword v170, off, s[0:3], 0 offset:172
	s_waitcnt vmcnt(34)
	v_fma_f64 v[131:132], v[141:142], v[133:134], v[131:132]
	s_waitcnt vmcnt(32) lgkmcnt(0)
	v_fma_f64 v[131:132], v[143:144], v[135:136], v[131:132]
	s_waitcnt vmcnt(30)
	v_fma_f64 v[141:142], v[145:146], v[137:138], v[131:132]
	ds_read2_b64 v[131:134], v130 offset0:71 offset1:72
	ds_read2_b64 v[135:138], v130 offset0:73 offset1:74
	s_waitcnt vmcnt(28) lgkmcnt(1)
	v_fma_f64 v[131:132], v[147:148], v[131:132], v[141:142]
	s_clause 0x7
	buffer_load_dword v142, off, s[0:3], 0 offset:180
	buffer_load_dword v143, off, s[0:3], 0 offset:200
	buffer_load_dword v145, off, s[0:3], 0 offset:192
	buffer_load_dword v147, off, s[0:3], 0 offset:184
	buffer_load_dword v141, off, s[0:3], 0 offset:176
	buffer_load_dword v148, off, s[0:3], 0 offset:188
	buffer_load_dword v146, off, s[0:3], 0 offset:196
	buffer_load_dword v144, off, s[0:3], 0 offset:204
	s_waitcnt vmcnt(34)
	v_fma_f64 v[131:132], v[149:150], v[133:134], v[131:132]
	s_waitcnt vmcnt(32) lgkmcnt(0)
	v_fma_f64 v[131:132], v[151:152], v[135:136], v[131:132]
	s_waitcnt vmcnt(27)
	v_fma_f64 v[149:150], v[153:154], v[137:138], v[131:132]
	;; [unrolled: 19-line block ×11, first 2 shown]
	ds_read2_b64 v[131:134], v130 offset0:111 offset1:112
	ds_read2_b64 v[135:138], v130 offset0:113 offset1:114
	s_waitcnt vmcnt(26) lgkmcnt(1)
	v_fma_f64 v[131:132], v[167:168], v[131:132], v[145:146]
	s_clause 0x5
	buffer_load_dword v146, off, s[0:3], 0 offset:500
	buffer_load_dword v149, off, s[0:3], 0 offset:504
	;; [unrolled: 1-line block ×6, first 2 shown]
	s_waitcnt vmcnt(31)
	v_fma_f64 v[131:132], v[155:156], v[133:134], v[131:132]
	s_waitcnt vmcnt(30) lgkmcnt(0)
	v_fma_f64 v[131:132], v[153:154], v[135:136], v[131:132]
	s_waitcnt vmcnt(25)
	v_fma_f64 v[139:140], v[139:140], v[137:138], v[131:132]
	ds_read2_b64 v[131:134], v130 offset0:115 offset1:116
	ds_read2_b64 v[135:138], v130 offset0:117 offset1:118
	s_waitcnt vmcnt(24) lgkmcnt(1)
	v_fma_f64 v[131:132], v[173:174], v[131:132], v[139:140]
	s_waitcnt vmcnt(23)
	v_fma_f64 v[131:132], v[161:162], v[133:134], v[131:132]
	s_waitcnt vmcnt(22) lgkmcnt(0)
	v_fma_f64 v[131:132], v[157:158], v[135:136], v[131:132]
	s_waitcnt vmcnt(17)
	v_fma_f64 v[139:140], v[141:142], v[137:138], v[131:132]
	ds_read2_b64 v[131:134], v130 offset0:119 offset1:120
	ds_read2_b64 v[135:138], v130 offset0:121 offset1:122
	s_waitcnt vmcnt(16) lgkmcnt(1)
	v_fma_f64 v[131:132], v[171:172], v[131:132], v[139:140]
	;; [unrolled: 10-line block ×3, first 2 shown]
	s_waitcnt vmcnt(7)
	v_fma_f64 v[131:132], v[159:160], v[133:134], v[131:132]
	ds_read_b64 v[133:134], v130 offset:1016
	s_waitcnt vmcnt(6) lgkmcnt(1)
	v_fma_f64 v[131:132], v[147:148], v[135:136], v[131:132]
	s_waitcnt vmcnt(3)
	v_fma_f64 v[131:132], v[145:146], v[137:138], v[131:132]
	s_waitcnt vmcnt(2) lgkmcnt(0)
	v_fma_f64 v[131:132], v[149:150], v[133:134], v[131:132]
	s_waitcnt vmcnt(0)
	v_add_f64 v[131:132], v[151:152], -v[131:132]
	buffer_store_dword v132, off, s[0:3], 0 offset:20
	buffer_store_dword v131, off, s[0:3], 0 offset:16
	v_cmpx_lt_u32_e32 1, v0
	s_cbranch_execz .LBB127_391
; %bb.390:
	s_clause 0x1
	buffer_load_dword v131, off, s[0:3], 0 offset:8
	buffer_load_dword v132, off, s[0:3], 0 offset:12
	buffer_store_dword v130, off, s[0:3], 0 offset:8
	buffer_store_dword v130, off, s[0:3], 0 offset:12
	s_waitcnt vmcnt(0)
	ds_write_b64 v129, v[131:132]
.LBB127_391:
	s_or_b32 exec_lo, exec_lo, s4
	s_waitcnt lgkmcnt(0)
	s_waitcnt_vscnt null, 0x0
	s_barrier
	buffer_gl0_inv
	s_clause 0x1c
	buffer_load_dword v139, off, s[0:3], 0 offset:16
	buffer_load_dword v140, off, s[0:3], 0 offset:20
	;; [unrolled: 1-line block ×29, first 2 shown]
	ds_read_b128 v[131:134], v130 offset:528
	ds_read_b128 v[135:138], v130 offset:544
	buffer_load_dword v164, off, s[0:3], 0 offset:132
	s_mov_b32 s4, exec_lo
	s_waitcnt vmcnt(28) lgkmcnt(1)
	v_fma_f64 v[131:132], v[139:140], v[131:132], 0
	s_clause 0x7
	buffer_load_dword v140, off, s[0:3], 0 offset:140
	buffer_load_dword v169, off, s[0:3], 0 offset:160
	buffer_load_dword v171, off, s[0:3], 0 offset:152
	buffer_load_dword v173, off, s[0:3], 0 offset:144
	buffer_load_dword v139, off, s[0:3], 0 offset:136
	buffer_load_dword v174, off, s[0:3], 0 offset:148
	buffer_load_dword v172, off, s[0:3], 0 offset:156
	buffer_load_dword v170, off, s[0:3], 0 offset:164
	s_waitcnt vmcnt(34)
	v_fma_f64 v[131:132], v[141:142], v[133:134], v[131:132]
	s_waitcnt vmcnt(32) lgkmcnt(0)
	v_fma_f64 v[131:132], v[143:144], v[135:136], v[131:132]
	s_waitcnt vmcnt(30)
	v_fma_f64 v[141:142], v[145:146], v[137:138], v[131:132]
	ds_read_b128 v[131:134], v130 offset:560
	ds_read_b128 v[135:138], v130 offset:576
	s_waitcnt vmcnt(28) lgkmcnt(1)
	v_fma_f64 v[131:132], v[147:148], v[131:132], v[141:142]
	s_clause 0x7
	buffer_load_dword v142, off, s[0:3], 0 offset:172
	buffer_load_dword v143, off, s[0:3], 0 offset:192
	buffer_load_dword v145, off, s[0:3], 0 offset:184
	buffer_load_dword v147, off, s[0:3], 0 offset:176
	buffer_load_dword v141, off, s[0:3], 0 offset:168
	buffer_load_dword v148, off, s[0:3], 0 offset:180
	buffer_load_dword v146, off, s[0:3], 0 offset:188
	buffer_load_dword v144, off, s[0:3], 0 offset:196
	s_waitcnt vmcnt(34)
	v_fma_f64 v[131:132], v[149:150], v[133:134], v[131:132]
	s_waitcnt vmcnt(32) lgkmcnt(0)
	v_fma_f64 v[131:132], v[151:152], v[135:136], v[131:132]
	s_waitcnt vmcnt(27)
	v_fma_f64 v[149:150], v[153:154], v[137:138], v[131:132]
	ds_read_b128 v[131:134], v130 offset:592
	ds_read_b128 v[135:138], v130 offset:608
	;; [unrolled: 19-line block ×11, first 2 shown]
	s_waitcnt vmcnt(26) lgkmcnt(1)
	v_fma_f64 v[131:132], v[167:168], v[131:132], v[145:146]
	s_clause 0x5
	buffer_load_dword v146, off, s[0:3], 0 offset:492
	buffer_load_dword v149, off, s[0:3], 0 offset:504
	;; [unrolled: 1-line block ×6, first 2 shown]
	s_waitcnt vmcnt(31)
	v_fma_f64 v[131:132], v[155:156], v[133:134], v[131:132]
	s_waitcnt vmcnt(30) lgkmcnt(0)
	v_fma_f64 v[131:132], v[153:154], v[135:136], v[131:132]
	s_waitcnt vmcnt(25)
	v_fma_f64 v[139:140], v[139:140], v[137:138], v[131:132]
	ds_read_b128 v[131:134], v130 offset:912
	s_clause 0x1
	buffer_load_dword v153, off, s[0:3], 0 offset:8
	buffer_load_dword v154, off, s[0:3], 0 offset:12
	ds_read_b128 v[135:138], v130 offset:928
	s_waitcnt vmcnt(26) lgkmcnt(1)
	v_fma_f64 v[131:132], v[173:174], v[131:132], v[139:140]
	s_waitcnt vmcnt(25)
	v_fma_f64 v[131:132], v[161:162], v[133:134], v[131:132]
	s_waitcnt vmcnt(24) lgkmcnt(0)
	v_fma_f64 v[131:132], v[157:158], v[135:136], v[131:132]
	s_waitcnt vmcnt(19)
	v_fma_f64 v[139:140], v[141:142], v[137:138], v[131:132]
	ds_read_b128 v[131:134], v130 offset:944
	ds_read_b128 v[135:138], v130 offset:960
	s_waitcnt vmcnt(18) lgkmcnt(1)
	v_fma_f64 v[131:132], v[171:172], v[131:132], v[139:140]
	s_waitcnt vmcnt(17)
	v_fma_f64 v[131:132], v[165:166], v[133:134], v[131:132]
	s_waitcnt vmcnt(16) lgkmcnt(0)
	v_fma_f64 v[131:132], v[163:164], v[135:136], v[131:132]
	s_waitcnt vmcnt(11)
	v_fma_f64 v[139:140], v[143:144], v[137:138], v[131:132]
	ds_read_b128 v[131:134], v130 offset:976
	;; [unrolled: 10-line block ×3, first 2 shown]
	s_waitcnt vmcnt(3) lgkmcnt(0)
	v_fma_f64 v[130:131], v[151:152], v[130:131], v[134:135]
	s_waitcnt vmcnt(2)
	v_fma_f64 v[130:131], v[149:150], v[132:133], v[130:131]
	s_waitcnt vmcnt(0)
	v_add_f64 v[130:131], v[153:154], -v[130:131]
	buffer_store_dword v131, off, s[0:3], 0 offset:12
	buffer_store_dword v130, off, s[0:3], 0 offset:8
	v_cmpx_ne_u32_e32 0, v0
	s_cbranch_execz .LBB127_393
; %bb.392:
	s_clause 0x1
	buffer_load_dword v130, off, s[0:3], 0
	buffer_load_dword v131, off, s[0:3], 0 offset:4
	v_mov_b32_e32 v0, 0
	buffer_store_dword v0, off, s[0:3], 0
	buffer_store_dword v0, off, s[0:3], 0 offset:4
	s_waitcnt vmcnt(0)
	ds_write_b64 v129, v[130:131]
.LBB127_393:
	s_or_b32 exec_lo, exec_lo, s4
	s_waitcnt lgkmcnt(0)
	s_waitcnt_vscnt null, 0x0
	s_barrier
	buffer_gl0_inv
	s_clause 0x1c
	buffer_load_dword v137, off, s[0:3], 0 offset:8
	buffer_load_dword v138, off, s[0:3], 0 offset:12
	;; [unrolled: 1-line block ×29, first 2 shown]
	v_mov_b32_e32 v0, 0
	buffer_load_dword v162, off, s[0:3], 0 offset:124
	s_and_b32 vcc_lo, exec_lo, s16
	ds_read2_b64 v[129:132], v0 offset0:65 offset1:66
	ds_read2_b64 v[133:136], v0 offset0:67 offset1:68
	s_waitcnt vmcnt(28) lgkmcnt(1)
	v_fma_f64 v[129:130], v[137:138], v[129:130], 0
	s_clause 0x7
	buffer_load_dword v138, off, s[0:3], 0 offset:132
	buffer_load_dword v167, off, s[0:3], 0 offset:152
	buffer_load_dword v169, off, s[0:3], 0 offset:144
	buffer_load_dword v171, off, s[0:3], 0 offset:136
	buffer_load_dword v137, off, s[0:3], 0 offset:128
	buffer_load_dword v172, off, s[0:3], 0 offset:140
	buffer_load_dword v170, off, s[0:3], 0 offset:148
	buffer_load_dword v168, off, s[0:3], 0 offset:156
	s_waitcnt vmcnt(34)
	v_fma_f64 v[129:130], v[139:140], v[131:132], v[129:130]
	s_waitcnt vmcnt(32) lgkmcnt(0)
	v_fma_f64 v[129:130], v[141:142], v[133:134], v[129:130]
	s_waitcnt vmcnt(30)
	v_fma_f64 v[139:140], v[143:144], v[135:136], v[129:130]
	ds_read2_b64 v[129:132], v0 offset0:69 offset1:70
	ds_read2_b64 v[133:136], v0 offset0:71 offset1:72
	s_waitcnt vmcnt(28) lgkmcnt(1)
	v_fma_f64 v[129:130], v[145:146], v[129:130], v[139:140]
	s_clause 0x7
	buffer_load_dword v140, off, s[0:3], 0 offset:164
	buffer_load_dword v141, off, s[0:3], 0 offset:184
	buffer_load_dword v143, off, s[0:3], 0 offset:176
	buffer_load_dword v145, off, s[0:3], 0 offset:168
	buffer_load_dword v139, off, s[0:3], 0 offset:160
	buffer_load_dword v146, off, s[0:3], 0 offset:172
	buffer_load_dword v144, off, s[0:3], 0 offset:180
	buffer_load_dword v142, off, s[0:3], 0 offset:188
	s_waitcnt vmcnt(34)
	v_fma_f64 v[129:130], v[147:148], v[131:132], v[129:130]
	s_waitcnt vmcnt(32) lgkmcnt(0)
	v_fma_f64 v[129:130], v[149:150], v[133:134], v[129:130]
	s_waitcnt vmcnt(27)
	v_fma_f64 v[147:148], v[151:152], v[135:136], v[129:130]
	;; [unrolled: 19-line block ×11, first 2 shown]
	ds_read2_b64 v[129:132], v0 offset0:109 offset1:110
	ds_read2_b64 v[133:136], v0 offset0:111 offset1:112
	s_waitcnt vmcnt(26) lgkmcnt(1)
	v_fma_f64 v[143:144], v[165:166], v[129:130], v[143:144]
	s_clause 0x6
	buffer_load_dword v148, off, s[0:3], 0 offset:484
	buffer_load_dword v149, off, s[0:3], 0 offset:504
	;; [unrolled: 1-line block ×7, first 2 shown]
	s_waitcnt vmcnt(32)
	v_fma_f64 v[130:131], v[153:154], v[131:132], v[143:144]
	s_waitcnt vmcnt(31) lgkmcnt(0)
	v_fma_f64 v[131:132], v[151:152], v[133:134], v[130:131]
	buffer_load_dword v130, off, s[0:3], 0 offset:500
	s_waitcnt vmcnt(27)
	v_fma_f64 v[143:144], v[137:138], v[135:136], v[131:132]
	ds_read2_b64 v[131:134], v0 offset0:113 offset1:114
	ds_read2_b64 v[135:138], v0 offset0:115 offset1:116
	s_waitcnt vmcnt(26) lgkmcnt(1)
	v_fma_f64 v[131:132], v[171:172], v[131:132], v[143:144]
	s_clause 0x1
	buffer_load_dword v143, off, s[0:3], 0
	buffer_load_dword v144, off, s[0:3], 0 offset:4
	s_waitcnt vmcnt(27)
	v_fma_f64 v[131:132], v[159:160], v[133:134], v[131:132]
	s_waitcnt vmcnt(26) lgkmcnt(0)
	v_fma_f64 v[131:132], v[155:156], v[135:136], v[131:132]
	s_waitcnt vmcnt(21)
	v_fma_f64 v[139:140], v[139:140], v[137:138], v[131:132]
	ds_read2_b64 v[131:134], v0 offset0:117 offset1:118
	ds_read2_b64 v[135:138], v0 offset0:119 offset1:120
	s_waitcnt vmcnt(20) lgkmcnt(1)
	v_fma_f64 v[131:132], v[169:170], v[131:132], v[139:140]
	s_waitcnt vmcnt(19)
	v_fma_f64 v[131:132], v[163:164], v[133:134], v[131:132]
	s_waitcnt vmcnt(18) lgkmcnt(0)
	v_fma_f64 v[131:132], v[161:162], v[135:136], v[131:132]
	s_waitcnt vmcnt(13)
	v_fma_f64 v[139:140], v[141:142], v[137:138], v[131:132]
	ds_read2_b64 v[131:134], v0 offset0:121 offset1:122
	ds_read2_b64 v[135:138], v0 offset0:123 offset1:124
	s_waitcnt vmcnt(12) lgkmcnt(1)
	v_fma_f64 v[131:132], v[167:168], v[131:132], v[139:140]
	s_waitcnt vmcnt(11)
	v_fma_f64 v[131:132], v[157:158], v[133:134], v[131:132]
	s_waitcnt vmcnt(10) lgkmcnt(0)
	v_fma_f64 v[131:132], v[145:146], v[135:136], v[131:132]
	s_waitcnt vmcnt(5)
	v_fma_f64 v[135:136], v[147:148], v[137:138], v[131:132]
	ds_read2_b64 v[131:134], v0 offset0:125 offset1:126
	ds_read_b64 v[137:138], v0 offset:1016
	s_waitcnt vmcnt(4) lgkmcnt(1)
	v_fma_f64 v[131:132], v[165:166], v[131:132], v[135:136]
	s_waitcnt vmcnt(2)
	v_fma_f64 v[131:132], v[129:130], v[133:134], v[131:132]
	s_waitcnt lgkmcnt(0)
	v_fma_f64 v[131:132], v[149:150], v[137:138], v[131:132]
	s_waitcnt vmcnt(0)
	v_add_f64 v[131:132], v[143:144], -v[131:132]
	buffer_store_dword v132, off, s[0:3], 0 offset:4
	buffer_store_dword v131, off, s[0:3], 0
	s_cbranch_vccz .LBB127_520
; %bb.394:
	global_load_dword v0, v0, s[12:13] offset:248
	s_waitcnt vmcnt(0)
	v_add_nc_u32_e32 v0, -1, v0
	v_cmp_ne_u32_e32 vcc_lo, 62, v0
	s_cbranch_vccz .LBB127_396
; %bb.395:
	v_lshlrev_b32_e32 v0, 3, v0
	s_clause 0x1
	buffer_load_dword v131, v0, s[0:3], 0 offen offset:4
	buffer_load_dword v132, v0, s[0:3], 0 offen
	s_waitcnt vmcnt(1)
	buffer_store_dword v131, off, s[0:3], 0 offset:500
	s_waitcnt vmcnt(0)
	buffer_store_dword v132, off, s[0:3], 0 offset:496
	buffer_store_dword v130, v0, s[0:3], 0 offen offset:4
	buffer_store_dword v129, v0, s[0:3], 0 offen
.LBB127_396:
	v_mov_b32_e32 v0, 0
	global_load_dword v129, v0, s[12:13] offset:244
	s_waitcnt vmcnt(0)
	v_add_nc_u32_e32 v129, -1, v129
	v_cmp_eq_u32_e32 vcc_lo, 61, v129
	s_cbranch_vccnz .LBB127_398
; %bb.397:
	v_lshlrev_b32_e32 v129, 3, v129
	s_clause 0x3
	buffer_load_dword v130, v129, s[0:3], 0 offen
	buffer_load_dword v131, v129, s[0:3], 0 offen offset:4
	buffer_load_dword v132, off, s[0:3], 0 offset:488
	buffer_load_dword v133, off, s[0:3], 0 offset:492
	s_waitcnt vmcnt(3)
	buffer_store_dword v130, off, s[0:3], 0 offset:488
	s_waitcnt vmcnt(2)
	buffer_store_dword v131, off, s[0:3], 0 offset:492
	s_waitcnt vmcnt(1)
	buffer_store_dword v132, v129, s[0:3], 0 offen
	s_waitcnt vmcnt(0)
	buffer_store_dword v133, v129, s[0:3], 0 offen offset:4
.LBB127_398:
	global_load_dword v0, v0, s[12:13] offset:240
	s_waitcnt vmcnt(0)
	v_add_nc_u32_e32 v0, -1, v0
	v_cmp_eq_u32_e32 vcc_lo, 60, v0
	s_cbranch_vccnz .LBB127_400
; %bb.399:
	v_lshlrev_b32_e32 v0, 3, v0
	s_clause 0x3
	buffer_load_dword v129, v0, s[0:3], 0 offen
	buffer_load_dword v130, v0, s[0:3], 0 offen offset:4
	buffer_load_dword v131, off, s[0:3], 0 offset:484
	buffer_load_dword v132, off, s[0:3], 0 offset:480
	s_waitcnt vmcnt(3)
	buffer_store_dword v129, off, s[0:3], 0 offset:480
	s_waitcnt vmcnt(2)
	buffer_store_dword v130, off, s[0:3], 0 offset:484
	s_waitcnt vmcnt(1)
	buffer_store_dword v131, v0, s[0:3], 0 offen offset:4
	s_waitcnt vmcnt(0)
	buffer_store_dword v132, v0, s[0:3], 0 offen
.LBB127_400:
	v_mov_b32_e32 v0, 0
	global_load_dword v129, v0, s[12:13] offset:236
	s_waitcnt vmcnt(0)
	v_add_nc_u32_e32 v129, -1, v129
	v_cmp_eq_u32_e32 vcc_lo, 59, v129
	s_cbranch_vccnz .LBB127_402
; %bb.401:
	v_lshlrev_b32_e32 v129, 3, v129
	s_clause 0x3
	buffer_load_dword v130, v129, s[0:3], 0 offen
	buffer_load_dword v131, v129, s[0:3], 0 offen offset:4
	buffer_load_dword v132, off, s[0:3], 0 offset:472
	buffer_load_dword v133, off, s[0:3], 0 offset:476
	s_waitcnt vmcnt(3)
	buffer_store_dword v130, off, s[0:3], 0 offset:472
	s_waitcnt vmcnt(2)
	buffer_store_dword v131, off, s[0:3], 0 offset:476
	s_waitcnt vmcnt(1)
	buffer_store_dword v132, v129, s[0:3], 0 offen
	s_waitcnt vmcnt(0)
	buffer_store_dword v133, v129, s[0:3], 0 offen offset:4
.LBB127_402:
	global_load_dword v0, v0, s[12:13] offset:232
	s_waitcnt vmcnt(0)
	v_add_nc_u32_e32 v0, -1, v0
	v_cmp_eq_u32_e32 vcc_lo, 58, v0
	s_cbranch_vccnz .LBB127_404
; %bb.403:
	v_lshlrev_b32_e32 v0, 3, v0
	s_clause 0x3
	buffer_load_dword v129, v0, s[0:3], 0 offen
	buffer_load_dword v130, v0, s[0:3], 0 offen offset:4
	buffer_load_dword v131, off, s[0:3], 0 offset:468
	buffer_load_dword v132, off, s[0:3], 0 offset:464
	s_waitcnt vmcnt(3)
	buffer_store_dword v129, off, s[0:3], 0 offset:464
	s_waitcnt vmcnt(2)
	buffer_store_dword v130, off, s[0:3], 0 offset:468
	s_waitcnt vmcnt(1)
	buffer_store_dword v131, v0, s[0:3], 0 offen offset:4
	s_waitcnt vmcnt(0)
	buffer_store_dword v132, v0, s[0:3], 0 offen
.LBB127_404:
	;; [unrolled: 43-line block ×30, first 2 shown]
	v_mov_b32_e32 v0, 0
	global_load_dword v129, v0, s[12:13] offset:4
	s_waitcnt vmcnt(0)
	v_add_nc_u32_e32 v129, -1, v129
	v_cmp_eq_u32_e32 vcc_lo, 1, v129
	s_cbranch_vccnz .LBB127_518
; %bb.517:
	v_lshlrev_b32_e32 v129, 3, v129
	s_clause 0x3
	buffer_load_dword v130, v129, s[0:3], 0 offen
	buffer_load_dword v131, v129, s[0:3], 0 offen offset:4
	buffer_load_dword v132, off, s[0:3], 0 offset:8
	buffer_load_dword v133, off, s[0:3], 0 offset:12
	s_waitcnt vmcnt(3)
	buffer_store_dword v130, off, s[0:3], 0 offset:8
	s_waitcnt vmcnt(2)
	buffer_store_dword v131, off, s[0:3], 0 offset:12
	s_waitcnt vmcnt(1)
	buffer_store_dword v132, v129, s[0:3], 0 offen
	s_waitcnt vmcnt(0)
	buffer_store_dword v133, v129, s[0:3], 0 offen offset:4
.LBB127_518:
	global_load_dword v0, v0, s[12:13]
	s_clause 0x1
	buffer_load_dword v131, off, s[0:3], 0
	buffer_load_dword v132, off, s[0:3], 0 offset:4
	s_waitcnt vmcnt(2)
	v_add_nc_u32_e32 v0, -1, v0
	v_cmp_eq_u32_e32 vcc_lo, 0, v0
	s_cbranch_vccnz .LBB127_520
; %bb.519:
	v_lshlrev_b32_e32 v0, 3, v0
	s_clause 0x1
	buffer_load_dword v129, v0, s[0:3], 0 offen offset:4
	buffer_load_dword v130, v0, s[0:3], 0 offen
	s_waitcnt vmcnt(1)
	buffer_store_dword v129, off, s[0:3], 0 offset:4
	s_waitcnt vmcnt(0)
	buffer_store_dword v130, off, s[0:3], 0
	buffer_store_dword v132, v0, s[0:3], 0 offen offset:4
	buffer_store_dword v131, v0, s[0:3], 0 offen
	s_clause 0x1
	buffer_load_dword v131, off, s[0:3], 0
	buffer_load_dword v132, off, s[0:3], 0 offset:4
.LBB127_520:
	s_waitcnt vmcnt(0)
	flat_store_dwordx2 v[1:2], v[131:132]
	s_clause 0x1
	buffer_load_dword v0, off, s[0:3], 0 offset:8
	buffer_load_dword v1, off, s[0:3], 0 offset:12
	s_waitcnt vmcnt(0)
	flat_store_dwordx2 v[3:4], v[0:1]
	s_clause 0x1
	buffer_load_dword v0, off, s[0:3], 0 offset:16
	buffer_load_dword v1, off, s[0:3], 0 offset:20
	;; [unrolled: 5-line block ×63, first 2 shown]
	s_waitcnt vmcnt(0)
	flat_store_dwordx2 v[127:128], v[0:1]
	s_endpgm
	.section	.rodata,"a",@progbits
	.p2align	6, 0x0
	.amdhsa_kernel _ZN9rocsolver6v33100L18getri_kernel_smallILi64EdPKPdEEvT1_iilPiilS6_bb
		.amdhsa_group_segment_fixed_size 1032
		.amdhsa_private_segment_fixed_size 528
		.amdhsa_kernarg_size 60
		.amdhsa_user_sgpr_count 6
		.amdhsa_user_sgpr_private_segment_buffer 1
		.amdhsa_user_sgpr_dispatch_ptr 0
		.amdhsa_user_sgpr_queue_ptr 0
		.amdhsa_user_sgpr_kernarg_segment_ptr 1
		.amdhsa_user_sgpr_dispatch_id 0
		.amdhsa_user_sgpr_flat_scratch_init 0
		.amdhsa_user_sgpr_private_segment_size 0
		.amdhsa_wavefront_size32 1
		.amdhsa_uses_dynamic_stack 0
		.amdhsa_system_sgpr_private_segment_wavefront_offset 1
		.amdhsa_system_sgpr_workgroup_id_x 1
		.amdhsa_system_sgpr_workgroup_id_y 0
		.amdhsa_system_sgpr_workgroup_id_z 0
		.amdhsa_system_sgpr_workgroup_info 0
		.amdhsa_system_vgpr_workitem_id 0
		.amdhsa_next_free_vgpr 175
		.amdhsa_next_free_sgpr 20
		.amdhsa_reserve_vcc 1
		.amdhsa_reserve_flat_scratch 0
		.amdhsa_float_round_mode_32 0
		.amdhsa_float_round_mode_16_64 0
		.amdhsa_float_denorm_mode_32 3
		.amdhsa_float_denorm_mode_16_64 3
		.amdhsa_dx10_clamp 1
		.amdhsa_ieee_mode 1
		.amdhsa_fp16_overflow 0
		.amdhsa_workgroup_processor_mode 1
		.amdhsa_memory_ordered 1
		.amdhsa_forward_progress 1
		.amdhsa_shared_vgpr_count 0
		.amdhsa_exception_fp_ieee_invalid_op 0
		.amdhsa_exception_fp_denorm_src 0
		.amdhsa_exception_fp_ieee_div_zero 0
		.amdhsa_exception_fp_ieee_overflow 0
		.amdhsa_exception_fp_ieee_underflow 0
		.amdhsa_exception_fp_ieee_inexact 0
		.amdhsa_exception_int_div_zero 0
	.end_amdhsa_kernel
	.section	.text._ZN9rocsolver6v33100L18getri_kernel_smallILi64EdPKPdEEvT1_iilPiilS6_bb,"axG",@progbits,_ZN9rocsolver6v33100L18getri_kernel_smallILi64EdPKPdEEvT1_iilPiilS6_bb,comdat
.Lfunc_end127:
	.size	_ZN9rocsolver6v33100L18getri_kernel_smallILi64EdPKPdEEvT1_iilPiilS6_bb, .Lfunc_end127-_ZN9rocsolver6v33100L18getri_kernel_smallILi64EdPKPdEEvT1_iilPiilS6_bb
                                        ; -- End function
	.set _ZN9rocsolver6v33100L18getri_kernel_smallILi64EdPKPdEEvT1_iilPiilS6_bb.num_vgpr, 175
	.set _ZN9rocsolver6v33100L18getri_kernel_smallILi64EdPKPdEEvT1_iilPiilS6_bb.num_agpr, 0
	.set _ZN9rocsolver6v33100L18getri_kernel_smallILi64EdPKPdEEvT1_iilPiilS6_bb.numbered_sgpr, 20
	.set _ZN9rocsolver6v33100L18getri_kernel_smallILi64EdPKPdEEvT1_iilPiilS6_bb.num_named_barrier, 0
	.set _ZN9rocsolver6v33100L18getri_kernel_smallILi64EdPKPdEEvT1_iilPiilS6_bb.private_seg_size, 528
	.set _ZN9rocsolver6v33100L18getri_kernel_smallILi64EdPKPdEEvT1_iilPiilS6_bb.uses_vcc, 1
	.set _ZN9rocsolver6v33100L18getri_kernel_smallILi64EdPKPdEEvT1_iilPiilS6_bb.uses_flat_scratch, 0
	.set _ZN9rocsolver6v33100L18getri_kernel_smallILi64EdPKPdEEvT1_iilPiilS6_bb.has_dyn_sized_stack, 0
	.set _ZN9rocsolver6v33100L18getri_kernel_smallILi64EdPKPdEEvT1_iilPiilS6_bb.has_recursion, 0
	.set _ZN9rocsolver6v33100L18getri_kernel_smallILi64EdPKPdEEvT1_iilPiilS6_bb.has_indirect_call, 0
	.section	.AMDGPU.csdata,"",@progbits
; Kernel info:
; codeLenInByte = 102120
; TotalNumSgprs: 22
; NumVgprs: 175
; ScratchSize: 528
; MemoryBound: 1
; FloatMode: 240
; IeeeMode: 1
; LDSByteSize: 1032 bytes/workgroup (compile time only)
; SGPRBlocks: 0
; VGPRBlocks: 21
; NumSGPRsForWavesPerEU: 22
; NumVGPRsForWavesPerEU: 175
; Occupancy: 5
; WaveLimiterHint : 1
; COMPUTE_PGM_RSRC2:SCRATCH_EN: 1
; COMPUTE_PGM_RSRC2:USER_SGPR: 6
; COMPUTE_PGM_RSRC2:TRAP_HANDLER: 0
; COMPUTE_PGM_RSRC2:TGID_X_EN: 1
; COMPUTE_PGM_RSRC2:TGID_Y_EN: 0
; COMPUTE_PGM_RSRC2:TGID_Z_EN: 0
; COMPUTE_PGM_RSRC2:TIDIG_COMP_CNT: 0
	.section	.AMDGPU.gpr_maximums,"",@progbits
	.set amdgpu.max_num_vgpr, 0
	.set amdgpu.max_num_agpr, 0
	.set amdgpu.max_num_sgpr, 0
	.section	.AMDGPU.csdata,"",@progbits
	.type	__hip_cuid_78b1c6ae979466b2,@object ; @__hip_cuid_78b1c6ae979466b2
	.section	.bss,"aw",@nobits
	.globl	__hip_cuid_78b1c6ae979466b2
__hip_cuid_78b1c6ae979466b2:
	.byte	0                               ; 0x0
	.size	__hip_cuid_78b1c6ae979466b2, 1

	.ident	"AMD clang version 22.0.0git (https://github.com/RadeonOpenCompute/llvm-project roc-7.2.4 26084 f58b06dce1f9c15707c5f808fd002e18c2accf7e)"
	.section	".note.GNU-stack","",@progbits
	.addrsig
	.addrsig_sym __hip_cuid_78b1c6ae979466b2
	.amdgpu_metadata
---
amdhsa.kernels:
  - .args:
      - .address_space:  global
        .offset:         0
        .size:           8
        .value_kind:     global_buffer
      - .offset:         8
        .size:           4
        .value_kind:     by_value
      - .offset:         12
        .size:           4
        .value_kind:     by_value
      - .offset:         16
        .size:           8
        .value_kind:     by_value
      - .address_space:  global
        .offset:         24
        .size:           8
        .value_kind:     global_buffer
      - .offset:         32
        .size:           4
        .value_kind:     by_value
      - .offset:         40
        .size:           8
        .value_kind:     by_value
      - .address_space:  global
        .offset:         48
        .size:           8
        .value_kind:     global_buffer
      - .offset:         56
        .size:           1
        .value_kind:     by_value
      - .offset:         57
        .size:           1
        .value_kind:     by_value
    .group_segment_fixed_size: 4
    .kernarg_segment_align: 8
    .kernarg_segment_size: 60
    .language:       OpenCL C
    .language_version:
      - 2
      - 0
    .max_flat_workgroup_size: 64
    .name:           _ZN9rocsolver6v33100L18getri_kernel_smallILi1EdPdEEvT1_iilPiilS4_bb
    .private_segment_fixed_size: 0
    .sgpr_count:     16
    .sgpr_spill_count: 0
    .symbol:         _ZN9rocsolver6v33100L18getri_kernel_smallILi1EdPdEEvT1_iilPiilS4_bb.kd
    .uniform_work_group_size: 1
    .uses_dynamic_stack: false
    .vgpr_count:     8
    .vgpr_spill_count: 0
    .wavefront_size: 32
    .workgroup_processor_mode: 1
  - .args:
      - .address_space:  global
        .offset:         0
        .size:           8
        .value_kind:     global_buffer
      - .offset:         8
        .size:           4
        .value_kind:     by_value
      - .offset:         12
        .size:           4
        .value_kind:     by_value
      - .offset:         16
        .size:           8
        .value_kind:     by_value
      - .address_space:  global
        .offset:         24
        .size:           8
        .value_kind:     global_buffer
      - .offset:         32
        .size:           4
        .value_kind:     by_value
      - .offset:         40
        .size:           8
        .value_kind:     by_value
      - .address_space:  global
        .offset:         48
        .size:           8
        .value_kind:     global_buffer
      - .offset:         56
        .size:           1
        .value_kind:     by_value
      - .offset:         57
        .size:           1
        .value_kind:     by_value
    .group_segment_fixed_size: 40
    .kernarg_segment_align: 8
    .kernarg_segment_size: 60
    .language:       OpenCL C
    .language_version:
      - 2
      - 0
    .max_flat_workgroup_size: 64
    .name:           _ZN9rocsolver6v33100L18getri_kernel_smallILi2EdPdEEvT1_iilPiilS4_bb
    .private_segment_fixed_size: 0
    .sgpr_count:     22
    .sgpr_spill_count: 0
    .symbol:         _ZN9rocsolver6v33100L18getri_kernel_smallILi2EdPdEEvT1_iilPiilS4_bb.kd
    .uniform_work_group_size: 1
    .uses_dynamic_stack: false
    .vgpr_count:     20
    .vgpr_spill_count: 0
    .wavefront_size: 32
    .workgroup_processor_mode: 1
  - .args:
      - .address_space:  global
        .offset:         0
        .size:           8
        .value_kind:     global_buffer
      - .offset:         8
        .size:           4
        .value_kind:     by_value
      - .offset:         12
        .size:           4
        .value_kind:     by_value
      - .offset:         16
        .size:           8
        .value_kind:     by_value
      - .address_space:  global
        .offset:         24
        .size:           8
        .value_kind:     global_buffer
      - .offset:         32
        .size:           4
        .value_kind:     by_value
      - .offset:         40
        .size:           8
        .value_kind:     by_value
      - .address_space:  global
        .offset:         48
        .size:           8
        .value_kind:     global_buffer
      - .offset:         56
        .size:           1
        .value_kind:     by_value
      - .offset:         57
        .size:           1
        .value_kind:     by_value
    .group_segment_fixed_size: 56
    .kernarg_segment_align: 8
    .kernarg_segment_size: 60
    .language:       OpenCL C
    .language_version:
      - 2
      - 0
    .max_flat_workgroup_size: 64
    .name:           _ZN9rocsolver6v33100L18getri_kernel_smallILi3EdPdEEvT1_iilPiilS4_bb
    .private_segment_fixed_size: 0
    .sgpr_count:     21
    .sgpr_spill_count: 0
    .symbol:         _ZN9rocsolver6v33100L18getri_kernel_smallILi3EdPdEEvT1_iilPiilS4_bb.kd
    .uniform_work_group_size: 1
    .uses_dynamic_stack: false
    .vgpr_count:     24
    .vgpr_spill_count: 0
    .wavefront_size: 32
    .workgroup_processor_mode: 1
  - .args:
      - .address_space:  global
        .offset:         0
        .size:           8
        .value_kind:     global_buffer
      - .offset:         8
        .size:           4
        .value_kind:     by_value
      - .offset:         12
        .size:           4
        .value_kind:     by_value
      - .offset:         16
        .size:           8
        .value_kind:     by_value
      - .address_space:  global
        .offset:         24
        .size:           8
        .value_kind:     global_buffer
      - .offset:         32
        .size:           4
        .value_kind:     by_value
      - .offset:         40
        .size:           8
        .value_kind:     by_value
      - .address_space:  global
        .offset:         48
        .size:           8
        .value_kind:     global_buffer
      - .offset:         56
        .size:           1
        .value_kind:     by_value
      - .offset:         57
        .size:           1
        .value_kind:     by_value
    .group_segment_fixed_size: 72
    .kernarg_segment_align: 8
    .kernarg_segment_size: 60
    .language:       OpenCL C
    .language_version:
      - 2
      - 0
    .max_flat_workgroup_size: 64
    .name:           _ZN9rocsolver6v33100L18getri_kernel_smallILi4EdPdEEvT1_iilPiilS4_bb
    .private_segment_fixed_size: 0
    .sgpr_count:     21
    .sgpr_spill_count: 0
    .symbol:         _ZN9rocsolver6v33100L18getri_kernel_smallILi4EdPdEEvT1_iilPiilS4_bb.kd
    .uniform_work_group_size: 1
    .uses_dynamic_stack: false
    .vgpr_count:     29
    .vgpr_spill_count: 0
    .wavefront_size: 32
    .workgroup_processor_mode: 1
  - .args:
      - .address_space:  global
        .offset:         0
        .size:           8
        .value_kind:     global_buffer
      - .offset:         8
        .size:           4
        .value_kind:     by_value
      - .offset:         12
        .size:           4
        .value_kind:     by_value
      - .offset:         16
        .size:           8
        .value_kind:     by_value
      - .address_space:  global
        .offset:         24
        .size:           8
        .value_kind:     global_buffer
      - .offset:         32
        .size:           4
        .value_kind:     by_value
      - .offset:         40
        .size:           8
        .value_kind:     by_value
      - .address_space:  global
        .offset:         48
        .size:           8
        .value_kind:     global_buffer
      - .offset:         56
        .size:           1
        .value_kind:     by_value
      - .offset:         57
        .size:           1
        .value_kind:     by_value
    .group_segment_fixed_size: 88
    .kernarg_segment_align: 8
    .kernarg_segment_size: 60
    .language:       OpenCL C
    .language_version:
      - 2
      - 0
    .max_flat_workgroup_size: 64
    .name:           _ZN9rocsolver6v33100L18getri_kernel_smallILi5EdPdEEvT1_iilPiilS4_bb
    .private_segment_fixed_size: 0
    .sgpr_count:     21
    .sgpr_spill_count: 0
    .symbol:         _ZN9rocsolver6v33100L18getri_kernel_smallILi5EdPdEEvT1_iilPiilS4_bb.kd
    .uniform_work_group_size: 1
    .uses_dynamic_stack: false
    .vgpr_count:     38
    .vgpr_spill_count: 0
    .wavefront_size: 32
    .workgroup_processor_mode: 1
  - .args:
      - .address_space:  global
        .offset:         0
        .size:           8
        .value_kind:     global_buffer
      - .offset:         8
        .size:           4
        .value_kind:     by_value
      - .offset:         12
        .size:           4
        .value_kind:     by_value
      - .offset:         16
        .size:           8
        .value_kind:     by_value
      - .address_space:  global
        .offset:         24
        .size:           8
        .value_kind:     global_buffer
      - .offset:         32
        .size:           4
        .value_kind:     by_value
      - .offset:         40
        .size:           8
        .value_kind:     by_value
      - .address_space:  global
        .offset:         48
        .size:           8
        .value_kind:     global_buffer
      - .offset:         56
        .size:           1
        .value_kind:     by_value
      - .offset:         57
        .size:           1
        .value_kind:     by_value
    .group_segment_fixed_size: 104
    .kernarg_segment_align: 8
    .kernarg_segment_size: 60
    .language:       OpenCL C
    .language_version:
      - 2
      - 0
    .max_flat_workgroup_size: 64
    .name:           _ZN9rocsolver6v33100L18getri_kernel_smallILi6EdPdEEvT1_iilPiilS4_bb
    .private_segment_fixed_size: 0
    .sgpr_count:     21
    .sgpr_spill_count: 0
    .symbol:         _ZN9rocsolver6v33100L18getri_kernel_smallILi6EdPdEEvT1_iilPiilS4_bb.kd
    .uniform_work_group_size: 1
    .uses_dynamic_stack: false
    .vgpr_count:     40
    .vgpr_spill_count: 0
    .wavefront_size: 32
    .workgroup_processor_mode: 1
  - .args:
      - .address_space:  global
        .offset:         0
        .size:           8
        .value_kind:     global_buffer
      - .offset:         8
        .size:           4
        .value_kind:     by_value
      - .offset:         12
        .size:           4
        .value_kind:     by_value
      - .offset:         16
        .size:           8
        .value_kind:     by_value
      - .address_space:  global
        .offset:         24
        .size:           8
        .value_kind:     global_buffer
      - .offset:         32
        .size:           4
        .value_kind:     by_value
      - .offset:         40
        .size:           8
        .value_kind:     by_value
      - .address_space:  global
        .offset:         48
        .size:           8
        .value_kind:     global_buffer
      - .offset:         56
        .size:           1
        .value_kind:     by_value
      - .offset:         57
        .size:           1
        .value_kind:     by_value
    .group_segment_fixed_size: 120
    .kernarg_segment_align: 8
    .kernarg_segment_size: 60
    .language:       OpenCL C
    .language_version:
      - 2
      - 0
    .max_flat_workgroup_size: 64
    .name:           _ZN9rocsolver6v33100L18getri_kernel_smallILi7EdPdEEvT1_iilPiilS4_bb
    .private_segment_fixed_size: 0
    .sgpr_count:     21
    .sgpr_spill_count: 0
    .symbol:         _ZN9rocsolver6v33100L18getri_kernel_smallILi7EdPdEEvT1_iilPiilS4_bb.kd
    .uniform_work_group_size: 1
    .uses_dynamic_stack: false
    .vgpr_count:     46
    .vgpr_spill_count: 0
    .wavefront_size: 32
    .workgroup_processor_mode: 1
  - .args:
      - .address_space:  global
        .offset:         0
        .size:           8
        .value_kind:     global_buffer
      - .offset:         8
        .size:           4
        .value_kind:     by_value
      - .offset:         12
        .size:           4
        .value_kind:     by_value
      - .offset:         16
        .size:           8
        .value_kind:     by_value
      - .address_space:  global
        .offset:         24
        .size:           8
        .value_kind:     global_buffer
      - .offset:         32
        .size:           4
        .value_kind:     by_value
      - .offset:         40
        .size:           8
        .value_kind:     by_value
      - .address_space:  global
        .offset:         48
        .size:           8
        .value_kind:     global_buffer
      - .offset:         56
        .size:           1
        .value_kind:     by_value
      - .offset:         57
        .size:           1
        .value_kind:     by_value
    .group_segment_fixed_size: 136
    .kernarg_segment_align: 8
    .kernarg_segment_size: 60
    .language:       OpenCL C
    .language_version:
      - 2
      - 0
    .max_flat_workgroup_size: 64
    .name:           _ZN9rocsolver6v33100L18getri_kernel_smallILi8EdPdEEvT1_iilPiilS4_bb
    .private_segment_fixed_size: 0
    .sgpr_count:     21
    .sgpr_spill_count: 0
    .symbol:         _ZN9rocsolver6v33100L18getri_kernel_smallILi8EdPdEEvT1_iilPiilS4_bb.kd
    .uniform_work_group_size: 1
    .uses_dynamic_stack: false
    .vgpr_count:     48
    .vgpr_spill_count: 0
    .wavefront_size: 32
    .workgroup_processor_mode: 1
  - .args:
      - .address_space:  global
        .offset:         0
        .size:           8
        .value_kind:     global_buffer
      - .offset:         8
        .size:           4
        .value_kind:     by_value
      - .offset:         12
        .size:           4
        .value_kind:     by_value
      - .offset:         16
        .size:           8
        .value_kind:     by_value
      - .address_space:  global
        .offset:         24
        .size:           8
        .value_kind:     global_buffer
      - .offset:         32
        .size:           4
        .value_kind:     by_value
      - .offset:         40
        .size:           8
        .value_kind:     by_value
      - .address_space:  global
        .offset:         48
        .size:           8
        .value_kind:     global_buffer
      - .offset:         56
        .size:           1
        .value_kind:     by_value
      - .offset:         57
        .size:           1
        .value_kind:     by_value
    .group_segment_fixed_size: 152
    .kernarg_segment_align: 8
    .kernarg_segment_size: 60
    .language:       OpenCL C
    .language_version:
      - 2
      - 0
    .max_flat_workgroup_size: 64
    .name:           _ZN9rocsolver6v33100L18getri_kernel_smallILi9EdPdEEvT1_iilPiilS4_bb
    .private_segment_fixed_size: 0
    .sgpr_count:     21
    .sgpr_spill_count: 0
    .symbol:         _ZN9rocsolver6v33100L18getri_kernel_smallILi9EdPdEEvT1_iilPiilS4_bb.kd
    .uniform_work_group_size: 1
    .uses_dynamic_stack: false
    .vgpr_count:     70
    .vgpr_spill_count: 0
    .wavefront_size: 32
    .workgroup_processor_mode: 1
  - .args:
      - .address_space:  global
        .offset:         0
        .size:           8
        .value_kind:     global_buffer
      - .offset:         8
        .size:           4
        .value_kind:     by_value
      - .offset:         12
        .size:           4
        .value_kind:     by_value
      - .offset:         16
        .size:           8
        .value_kind:     by_value
      - .address_space:  global
        .offset:         24
        .size:           8
        .value_kind:     global_buffer
      - .offset:         32
        .size:           4
        .value_kind:     by_value
      - .offset:         40
        .size:           8
        .value_kind:     by_value
      - .address_space:  global
        .offset:         48
        .size:           8
        .value_kind:     global_buffer
      - .offset:         56
        .size:           1
        .value_kind:     by_value
      - .offset:         57
        .size:           1
        .value_kind:     by_value
    .group_segment_fixed_size: 168
    .kernarg_segment_align: 8
    .kernarg_segment_size: 60
    .language:       OpenCL C
    .language_version:
      - 2
      - 0
    .max_flat_workgroup_size: 64
    .name:           _ZN9rocsolver6v33100L18getri_kernel_smallILi10EdPdEEvT1_iilPiilS4_bb
    .private_segment_fixed_size: 0
    .sgpr_count:     21
    .sgpr_spill_count: 0
    .symbol:         _ZN9rocsolver6v33100L18getri_kernel_smallILi10EdPdEEvT1_iilPiilS4_bb.kd
    .uniform_work_group_size: 1
    .uses_dynamic_stack: false
    .vgpr_count:     72
    .vgpr_spill_count: 0
    .wavefront_size: 32
    .workgroup_processor_mode: 1
  - .args:
      - .address_space:  global
        .offset:         0
        .size:           8
        .value_kind:     global_buffer
      - .offset:         8
        .size:           4
        .value_kind:     by_value
      - .offset:         12
        .size:           4
        .value_kind:     by_value
      - .offset:         16
        .size:           8
        .value_kind:     by_value
      - .address_space:  global
        .offset:         24
        .size:           8
        .value_kind:     global_buffer
      - .offset:         32
        .size:           4
        .value_kind:     by_value
      - .offset:         40
        .size:           8
        .value_kind:     by_value
      - .address_space:  global
        .offset:         48
        .size:           8
        .value_kind:     global_buffer
      - .offset:         56
        .size:           1
        .value_kind:     by_value
      - .offset:         57
        .size:           1
        .value_kind:     by_value
    .group_segment_fixed_size: 184
    .kernarg_segment_align: 8
    .kernarg_segment_size: 60
    .language:       OpenCL C
    .language_version:
      - 2
      - 0
    .max_flat_workgroup_size: 64
    .name:           _ZN9rocsolver6v33100L18getri_kernel_smallILi11EdPdEEvT1_iilPiilS4_bb
    .private_segment_fixed_size: 0
    .sgpr_count:     21
    .sgpr_spill_count: 0
    .symbol:         _ZN9rocsolver6v33100L18getri_kernel_smallILi11EdPdEEvT1_iilPiilS4_bb.kd
    .uniform_work_group_size: 1
    .uses_dynamic_stack: false
    .vgpr_count:     78
    .vgpr_spill_count: 0
    .wavefront_size: 32
    .workgroup_processor_mode: 1
  - .args:
      - .address_space:  global
        .offset:         0
        .size:           8
        .value_kind:     global_buffer
      - .offset:         8
        .size:           4
        .value_kind:     by_value
      - .offset:         12
        .size:           4
        .value_kind:     by_value
      - .offset:         16
        .size:           8
        .value_kind:     by_value
      - .address_space:  global
        .offset:         24
        .size:           8
        .value_kind:     global_buffer
      - .offset:         32
        .size:           4
        .value_kind:     by_value
      - .offset:         40
        .size:           8
        .value_kind:     by_value
      - .address_space:  global
        .offset:         48
        .size:           8
        .value_kind:     global_buffer
      - .offset:         56
        .size:           1
        .value_kind:     by_value
      - .offset:         57
        .size:           1
        .value_kind:     by_value
    .group_segment_fixed_size: 200
    .kernarg_segment_align: 8
    .kernarg_segment_size: 60
    .language:       OpenCL C
    .language_version:
      - 2
      - 0
    .max_flat_workgroup_size: 64
    .name:           _ZN9rocsolver6v33100L18getri_kernel_smallILi12EdPdEEvT1_iilPiilS4_bb
    .private_segment_fixed_size: 0
    .sgpr_count:     21
    .sgpr_spill_count: 0
    .symbol:         _ZN9rocsolver6v33100L18getri_kernel_smallILi12EdPdEEvT1_iilPiilS4_bb.kd
    .uniform_work_group_size: 1
    .uses_dynamic_stack: false
    .vgpr_count:     80
    .vgpr_spill_count: 0
    .wavefront_size: 32
    .workgroup_processor_mode: 1
  - .args:
      - .address_space:  global
        .offset:         0
        .size:           8
        .value_kind:     global_buffer
      - .offset:         8
        .size:           4
        .value_kind:     by_value
      - .offset:         12
        .size:           4
        .value_kind:     by_value
      - .offset:         16
        .size:           8
        .value_kind:     by_value
      - .address_space:  global
        .offset:         24
        .size:           8
        .value_kind:     global_buffer
      - .offset:         32
        .size:           4
        .value_kind:     by_value
      - .offset:         40
        .size:           8
        .value_kind:     by_value
      - .address_space:  global
        .offset:         48
        .size:           8
        .value_kind:     global_buffer
      - .offset:         56
        .size:           1
        .value_kind:     by_value
      - .offset:         57
        .size:           1
        .value_kind:     by_value
    .group_segment_fixed_size: 216
    .kernarg_segment_align: 8
    .kernarg_segment_size: 60
    .language:       OpenCL C
    .language_version:
      - 2
      - 0
    .max_flat_workgroup_size: 64
    .name:           _ZN9rocsolver6v33100L18getri_kernel_smallILi13EdPdEEvT1_iilPiilS4_bb
    .private_segment_fixed_size: 0
    .sgpr_count:     24
    .sgpr_spill_count: 0
    .symbol:         _ZN9rocsolver6v33100L18getri_kernel_smallILi13EdPdEEvT1_iilPiilS4_bb.kd
    .uniform_work_group_size: 1
    .uses_dynamic_stack: false
    .vgpr_count:     88
    .vgpr_spill_count: 0
    .wavefront_size: 32
    .workgroup_processor_mode: 1
  - .args:
      - .address_space:  global
        .offset:         0
        .size:           8
        .value_kind:     global_buffer
      - .offset:         8
        .size:           4
        .value_kind:     by_value
      - .offset:         12
        .size:           4
        .value_kind:     by_value
      - .offset:         16
        .size:           8
        .value_kind:     by_value
      - .address_space:  global
        .offset:         24
        .size:           8
        .value_kind:     global_buffer
      - .offset:         32
        .size:           4
        .value_kind:     by_value
      - .offset:         40
        .size:           8
        .value_kind:     by_value
      - .address_space:  global
        .offset:         48
        .size:           8
        .value_kind:     global_buffer
      - .offset:         56
        .size:           1
        .value_kind:     by_value
      - .offset:         57
        .size:           1
        .value_kind:     by_value
    .group_segment_fixed_size: 232
    .kernarg_segment_align: 8
    .kernarg_segment_size: 60
    .language:       OpenCL C
    .language_version:
      - 2
      - 0
    .max_flat_workgroup_size: 64
    .name:           _ZN9rocsolver6v33100L18getri_kernel_smallILi14EdPdEEvT1_iilPiilS4_bb
    .private_segment_fixed_size: 0
    .sgpr_count:     25
    .sgpr_spill_count: 0
    .symbol:         _ZN9rocsolver6v33100L18getri_kernel_smallILi14EdPdEEvT1_iilPiilS4_bb.kd
    .uniform_work_group_size: 1
    .uses_dynamic_stack: false
    .vgpr_count:     90
    .vgpr_spill_count: 0
    .wavefront_size: 32
    .workgroup_processor_mode: 1
  - .args:
      - .address_space:  global
        .offset:         0
        .size:           8
        .value_kind:     global_buffer
      - .offset:         8
        .size:           4
        .value_kind:     by_value
      - .offset:         12
        .size:           4
        .value_kind:     by_value
      - .offset:         16
        .size:           8
        .value_kind:     by_value
      - .address_space:  global
        .offset:         24
        .size:           8
        .value_kind:     global_buffer
      - .offset:         32
        .size:           4
        .value_kind:     by_value
      - .offset:         40
        .size:           8
        .value_kind:     by_value
      - .address_space:  global
        .offset:         48
        .size:           8
        .value_kind:     global_buffer
      - .offset:         56
        .size:           1
        .value_kind:     by_value
      - .offset:         57
        .size:           1
        .value_kind:     by_value
    .group_segment_fixed_size: 248
    .kernarg_segment_align: 8
    .kernarg_segment_size: 60
    .language:       OpenCL C
    .language_version:
      - 2
      - 0
    .max_flat_workgroup_size: 64
    .name:           _ZN9rocsolver6v33100L18getri_kernel_smallILi15EdPdEEvT1_iilPiilS4_bb
    .private_segment_fixed_size: 0
    .sgpr_count:     25
    .sgpr_spill_count: 0
    .symbol:         _ZN9rocsolver6v33100L18getri_kernel_smallILi15EdPdEEvT1_iilPiilS4_bb.kd
    .uniform_work_group_size: 1
    .uses_dynamic_stack: false
    .vgpr_count:     96
    .vgpr_spill_count: 0
    .wavefront_size: 32
    .workgroup_processor_mode: 1
  - .args:
      - .address_space:  global
        .offset:         0
        .size:           8
        .value_kind:     global_buffer
      - .offset:         8
        .size:           4
        .value_kind:     by_value
      - .offset:         12
        .size:           4
        .value_kind:     by_value
      - .offset:         16
        .size:           8
        .value_kind:     by_value
      - .address_space:  global
        .offset:         24
        .size:           8
        .value_kind:     global_buffer
      - .offset:         32
        .size:           4
        .value_kind:     by_value
      - .offset:         40
        .size:           8
        .value_kind:     by_value
      - .address_space:  global
        .offset:         48
        .size:           8
        .value_kind:     global_buffer
      - .offset:         56
        .size:           1
        .value_kind:     by_value
      - .offset:         57
        .size:           1
        .value_kind:     by_value
    .group_segment_fixed_size: 264
    .kernarg_segment_align: 8
    .kernarg_segment_size: 60
    .language:       OpenCL C
    .language_version:
      - 2
      - 0
    .max_flat_workgroup_size: 64
    .name:           _ZN9rocsolver6v33100L18getri_kernel_smallILi16EdPdEEvT1_iilPiilS4_bb
    .private_segment_fixed_size: 0
    .sgpr_count:     25
    .sgpr_spill_count: 0
    .symbol:         _ZN9rocsolver6v33100L18getri_kernel_smallILi16EdPdEEvT1_iilPiilS4_bb.kd
    .uniform_work_group_size: 1
    .uses_dynamic_stack: false
    .vgpr_count:     96
    .vgpr_spill_count: 0
    .wavefront_size: 32
    .workgroup_processor_mode: 1
  - .args:
      - .address_space:  global
        .offset:         0
        .size:           8
        .value_kind:     global_buffer
      - .offset:         8
        .size:           4
        .value_kind:     by_value
      - .offset:         12
        .size:           4
        .value_kind:     by_value
      - .offset:         16
        .size:           8
        .value_kind:     by_value
      - .address_space:  global
        .offset:         24
        .size:           8
        .value_kind:     global_buffer
      - .offset:         32
        .size:           4
        .value_kind:     by_value
      - .offset:         40
        .size:           8
        .value_kind:     by_value
      - .address_space:  global
        .offset:         48
        .size:           8
        .value_kind:     global_buffer
      - .offset:         56
        .size:           1
        .value_kind:     by_value
      - .offset:         57
        .size:           1
        .value_kind:     by_value
    .group_segment_fixed_size: 280
    .kernarg_segment_align: 8
    .kernarg_segment_size: 60
    .language:       OpenCL C
    .language_version:
      - 2
      - 0
    .max_flat_workgroup_size: 64
    .name:           _ZN9rocsolver6v33100L18getri_kernel_smallILi17EdPdEEvT1_iilPiilS4_bb
    .private_segment_fixed_size: 144
    .sgpr_count:     25
    .sgpr_spill_count: 0
    .symbol:         _ZN9rocsolver6v33100L18getri_kernel_smallILi17EdPdEEvT1_iilPiilS4_bb.kd
    .uniform_work_group_size: 1
    .uses_dynamic_stack: false
    .vgpr_count:     75
    .vgpr_spill_count: 0
    .wavefront_size: 32
    .workgroup_processor_mode: 1
  - .args:
      - .address_space:  global
        .offset:         0
        .size:           8
        .value_kind:     global_buffer
      - .offset:         8
        .size:           4
        .value_kind:     by_value
      - .offset:         12
        .size:           4
        .value_kind:     by_value
      - .offset:         16
        .size:           8
        .value_kind:     by_value
      - .address_space:  global
        .offset:         24
        .size:           8
        .value_kind:     global_buffer
      - .offset:         32
        .size:           4
        .value_kind:     by_value
      - .offset:         40
        .size:           8
        .value_kind:     by_value
      - .address_space:  global
        .offset:         48
        .size:           8
        .value_kind:     global_buffer
      - .offset:         56
        .size:           1
        .value_kind:     by_value
      - .offset:         57
        .size:           1
        .value_kind:     by_value
    .group_segment_fixed_size: 296
    .kernarg_segment_align: 8
    .kernarg_segment_size: 60
    .language:       OpenCL C
    .language_version:
      - 2
      - 0
    .max_flat_workgroup_size: 64
    .name:           _ZN9rocsolver6v33100L18getri_kernel_smallILi18EdPdEEvT1_iilPiilS4_bb
    .private_segment_fixed_size: 160
    .sgpr_count:     25
    .sgpr_spill_count: 0
    .symbol:         _ZN9rocsolver6v33100L18getri_kernel_smallILi18EdPdEEvT1_iilPiilS4_bb.kd
    .uniform_work_group_size: 1
    .uses_dynamic_stack: false
    .vgpr_count:     77
    .vgpr_spill_count: 0
    .wavefront_size: 32
    .workgroup_processor_mode: 1
  - .args:
      - .address_space:  global
        .offset:         0
        .size:           8
        .value_kind:     global_buffer
      - .offset:         8
        .size:           4
        .value_kind:     by_value
      - .offset:         12
        .size:           4
        .value_kind:     by_value
      - .offset:         16
        .size:           8
        .value_kind:     by_value
      - .address_space:  global
        .offset:         24
        .size:           8
        .value_kind:     global_buffer
      - .offset:         32
        .size:           4
        .value_kind:     by_value
      - .offset:         40
        .size:           8
        .value_kind:     by_value
      - .address_space:  global
        .offset:         48
        .size:           8
        .value_kind:     global_buffer
      - .offset:         56
        .size:           1
        .value_kind:     by_value
      - .offset:         57
        .size:           1
        .value_kind:     by_value
    .group_segment_fixed_size: 312
    .kernarg_segment_align: 8
    .kernarg_segment_size: 60
    .language:       OpenCL C
    .language_version:
      - 2
      - 0
    .max_flat_workgroup_size: 64
    .name:           _ZN9rocsolver6v33100L18getri_kernel_smallILi19EdPdEEvT1_iilPiilS4_bb
    .private_segment_fixed_size: 160
    .sgpr_count:     25
    .sgpr_spill_count: 0
    .symbol:         _ZN9rocsolver6v33100L18getri_kernel_smallILi19EdPdEEvT1_iilPiilS4_bb.kd
    .uniform_work_group_size: 1
    .uses_dynamic_stack: false
    .vgpr_count:     77
    .vgpr_spill_count: 0
    .wavefront_size: 32
    .workgroup_processor_mode: 1
  - .args:
      - .address_space:  global
        .offset:         0
        .size:           8
        .value_kind:     global_buffer
      - .offset:         8
        .size:           4
        .value_kind:     by_value
      - .offset:         12
        .size:           4
        .value_kind:     by_value
      - .offset:         16
        .size:           8
        .value_kind:     by_value
      - .address_space:  global
        .offset:         24
        .size:           8
        .value_kind:     global_buffer
      - .offset:         32
        .size:           4
        .value_kind:     by_value
      - .offset:         40
        .size:           8
        .value_kind:     by_value
      - .address_space:  global
        .offset:         48
        .size:           8
        .value_kind:     global_buffer
      - .offset:         56
        .size:           1
        .value_kind:     by_value
      - .offset:         57
        .size:           1
        .value_kind:     by_value
    .group_segment_fixed_size: 328
    .kernarg_segment_align: 8
    .kernarg_segment_size: 60
    .language:       OpenCL C
    .language_version:
      - 2
      - 0
    .max_flat_workgroup_size: 64
    .name:           _ZN9rocsolver6v33100L18getri_kernel_smallILi20EdPdEEvT1_iilPiilS4_bb
    .private_segment_fixed_size: 176
    .sgpr_count:     25
    .sgpr_spill_count: 0
    .symbol:         _ZN9rocsolver6v33100L18getri_kernel_smallILi20EdPdEEvT1_iilPiilS4_bb.kd
    .uniform_work_group_size: 1
    .uses_dynamic_stack: false
    .vgpr_count:     86
    .vgpr_spill_count: 0
    .wavefront_size: 32
    .workgroup_processor_mode: 1
  - .args:
      - .address_space:  global
        .offset:         0
        .size:           8
        .value_kind:     global_buffer
      - .offset:         8
        .size:           4
        .value_kind:     by_value
      - .offset:         12
        .size:           4
        .value_kind:     by_value
      - .offset:         16
        .size:           8
        .value_kind:     by_value
      - .address_space:  global
        .offset:         24
        .size:           8
        .value_kind:     global_buffer
      - .offset:         32
        .size:           4
        .value_kind:     by_value
      - .offset:         40
        .size:           8
        .value_kind:     by_value
      - .address_space:  global
        .offset:         48
        .size:           8
        .value_kind:     global_buffer
      - .offset:         56
        .size:           1
        .value_kind:     by_value
      - .offset:         57
        .size:           1
        .value_kind:     by_value
    .group_segment_fixed_size: 344
    .kernarg_segment_align: 8
    .kernarg_segment_size: 60
    .language:       OpenCL C
    .language_version:
      - 2
      - 0
    .max_flat_workgroup_size: 64
    .name:           _ZN9rocsolver6v33100L18getri_kernel_smallILi21EdPdEEvT1_iilPiilS4_bb
    .private_segment_fixed_size: 176
    .sgpr_count:     25
    .sgpr_spill_count: 0
    .symbol:         _ZN9rocsolver6v33100L18getri_kernel_smallILi21EdPdEEvT1_iilPiilS4_bb.kd
    .uniform_work_group_size: 1
    .uses_dynamic_stack: false
    .vgpr_count:     89
    .vgpr_spill_count: 0
    .wavefront_size: 32
    .workgroup_processor_mode: 1
  - .args:
      - .address_space:  global
        .offset:         0
        .size:           8
        .value_kind:     global_buffer
      - .offset:         8
        .size:           4
        .value_kind:     by_value
      - .offset:         12
        .size:           4
        .value_kind:     by_value
      - .offset:         16
        .size:           8
        .value_kind:     by_value
      - .address_space:  global
        .offset:         24
        .size:           8
        .value_kind:     global_buffer
      - .offset:         32
        .size:           4
        .value_kind:     by_value
      - .offset:         40
        .size:           8
        .value_kind:     by_value
      - .address_space:  global
        .offset:         48
        .size:           8
        .value_kind:     global_buffer
      - .offset:         56
        .size:           1
        .value_kind:     by_value
      - .offset:         57
        .size:           1
        .value_kind:     by_value
    .group_segment_fixed_size: 360
    .kernarg_segment_align: 8
    .kernarg_segment_size: 60
    .language:       OpenCL C
    .language_version:
      - 2
      - 0
    .max_flat_workgroup_size: 64
    .name:           _ZN9rocsolver6v33100L18getri_kernel_smallILi22EdPdEEvT1_iilPiilS4_bb
    .private_segment_fixed_size: 192
    .sgpr_count:     25
    .sgpr_spill_count: 0
    .symbol:         _ZN9rocsolver6v33100L18getri_kernel_smallILi22EdPdEEvT1_iilPiilS4_bb.kd
    .uniform_work_group_size: 1
    .uses_dynamic_stack: false
    .vgpr_count:     91
    .vgpr_spill_count: 0
    .wavefront_size: 32
    .workgroup_processor_mode: 1
  - .args:
      - .address_space:  global
        .offset:         0
        .size:           8
        .value_kind:     global_buffer
      - .offset:         8
        .size:           4
        .value_kind:     by_value
      - .offset:         12
        .size:           4
        .value_kind:     by_value
      - .offset:         16
        .size:           8
        .value_kind:     by_value
      - .address_space:  global
        .offset:         24
        .size:           8
        .value_kind:     global_buffer
      - .offset:         32
        .size:           4
        .value_kind:     by_value
      - .offset:         40
        .size:           8
        .value_kind:     by_value
      - .address_space:  global
        .offset:         48
        .size:           8
        .value_kind:     global_buffer
      - .offset:         56
        .size:           1
        .value_kind:     by_value
      - .offset:         57
        .size:           1
        .value_kind:     by_value
    .group_segment_fixed_size: 376
    .kernarg_segment_align: 8
    .kernarg_segment_size: 60
    .language:       OpenCL C
    .language_version:
      - 2
      - 0
    .max_flat_workgroup_size: 64
    .name:           _ZN9rocsolver6v33100L18getri_kernel_smallILi23EdPdEEvT1_iilPiilS4_bb
    .private_segment_fixed_size: 192
    .sgpr_count:     25
    .sgpr_spill_count: 0
    .symbol:         _ZN9rocsolver6v33100L18getri_kernel_smallILi23EdPdEEvT1_iilPiilS4_bb.kd
    .uniform_work_group_size: 1
    .uses_dynamic_stack: false
    .vgpr_count:     95
    .vgpr_spill_count: 0
    .wavefront_size: 32
    .workgroup_processor_mode: 1
  - .args:
      - .address_space:  global
        .offset:         0
        .size:           8
        .value_kind:     global_buffer
      - .offset:         8
        .size:           4
        .value_kind:     by_value
      - .offset:         12
        .size:           4
        .value_kind:     by_value
      - .offset:         16
        .size:           8
        .value_kind:     by_value
      - .address_space:  global
        .offset:         24
        .size:           8
        .value_kind:     global_buffer
      - .offset:         32
        .size:           4
        .value_kind:     by_value
      - .offset:         40
        .size:           8
        .value_kind:     by_value
      - .address_space:  global
        .offset:         48
        .size:           8
        .value_kind:     global_buffer
      - .offset:         56
        .size:           1
        .value_kind:     by_value
      - .offset:         57
        .size:           1
        .value_kind:     by_value
    .group_segment_fixed_size: 392
    .kernarg_segment_align: 8
    .kernarg_segment_size: 60
    .language:       OpenCL C
    .language_version:
      - 2
      - 0
    .max_flat_workgroup_size: 64
    .name:           _ZN9rocsolver6v33100L18getri_kernel_smallILi24EdPdEEvT1_iilPiilS4_bb
    .private_segment_fixed_size: 208
    .sgpr_count:     25
    .sgpr_spill_count: 0
    .symbol:         _ZN9rocsolver6v33100L18getri_kernel_smallILi24EdPdEEvT1_iilPiilS4_bb.kd
    .uniform_work_group_size: 1
    .uses_dynamic_stack: false
    .vgpr_count:     95
    .vgpr_spill_count: 0
    .wavefront_size: 32
    .workgroup_processor_mode: 1
  - .args:
      - .address_space:  global
        .offset:         0
        .size:           8
        .value_kind:     global_buffer
      - .offset:         8
        .size:           4
        .value_kind:     by_value
      - .offset:         12
        .size:           4
        .value_kind:     by_value
      - .offset:         16
        .size:           8
        .value_kind:     by_value
      - .address_space:  global
        .offset:         24
        .size:           8
        .value_kind:     global_buffer
      - .offset:         32
        .size:           4
        .value_kind:     by_value
      - .offset:         40
        .size:           8
        .value_kind:     by_value
      - .address_space:  global
        .offset:         48
        .size:           8
        .value_kind:     global_buffer
      - .offset:         56
        .size:           1
        .value_kind:     by_value
      - .offset:         57
        .size:           1
        .value_kind:     by_value
    .group_segment_fixed_size: 408
    .kernarg_segment_align: 8
    .kernarg_segment_size: 60
    .language:       OpenCL C
    .language_version:
      - 2
      - 0
    .max_flat_workgroup_size: 64
    .name:           _ZN9rocsolver6v33100L18getri_kernel_smallILi25EdPdEEvT1_iilPiilS4_bb
    .private_segment_fixed_size: 208
    .sgpr_count:     25
    .sgpr_spill_count: 0
    .symbol:         _ZN9rocsolver6v33100L18getri_kernel_smallILi25EdPdEEvT1_iilPiilS4_bb.kd
    .uniform_work_group_size: 1
    .uses_dynamic_stack: false
    .vgpr_count:     98
    .vgpr_spill_count: 0
    .wavefront_size: 32
    .workgroup_processor_mode: 1
  - .args:
      - .address_space:  global
        .offset:         0
        .size:           8
        .value_kind:     global_buffer
      - .offset:         8
        .size:           4
        .value_kind:     by_value
      - .offset:         12
        .size:           4
        .value_kind:     by_value
      - .offset:         16
        .size:           8
        .value_kind:     by_value
      - .address_space:  global
        .offset:         24
        .size:           8
        .value_kind:     global_buffer
      - .offset:         32
        .size:           4
        .value_kind:     by_value
      - .offset:         40
        .size:           8
        .value_kind:     by_value
      - .address_space:  global
        .offset:         48
        .size:           8
        .value_kind:     global_buffer
      - .offset:         56
        .size:           1
        .value_kind:     by_value
      - .offset:         57
        .size:           1
        .value_kind:     by_value
    .group_segment_fixed_size: 424
    .kernarg_segment_align: 8
    .kernarg_segment_size: 60
    .language:       OpenCL C
    .language_version:
      - 2
      - 0
    .max_flat_workgroup_size: 64
    .name:           _ZN9rocsolver6v33100L18getri_kernel_smallILi26EdPdEEvT1_iilPiilS4_bb
    .private_segment_fixed_size: 224
    .sgpr_count:     25
    .sgpr_spill_count: 0
    .symbol:         _ZN9rocsolver6v33100L18getri_kernel_smallILi26EdPdEEvT1_iilPiilS4_bb.kd
    .uniform_work_group_size: 1
    .uses_dynamic_stack: false
    .vgpr_count:     101
    .vgpr_spill_count: 0
    .wavefront_size: 32
    .workgroup_processor_mode: 1
  - .args:
      - .address_space:  global
        .offset:         0
        .size:           8
        .value_kind:     global_buffer
      - .offset:         8
        .size:           4
        .value_kind:     by_value
      - .offset:         12
        .size:           4
        .value_kind:     by_value
      - .offset:         16
        .size:           8
        .value_kind:     by_value
      - .address_space:  global
        .offset:         24
        .size:           8
        .value_kind:     global_buffer
      - .offset:         32
        .size:           4
        .value_kind:     by_value
      - .offset:         40
        .size:           8
        .value_kind:     by_value
      - .address_space:  global
        .offset:         48
        .size:           8
        .value_kind:     global_buffer
      - .offset:         56
        .size:           1
        .value_kind:     by_value
      - .offset:         57
        .size:           1
        .value_kind:     by_value
    .group_segment_fixed_size: 440
    .kernarg_segment_align: 8
    .kernarg_segment_size: 60
    .language:       OpenCL C
    .language_version:
      - 2
      - 0
    .max_flat_workgroup_size: 64
    .name:           _ZN9rocsolver6v33100L18getri_kernel_smallILi27EdPdEEvT1_iilPiilS4_bb
    .private_segment_fixed_size: 224
    .sgpr_count:     25
    .sgpr_spill_count: 0
    .symbol:         _ZN9rocsolver6v33100L18getri_kernel_smallILi27EdPdEEvT1_iilPiilS4_bb.kd
    .uniform_work_group_size: 1
    .uses_dynamic_stack: false
    .vgpr_count:     93
    .vgpr_spill_count: 0
    .wavefront_size: 32
    .workgroup_processor_mode: 1
  - .args:
      - .address_space:  global
        .offset:         0
        .size:           8
        .value_kind:     global_buffer
      - .offset:         8
        .size:           4
        .value_kind:     by_value
      - .offset:         12
        .size:           4
        .value_kind:     by_value
      - .offset:         16
        .size:           8
        .value_kind:     by_value
      - .address_space:  global
        .offset:         24
        .size:           8
        .value_kind:     global_buffer
      - .offset:         32
        .size:           4
        .value_kind:     by_value
      - .offset:         40
        .size:           8
        .value_kind:     by_value
      - .address_space:  global
        .offset:         48
        .size:           8
        .value_kind:     global_buffer
      - .offset:         56
        .size:           1
        .value_kind:     by_value
      - .offset:         57
        .size:           1
        .value_kind:     by_value
    .group_segment_fixed_size: 456
    .kernarg_segment_align: 8
    .kernarg_segment_size: 60
    .language:       OpenCL C
    .language_version:
      - 2
      - 0
    .max_flat_workgroup_size: 64
    .name:           _ZN9rocsolver6v33100L18getri_kernel_smallILi28EdPdEEvT1_iilPiilS4_bb
    .private_segment_fixed_size: 240
    .sgpr_count:     25
    .sgpr_spill_count: 0
    .symbol:         _ZN9rocsolver6v33100L18getri_kernel_smallILi28EdPdEEvT1_iilPiilS4_bb.kd
    .uniform_work_group_size: 1
    .uses_dynamic_stack: false
    .vgpr_count:     109
    .vgpr_spill_count: 0
    .wavefront_size: 32
    .workgroup_processor_mode: 1
  - .args:
      - .address_space:  global
        .offset:         0
        .size:           8
        .value_kind:     global_buffer
      - .offset:         8
        .size:           4
        .value_kind:     by_value
      - .offset:         12
        .size:           4
        .value_kind:     by_value
      - .offset:         16
        .size:           8
        .value_kind:     by_value
      - .address_space:  global
        .offset:         24
        .size:           8
        .value_kind:     global_buffer
      - .offset:         32
        .size:           4
        .value_kind:     by_value
      - .offset:         40
        .size:           8
        .value_kind:     by_value
      - .address_space:  global
        .offset:         48
        .size:           8
        .value_kind:     global_buffer
      - .offset:         56
        .size:           1
        .value_kind:     by_value
      - .offset:         57
        .size:           1
        .value_kind:     by_value
    .group_segment_fixed_size: 472
    .kernarg_segment_align: 8
    .kernarg_segment_size: 60
    .language:       OpenCL C
    .language_version:
      - 2
      - 0
    .max_flat_workgroup_size: 64
    .name:           _ZN9rocsolver6v33100L18getri_kernel_smallILi29EdPdEEvT1_iilPiilS4_bb
    .private_segment_fixed_size: 240
    .sgpr_count:     25
    .sgpr_spill_count: 0
    .symbol:         _ZN9rocsolver6v33100L18getri_kernel_smallILi29EdPdEEvT1_iilPiilS4_bb.kd
    .uniform_work_group_size: 1
    .uses_dynamic_stack: false
    .vgpr_count:     109
    .vgpr_spill_count: 0
    .wavefront_size: 32
    .workgroup_processor_mode: 1
  - .args:
      - .address_space:  global
        .offset:         0
        .size:           8
        .value_kind:     global_buffer
      - .offset:         8
        .size:           4
        .value_kind:     by_value
      - .offset:         12
        .size:           4
        .value_kind:     by_value
      - .offset:         16
        .size:           8
        .value_kind:     by_value
      - .address_space:  global
        .offset:         24
        .size:           8
        .value_kind:     global_buffer
      - .offset:         32
        .size:           4
        .value_kind:     by_value
      - .offset:         40
        .size:           8
        .value_kind:     by_value
      - .address_space:  global
        .offset:         48
        .size:           8
        .value_kind:     global_buffer
      - .offset:         56
        .size:           1
        .value_kind:     by_value
      - .offset:         57
        .size:           1
        .value_kind:     by_value
    .group_segment_fixed_size: 488
    .kernarg_segment_align: 8
    .kernarg_segment_size: 60
    .language:       OpenCL C
    .language_version:
      - 2
      - 0
    .max_flat_workgroup_size: 64
    .name:           _ZN9rocsolver6v33100L18getri_kernel_smallILi30EdPdEEvT1_iilPiilS4_bb
    .private_segment_fixed_size: 256
    .sgpr_count:     25
    .sgpr_spill_count: 0
    .symbol:         _ZN9rocsolver6v33100L18getri_kernel_smallILi30EdPdEEvT1_iilPiilS4_bb.kd
    .uniform_work_group_size: 1
    .uses_dynamic_stack: false
    .vgpr_count:     109
    .vgpr_spill_count: 0
    .wavefront_size: 32
    .workgroup_processor_mode: 1
  - .args:
      - .address_space:  global
        .offset:         0
        .size:           8
        .value_kind:     global_buffer
      - .offset:         8
        .size:           4
        .value_kind:     by_value
      - .offset:         12
        .size:           4
        .value_kind:     by_value
      - .offset:         16
        .size:           8
        .value_kind:     by_value
      - .address_space:  global
        .offset:         24
        .size:           8
        .value_kind:     global_buffer
      - .offset:         32
        .size:           4
        .value_kind:     by_value
      - .offset:         40
        .size:           8
        .value_kind:     by_value
      - .address_space:  global
        .offset:         48
        .size:           8
        .value_kind:     global_buffer
      - .offset:         56
        .size:           1
        .value_kind:     by_value
      - .offset:         57
        .size:           1
        .value_kind:     by_value
    .group_segment_fixed_size: 504
    .kernarg_segment_align: 8
    .kernarg_segment_size: 60
    .language:       OpenCL C
    .language_version:
      - 2
      - 0
    .max_flat_workgroup_size: 64
    .name:           _ZN9rocsolver6v33100L18getri_kernel_smallILi31EdPdEEvT1_iilPiilS4_bb
    .private_segment_fixed_size: 256
    .sgpr_count:     25
    .sgpr_spill_count: 0
    .symbol:         _ZN9rocsolver6v33100L18getri_kernel_smallILi31EdPdEEvT1_iilPiilS4_bb.kd
    .uniform_work_group_size: 1
    .uses_dynamic_stack: false
    .vgpr_count:     110
    .vgpr_spill_count: 0
    .wavefront_size: 32
    .workgroup_processor_mode: 1
  - .args:
      - .address_space:  global
        .offset:         0
        .size:           8
        .value_kind:     global_buffer
      - .offset:         8
        .size:           4
        .value_kind:     by_value
      - .offset:         12
        .size:           4
        .value_kind:     by_value
      - .offset:         16
        .size:           8
        .value_kind:     by_value
      - .address_space:  global
        .offset:         24
        .size:           8
        .value_kind:     global_buffer
      - .offset:         32
        .size:           4
        .value_kind:     by_value
      - .offset:         40
        .size:           8
        .value_kind:     by_value
      - .address_space:  global
        .offset:         48
        .size:           8
        .value_kind:     global_buffer
      - .offset:         56
        .size:           1
        .value_kind:     by_value
      - .offset:         57
        .size:           1
        .value_kind:     by_value
    .group_segment_fixed_size: 520
    .kernarg_segment_align: 8
    .kernarg_segment_size: 60
    .language:       OpenCL C
    .language_version:
      - 2
      - 0
    .max_flat_workgroup_size: 64
    .name:           _ZN9rocsolver6v33100L18getri_kernel_smallILi32EdPdEEvT1_iilPiilS4_bb
    .private_segment_fixed_size: 272
    .sgpr_count:     25
    .sgpr_spill_count: 0
    .symbol:         _ZN9rocsolver6v33100L18getri_kernel_smallILi32EdPdEEvT1_iilPiilS4_bb.kd
    .uniform_work_group_size: 1
    .uses_dynamic_stack: false
    .vgpr_count:     111
    .vgpr_spill_count: 0
    .wavefront_size: 32
    .workgroup_processor_mode: 1
  - .args:
      - .address_space:  global
        .offset:         0
        .size:           8
        .value_kind:     global_buffer
      - .offset:         8
        .size:           4
        .value_kind:     by_value
      - .offset:         12
        .size:           4
        .value_kind:     by_value
      - .offset:         16
        .size:           8
        .value_kind:     by_value
      - .address_space:  global
        .offset:         24
        .size:           8
        .value_kind:     global_buffer
      - .offset:         32
        .size:           4
        .value_kind:     by_value
      - .offset:         40
        .size:           8
        .value_kind:     by_value
      - .address_space:  global
        .offset:         48
        .size:           8
        .value_kind:     global_buffer
      - .offset:         56
        .size:           1
        .value_kind:     by_value
      - .offset:         57
        .size:           1
        .value_kind:     by_value
    .group_segment_fixed_size: 536
    .kernarg_segment_align: 8
    .kernarg_segment_size: 60
    .language:       OpenCL C
    .language_version:
      - 2
      - 0
    .max_flat_workgroup_size: 64
    .name:           _ZN9rocsolver6v33100L18getri_kernel_smallILi33EdPdEEvT1_iilPiilS4_bb
    .private_segment_fixed_size: 272
    .sgpr_count:     25
    .sgpr_spill_count: 0
    .symbol:         _ZN9rocsolver6v33100L18getri_kernel_smallILi33EdPdEEvT1_iilPiilS4_bb.kd
    .uniform_work_group_size: 1
    .uses_dynamic_stack: false
    .vgpr_count:     114
    .vgpr_spill_count: 0
    .wavefront_size: 32
    .workgroup_processor_mode: 1
  - .args:
      - .address_space:  global
        .offset:         0
        .size:           8
        .value_kind:     global_buffer
      - .offset:         8
        .size:           4
        .value_kind:     by_value
      - .offset:         12
        .size:           4
        .value_kind:     by_value
      - .offset:         16
        .size:           8
        .value_kind:     by_value
      - .address_space:  global
        .offset:         24
        .size:           8
        .value_kind:     global_buffer
      - .offset:         32
        .size:           4
        .value_kind:     by_value
      - .offset:         40
        .size:           8
        .value_kind:     by_value
      - .address_space:  global
        .offset:         48
        .size:           8
        .value_kind:     global_buffer
      - .offset:         56
        .size:           1
        .value_kind:     by_value
      - .offset:         57
        .size:           1
        .value_kind:     by_value
    .group_segment_fixed_size: 552
    .kernarg_segment_align: 8
    .kernarg_segment_size: 60
    .language:       OpenCL C
    .language_version:
      - 2
      - 0
    .max_flat_workgroup_size: 64
    .name:           _ZN9rocsolver6v33100L18getri_kernel_smallILi34EdPdEEvT1_iilPiilS4_bb
    .private_segment_fixed_size: 288
    .sgpr_count:     25
    .sgpr_spill_count: 0
    .symbol:         _ZN9rocsolver6v33100L18getri_kernel_smallILi34EdPdEEvT1_iilPiilS4_bb.kd
    .uniform_work_group_size: 1
    .uses_dynamic_stack: false
    .vgpr_count:     113
    .vgpr_spill_count: 0
    .wavefront_size: 32
    .workgroup_processor_mode: 1
  - .args:
      - .address_space:  global
        .offset:         0
        .size:           8
        .value_kind:     global_buffer
      - .offset:         8
        .size:           4
        .value_kind:     by_value
      - .offset:         12
        .size:           4
        .value_kind:     by_value
      - .offset:         16
        .size:           8
        .value_kind:     by_value
      - .address_space:  global
        .offset:         24
        .size:           8
        .value_kind:     global_buffer
      - .offset:         32
        .size:           4
        .value_kind:     by_value
      - .offset:         40
        .size:           8
        .value_kind:     by_value
      - .address_space:  global
        .offset:         48
        .size:           8
        .value_kind:     global_buffer
      - .offset:         56
        .size:           1
        .value_kind:     by_value
      - .offset:         57
        .size:           1
        .value_kind:     by_value
    .group_segment_fixed_size: 568
    .kernarg_segment_align: 8
    .kernarg_segment_size: 60
    .language:       OpenCL C
    .language_version:
      - 2
      - 0
    .max_flat_workgroup_size: 64
    .name:           _ZN9rocsolver6v33100L18getri_kernel_smallILi35EdPdEEvT1_iilPiilS4_bb
    .private_segment_fixed_size: 288
    .sgpr_count:     25
    .sgpr_spill_count: 0
    .symbol:         _ZN9rocsolver6v33100L18getri_kernel_smallILi35EdPdEEvT1_iilPiilS4_bb.kd
    .uniform_work_group_size: 1
    .uses_dynamic_stack: false
    .vgpr_count:     109
    .vgpr_spill_count: 0
    .wavefront_size: 32
    .workgroup_processor_mode: 1
  - .args:
      - .address_space:  global
        .offset:         0
        .size:           8
        .value_kind:     global_buffer
      - .offset:         8
        .size:           4
        .value_kind:     by_value
      - .offset:         12
        .size:           4
        .value_kind:     by_value
      - .offset:         16
        .size:           8
        .value_kind:     by_value
      - .address_space:  global
        .offset:         24
        .size:           8
        .value_kind:     global_buffer
      - .offset:         32
        .size:           4
        .value_kind:     by_value
      - .offset:         40
        .size:           8
        .value_kind:     by_value
      - .address_space:  global
        .offset:         48
        .size:           8
        .value_kind:     global_buffer
      - .offset:         56
        .size:           1
        .value_kind:     by_value
      - .offset:         57
        .size:           1
        .value_kind:     by_value
    .group_segment_fixed_size: 584
    .kernarg_segment_align: 8
    .kernarg_segment_size: 60
    .language:       OpenCL C
    .language_version:
      - 2
      - 0
    .max_flat_workgroup_size: 64
    .name:           _ZN9rocsolver6v33100L18getri_kernel_smallILi36EdPdEEvT1_iilPiilS4_bb
    .private_segment_fixed_size: 304
    .sgpr_count:     25
    .sgpr_spill_count: 0
    .symbol:         _ZN9rocsolver6v33100L18getri_kernel_smallILi36EdPdEEvT1_iilPiilS4_bb.kd
    .uniform_work_group_size: 1
    .uses_dynamic_stack: false
    .vgpr_count:     125
    .vgpr_spill_count: 0
    .wavefront_size: 32
    .workgroup_processor_mode: 1
  - .args:
      - .address_space:  global
        .offset:         0
        .size:           8
        .value_kind:     global_buffer
      - .offset:         8
        .size:           4
        .value_kind:     by_value
      - .offset:         12
        .size:           4
        .value_kind:     by_value
      - .offset:         16
        .size:           8
        .value_kind:     by_value
      - .address_space:  global
        .offset:         24
        .size:           8
        .value_kind:     global_buffer
      - .offset:         32
        .size:           4
        .value_kind:     by_value
      - .offset:         40
        .size:           8
        .value_kind:     by_value
      - .address_space:  global
        .offset:         48
        .size:           8
        .value_kind:     global_buffer
      - .offset:         56
        .size:           1
        .value_kind:     by_value
      - .offset:         57
        .size:           1
        .value_kind:     by_value
    .group_segment_fixed_size: 600
    .kernarg_segment_align: 8
    .kernarg_segment_size: 60
    .language:       OpenCL C
    .language_version:
      - 2
      - 0
    .max_flat_workgroup_size: 64
    .name:           _ZN9rocsolver6v33100L18getri_kernel_smallILi37EdPdEEvT1_iilPiilS4_bb
    .private_segment_fixed_size: 304
    .sgpr_count:     25
    .sgpr_spill_count: 0
    .symbol:         _ZN9rocsolver6v33100L18getri_kernel_smallILi37EdPdEEvT1_iilPiilS4_bb.kd
    .uniform_work_group_size: 1
    .uses_dynamic_stack: false
    .vgpr_count:     125
    .vgpr_spill_count: 0
    .wavefront_size: 32
    .workgroup_processor_mode: 1
  - .args:
      - .address_space:  global
        .offset:         0
        .size:           8
        .value_kind:     global_buffer
      - .offset:         8
        .size:           4
        .value_kind:     by_value
      - .offset:         12
        .size:           4
        .value_kind:     by_value
      - .offset:         16
        .size:           8
        .value_kind:     by_value
      - .address_space:  global
        .offset:         24
        .size:           8
        .value_kind:     global_buffer
      - .offset:         32
        .size:           4
        .value_kind:     by_value
      - .offset:         40
        .size:           8
        .value_kind:     by_value
      - .address_space:  global
        .offset:         48
        .size:           8
        .value_kind:     global_buffer
      - .offset:         56
        .size:           1
        .value_kind:     by_value
      - .offset:         57
        .size:           1
        .value_kind:     by_value
    .group_segment_fixed_size: 616
    .kernarg_segment_align: 8
    .kernarg_segment_size: 60
    .language:       OpenCL C
    .language_version:
      - 2
      - 0
    .max_flat_workgroup_size: 64
    .name:           _ZN9rocsolver6v33100L18getri_kernel_smallILi38EdPdEEvT1_iilPiilS4_bb
    .private_segment_fixed_size: 320
    .sgpr_count:     25
    .sgpr_spill_count: 0
    .symbol:         _ZN9rocsolver6v33100L18getri_kernel_smallILi38EdPdEEvT1_iilPiilS4_bb.kd
    .uniform_work_group_size: 1
    .uses_dynamic_stack: false
    .vgpr_count:     125
    .vgpr_spill_count: 0
    .wavefront_size: 32
    .workgroup_processor_mode: 1
  - .args:
      - .address_space:  global
        .offset:         0
        .size:           8
        .value_kind:     global_buffer
      - .offset:         8
        .size:           4
        .value_kind:     by_value
      - .offset:         12
        .size:           4
        .value_kind:     by_value
      - .offset:         16
        .size:           8
        .value_kind:     by_value
      - .address_space:  global
        .offset:         24
        .size:           8
        .value_kind:     global_buffer
      - .offset:         32
        .size:           4
        .value_kind:     by_value
      - .offset:         40
        .size:           8
        .value_kind:     by_value
      - .address_space:  global
        .offset:         48
        .size:           8
        .value_kind:     global_buffer
      - .offset:         56
        .size:           1
        .value_kind:     by_value
      - .offset:         57
        .size:           1
        .value_kind:     by_value
    .group_segment_fixed_size: 632
    .kernarg_segment_align: 8
    .kernarg_segment_size: 60
    .language:       OpenCL C
    .language_version:
      - 2
      - 0
    .max_flat_workgroup_size: 64
    .name:           _ZN9rocsolver6v33100L18getri_kernel_smallILi39EdPdEEvT1_iilPiilS4_bb
    .private_segment_fixed_size: 320
    .sgpr_count:     25
    .sgpr_spill_count: 0
    .symbol:         _ZN9rocsolver6v33100L18getri_kernel_smallILi39EdPdEEvT1_iilPiilS4_bb.kd
    .uniform_work_group_size: 1
    .uses_dynamic_stack: false
    .vgpr_count:     126
    .vgpr_spill_count: 0
    .wavefront_size: 32
    .workgroup_processor_mode: 1
  - .args:
      - .address_space:  global
        .offset:         0
        .size:           8
        .value_kind:     global_buffer
      - .offset:         8
        .size:           4
        .value_kind:     by_value
      - .offset:         12
        .size:           4
        .value_kind:     by_value
      - .offset:         16
        .size:           8
        .value_kind:     by_value
      - .address_space:  global
        .offset:         24
        .size:           8
        .value_kind:     global_buffer
      - .offset:         32
        .size:           4
        .value_kind:     by_value
      - .offset:         40
        .size:           8
        .value_kind:     by_value
      - .address_space:  global
        .offset:         48
        .size:           8
        .value_kind:     global_buffer
      - .offset:         56
        .size:           1
        .value_kind:     by_value
      - .offset:         57
        .size:           1
        .value_kind:     by_value
    .group_segment_fixed_size: 648
    .kernarg_segment_align: 8
    .kernarg_segment_size: 60
    .language:       OpenCL C
    .language_version:
      - 2
      - 0
    .max_flat_workgroup_size: 64
    .name:           _ZN9rocsolver6v33100L18getri_kernel_smallILi40EdPdEEvT1_iilPiilS4_bb
    .private_segment_fixed_size: 336
    .sgpr_count:     25
    .sgpr_spill_count: 0
    .symbol:         _ZN9rocsolver6v33100L18getri_kernel_smallILi40EdPdEEvT1_iilPiilS4_bb.kd
    .uniform_work_group_size: 1
    .uses_dynamic_stack: false
    .vgpr_count:     127
    .vgpr_spill_count: 0
    .wavefront_size: 32
    .workgroup_processor_mode: 1
  - .args:
      - .address_space:  global
        .offset:         0
        .size:           8
        .value_kind:     global_buffer
      - .offset:         8
        .size:           4
        .value_kind:     by_value
      - .offset:         12
        .size:           4
        .value_kind:     by_value
      - .offset:         16
        .size:           8
        .value_kind:     by_value
      - .address_space:  global
        .offset:         24
        .size:           8
        .value_kind:     global_buffer
      - .offset:         32
        .size:           4
        .value_kind:     by_value
      - .offset:         40
        .size:           8
        .value_kind:     by_value
      - .address_space:  global
        .offset:         48
        .size:           8
        .value_kind:     global_buffer
      - .offset:         56
        .size:           1
        .value_kind:     by_value
      - .offset:         57
        .size:           1
        .value_kind:     by_value
    .group_segment_fixed_size: 664
    .kernarg_segment_align: 8
    .kernarg_segment_size: 60
    .language:       OpenCL C
    .language_version:
      - 2
      - 0
    .max_flat_workgroup_size: 64
    .name:           _ZN9rocsolver6v33100L18getri_kernel_smallILi41EdPdEEvT1_iilPiilS4_bb
    .private_segment_fixed_size: 336
    .sgpr_count:     25
    .sgpr_spill_count: 0
    .symbol:         _ZN9rocsolver6v33100L18getri_kernel_smallILi41EdPdEEvT1_iilPiilS4_bb.kd
    .uniform_work_group_size: 1
    .uses_dynamic_stack: false
    .vgpr_count:     131
    .vgpr_spill_count: 0
    .wavefront_size: 32
    .workgroup_processor_mode: 1
  - .args:
      - .address_space:  global
        .offset:         0
        .size:           8
        .value_kind:     global_buffer
      - .offset:         8
        .size:           4
        .value_kind:     by_value
      - .offset:         12
        .size:           4
        .value_kind:     by_value
      - .offset:         16
        .size:           8
        .value_kind:     by_value
      - .address_space:  global
        .offset:         24
        .size:           8
        .value_kind:     global_buffer
      - .offset:         32
        .size:           4
        .value_kind:     by_value
      - .offset:         40
        .size:           8
        .value_kind:     by_value
      - .address_space:  global
        .offset:         48
        .size:           8
        .value_kind:     global_buffer
      - .offset:         56
        .size:           1
        .value_kind:     by_value
      - .offset:         57
        .size:           1
        .value_kind:     by_value
    .group_segment_fixed_size: 680
    .kernarg_segment_align: 8
    .kernarg_segment_size: 60
    .language:       OpenCL C
    .language_version:
      - 2
      - 0
    .max_flat_workgroup_size: 64
    .name:           _ZN9rocsolver6v33100L18getri_kernel_smallILi42EdPdEEvT1_iilPiilS4_bb
    .private_segment_fixed_size: 352
    .sgpr_count:     25
    .sgpr_spill_count: 0
    .symbol:         _ZN9rocsolver6v33100L18getri_kernel_smallILi42EdPdEEvT1_iilPiilS4_bb.kd
    .uniform_work_group_size: 1
    .uses_dynamic_stack: false
    .vgpr_count:     133
    .vgpr_spill_count: 0
    .wavefront_size: 32
    .workgroup_processor_mode: 1
  - .args:
      - .address_space:  global
        .offset:         0
        .size:           8
        .value_kind:     global_buffer
      - .offset:         8
        .size:           4
        .value_kind:     by_value
      - .offset:         12
        .size:           4
        .value_kind:     by_value
      - .offset:         16
        .size:           8
        .value_kind:     by_value
      - .address_space:  global
        .offset:         24
        .size:           8
        .value_kind:     global_buffer
      - .offset:         32
        .size:           4
        .value_kind:     by_value
      - .offset:         40
        .size:           8
        .value_kind:     by_value
      - .address_space:  global
        .offset:         48
        .size:           8
        .value_kind:     global_buffer
      - .offset:         56
        .size:           1
        .value_kind:     by_value
      - .offset:         57
        .size:           1
        .value_kind:     by_value
    .group_segment_fixed_size: 696
    .kernarg_segment_align: 8
    .kernarg_segment_size: 60
    .language:       OpenCL C
    .language_version:
      - 2
      - 0
    .max_flat_workgroup_size: 64
    .name:           _ZN9rocsolver6v33100L18getri_kernel_smallILi43EdPdEEvT1_iilPiilS4_bb
    .private_segment_fixed_size: 352
    .sgpr_count:     25
    .sgpr_spill_count: 0
    .symbol:         _ZN9rocsolver6v33100L18getri_kernel_smallILi43EdPdEEvT1_iilPiilS4_bb.kd
    .uniform_work_group_size: 1
    .uses_dynamic_stack: false
    .vgpr_count:     125
    .vgpr_spill_count: 0
    .wavefront_size: 32
    .workgroup_processor_mode: 1
  - .args:
      - .address_space:  global
        .offset:         0
        .size:           8
        .value_kind:     global_buffer
      - .offset:         8
        .size:           4
        .value_kind:     by_value
      - .offset:         12
        .size:           4
        .value_kind:     by_value
      - .offset:         16
        .size:           8
        .value_kind:     by_value
      - .address_space:  global
        .offset:         24
        .size:           8
        .value_kind:     global_buffer
      - .offset:         32
        .size:           4
        .value_kind:     by_value
      - .offset:         40
        .size:           8
        .value_kind:     by_value
      - .address_space:  global
        .offset:         48
        .size:           8
        .value_kind:     global_buffer
      - .offset:         56
        .size:           1
        .value_kind:     by_value
      - .offset:         57
        .size:           1
        .value_kind:     by_value
    .group_segment_fixed_size: 712
    .kernarg_segment_align: 8
    .kernarg_segment_size: 60
    .language:       OpenCL C
    .language_version:
      - 2
      - 0
    .max_flat_workgroup_size: 64
    .name:           _ZN9rocsolver6v33100L18getri_kernel_smallILi44EdPdEEvT1_iilPiilS4_bb
    .private_segment_fixed_size: 368
    .sgpr_count:     25
    .sgpr_spill_count: 0
    .symbol:         _ZN9rocsolver6v33100L18getri_kernel_smallILi44EdPdEEvT1_iilPiilS4_bb.kd
    .uniform_work_group_size: 1
    .uses_dynamic_stack: false
    .vgpr_count:     141
    .vgpr_spill_count: 0
    .wavefront_size: 32
    .workgroup_processor_mode: 1
  - .args:
      - .address_space:  global
        .offset:         0
        .size:           8
        .value_kind:     global_buffer
      - .offset:         8
        .size:           4
        .value_kind:     by_value
      - .offset:         12
        .size:           4
        .value_kind:     by_value
      - .offset:         16
        .size:           8
        .value_kind:     by_value
      - .address_space:  global
        .offset:         24
        .size:           8
        .value_kind:     global_buffer
      - .offset:         32
        .size:           4
        .value_kind:     by_value
      - .offset:         40
        .size:           8
        .value_kind:     by_value
      - .address_space:  global
        .offset:         48
        .size:           8
        .value_kind:     global_buffer
      - .offset:         56
        .size:           1
        .value_kind:     by_value
      - .offset:         57
        .size:           1
        .value_kind:     by_value
    .group_segment_fixed_size: 728
    .kernarg_segment_align: 8
    .kernarg_segment_size: 60
    .language:       OpenCL C
    .language_version:
      - 2
      - 0
    .max_flat_workgroup_size: 64
    .name:           _ZN9rocsolver6v33100L18getri_kernel_smallILi45EdPdEEvT1_iilPiilS4_bb
    .private_segment_fixed_size: 368
    .sgpr_count:     25
    .sgpr_spill_count: 0
    .symbol:         _ZN9rocsolver6v33100L18getri_kernel_smallILi45EdPdEEvT1_iilPiilS4_bb.kd
    .uniform_work_group_size: 1
    .uses_dynamic_stack: false
    .vgpr_count:     141
    .vgpr_spill_count: 0
    .wavefront_size: 32
    .workgroup_processor_mode: 1
  - .args:
      - .address_space:  global
        .offset:         0
        .size:           8
        .value_kind:     global_buffer
      - .offset:         8
        .size:           4
        .value_kind:     by_value
      - .offset:         12
        .size:           4
        .value_kind:     by_value
      - .offset:         16
        .size:           8
        .value_kind:     by_value
      - .address_space:  global
        .offset:         24
        .size:           8
        .value_kind:     global_buffer
      - .offset:         32
        .size:           4
        .value_kind:     by_value
      - .offset:         40
        .size:           8
        .value_kind:     by_value
      - .address_space:  global
        .offset:         48
        .size:           8
        .value_kind:     global_buffer
      - .offset:         56
        .size:           1
        .value_kind:     by_value
      - .offset:         57
        .size:           1
        .value_kind:     by_value
    .group_segment_fixed_size: 744
    .kernarg_segment_align: 8
    .kernarg_segment_size: 60
    .language:       OpenCL C
    .language_version:
      - 2
      - 0
    .max_flat_workgroup_size: 64
    .name:           _ZN9rocsolver6v33100L18getri_kernel_smallILi46EdPdEEvT1_iilPiilS4_bb
    .private_segment_fixed_size: 384
    .sgpr_count:     25
    .sgpr_spill_count: 0
    .symbol:         _ZN9rocsolver6v33100L18getri_kernel_smallILi46EdPdEEvT1_iilPiilS4_bb.kd
    .uniform_work_group_size: 1
    .uses_dynamic_stack: false
    .vgpr_count:     141
    .vgpr_spill_count: 0
    .wavefront_size: 32
    .workgroup_processor_mode: 1
  - .args:
      - .address_space:  global
        .offset:         0
        .size:           8
        .value_kind:     global_buffer
      - .offset:         8
        .size:           4
        .value_kind:     by_value
      - .offset:         12
        .size:           4
        .value_kind:     by_value
      - .offset:         16
        .size:           8
        .value_kind:     by_value
      - .address_space:  global
        .offset:         24
        .size:           8
        .value_kind:     global_buffer
      - .offset:         32
        .size:           4
        .value_kind:     by_value
      - .offset:         40
        .size:           8
        .value_kind:     by_value
      - .address_space:  global
        .offset:         48
        .size:           8
        .value_kind:     global_buffer
      - .offset:         56
        .size:           1
        .value_kind:     by_value
      - .offset:         57
        .size:           1
        .value_kind:     by_value
    .group_segment_fixed_size: 760
    .kernarg_segment_align: 8
    .kernarg_segment_size: 60
    .language:       OpenCL C
    .language_version:
      - 2
      - 0
    .max_flat_workgroup_size: 64
    .name:           _ZN9rocsolver6v33100L18getri_kernel_smallILi47EdPdEEvT1_iilPiilS4_bb
    .private_segment_fixed_size: 384
    .sgpr_count:     25
    .sgpr_spill_count: 0
    .symbol:         _ZN9rocsolver6v33100L18getri_kernel_smallILi47EdPdEEvT1_iilPiilS4_bb.kd
    .uniform_work_group_size: 1
    .uses_dynamic_stack: false
    .vgpr_count:     141
    .vgpr_spill_count: 0
    .wavefront_size: 32
    .workgroup_processor_mode: 1
  - .args:
      - .address_space:  global
        .offset:         0
        .size:           8
        .value_kind:     global_buffer
      - .offset:         8
        .size:           4
        .value_kind:     by_value
      - .offset:         12
        .size:           4
        .value_kind:     by_value
      - .offset:         16
        .size:           8
        .value_kind:     by_value
      - .address_space:  global
        .offset:         24
        .size:           8
        .value_kind:     global_buffer
      - .offset:         32
        .size:           4
        .value_kind:     by_value
      - .offset:         40
        .size:           8
        .value_kind:     by_value
      - .address_space:  global
        .offset:         48
        .size:           8
        .value_kind:     global_buffer
      - .offset:         56
        .size:           1
        .value_kind:     by_value
      - .offset:         57
        .size:           1
        .value_kind:     by_value
    .group_segment_fixed_size: 776
    .kernarg_segment_align: 8
    .kernarg_segment_size: 60
    .language:       OpenCL C
    .language_version:
      - 2
      - 0
    .max_flat_workgroup_size: 64
    .name:           _ZN9rocsolver6v33100L18getri_kernel_smallILi48EdPdEEvT1_iilPiilS4_bb
    .private_segment_fixed_size: 400
    .sgpr_count:     25
    .sgpr_spill_count: 0
    .symbol:         _ZN9rocsolver6v33100L18getri_kernel_smallILi48EdPdEEvT1_iilPiilS4_bb.kd
    .uniform_work_group_size: 1
    .uses_dynamic_stack: false
    .vgpr_count:     145
    .vgpr_spill_count: 0
    .wavefront_size: 32
    .workgroup_processor_mode: 1
  - .args:
      - .address_space:  global
        .offset:         0
        .size:           8
        .value_kind:     global_buffer
      - .offset:         8
        .size:           4
        .value_kind:     by_value
      - .offset:         12
        .size:           4
        .value_kind:     by_value
      - .offset:         16
        .size:           8
        .value_kind:     by_value
      - .address_space:  global
        .offset:         24
        .size:           8
        .value_kind:     global_buffer
      - .offset:         32
        .size:           4
        .value_kind:     by_value
      - .offset:         40
        .size:           8
        .value_kind:     by_value
      - .address_space:  global
        .offset:         48
        .size:           8
        .value_kind:     global_buffer
      - .offset:         56
        .size:           1
        .value_kind:     by_value
      - .offset:         57
        .size:           1
        .value_kind:     by_value
    .group_segment_fixed_size: 792
    .kernarg_segment_align: 8
    .kernarg_segment_size: 60
    .language:       OpenCL C
    .language_version:
      - 2
      - 0
    .max_flat_workgroup_size: 64
    .name:           _ZN9rocsolver6v33100L18getri_kernel_smallILi49EdPdEEvT1_iilPiilS4_bb
    .private_segment_fixed_size: 400
    .sgpr_count:     25
    .sgpr_spill_count: 0
    .symbol:         _ZN9rocsolver6v33100L18getri_kernel_smallILi49EdPdEEvT1_iilPiilS4_bb.kd
    .uniform_work_group_size: 1
    .uses_dynamic_stack: false
    .vgpr_count:     145
    .vgpr_spill_count: 0
    .wavefront_size: 32
    .workgroup_processor_mode: 1
  - .args:
      - .address_space:  global
        .offset:         0
        .size:           8
        .value_kind:     global_buffer
      - .offset:         8
        .size:           4
        .value_kind:     by_value
      - .offset:         12
        .size:           4
        .value_kind:     by_value
      - .offset:         16
        .size:           8
        .value_kind:     by_value
      - .address_space:  global
        .offset:         24
        .size:           8
        .value_kind:     global_buffer
      - .offset:         32
        .size:           4
        .value_kind:     by_value
      - .offset:         40
        .size:           8
        .value_kind:     by_value
      - .address_space:  global
        .offset:         48
        .size:           8
        .value_kind:     global_buffer
      - .offset:         56
        .size:           1
        .value_kind:     by_value
      - .offset:         57
        .size:           1
        .value_kind:     by_value
    .group_segment_fixed_size: 808
    .kernarg_segment_align: 8
    .kernarg_segment_size: 60
    .language:       OpenCL C
    .language_version:
      - 2
      - 0
    .max_flat_workgroup_size: 64
    .name:           _ZN9rocsolver6v33100L18getri_kernel_smallILi50EdPdEEvT1_iilPiilS4_bb
    .private_segment_fixed_size: 416
    .sgpr_count:     25
    .sgpr_spill_count: 0
    .symbol:         _ZN9rocsolver6v33100L18getri_kernel_smallILi50EdPdEEvT1_iilPiilS4_bb.kd
    .uniform_work_group_size: 1
    .uses_dynamic_stack: false
    .vgpr_count:     145
    .vgpr_spill_count: 0
    .wavefront_size: 32
    .workgroup_processor_mode: 1
  - .args:
      - .address_space:  global
        .offset:         0
        .size:           8
        .value_kind:     global_buffer
      - .offset:         8
        .size:           4
        .value_kind:     by_value
      - .offset:         12
        .size:           4
        .value_kind:     by_value
      - .offset:         16
        .size:           8
        .value_kind:     by_value
      - .address_space:  global
        .offset:         24
        .size:           8
        .value_kind:     global_buffer
      - .offset:         32
        .size:           4
        .value_kind:     by_value
      - .offset:         40
        .size:           8
        .value_kind:     by_value
      - .address_space:  global
        .offset:         48
        .size:           8
        .value_kind:     global_buffer
      - .offset:         56
        .size:           1
        .value_kind:     by_value
      - .offset:         57
        .size:           1
        .value_kind:     by_value
    .group_segment_fixed_size: 824
    .kernarg_segment_align: 8
    .kernarg_segment_size: 60
    .language:       OpenCL C
    .language_version:
      - 2
      - 0
    .max_flat_workgroup_size: 64
    .name:           _ZN9rocsolver6v33100L18getri_kernel_smallILi51EdPdEEvT1_iilPiilS4_bb
    .private_segment_fixed_size: 416
    .sgpr_count:     25
    .sgpr_spill_count: 0
    .symbol:         _ZN9rocsolver6v33100L18getri_kernel_smallILi51EdPdEEvT1_iilPiilS4_bb.kd
    .uniform_work_group_size: 1
    .uses_dynamic_stack: false
    .vgpr_count:     141
    .vgpr_spill_count: 0
    .wavefront_size: 32
    .workgroup_processor_mode: 1
  - .args:
      - .address_space:  global
        .offset:         0
        .size:           8
        .value_kind:     global_buffer
      - .offset:         8
        .size:           4
        .value_kind:     by_value
      - .offset:         12
        .size:           4
        .value_kind:     by_value
      - .offset:         16
        .size:           8
        .value_kind:     by_value
      - .address_space:  global
        .offset:         24
        .size:           8
        .value_kind:     global_buffer
      - .offset:         32
        .size:           4
        .value_kind:     by_value
      - .offset:         40
        .size:           8
        .value_kind:     by_value
      - .address_space:  global
        .offset:         48
        .size:           8
        .value_kind:     global_buffer
      - .offset:         56
        .size:           1
        .value_kind:     by_value
      - .offset:         57
        .size:           1
        .value_kind:     by_value
    .group_segment_fixed_size: 840
    .kernarg_segment_align: 8
    .kernarg_segment_size: 60
    .language:       OpenCL C
    .language_version:
      - 2
      - 0
    .max_flat_workgroup_size: 64
    .name:           _ZN9rocsolver6v33100L18getri_kernel_smallILi52EdPdEEvT1_iilPiilS4_bb
    .private_segment_fixed_size: 432
    .sgpr_count:     25
    .sgpr_spill_count: 0
    .symbol:         _ZN9rocsolver6v33100L18getri_kernel_smallILi52EdPdEEvT1_iilPiilS4_bb.kd
    .uniform_work_group_size: 1
    .uses_dynamic_stack: false
    .vgpr_count:     157
    .vgpr_spill_count: 0
    .wavefront_size: 32
    .workgroup_processor_mode: 1
  - .args:
      - .address_space:  global
        .offset:         0
        .size:           8
        .value_kind:     global_buffer
      - .offset:         8
        .size:           4
        .value_kind:     by_value
      - .offset:         12
        .size:           4
        .value_kind:     by_value
      - .offset:         16
        .size:           8
        .value_kind:     by_value
      - .address_space:  global
        .offset:         24
        .size:           8
        .value_kind:     global_buffer
      - .offset:         32
        .size:           4
        .value_kind:     by_value
      - .offset:         40
        .size:           8
        .value_kind:     by_value
      - .address_space:  global
        .offset:         48
        .size:           8
        .value_kind:     global_buffer
      - .offset:         56
        .size:           1
        .value_kind:     by_value
      - .offset:         57
        .size:           1
        .value_kind:     by_value
    .group_segment_fixed_size: 856
    .kernarg_segment_align: 8
    .kernarg_segment_size: 60
    .language:       OpenCL C
    .language_version:
      - 2
      - 0
    .max_flat_workgroup_size: 64
    .name:           _ZN9rocsolver6v33100L18getri_kernel_smallILi53EdPdEEvT1_iilPiilS4_bb
    .private_segment_fixed_size: 432
    .sgpr_count:     25
    .sgpr_spill_count: 0
    .symbol:         _ZN9rocsolver6v33100L18getri_kernel_smallILi53EdPdEEvT1_iilPiilS4_bb.kd
    .uniform_work_group_size: 1
    .uses_dynamic_stack: false
    .vgpr_count:     158
    .vgpr_spill_count: 0
    .wavefront_size: 32
    .workgroup_processor_mode: 1
  - .args:
      - .address_space:  global
        .offset:         0
        .size:           8
        .value_kind:     global_buffer
      - .offset:         8
        .size:           4
        .value_kind:     by_value
      - .offset:         12
        .size:           4
        .value_kind:     by_value
      - .offset:         16
        .size:           8
        .value_kind:     by_value
      - .address_space:  global
        .offset:         24
        .size:           8
        .value_kind:     global_buffer
      - .offset:         32
        .size:           4
        .value_kind:     by_value
      - .offset:         40
        .size:           8
        .value_kind:     by_value
      - .address_space:  global
        .offset:         48
        .size:           8
        .value_kind:     global_buffer
      - .offset:         56
        .size:           1
        .value_kind:     by_value
      - .offset:         57
        .size:           1
        .value_kind:     by_value
    .group_segment_fixed_size: 872
    .kernarg_segment_align: 8
    .kernarg_segment_size: 60
    .language:       OpenCL C
    .language_version:
      - 2
      - 0
    .max_flat_workgroup_size: 64
    .name:           _ZN9rocsolver6v33100L18getri_kernel_smallILi54EdPdEEvT1_iilPiilS4_bb
    .private_segment_fixed_size: 448
    .sgpr_count:     25
    .sgpr_spill_count: 0
    .symbol:         _ZN9rocsolver6v33100L18getri_kernel_smallILi54EdPdEEvT1_iilPiilS4_bb.kd
    .uniform_work_group_size: 1
    .uses_dynamic_stack: false
    .vgpr_count:     162
    .vgpr_spill_count: 0
    .wavefront_size: 32
    .workgroup_processor_mode: 1
  - .args:
      - .address_space:  global
        .offset:         0
        .size:           8
        .value_kind:     global_buffer
      - .offset:         8
        .size:           4
        .value_kind:     by_value
      - .offset:         12
        .size:           4
        .value_kind:     by_value
      - .offset:         16
        .size:           8
        .value_kind:     by_value
      - .address_space:  global
        .offset:         24
        .size:           8
        .value_kind:     global_buffer
      - .offset:         32
        .size:           4
        .value_kind:     by_value
      - .offset:         40
        .size:           8
        .value_kind:     by_value
      - .address_space:  global
        .offset:         48
        .size:           8
        .value_kind:     global_buffer
      - .offset:         56
        .size:           1
        .value_kind:     by_value
      - .offset:         57
        .size:           1
        .value_kind:     by_value
    .group_segment_fixed_size: 888
    .kernarg_segment_align: 8
    .kernarg_segment_size: 60
    .language:       OpenCL C
    .language_version:
      - 2
      - 0
    .max_flat_workgroup_size: 64
    .name:           _ZN9rocsolver6v33100L18getri_kernel_smallILi55EdPdEEvT1_iilPiilS4_bb
    .private_segment_fixed_size: 448
    .sgpr_count:     25
    .sgpr_spill_count: 0
    .symbol:         _ZN9rocsolver6v33100L18getri_kernel_smallILi55EdPdEEvT1_iilPiilS4_bb.kd
    .uniform_work_group_size: 1
    .uses_dynamic_stack: false
    .vgpr_count:     166
    .vgpr_spill_count: 0
    .wavefront_size: 32
    .workgroup_processor_mode: 1
  - .args:
      - .address_space:  global
        .offset:         0
        .size:           8
        .value_kind:     global_buffer
      - .offset:         8
        .size:           4
        .value_kind:     by_value
      - .offset:         12
        .size:           4
        .value_kind:     by_value
      - .offset:         16
        .size:           8
        .value_kind:     by_value
      - .address_space:  global
        .offset:         24
        .size:           8
        .value_kind:     global_buffer
      - .offset:         32
        .size:           4
        .value_kind:     by_value
      - .offset:         40
        .size:           8
        .value_kind:     by_value
      - .address_space:  global
        .offset:         48
        .size:           8
        .value_kind:     global_buffer
      - .offset:         56
        .size:           1
        .value_kind:     by_value
      - .offset:         57
        .size:           1
        .value_kind:     by_value
    .group_segment_fixed_size: 904
    .kernarg_segment_align: 8
    .kernarg_segment_size: 60
    .language:       OpenCL C
    .language_version:
      - 2
      - 0
    .max_flat_workgroup_size: 64
    .name:           _ZN9rocsolver6v33100L18getri_kernel_smallILi56EdPdEEvT1_iilPiilS4_bb
    .private_segment_fixed_size: 464
    .sgpr_count:     25
    .sgpr_spill_count: 0
    .symbol:         _ZN9rocsolver6v33100L18getri_kernel_smallILi56EdPdEEvT1_iilPiilS4_bb.kd
    .uniform_work_group_size: 1
    .uses_dynamic_stack: false
    .vgpr_count:     164
    .vgpr_spill_count: 0
    .wavefront_size: 32
    .workgroup_processor_mode: 1
  - .args:
      - .address_space:  global
        .offset:         0
        .size:           8
        .value_kind:     global_buffer
      - .offset:         8
        .size:           4
        .value_kind:     by_value
      - .offset:         12
        .size:           4
        .value_kind:     by_value
      - .offset:         16
        .size:           8
        .value_kind:     by_value
      - .address_space:  global
        .offset:         24
        .size:           8
        .value_kind:     global_buffer
      - .offset:         32
        .size:           4
        .value_kind:     by_value
      - .offset:         40
        .size:           8
        .value_kind:     by_value
      - .address_space:  global
        .offset:         48
        .size:           8
        .value_kind:     global_buffer
      - .offset:         56
        .size:           1
        .value_kind:     by_value
      - .offset:         57
        .size:           1
        .value_kind:     by_value
    .group_segment_fixed_size: 920
    .kernarg_segment_align: 8
    .kernarg_segment_size: 60
    .language:       OpenCL C
    .language_version:
      - 2
      - 0
    .max_flat_workgroup_size: 64
    .name:           _ZN9rocsolver6v33100L18getri_kernel_smallILi57EdPdEEvT1_iilPiilS4_bb
    .private_segment_fixed_size: 464
    .sgpr_count:     25
    .sgpr_spill_count: 0
    .symbol:         _ZN9rocsolver6v33100L18getri_kernel_smallILi57EdPdEEvT1_iilPiilS4_bb.kd
    .uniform_work_group_size: 1
    .uses_dynamic_stack: false
    .vgpr_count:     164
    .vgpr_spill_count: 0
    .wavefront_size: 32
    .workgroup_processor_mode: 1
  - .args:
      - .address_space:  global
        .offset:         0
        .size:           8
        .value_kind:     global_buffer
      - .offset:         8
        .size:           4
        .value_kind:     by_value
      - .offset:         12
        .size:           4
        .value_kind:     by_value
      - .offset:         16
        .size:           8
        .value_kind:     by_value
      - .address_space:  global
        .offset:         24
        .size:           8
        .value_kind:     global_buffer
      - .offset:         32
        .size:           4
        .value_kind:     by_value
      - .offset:         40
        .size:           8
        .value_kind:     by_value
      - .address_space:  global
        .offset:         48
        .size:           8
        .value_kind:     global_buffer
      - .offset:         56
        .size:           1
        .value_kind:     by_value
      - .offset:         57
        .size:           1
        .value_kind:     by_value
    .group_segment_fixed_size: 936
    .kernarg_segment_align: 8
    .kernarg_segment_size: 60
    .language:       OpenCL C
    .language_version:
      - 2
      - 0
    .max_flat_workgroup_size: 64
    .name:           _ZN9rocsolver6v33100L18getri_kernel_smallILi58EdPdEEvT1_iilPiilS4_bb
    .private_segment_fixed_size: 480
    .sgpr_count:     25
    .sgpr_spill_count: 0
    .symbol:         _ZN9rocsolver6v33100L18getri_kernel_smallILi58EdPdEEvT1_iilPiilS4_bb.kd
    .uniform_work_group_size: 1
    .uses_dynamic_stack: false
    .vgpr_count:     166
    .vgpr_spill_count: 0
    .wavefront_size: 32
    .workgroup_processor_mode: 1
  - .args:
      - .address_space:  global
        .offset:         0
        .size:           8
        .value_kind:     global_buffer
      - .offset:         8
        .size:           4
        .value_kind:     by_value
      - .offset:         12
        .size:           4
        .value_kind:     by_value
      - .offset:         16
        .size:           8
        .value_kind:     by_value
      - .address_space:  global
        .offset:         24
        .size:           8
        .value_kind:     global_buffer
      - .offset:         32
        .size:           4
        .value_kind:     by_value
      - .offset:         40
        .size:           8
        .value_kind:     by_value
      - .address_space:  global
        .offset:         48
        .size:           8
        .value_kind:     global_buffer
      - .offset:         56
        .size:           1
        .value_kind:     by_value
      - .offset:         57
        .size:           1
        .value_kind:     by_value
    .group_segment_fixed_size: 952
    .kernarg_segment_align: 8
    .kernarg_segment_size: 60
    .language:       OpenCL C
    .language_version:
      - 2
      - 0
    .max_flat_workgroup_size: 64
    .name:           _ZN9rocsolver6v33100L18getri_kernel_smallILi59EdPdEEvT1_iilPiilS4_bb
    .private_segment_fixed_size: 480
    .sgpr_count:     25
    .sgpr_spill_count: 0
    .symbol:         _ZN9rocsolver6v33100L18getri_kernel_smallILi59EdPdEEvT1_iilPiilS4_bb.kd
    .uniform_work_group_size: 1
    .uses_dynamic_stack: false
    .vgpr_count:     167
    .vgpr_spill_count: 0
    .wavefront_size: 32
    .workgroup_processor_mode: 1
  - .args:
      - .address_space:  global
        .offset:         0
        .size:           8
        .value_kind:     global_buffer
      - .offset:         8
        .size:           4
        .value_kind:     by_value
      - .offset:         12
        .size:           4
        .value_kind:     by_value
      - .offset:         16
        .size:           8
        .value_kind:     by_value
      - .address_space:  global
        .offset:         24
        .size:           8
        .value_kind:     global_buffer
      - .offset:         32
        .size:           4
        .value_kind:     by_value
      - .offset:         40
        .size:           8
        .value_kind:     by_value
      - .address_space:  global
        .offset:         48
        .size:           8
        .value_kind:     global_buffer
      - .offset:         56
        .size:           1
        .value_kind:     by_value
      - .offset:         57
        .size:           1
        .value_kind:     by_value
    .group_segment_fixed_size: 968
    .kernarg_segment_align: 8
    .kernarg_segment_size: 60
    .language:       OpenCL C
    .language_version:
      - 2
      - 0
    .max_flat_workgroup_size: 64
    .name:           _ZN9rocsolver6v33100L18getri_kernel_smallILi60EdPdEEvT1_iilPiilS4_bb
    .private_segment_fixed_size: 496
    .sgpr_count:     25
    .sgpr_spill_count: 0
    .symbol:         _ZN9rocsolver6v33100L18getri_kernel_smallILi60EdPdEEvT1_iilPiilS4_bb.kd
    .uniform_work_group_size: 1
    .uses_dynamic_stack: false
    .vgpr_count:     189
    .vgpr_spill_count: 0
    .wavefront_size: 32
    .workgroup_processor_mode: 1
  - .args:
      - .address_space:  global
        .offset:         0
        .size:           8
        .value_kind:     global_buffer
      - .offset:         8
        .size:           4
        .value_kind:     by_value
      - .offset:         12
        .size:           4
        .value_kind:     by_value
      - .offset:         16
        .size:           8
        .value_kind:     by_value
      - .address_space:  global
        .offset:         24
        .size:           8
        .value_kind:     global_buffer
      - .offset:         32
        .size:           4
        .value_kind:     by_value
      - .offset:         40
        .size:           8
        .value_kind:     by_value
      - .address_space:  global
        .offset:         48
        .size:           8
        .value_kind:     global_buffer
      - .offset:         56
        .size:           1
        .value_kind:     by_value
      - .offset:         57
        .size:           1
        .value_kind:     by_value
    .group_segment_fixed_size: 984
    .kernarg_segment_align: 8
    .kernarg_segment_size: 60
    .language:       OpenCL C
    .language_version:
      - 2
      - 0
    .max_flat_workgroup_size: 64
    .name:           _ZN9rocsolver6v33100L18getri_kernel_smallILi61EdPdEEvT1_iilPiilS4_bb
    .private_segment_fixed_size: 496
    .sgpr_count:     25
    .sgpr_spill_count: 0
    .symbol:         _ZN9rocsolver6v33100L18getri_kernel_smallILi61EdPdEEvT1_iilPiilS4_bb.kd
    .uniform_work_group_size: 1
    .uses_dynamic_stack: false
    .vgpr_count:     189
    .vgpr_spill_count: 0
    .wavefront_size: 32
    .workgroup_processor_mode: 1
  - .args:
      - .address_space:  global
        .offset:         0
        .size:           8
        .value_kind:     global_buffer
      - .offset:         8
        .size:           4
        .value_kind:     by_value
      - .offset:         12
        .size:           4
        .value_kind:     by_value
      - .offset:         16
        .size:           8
        .value_kind:     by_value
      - .address_space:  global
        .offset:         24
        .size:           8
        .value_kind:     global_buffer
      - .offset:         32
        .size:           4
        .value_kind:     by_value
      - .offset:         40
        .size:           8
        .value_kind:     by_value
      - .address_space:  global
        .offset:         48
        .size:           8
        .value_kind:     global_buffer
      - .offset:         56
        .size:           1
        .value_kind:     by_value
      - .offset:         57
        .size:           1
        .value_kind:     by_value
    .group_segment_fixed_size: 1000
    .kernarg_segment_align: 8
    .kernarg_segment_size: 60
    .language:       OpenCL C
    .language_version:
      - 2
      - 0
    .max_flat_workgroup_size: 64
    .name:           _ZN9rocsolver6v33100L18getri_kernel_smallILi62EdPdEEvT1_iilPiilS4_bb
    .private_segment_fixed_size: 512
    .sgpr_count:     25
    .sgpr_spill_count: 0
    .symbol:         _ZN9rocsolver6v33100L18getri_kernel_smallILi62EdPdEEvT1_iilPiilS4_bb.kd
    .uniform_work_group_size: 1
    .uses_dynamic_stack: false
    .vgpr_count:     189
    .vgpr_spill_count: 0
    .wavefront_size: 32
    .workgroup_processor_mode: 1
  - .args:
      - .address_space:  global
        .offset:         0
        .size:           8
        .value_kind:     global_buffer
      - .offset:         8
        .size:           4
        .value_kind:     by_value
      - .offset:         12
        .size:           4
        .value_kind:     by_value
      - .offset:         16
        .size:           8
        .value_kind:     by_value
      - .address_space:  global
        .offset:         24
        .size:           8
        .value_kind:     global_buffer
      - .offset:         32
        .size:           4
        .value_kind:     by_value
      - .offset:         40
        .size:           8
        .value_kind:     by_value
      - .address_space:  global
        .offset:         48
        .size:           8
        .value_kind:     global_buffer
      - .offset:         56
        .size:           1
        .value_kind:     by_value
      - .offset:         57
        .size:           1
        .value_kind:     by_value
    .group_segment_fixed_size: 1016
    .kernarg_segment_align: 8
    .kernarg_segment_size: 60
    .language:       OpenCL C
    .language_version:
      - 2
      - 0
    .max_flat_workgroup_size: 64
    .name:           _ZN9rocsolver6v33100L18getri_kernel_smallILi63EdPdEEvT1_iilPiilS4_bb
    .private_segment_fixed_size: 512
    .sgpr_count:     25
    .sgpr_spill_count: 0
    .symbol:         _ZN9rocsolver6v33100L18getri_kernel_smallILi63EdPdEEvT1_iilPiilS4_bb.kd
    .uniform_work_group_size: 1
    .uses_dynamic_stack: false
    .vgpr_count:     189
    .vgpr_spill_count: 0
    .wavefront_size: 32
    .workgroup_processor_mode: 1
  - .args:
      - .address_space:  global
        .offset:         0
        .size:           8
        .value_kind:     global_buffer
      - .offset:         8
        .size:           4
        .value_kind:     by_value
      - .offset:         12
        .size:           4
        .value_kind:     by_value
      - .offset:         16
        .size:           8
        .value_kind:     by_value
      - .address_space:  global
        .offset:         24
        .size:           8
        .value_kind:     global_buffer
      - .offset:         32
        .size:           4
        .value_kind:     by_value
      - .offset:         40
        .size:           8
        .value_kind:     by_value
      - .address_space:  global
        .offset:         48
        .size:           8
        .value_kind:     global_buffer
      - .offset:         56
        .size:           1
        .value_kind:     by_value
      - .offset:         57
        .size:           1
        .value_kind:     by_value
    .group_segment_fixed_size: 1032
    .kernarg_segment_align: 8
    .kernarg_segment_size: 60
    .language:       OpenCL C
    .language_version:
      - 2
      - 0
    .max_flat_workgroup_size: 64
    .name:           _ZN9rocsolver6v33100L18getri_kernel_smallILi64EdPdEEvT1_iilPiilS4_bb
    .private_segment_fixed_size: 528
    .sgpr_count:     25
    .sgpr_spill_count: 0
    .symbol:         _ZN9rocsolver6v33100L18getri_kernel_smallILi64EdPdEEvT1_iilPiilS4_bb.kd
    .uniform_work_group_size: 1
    .uses_dynamic_stack: false
    .vgpr_count:     189
    .vgpr_spill_count: 0
    .wavefront_size: 32
    .workgroup_processor_mode: 1
  - .args:
      - .address_space:  global
        .offset:         0
        .size:           8
        .value_kind:     global_buffer
      - .offset:         8
        .size:           4
        .value_kind:     by_value
      - .offset:         12
        .size:           4
        .value_kind:     by_value
      - .offset:         16
        .size:           8
        .value_kind:     by_value
      - .address_space:  global
        .offset:         24
        .size:           8
        .value_kind:     global_buffer
      - .offset:         32
        .size:           4
        .value_kind:     by_value
      - .offset:         40
        .size:           8
        .value_kind:     by_value
      - .address_space:  global
        .offset:         48
        .size:           8
        .value_kind:     global_buffer
      - .offset:         56
        .size:           1
        .value_kind:     by_value
      - .offset:         57
        .size:           1
        .value_kind:     by_value
    .group_segment_fixed_size: 4
    .kernarg_segment_align: 8
    .kernarg_segment_size: 60
    .language:       OpenCL C
    .language_version:
      - 2
      - 0
    .max_flat_workgroup_size: 64
    .name:           _ZN9rocsolver6v33100L18getri_kernel_smallILi1EdPKPdEEvT1_iilPiilS6_bb
    .private_segment_fixed_size: 0
    .sgpr_count:     14
    .sgpr_spill_count: 0
    .symbol:         _ZN9rocsolver6v33100L18getri_kernel_smallILi1EdPKPdEEvT1_iilPiilS6_bb.kd
    .uniform_work_group_size: 1
    .uses_dynamic_stack: false
    .vgpr_count:     10
    .vgpr_spill_count: 0
    .wavefront_size: 32
    .workgroup_processor_mode: 1
  - .args:
      - .address_space:  global
        .offset:         0
        .size:           8
        .value_kind:     global_buffer
      - .offset:         8
        .size:           4
        .value_kind:     by_value
      - .offset:         12
        .size:           4
        .value_kind:     by_value
      - .offset:         16
        .size:           8
        .value_kind:     by_value
      - .address_space:  global
        .offset:         24
        .size:           8
        .value_kind:     global_buffer
      - .offset:         32
        .size:           4
        .value_kind:     by_value
      - .offset:         40
        .size:           8
        .value_kind:     by_value
      - .address_space:  global
        .offset:         48
        .size:           8
        .value_kind:     global_buffer
      - .offset:         56
        .size:           1
        .value_kind:     by_value
      - .offset:         57
        .size:           1
        .value_kind:     by_value
    .group_segment_fixed_size: 40
    .kernarg_segment_align: 8
    .kernarg_segment_size: 60
    .language:       OpenCL C
    .language_version:
      - 2
      - 0
    .max_flat_workgroup_size: 64
    .name:           _ZN9rocsolver6v33100L18getri_kernel_smallILi2EdPKPdEEvT1_iilPiilS6_bb
    .private_segment_fixed_size: 0
    .sgpr_count:     18
    .sgpr_spill_count: 0
    .symbol:         _ZN9rocsolver6v33100L18getri_kernel_smallILi2EdPKPdEEvT1_iilPiilS6_bb.kd
    .uniform_work_group_size: 1
    .uses_dynamic_stack: false
    .vgpr_count:     20
    .vgpr_spill_count: 0
    .wavefront_size: 32
    .workgroup_processor_mode: 1
  - .args:
      - .address_space:  global
        .offset:         0
        .size:           8
        .value_kind:     global_buffer
      - .offset:         8
        .size:           4
        .value_kind:     by_value
      - .offset:         12
        .size:           4
        .value_kind:     by_value
      - .offset:         16
        .size:           8
        .value_kind:     by_value
      - .address_space:  global
        .offset:         24
        .size:           8
        .value_kind:     global_buffer
      - .offset:         32
        .size:           4
        .value_kind:     by_value
      - .offset:         40
        .size:           8
        .value_kind:     by_value
      - .address_space:  global
        .offset:         48
        .size:           8
        .value_kind:     global_buffer
      - .offset:         56
        .size:           1
        .value_kind:     by_value
      - .offset:         57
        .size:           1
        .value_kind:     by_value
    .group_segment_fixed_size: 56
    .kernarg_segment_align: 8
    .kernarg_segment_size: 60
    .language:       OpenCL C
    .language_version:
      - 2
      - 0
    .max_flat_workgroup_size: 64
    .name:           _ZN9rocsolver6v33100L18getri_kernel_smallILi3EdPKPdEEvT1_iilPiilS6_bb
    .private_segment_fixed_size: 0
    .sgpr_count:     18
    .sgpr_spill_count: 0
    .symbol:         _ZN9rocsolver6v33100L18getri_kernel_smallILi3EdPKPdEEvT1_iilPiilS6_bb.kd
    .uniform_work_group_size: 1
    .uses_dynamic_stack: false
    .vgpr_count:     24
    .vgpr_spill_count: 0
    .wavefront_size: 32
    .workgroup_processor_mode: 1
  - .args:
      - .address_space:  global
        .offset:         0
        .size:           8
        .value_kind:     global_buffer
      - .offset:         8
        .size:           4
        .value_kind:     by_value
      - .offset:         12
        .size:           4
        .value_kind:     by_value
      - .offset:         16
        .size:           8
        .value_kind:     by_value
      - .address_space:  global
        .offset:         24
        .size:           8
        .value_kind:     global_buffer
      - .offset:         32
        .size:           4
        .value_kind:     by_value
      - .offset:         40
        .size:           8
        .value_kind:     by_value
      - .address_space:  global
        .offset:         48
        .size:           8
        .value_kind:     global_buffer
      - .offset:         56
        .size:           1
        .value_kind:     by_value
      - .offset:         57
        .size:           1
        .value_kind:     by_value
    .group_segment_fixed_size: 72
    .kernarg_segment_align: 8
    .kernarg_segment_size: 60
    .language:       OpenCL C
    .language_version:
      - 2
      - 0
    .max_flat_workgroup_size: 64
    .name:           _ZN9rocsolver6v33100L18getri_kernel_smallILi4EdPKPdEEvT1_iilPiilS6_bb
    .private_segment_fixed_size: 0
    .sgpr_count:     18
    .sgpr_spill_count: 0
    .symbol:         _ZN9rocsolver6v33100L18getri_kernel_smallILi4EdPKPdEEvT1_iilPiilS6_bb.kd
    .uniform_work_group_size: 1
    .uses_dynamic_stack: false
    .vgpr_count:     29
    .vgpr_spill_count: 0
    .wavefront_size: 32
    .workgroup_processor_mode: 1
  - .args:
      - .address_space:  global
        .offset:         0
        .size:           8
        .value_kind:     global_buffer
      - .offset:         8
        .size:           4
        .value_kind:     by_value
      - .offset:         12
        .size:           4
        .value_kind:     by_value
      - .offset:         16
        .size:           8
        .value_kind:     by_value
      - .address_space:  global
        .offset:         24
        .size:           8
        .value_kind:     global_buffer
      - .offset:         32
        .size:           4
        .value_kind:     by_value
      - .offset:         40
        .size:           8
        .value_kind:     by_value
      - .address_space:  global
        .offset:         48
        .size:           8
        .value_kind:     global_buffer
      - .offset:         56
        .size:           1
        .value_kind:     by_value
      - .offset:         57
        .size:           1
        .value_kind:     by_value
    .group_segment_fixed_size: 88
    .kernarg_segment_align: 8
    .kernarg_segment_size: 60
    .language:       OpenCL C
    .language_version:
      - 2
      - 0
    .max_flat_workgroup_size: 64
    .name:           _ZN9rocsolver6v33100L18getri_kernel_smallILi5EdPKPdEEvT1_iilPiilS6_bb
    .private_segment_fixed_size: 0
    .sgpr_count:     18
    .sgpr_spill_count: 0
    .symbol:         _ZN9rocsolver6v33100L18getri_kernel_smallILi5EdPKPdEEvT1_iilPiilS6_bb.kd
    .uniform_work_group_size: 1
    .uses_dynamic_stack: false
    .vgpr_count:     38
    .vgpr_spill_count: 0
    .wavefront_size: 32
    .workgroup_processor_mode: 1
  - .args:
      - .address_space:  global
        .offset:         0
        .size:           8
        .value_kind:     global_buffer
      - .offset:         8
        .size:           4
        .value_kind:     by_value
      - .offset:         12
        .size:           4
        .value_kind:     by_value
      - .offset:         16
        .size:           8
        .value_kind:     by_value
      - .address_space:  global
        .offset:         24
        .size:           8
        .value_kind:     global_buffer
      - .offset:         32
        .size:           4
        .value_kind:     by_value
      - .offset:         40
        .size:           8
        .value_kind:     by_value
      - .address_space:  global
        .offset:         48
        .size:           8
        .value_kind:     global_buffer
      - .offset:         56
        .size:           1
        .value_kind:     by_value
      - .offset:         57
        .size:           1
        .value_kind:     by_value
    .group_segment_fixed_size: 104
    .kernarg_segment_align: 8
    .kernarg_segment_size: 60
    .language:       OpenCL C
    .language_version:
      - 2
      - 0
    .max_flat_workgroup_size: 64
    .name:           _ZN9rocsolver6v33100L18getri_kernel_smallILi6EdPKPdEEvT1_iilPiilS6_bb
    .private_segment_fixed_size: 0
    .sgpr_count:     18
    .sgpr_spill_count: 0
    .symbol:         _ZN9rocsolver6v33100L18getri_kernel_smallILi6EdPKPdEEvT1_iilPiilS6_bb.kd
    .uniform_work_group_size: 1
    .uses_dynamic_stack: false
    .vgpr_count:     40
    .vgpr_spill_count: 0
    .wavefront_size: 32
    .workgroup_processor_mode: 1
  - .args:
      - .address_space:  global
        .offset:         0
        .size:           8
        .value_kind:     global_buffer
      - .offset:         8
        .size:           4
        .value_kind:     by_value
      - .offset:         12
        .size:           4
        .value_kind:     by_value
      - .offset:         16
        .size:           8
        .value_kind:     by_value
      - .address_space:  global
        .offset:         24
        .size:           8
        .value_kind:     global_buffer
      - .offset:         32
        .size:           4
        .value_kind:     by_value
      - .offset:         40
        .size:           8
        .value_kind:     by_value
      - .address_space:  global
        .offset:         48
        .size:           8
        .value_kind:     global_buffer
      - .offset:         56
        .size:           1
        .value_kind:     by_value
      - .offset:         57
        .size:           1
        .value_kind:     by_value
    .group_segment_fixed_size: 120
    .kernarg_segment_align: 8
    .kernarg_segment_size: 60
    .language:       OpenCL C
    .language_version:
      - 2
      - 0
    .max_flat_workgroup_size: 64
    .name:           _ZN9rocsolver6v33100L18getri_kernel_smallILi7EdPKPdEEvT1_iilPiilS6_bb
    .private_segment_fixed_size: 0
    .sgpr_count:     18
    .sgpr_spill_count: 0
    .symbol:         _ZN9rocsolver6v33100L18getri_kernel_smallILi7EdPKPdEEvT1_iilPiilS6_bb.kd
    .uniform_work_group_size: 1
    .uses_dynamic_stack: false
    .vgpr_count:     46
    .vgpr_spill_count: 0
    .wavefront_size: 32
    .workgroup_processor_mode: 1
  - .args:
      - .address_space:  global
        .offset:         0
        .size:           8
        .value_kind:     global_buffer
      - .offset:         8
        .size:           4
        .value_kind:     by_value
      - .offset:         12
        .size:           4
        .value_kind:     by_value
      - .offset:         16
        .size:           8
        .value_kind:     by_value
      - .address_space:  global
        .offset:         24
        .size:           8
        .value_kind:     global_buffer
      - .offset:         32
        .size:           4
        .value_kind:     by_value
      - .offset:         40
        .size:           8
        .value_kind:     by_value
      - .address_space:  global
        .offset:         48
        .size:           8
        .value_kind:     global_buffer
      - .offset:         56
        .size:           1
        .value_kind:     by_value
      - .offset:         57
        .size:           1
        .value_kind:     by_value
    .group_segment_fixed_size: 136
    .kernarg_segment_align: 8
    .kernarg_segment_size: 60
    .language:       OpenCL C
    .language_version:
      - 2
      - 0
    .max_flat_workgroup_size: 64
    .name:           _ZN9rocsolver6v33100L18getri_kernel_smallILi8EdPKPdEEvT1_iilPiilS6_bb
    .private_segment_fixed_size: 0
    .sgpr_count:     18
    .sgpr_spill_count: 0
    .symbol:         _ZN9rocsolver6v33100L18getri_kernel_smallILi8EdPKPdEEvT1_iilPiilS6_bb.kd
    .uniform_work_group_size: 1
    .uses_dynamic_stack: false
    .vgpr_count:     48
    .vgpr_spill_count: 0
    .wavefront_size: 32
    .workgroup_processor_mode: 1
  - .args:
      - .address_space:  global
        .offset:         0
        .size:           8
        .value_kind:     global_buffer
      - .offset:         8
        .size:           4
        .value_kind:     by_value
      - .offset:         12
        .size:           4
        .value_kind:     by_value
      - .offset:         16
        .size:           8
        .value_kind:     by_value
      - .address_space:  global
        .offset:         24
        .size:           8
        .value_kind:     global_buffer
      - .offset:         32
        .size:           4
        .value_kind:     by_value
      - .offset:         40
        .size:           8
        .value_kind:     by_value
      - .address_space:  global
        .offset:         48
        .size:           8
        .value_kind:     global_buffer
      - .offset:         56
        .size:           1
        .value_kind:     by_value
      - .offset:         57
        .size:           1
        .value_kind:     by_value
    .group_segment_fixed_size: 152
    .kernarg_segment_align: 8
    .kernarg_segment_size: 60
    .language:       OpenCL C
    .language_version:
      - 2
      - 0
    .max_flat_workgroup_size: 64
    .name:           _ZN9rocsolver6v33100L18getri_kernel_smallILi9EdPKPdEEvT1_iilPiilS6_bb
    .private_segment_fixed_size: 0
    .sgpr_count:     20
    .sgpr_spill_count: 0
    .symbol:         _ZN9rocsolver6v33100L18getri_kernel_smallILi9EdPKPdEEvT1_iilPiilS6_bb.kd
    .uniform_work_group_size: 1
    .uses_dynamic_stack: false
    .vgpr_count:     70
    .vgpr_spill_count: 0
    .wavefront_size: 32
    .workgroup_processor_mode: 1
  - .args:
      - .address_space:  global
        .offset:         0
        .size:           8
        .value_kind:     global_buffer
      - .offset:         8
        .size:           4
        .value_kind:     by_value
      - .offset:         12
        .size:           4
        .value_kind:     by_value
      - .offset:         16
        .size:           8
        .value_kind:     by_value
      - .address_space:  global
        .offset:         24
        .size:           8
        .value_kind:     global_buffer
      - .offset:         32
        .size:           4
        .value_kind:     by_value
      - .offset:         40
        .size:           8
        .value_kind:     by_value
      - .address_space:  global
        .offset:         48
        .size:           8
        .value_kind:     global_buffer
      - .offset:         56
        .size:           1
        .value_kind:     by_value
      - .offset:         57
        .size:           1
        .value_kind:     by_value
    .group_segment_fixed_size: 168
    .kernarg_segment_align: 8
    .kernarg_segment_size: 60
    .language:       OpenCL C
    .language_version:
      - 2
      - 0
    .max_flat_workgroup_size: 64
    .name:           _ZN9rocsolver6v33100L18getri_kernel_smallILi10EdPKPdEEvT1_iilPiilS6_bb
    .private_segment_fixed_size: 0
    .sgpr_count:     21
    .sgpr_spill_count: 0
    .symbol:         _ZN9rocsolver6v33100L18getri_kernel_smallILi10EdPKPdEEvT1_iilPiilS6_bb.kd
    .uniform_work_group_size: 1
    .uses_dynamic_stack: false
    .vgpr_count:     72
    .vgpr_spill_count: 0
    .wavefront_size: 32
    .workgroup_processor_mode: 1
  - .args:
      - .address_space:  global
        .offset:         0
        .size:           8
        .value_kind:     global_buffer
      - .offset:         8
        .size:           4
        .value_kind:     by_value
      - .offset:         12
        .size:           4
        .value_kind:     by_value
      - .offset:         16
        .size:           8
        .value_kind:     by_value
      - .address_space:  global
        .offset:         24
        .size:           8
        .value_kind:     global_buffer
      - .offset:         32
        .size:           4
        .value_kind:     by_value
      - .offset:         40
        .size:           8
        .value_kind:     by_value
      - .address_space:  global
        .offset:         48
        .size:           8
        .value_kind:     global_buffer
      - .offset:         56
        .size:           1
        .value_kind:     by_value
      - .offset:         57
        .size:           1
        .value_kind:     by_value
    .group_segment_fixed_size: 184
    .kernarg_segment_align: 8
    .kernarg_segment_size: 60
    .language:       OpenCL C
    .language_version:
      - 2
      - 0
    .max_flat_workgroup_size: 64
    .name:           _ZN9rocsolver6v33100L18getri_kernel_smallILi11EdPKPdEEvT1_iilPiilS6_bb
    .private_segment_fixed_size: 0
    .sgpr_count:     21
    .sgpr_spill_count: 0
    .symbol:         _ZN9rocsolver6v33100L18getri_kernel_smallILi11EdPKPdEEvT1_iilPiilS6_bb.kd
    .uniform_work_group_size: 1
    .uses_dynamic_stack: false
    .vgpr_count:     78
    .vgpr_spill_count: 0
    .wavefront_size: 32
    .workgroup_processor_mode: 1
  - .args:
      - .address_space:  global
        .offset:         0
        .size:           8
        .value_kind:     global_buffer
      - .offset:         8
        .size:           4
        .value_kind:     by_value
      - .offset:         12
        .size:           4
        .value_kind:     by_value
      - .offset:         16
        .size:           8
        .value_kind:     by_value
      - .address_space:  global
        .offset:         24
        .size:           8
        .value_kind:     global_buffer
      - .offset:         32
        .size:           4
        .value_kind:     by_value
      - .offset:         40
        .size:           8
        .value_kind:     by_value
      - .address_space:  global
        .offset:         48
        .size:           8
        .value_kind:     global_buffer
      - .offset:         56
        .size:           1
        .value_kind:     by_value
      - .offset:         57
        .size:           1
        .value_kind:     by_value
    .group_segment_fixed_size: 200
    .kernarg_segment_align: 8
    .kernarg_segment_size: 60
    .language:       OpenCL C
    .language_version:
      - 2
      - 0
    .max_flat_workgroup_size: 64
    .name:           _ZN9rocsolver6v33100L18getri_kernel_smallILi12EdPKPdEEvT1_iilPiilS6_bb
    .private_segment_fixed_size: 0
    .sgpr_count:     21
    .sgpr_spill_count: 0
    .symbol:         _ZN9rocsolver6v33100L18getri_kernel_smallILi12EdPKPdEEvT1_iilPiilS6_bb.kd
    .uniform_work_group_size: 1
    .uses_dynamic_stack: false
    .vgpr_count:     80
    .vgpr_spill_count: 0
    .wavefront_size: 32
    .workgroup_processor_mode: 1
  - .args:
      - .address_space:  global
        .offset:         0
        .size:           8
        .value_kind:     global_buffer
      - .offset:         8
        .size:           4
        .value_kind:     by_value
      - .offset:         12
        .size:           4
        .value_kind:     by_value
      - .offset:         16
        .size:           8
        .value_kind:     by_value
      - .address_space:  global
        .offset:         24
        .size:           8
        .value_kind:     global_buffer
      - .offset:         32
        .size:           4
        .value_kind:     by_value
      - .offset:         40
        .size:           8
        .value_kind:     by_value
      - .address_space:  global
        .offset:         48
        .size:           8
        .value_kind:     global_buffer
      - .offset:         56
        .size:           1
        .value_kind:     by_value
      - .offset:         57
        .size:           1
        .value_kind:     by_value
    .group_segment_fixed_size: 216
    .kernarg_segment_align: 8
    .kernarg_segment_size: 60
    .language:       OpenCL C
    .language_version:
      - 2
      - 0
    .max_flat_workgroup_size: 64
    .name:           _ZN9rocsolver6v33100L18getri_kernel_smallILi13EdPKPdEEvT1_iilPiilS6_bb
    .private_segment_fixed_size: 0
    .sgpr_count:     24
    .sgpr_spill_count: 0
    .symbol:         _ZN9rocsolver6v33100L18getri_kernel_smallILi13EdPKPdEEvT1_iilPiilS6_bb.kd
    .uniform_work_group_size: 1
    .uses_dynamic_stack: false
    .vgpr_count:     88
    .vgpr_spill_count: 0
    .wavefront_size: 32
    .workgroup_processor_mode: 1
  - .args:
      - .address_space:  global
        .offset:         0
        .size:           8
        .value_kind:     global_buffer
      - .offset:         8
        .size:           4
        .value_kind:     by_value
      - .offset:         12
        .size:           4
        .value_kind:     by_value
      - .offset:         16
        .size:           8
        .value_kind:     by_value
      - .address_space:  global
        .offset:         24
        .size:           8
        .value_kind:     global_buffer
      - .offset:         32
        .size:           4
        .value_kind:     by_value
      - .offset:         40
        .size:           8
        .value_kind:     by_value
      - .address_space:  global
        .offset:         48
        .size:           8
        .value_kind:     global_buffer
      - .offset:         56
        .size:           1
        .value_kind:     by_value
      - .offset:         57
        .size:           1
        .value_kind:     by_value
    .group_segment_fixed_size: 232
    .kernarg_segment_align: 8
    .kernarg_segment_size: 60
    .language:       OpenCL C
    .language_version:
      - 2
      - 0
    .max_flat_workgroup_size: 64
    .name:           _ZN9rocsolver6v33100L18getri_kernel_smallILi14EdPKPdEEvT1_iilPiilS6_bb
    .private_segment_fixed_size: 0
    .sgpr_count:     25
    .sgpr_spill_count: 0
    .symbol:         _ZN9rocsolver6v33100L18getri_kernel_smallILi14EdPKPdEEvT1_iilPiilS6_bb.kd
    .uniform_work_group_size: 1
    .uses_dynamic_stack: false
    .vgpr_count:     90
    .vgpr_spill_count: 0
    .wavefront_size: 32
    .workgroup_processor_mode: 1
  - .args:
      - .address_space:  global
        .offset:         0
        .size:           8
        .value_kind:     global_buffer
      - .offset:         8
        .size:           4
        .value_kind:     by_value
      - .offset:         12
        .size:           4
        .value_kind:     by_value
      - .offset:         16
        .size:           8
        .value_kind:     by_value
      - .address_space:  global
        .offset:         24
        .size:           8
        .value_kind:     global_buffer
      - .offset:         32
        .size:           4
        .value_kind:     by_value
      - .offset:         40
        .size:           8
        .value_kind:     by_value
      - .address_space:  global
        .offset:         48
        .size:           8
        .value_kind:     global_buffer
      - .offset:         56
        .size:           1
        .value_kind:     by_value
      - .offset:         57
        .size:           1
        .value_kind:     by_value
    .group_segment_fixed_size: 248
    .kernarg_segment_align: 8
    .kernarg_segment_size: 60
    .language:       OpenCL C
    .language_version:
      - 2
      - 0
    .max_flat_workgroup_size: 64
    .name:           _ZN9rocsolver6v33100L18getri_kernel_smallILi15EdPKPdEEvT1_iilPiilS6_bb
    .private_segment_fixed_size: 0
    .sgpr_count:     25
    .sgpr_spill_count: 0
    .symbol:         _ZN9rocsolver6v33100L18getri_kernel_smallILi15EdPKPdEEvT1_iilPiilS6_bb.kd
    .uniform_work_group_size: 1
    .uses_dynamic_stack: false
    .vgpr_count:     96
    .vgpr_spill_count: 0
    .wavefront_size: 32
    .workgroup_processor_mode: 1
  - .args:
      - .address_space:  global
        .offset:         0
        .size:           8
        .value_kind:     global_buffer
      - .offset:         8
        .size:           4
        .value_kind:     by_value
      - .offset:         12
        .size:           4
        .value_kind:     by_value
      - .offset:         16
        .size:           8
        .value_kind:     by_value
      - .address_space:  global
        .offset:         24
        .size:           8
        .value_kind:     global_buffer
      - .offset:         32
        .size:           4
        .value_kind:     by_value
      - .offset:         40
        .size:           8
        .value_kind:     by_value
      - .address_space:  global
        .offset:         48
        .size:           8
        .value_kind:     global_buffer
      - .offset:         56
        .size:           1
        .value_kind:     by_value
      - .offset:         57
        .size:           1
        .value_kind:     by_value
    .group_segment_fixed_size: 264
    .kernarg_segment_align: 8
    .kernarg_segment_size: 60
    .language:       OpenCL C
    .language_version:
      - 2
      - 0
    .max_flat_workgroup_size: 64
    .name:           _ZN9rocsolver6v33100L18getri_kernel_smallILi16EdPKPdEEvT1_iilPiilS6_bb
    .private_segment_fixed_size: 0
    .sgpr_count:     25
    .sgpr_spill_count: 0
    .symbol:         _ZN9rocsolver6v33100L18getri_kernel_smallILi16EdPKPdEEvT1_iilPiilS6_bb.kd
    .uniform_work_group_size: 1
    .uses_dynamic_stack: false
    .vgpr_count:     96
    .vgpr_spill_count: 0
    .wavefront_size: 32
    .workgroup_processor_mode: 1
  - .args:
      - .address_space:  global
        .offset:         0
        .size:           8
        .value_kind:     global_buffer
      - .offset:         8
        .size:           4
        .value_kind:     by_value
      - .offset:         12
        .size:           4
        .value_kind:     by_value
      - .offset:         16
        .size:           8
        .value_kind:     by_value
      - .address_space:  global
        .offset:         24
        .size:           8
        .value_kind:     global_buffer
      - .offset:         32
        .size:           4
        .value_kind:     by_value
      - .offset:         40
        .size:           8
        .value_kind:     by_value
      - .address_space:  global
        .offset:         48
        .size:           8
        .value_kind:     global_buffer
      - .offset:         56
        .size:           1
        .value_kind:     by_value
      - .offset:         57
        .size:           1
        .value_kind:     by_value
    .group_segment_fixed_size: 280
    .kernarg_segment_align: 8
    .kernarg_segment_size: 60
    .language:       OpenCL C
    .language_version:
      - 2
      - 0
    .max_flat_workgroup_size: 64
    .name:           _ZN9rocsolver6v33100L18getri_kernel_smallILi17EdPKPdEEvT1_iilPiilS6_bb
    .private_segment_fixed_size: 144
    .sgpr_count:     22
    .sgpr_spill_count: 0
    .symbol:         _ZN9rocsolver6v33100L18getri_kernel_smallILi17EdPKPdEEvT1_iilPiilS6_bb.kd
    .uniform_work_group_size: 1
    .uses_dynamic_stack: false
    .vgpr_count:     76
    .vgpr_spill_count: 0
    .wavefront_size: 32
    .workgroup_processor_mode: 1
  - .args:
      - .address_space:  global
        .offset:         0
        .size:           8
        .value_kind:     global_buffer
      - .offset:         8
        .size:           4
        .value_kind:     by_value
      - .offset:         12
        .size:           4
        .value_kind:     by_value
      - .offset:         16
        .size:           8
        .value_kind:     by_value
      - .address_space:  global
        .offset:         24
        .size:           8
        .value_kind:     global_buffer
      - .offset:         32
        .size:           4
        .value_kind:     by_value
      - .offset:         40
        .size:           8
        .value_kind:     by_value
      - .address_space:  global
        .offset:         48
        .size:           8
        .value_kind:     global_buffer
      - .offset:         56
        .size:           1
        .value_kind:     by_value
      - .offset:         57
        .size:           1
        .value_kind:     by_value
    .group_segment_fixed_size: 296
    .kernarg_segment_align: 8
    .kernarg_segment_size: 60
    .language:       OpenCL C
    .language_version:
      - 2
      - 0
    .max_flat_workgroup_size: 64
    .name:           _ZN9rocsolver6v33100L18getri_kernel_smallILi18EdPKPdEEvT1_iilPiilS6_bb
    .private_segment_fixed_size: 160
    .sgpr_count:     22
    .sgpr_spill_count: 0
    .symbol:         _ZN9rocsolver6v33100L18getri_kernel_smallILi18EdPKPdEEvT1_iilPiilS6_bb.kd
    .uniform_work_group_size: 1
    .uses_dynamic_stack: false
    .vgpr_count:     77
    .vgpr_spill_count: 0
    .wavefront_size: 32
    .workgroup_processor_mode: 1
  - .args:
      - .address_space:  global
        .offset:         0
        .size:           8
        .value_kind:     global_buffer
      - .offset:         8
        .size:           4
        .value_kind:     by_value
      - .offset:         12
        .size:           4
        .value_kind:     by_value
      - .offset:         16
        .size:           8
        .value_kind:     by_value
      - .address_space:  global
        .offset:         24
        .size:           8
        .value_kind:     global_buffer
      - .offset:         32
        .size:           4
        .value_kind:     by_value
      - .offset:         40
        .size:           8
        .value_kind:     by_value
      - .address_space:  global
        .offset:         48
        .size:           8
        .value_kind:     global_buffer
      - .offset:         56
        .size:           1
        .value_kind:     by_value
      - .offset:         57
        .size:           1
        .value_kind:     by_value
    .group_segment_fixed_size: 312
    .kernarg_segment_align: 8
    .kernarg_segment_size: 60
    .language:       OpenCL C
    .language_version:
      - 2
      - 0
    .max_flat_workgroup_size: 64
    .name:           _ZN9rocsolver6v33100L18getri_kernel_smallILi19EdPKPdEEvT1_iilPiilS6_bb
    .private_segment_fixed_size: 160
    .sgpr_count:     22
    .sgpr_spill_count: 0
    .symbol:         _ZN9rocsolver6v33100L18getri_kernel_smallILi19EdPKPdEEvT1_iilPiilS6_bb.kd
    .uniform_work_group_size: 1
    .uses_dynamic_stack: false
    .vgpr_count:     82
    .vgpr_spill_count: 0
    .wavefront_size: 32
    .workgroup_processor_mode: 1
  - .args:
      - .address_space:  global
        .offset:         0
        .size:           8
        .value_kind:     global_buffer
      - .offset:         8
        .size:           4
        .value_kind:     by_value
      - .offset:         12
        .size:           4
        .value_kind:     by_value
      - .offset:         16
        .size:           8
        .value_kind:     by_value
      - .address_space:  global
        .offset:         24
        .size:           8
        .value_kind:     global_buffer
      - .offset:         32
        .size:           4
        .value_kind:     by_value
      - .offset:         40
        .size:           8
        .value_kind:     by_value
      - .address_space:  global
        .offset:         48
        .size:           8
        .value_kind:     global_buffer
      - .offset:         56
        .size:           1
        .value_kind:     by_value
      - .offset:         57
        .size:           1
        .value_kind:     by_value
    .group_segment_fixed_size: 328
    .kernarg_segment_align: 8
    .kernarg_segment_size: 60
    .language:       OpenCL C
    .language_version:
      - 2
      - 0
    .max_flat_workgroup_size: 64
    .name:           _ZN9rocsolver6v33100L18getri_kernel_smallILi20EdPKPdEEvT1_iilPiilS6_bb
    .private_segment_fixed_size: 176
    .sgpr_count:     22
    .sgpr_spill_count: 0
    .symbol:         _ZN9rocsolver6v33100L18getri_kernel_smallILi20EdPKPdEEvT1_iilPiilS6_bb.kd
    .uniform_work_group_size: 1
    .uses_dynamic_stack: false
    .vgpr_count:     85
    .vgpr_spill_count: 0
    .wavefront_size: 32
    .workgroup_processor_mode: 1
  - .args:
      - .address_space:  global
        .offset:         0
        .size:           8
        .value_kind:     global_buffer
      - .offset:         8
        .size:           4
        .value_kind:     by_value
      - .offset:         12
        .size:           4
        .value_kind:     by_value
      - .offset:         16
        .size:           8
        .value_kind:     by_value
      - .address_space:  global
        .offset:         24
        .size:           8
        .value_kind:     global_buffer
      - .offset:         32
        .size:           4
        .value_kind:     by_value
      - .offset:         40
        .size:           8
        .value_kind:     by_value
      - .address_space:  global
        .offset:         48
        .size:           8
        .value_kind:     global_buffer
      - .offset:         56
        .size:           1
        .value_kind:     by_value
      - .offset:         57
        .size:           1
        .value_kind:     by_value
    .group_segment_fixed_size: 344
    .kernarg_segment_align: 8
    .kernarg_segment_size: 60
    .language:       OpenCL C
    .language_version:
      - 2
      - 0
    .max_flat_workgroup_size: 64
    .name:           _ZN9rocsolver6v33100L18getri_kernel_smallILi21EdPKPdEEvT1_iilPiilS6_bb
    .private_segment_fixed_size: 176
    .sgpr_count:     22
    .sgpr_spill_count: 0
    .symbol:         _ZN9rocsolver6v33100L18getri_kernel_smallILi21EdPKPdEEvT1_iilPiilS6_bb.kd
    .uniform_work_group_size: 1
    .uses_dynamic_stack: false
    .vgpr_count:     90
    .vgpr_spill_count: 0
    .wavefront_size: 32
    .workgroup_processor_mode: 1
  - .args:
      - .address_space:  global
        .offset:         0
        .size:           8
        .value_kind:     global_buffer
      - .offset:         8
        .size:           4
        .value_kind:     by_value
      - .offset:         12
        .size:           4
        .value_kind:     by_value
      - .offset:         16
        .size:           8
        .value_kind:     by_value
      - .address_space:  global
        .offset:         24
        .size:           8
        .value_kind:     global_buffer
      - .offset:         32
        .size:           4
        .value_kind:     by_value
      - .offset:         40
        .size:           8
        .value_kind:     by_value
      - .address_space:  global
        .offset:         48
        .size:           8
        .value_kind:     global_buffer
      - .offset:         56
        .size:           1
        .value_kind:     by_value
      - .offset:         57
        .size:           1
        .value_kind:     by_value
    .group_segment_fixed_size: 360
    .kernarg_segment_align: 8
    .kernarg_segment_size: 60
    .language:       OpenCL C
    .language_version:
      - 2
      - 0
    .max_flat_workgroup_size: 64
    .name:           _ZN9rocsolver6v33100L18getri_kernel_smallILi22EdPKPdEEvT1_iilPiilS6_bb
    .private_segment_fixed_size: 192
    .sgpr_count:     22
    .sgpr_spill_count: 0
    .symbol:         _ZN9rocsolver6v33100L18getri_kernel_smallILi22EdPKPdEEvT1_iilPiilS6_bb.kd
    .uniform_work_group_size: 1
    .uses_dynamic_stack: false
    .vgpr_count:     91
    .vgpr_spill_count: 0
    .wavefront_size: 32
    .workgroup_processor_mode: 1
  - .args:
      - .address_space:  global
        .offset:         0
        .size:           8
        .value_kind:     global_buffer
      - .offset:         8
        .size:           4
        .value_kind:     by_value
      - .offset:         12
        .size:           4
        .value_kind:     by_value
      - .offset:         16
        .size:           8
        .value_kind:     by_value
      - .address_space:  global
        .offset:         24
        .size:           8
        .value_kind:     global_buffer
      - .offset:         32
        .size:           4
        .value_kind:     by_value
      - .offset:         40
        .size:           8
        .value_kind:     by_value
      - .address_space:  global
        .offset:         48
        .size:           8
        .value_kind:     global_buffer
      - .offset:         56
        .size:           1
        .value_kind:     by_value
      - .offset:         57
        .size:           1
        .value_kind:     by_value
    .group_segment_fixed_size: 376
    .kernarg_segment_align: 8
    .kernarg_segment_size: 60
    .language:       OpenCL C
    .language_version:
      - 2
      - 0
    .max_flat_workgroup_size: 64
    .name:           _ZN9rocsolver6v33100L18getri_kernel_smallILi23EdPKPdEEvT1_iilPiilS6_bb
    .private_segment_fixed_size: 192
    .sgpr_count:     22
    .sgpr_spill_count: 0
    .symbol:         _ZN9rocsolver6v33100L18getri_kernel_smallILi23EdPKPdEEvT1_iilPiilS6_bb.kd
    .uniform_work_group_size: 1
    .uses_dynamic_stack: false
    .vgpr_count:     94
    .vgpr_spill_count: 0
    .wavefront_size: 32
    .workgroup_processor_mode: 1
  - .args:
      - .address_space:  global
        .offset:         0
        .size:           8
        .value_kind:     global_buffer
      - .offset:         8
        .size:           4
        .value_kind:     by_value
      - .offset:         12
        .size:           4
        .value_kind:     by_value
      - .offset:         16
        .size:           8
        .value_kind:     by_value
      - .address_space:  global
        .offset:         24
        .size:           8
        .value_kind:     global_buffer
      - .offset:         32
        .size:           4
        .value_kind:     by_value
      - .offset:         40
        .size:           8
        .value_kind:     by_value
      - .address_space:  global
        .offset:         48
        .size:           8
        .value_kind:     global_buffer
      - .offset:         56
        .size:           1
        .value_kind:     by_value
      - .offset:         57
        .size:           1
        .value_kind:     by_value
    .group_segment_fixed_size: 392
    .kernarg_segment_align: 8
    .kernarg_segment_size: 60
    .language:       OpenCL C
    .language_version:
      - 2
      - 0
    .max_flat_workgroup_size: 64
    .name:           _ZN9rocsolver6v33100L18getri_kernel_smallILi24EdPKPdEEvT1_iilPiilS6_bb
    .private_segment_fixed_size: 208
    .sgpr_count:     22
    .sgpr_spill_count: 0
    .symbol:         _ZN9rocsolver6v33100L18getri_kernel_smallILi24EdPKPdEEvT1_iilPiilS6_bb.kd
    .uniform_work_group_size: 1
    .uses_dynamic_stack: false
    .vgpr_count:     95
    .vgpr_spill_count: 0
    .wavefront_size: 32
    .workgroup_processor_mode: 1
  - .args:
      - .address_space:  global
        .offset:         0
        .size:           8
        .value_kind:     global_buffer
      - .offset:         8
        .size:           4
        .value_kind:     by_value
      - .offset:         12
        .size:           4
        .value_kind:     by_value
      - .offset:         16
        .size:           8
        .value_kind:     by_value
      - .address_space:  global
        .offset:         24
        .size:           8
        .value_kind:     global_buffer
      - .offset:         32
        .size:           4
        .value_kind:     by_value
      - .offset:         40
        .size:           8
        .value_kind:     by_value
      - .address_space:  global
        .offset:         48
        .size:           8
        .value_kind:     global_buffer
      - .offset:         56
        .size:           1
        .value_kind:     by_value
      - .offset:         57
        .size:           1
        .value_kind:     by_value
    .group_segment_fixed_size: 408
    .kernarg_segment_align: 8
    .kernarg_segment_size: 60
    .language:       OpenCL C
    .language_version:
      - 2
      - 0
    .max_flat_workgroup_size: 64
    .name:           _ZN9rocsolver6v33100L18getri_kernel_smallILi25EdPKPdEEvT1_iilPiilS6_bb
    .private_segment_fixed_size: 208
    .sgpr_count:     22
    .sgpr_spill_count: 0
    .symbol:         _ZN9rocsolver6v33100L18getri_kernel_smallILi25EdPKPdEEvT1_iilPiilS6_bb.kd
    .uniform_work_group_size: 1
    .uses_dynamic_stack: false
    .vgpr_count:     98
    .vgpr_spill_count: 0
    .wavefront_size: 32
    .workgroup_processor_mode: 1
  - .args:
      - .address_space:  global
        .offset:         0
        .size:           8
        .value_kind:     global_buffer
      - .offset:         8
        .size:           4
        .value_kind:     by_value
      - .offset:         12
        .size:           4
        .value_kind:     by_value
      - .offset:         16
        .size:           8
        .value_kind:     by_value
      - .address_space:  global
        .offset:         24
        .size:           8
        .value_kind:     global_buffer
      - .offset:         32
        .size:           4
        .value_kind:     by_value
      - .offset:         40
        .size:           8
        .value_kind:     by_value
      - .address_space:  global
        .offset:         48
        .size:           8
        .value_kind:     global_buffer
      - .offset:         56
        .size:           1
        .value_kind:     by_value
      - .offset:         57
        .size:           1
        .value_kind:     by_value
    .group_segment_fixed_size: 424
    .kernarg_segment_align: 8
    .kernarg_segment_size: 60
    .language:       OpenCL C
    .language_version:
      - 2
      - 0
    .max_flat_workgroup_size: 64
    .name:           _ZN9rocsolver6v33100L18getri_kernel_smallILi26EdPKPdEEvT1_iilPiilS6_bb
    .private_segment_fixed_size: 224
    .sgpr_count:     22
    .sgpr_spill_count: 0
    .symbol:         _ZN9rocsolver6v33100L18getri_kernel_smallILi26EdPKPdEEvT1_iilPiilS6_bb.kd
    .uniform_work_group_size: 1
    .uses_dynamic_stack: false
    .vgpr_count:     99
    .vgpr_spill_count: 0
    .wavefront_size: 32
    .workgroup_processor_mode: 1
  - .args:
      - .address_space:  global
        .offset:         0
        .size:           8
        .value_kind:     global_buffer
      - .offset:         8
        .size:           4
        .value_kind:     by_value
      - .offset:         12
        .size:           4
        .value_kind:     by_value
      - .offset:         16
        .size:           8
        .value_kind:     by_value
      - .address_space:  global
        .offset:         24
        .size:           8
        .value_kind:     global_buffer
      - .offset:         32
        .size:           4
        .value_kind:     by_value
      - .offset:         40
        .size:           8
        .value_kind:     by_value
      - .address_space:  global
        .offset:         48
        .size:           8
        .value_kind:     global_buffer
      - .offset:         56
        .size:           1
        .value_kind:     by_value
      - .offset:         57
        .size:           1
        .value_kind:     by_value
    .group_segment_fixed_size: 440
    .kernarg_segment_align: 8
    .kernarg_segment_size: 60
    .language:       OpenCL C
    .language_version:
      - 2
      - 0
    .max_flat_workgroup_size: 64
    .name:           _ZN9rocsolver6v33100L18getri_kernel_smallILi27EdPKPdEEvT1_iilPiilS6_bb
    .private_segment_fixed_size: 224
    .sgpr_count:     22
    .sgpr_spill_count: 0
    .symbol:         _ZN9rocsolver6v33100L18getri_kernel_smallILi27EdPKPdEEvT1_iilPiilS6_bb.kd
    .uniform_work_group_size: 1
    .uses_dynamic_stack: false
    .vgpr_count:     102
    .vgpr_spill_count: 0
    .wavefront_size: 32
    .workgroup_processor_mode: 1
  - .args:
      - .address_space:  global
        .offset:         0
        .size:           8
        .value_kind:     global_buffer
      - .offset:         8
        .size:           4
        .value_kind:     by_value
      - .offset:         12
        .size:           4
        .value_kind:     by_value
      - .offset:         16
        .size:           8
        .value_kind:     by_value
      - .address_space:  global
        .offset:         24
        .size:           8
        .value_kind:     global_buffer
      - .offset:         32
        .size:           4
        .value_kind:     by_value
      - .offset:         40
        .size:           8
        .value_kind:     by_value
      - .address_space:  global
        .offset:         48
        .size:           8
        .value_kind:     global_buffer
      - .offset:         56
        .size:           1
        .value_kind:     by_value
      - .offset:         57
        .size:           1
        .value_kind:     by_value
    .group_segment_fixed_size: 456
    .kernarg_segment_align: 8
    .kernarg_segment_size: 60
    .language:       OpenCL C
    .language_version:
      - 2
      - 0
    .max_flat_workgroup_size: 64
    .name:           _ZN9rocsolver6v33100L18getri_kernel_smallILi28EdPKPdEEvT1_iilPiilS6_bb
    .private_segment_fixed_size: 240
    .sgpr_count:     22
    .sgpr_spill_count: 0
    .symbol:         _ZN9rocsolver6v33100L18getri_kernel_smallILi28EdPKPdEEvT1_iilPiilS6_bb.kd
    .uniform_work_group_size: 1
    .uses_dynamic_stack: false
    .vgpr_count:     103
    .vgpr_spill_count: 0
    .wavefront_size: 32
    .workgroup_processor_mode: 1
  - .args:
      - .address_space:  global
        .offset:         0
        .size:           8
        .value_kind:     global_buffer
      - .offset:         8
        .size:           4
        .value_kind:     by_value
      - .offset:         12
        .size:           4
        .value_kind:     by_value
      - .offset:         16
        .size:           8
        .value_kind:     by_value
      - .address_space:  global
        .offset:         24
        .size:           8
        .value_kind:     global_buffer
      - .offset:         32
        .size:           4
        .value_kind:     by_value
      - .offset:         40
        .size:           8
        .value_kind:     by_value
      - .address_space:  global
        .offset:         48
        .size:           8
        .value_kind:     global_buffer
      - .offset:         56
        .size:           1
        .value_kind:     by_value
      - .offset:         57
        .size:           1
        .value_kind:     by_value
    .group_segment_fixed_size: 472
    .kernarg_segment_align: 8
    .kernarg_segment_size: 60
    .language:       OpenCL C
    .language_version:
      - 2
      - 0
    .max_flat_workgroup_size: 64
    .name:           _ZN9rocsolver6v33100L18getri_kernel_smallILi29EdPKPdEEvT1_iilPiilS6_bb
    .private_segment_fixed_size: 240
    .sgpr_count:     22
    .sgpr_spill_count: 0
    .symbol:         _ZN9rocsolver6v33100L18getri_kernel_smallILi29EdPKPdEEvT1_iilPiilS6_bb.kd
    .uniform_work_group_size: 1
    .uses_dynamic_stack: false
    .vgpr_count:     106
    .vgpr_spill_count: 0
    .wavefront_size: 32
    .workgroup_processor_mode: 1
  - .args:
      - .address_space:  global
        .offset:         0
        .size:           8
        .value_kind:     global_buffer
      - .offset:         8
        .size:           4
        .value_kind:     by_value
      - .offset:         12
        .size:           4
        .value_kind:     by_value
      - .offset:         16
        .size:           8
        .value_kind:     by_value
      - .address_space:  global
        .offset:         24
        .size:           8
        .value_kind:     global_buffer
      - .offset:         32
        .size:           4
        .value_kind:     by_value
      - .offset:         40
        .size:           8
        .value_kind:     by_value
      - .address_space:  global
        .offset:         48
        .size:           8
        .value_kind:     global_buffer
      - .offset:         56
        .size:           1
        .value_kind:     by_value
      - .offset:         57
        .size:           1
        .value_kind:     by_value
    .group_segment_fixed_size: 488
    .kernarg_segment_align: 8
    .kernarg_segment_size: 60
    .language:       OpenCL C
    .language_version:
      - 2
      - 0
    .max_flat_workgroup_size: 64
    .name:           _ZN9rocsolver6v33100L18getri_kernel_smallILi30EdPKPdEEvT1_iilPiilS6_bb
    .private_segment_fixed_size: 256
    .sgpr_count:     22
    .sgpr_spill_count: 0
    .symbol:         _ZN9rocsolver6v33100L18getri_kernel_smallILi30EdPKPdEEvT1_iilPiilS6_bb.kd
    .uniform_work_group_size: 1
    .uses_dynamic_stack: false
    .vgpr_count:     107
    .vgpr_spill_count: 0
    .wavefront_size: 32
    .workgroup_processor_mode: 1
  - .args:
      - .address_space:  global
        .offset:         0
        .size:           8
        .value_kind:     global_buffer
      - .offset:         8
        .size:           4
        .value_kind:     by_value
      - .offset:         12
        .size:           4
        .value_kind:     by_value
      - .offset:         16
        .size:           8
        .value_kind:     by_value
      - .address_space:  global
        .offset:         24
        .size:           8
        .value_kind:     global_buffer
      - .offset:         32
        .size:           4
        .value_kind:     by_value
      - .offset:         40
        .size:           8
        .value_kind:     by_value
      - .address_space:  global
        .offset:         48
        .size:           8
        .value_kind:     global_buffer
      - .offset:         56
        .size:           1
        .value_kind:     by_value
      - .offset:         57
        .size:           1
        .value_kind:     by_value
    .group_segment_fixed_size: 504
    .kernarg_segment_align: 8
    .kernarg_segment_size: 60
    .language:       OpenCL C
    .language_version:
      - 2
      - 0
    .max_flat_workgroup_size: 64
    .name:           _ZN9rocsolver6v33100L18getri_kernel_smallILi31EdPKPdEEvT1_iilPiilS6_bb
    .private_segment_fixed_size: 256
    .sgpr_count:     22
    .sgpr_spill_count: 0
    .symbol:         _ZN9rocsolver6v33100L18getri_kernel_smallILi31EdPKPdEEvT1_iilPiilS6_bb.kd
    .uniform_work_group_size: 1
    .uses_dynamic_stack: false
    .vgpr_count:     110
    .vgpr_spill_count: 0
    .wavefront_size: 32
    .workgroup_processor_mode: 1
  - .args:
      - .address_space:  global
        .offset:         0
        .size:           8
        .value_kind:     global_buffer
      - .offset:         8
        .size:           4
        .value_kind:     by_value
      - .offset:         12
        .size:           4
        .value_kind:     by_value
      - .offset:         16
        .size:           8
        .value_kind:     by_value
      - .address_space:  global
        .offset:         24
        .size:           8
        .value_kind:     global_buffer
      - .offset:         32
        .size:           4
        .value_kind:     by_value
      - .offset:         40
        .size:           8
        .value_kind:     by_value
      - .address_space:  global
        .offset:         48
        .size:           8
        .value_kind:     global_buffer
      - .offset:         56
        .size:           1
        .value_kind:     by_value
      - .offset:         57
        .size:           1
        .value_kind:     by_value
    .group_segment_fixed_size: 520
    .kernarg_segment_align: 8
    .kernarg_segment_size: 60
    .language:       OpenCL C
    .language_version:
      - 2
      - 0
    .max_flat_workgroup_size: 64
    .name:           _ZN9rocsolver6v33100L18getri_kernel_smallILi32EdPKPdEEvT1_iilPiilS6_bb
    .private_segment_fixed_size: 272
    .sgpr_count:     22
    .sgpr_spill_count: 0
    .symbol:         _ZN9rocsolver6v33100L18getri_kernel_smallILi32EdPKPdEEvT1_iilPiilS6_bb.kd
    .uniform_work_group_size: 1
    .uses_dynamic_stack: false
    .vgpr_count:     111
    .vgpr_spill_count: 0
    .wavefront_size: 32
    .workgroup_processor_mode: 1
  - .args:
      - .address_space:  global
        .offset:         0
        .size:           8
        .value_kind:     global_buffer
      - .offset:         8
        .size:           4
        .value_kind:     by_value
      - .offset:         12
        .size:           4
        .value_kind:     by_value
      - .offset:         16
        .size:           8
        .value_kind:     by_value
      - .address_space:  global
        .offset:         24
        .size:           8
        .value_kind:     global_buffer
      - .offset:         32
        .size:           4
        .value_kind:     by_value
      - .offset:         40
        .size:           8
        .value_kind:     by_value
      - .address_space:  global
        .offset:         48
        .size:           8
        .value_kind:     global_buffer
      - .offset:         56
        .size:           1
        .value_kind:     by_value
      - .offset:         57
        .size:           1
        .value_kind:     by_value
    .group_segment_fixed_size: 536
    .kernarg_segment_align: 8
    .kernarg_segment_size: 60
    .language:       OpenCL C
    .language_version:
      - 2
      - 0
    .max_flat_workgroup_size: 64
    .name:           _ZN9rocsolver6v33100L18getri_kernel_smallILi33EdPKPdEEvT1_iilPiilS6_bb
    .private_segment_fixed_size: 272
    .sgpr_count:     22
    .sgpr_spill_count: 0
    .symbol:         _ZN9rocsolver6v33100L18getri_kernel_smallILi33EdPKPdEEvT1_iilPiilS6_bb.kd
    .uniform_work_group_size: 1
    .uses_dynamic_stack: false
    .vgpr_count:     114
    .vgpr_spill_count: 0
    .wavefront_size: 32
    .workgroup_processor_mode: 1
  - .args:
      - .address_space:  global
        .offset:         0
        .size:           8
        .value_kind:     global_buffer
      - .offset:         8
        .size:           4
        .value_kind:     by_value
      - .offset:         12
        .size:           4
        .value_kind:     by_value
      - .offset:         16
        .size:           8
        .value_kind:     by_value
      - .address_space:  global
        .offset:         24
        .size:           8
        .value_kind:     global_buffer
      - .offset:         32
        .size:           4
        .value_kind:     by_value
      - .offset:         40
        .size:           8
        .value_kind:     by_value
      - .address_space:  global
        .offset:         48
        .size:           8
        .value_kind:     global_buffer
      - .offset:         56
        .size:           1
        .value_kind:     by_value
      - .offset:         57
        .size:           1
        .value_kind:     by_value
    .group_segment_fixed_size: 552
    .kernarg_segment_align: 8
    .kernarg_segment_size: 60
    .language:       OpenCL C
    .language_version:
      - 2
      - 0
    .max_flat_workgroup_size: 64
    .name:           _ZN9rocsolver6v33100L18getri_kernel_smallILi34EdPKPdEEvT1_iilPiilS6_bb
    .private_segment_fixed_size: 288
    .sgpr_count:     22
    .sgpr_spill_count: 0
    .symbol:         _ZN9rocsolver6v33100L18getri_kernel_smallILi34EdPKPdEEvT1_iilPiilS6_bb.kd
    .uniform_work_group_size: 1
    .uses_dynamic_stack: false
    .vgpr_count:     113
    .vgpr_spill_count: 0
    .wavefront_size: 32
    .workgroup_processor_mode: 1
  - .args:
      - .address_space:  global
        .offset:         0
        .size:           8
        .value_kind:     global_buffer
      - .offset:         8
        .size:           4
        .value_kind:     by_value
      - .offset:         12
        .size:           4
        .value_kind:     by_value
      - .offset:         16
        .size:           8
        .value_kind:     by_value
      - .address_space:  global
        .offset:         24
        .size:           8
        .value_kind:     global_buffer
      - .offset:         32
        .size:           4
        .value_kind:     by_value
      - .offset:         40
        .size:           8
        .value_kind:     by_value
      - .address_space:  global
        .offset:         48
        .size:           8
        .value_kind:     global_buffer
      - .offset:         56
        .size:           1
        .value_kind:     by_value
      - .offset:         57
        .size:           1
        .value_kind:     by_value
    .group_segment_fixed_size: 568
    .kernarg_segment_align: 8
    .kernarg_segment_size: 60
    .language:       OpenCL C
    .language_version:
      - 2
      - 0
    .max_flat_workgroup_size: 64
    .name:           _ZN9rocsolver6v33100L18getri_kernel_smallILi35EdPKPdEEvT1_iilPiilS6_bb
    .private_segment_fixed_size: 288
    .sgpr_count:     22
    .sgpr_spill_count: 0
    .symbol:         _ZN9rocsolver6v33100L18getri_kernel_smallILi35EdPKPdEEvT1_iilPiilS6_bb.kd
    .uniform_work_group_size: 1
    .uses_dynamic_stack: false
    .vgpr_count:     110
    .vgpr_spill_count: 0
    .wavefront_size: 32
    .workgroup_processor_mode: 1
  - .args:
      - .address_space:  global
        .offset:         0
        .size:           8
        .value_kind:     global_buffer
      - .offset:         8
        .size:           4
        .value_kind:     by_value
      - .offset:         12
        .size:           4
        .value_kind:     by_value
      - .offset:         16
        .size:           8
        .value_kind:     by_value
      - .address_space:  global
        .offset:         24
        .size:           8
        .value_kind:     global_buffer
      - .offset:         32
        .size:           4
        .value_kind:     by_value
      - .offset:         40
        .size:           8
        .value_kind:     by_value
      - .address_space:  global
        .offset:         48
        .size:           8
        .value_kind:     global_buffer
      - .offset:         56
        .size:           1
        .value_kind:     by_value
      - .offset:         57
        .size:           1
        .value_kind:     by_value
    .group_segment_fixed_size: 584
    .kernarg_segment_align: 8
    .kernarg_segment_size: 60
    .language:       OpenCL C
    .language_version:
      - 2
      - 0
    .max_flat_workgroup_size: 64
    .name:           _ZN9rocsolver6v33100L18getri_kernel_smallILi36EdPKPdEEvT1_iilPiilS6_bb
    .private_segment_fixed_size: 304
    .sgpr_count:     22
    .sgpr_spill_count: 0
    .symbol:         _ZN9rocsolver6v33100L18getri_kernel_smallILi36EdPKPdEEvT1_iilPiilS6_bb.kd
    .uniform_work_group_size: 1
    .uses_dynamic_stack: false
    .vgpr_count:     119
    .vgpr_spill_count: 0
    .wavefront_size: 32
    .workgroup_processor_mode: 1
  - .args:
      - .address_space:  global
        .offset:         0
        .size:           8
        .value_kind:     global_buffer
      - .offset:         8
        .size:           4
        .value_kind:     by_value
      - .offset:         12
        .size:           4
        .value_kind:     by_value
      - .offset:         16
        .size:           8
        .value_kind:     by_value
      - .address_space:  global
        .offset:         24
        .size:           8
        .value_kind:     global_buffer
      - .offset:         32
        .size:           4
        .value_kind:     by_value
      - .offset:         40
        .size:           8
        .value_kind:     by_value
      - .address_space:  global
        .offset:         48
        .size:           8
        .value_kind:     global_buffer
      - .offset:         56
        .size:           1
        .value_kind:     by_value
      - .offset:         57
        .size:           1
        .value_kind:     by_value
    .group_segment_fixed_size: 600
    .kernarg_segment_align: 8
    .kernarg_segment_size: 60
    .language:       OpenCL C
    .language_version:
      - 2
      - 0
    .max_flat_workgroup_size: 64
    .name:           _ZN9rocsolver6v33100L18getri_kernel_smallILi37EdPKPdEEvT1_iilPiilS6_bb
    .private_segment_fixed_size: 304
    .sgpr_count:     22
    .sgpr_spill_count: 0
    .symbol:         _ZN9rocsolver6v33100L18getri_kernel_smallILi37EdPKPdEEvT1_iilPiilS6_bb.kd
    .uniform_work_group_size: 1
    .uses_dynamic_stack: false
    .vgpr_count:     122
    .vgpr_spill_count: 0
    .wavefront_size: 32
    .workgroup_processor_mode: 1
  - .args:
      - .address_space:  global
        .offset:         0
        .size:           8
        .value_kind:     global_buffer
      - .offset:         8
        .size:           4
        .value_kind:     by_value
      - .offset:         12
        .size:           4
        .value_kind:     by_value
      - .offset:         16
        .size:           8
        .value_kind:     by_value
      - .address_space:  global
        .offset:         24
        .size:           8
        .value_kind:     global_buffer
      - .offset:         32
        .size:           4
        .value_kind:     by_value
      - .offset:         40
        .size:           8
        .value_kind:     by_value
      - .address_space:  global
        .offset:         48
        .size:           8
        .value_kind:     global_buffer
      - .offset:         56
        .size:           1
        .value_kind:     by_value
      - .offset:         57
        .size:           1
        .value_kind:     by_value
    .group_segment_fixed_size: 616
    .kernarg_segment_align: 8
    .kernarg_segment_size: 60
    .language:       OpenCL C
    .language_version:
      - 2
      - 0
    .max_flat_workgroup_size: 64
    .name:           _ZN9rocsolver6v33100L18getri_kernel_smallILi38EdPKPdEEvT1_iilPiilS6_bb
    .private_segment_fixed_size: 320
    .sgpr_count:     22
    .sgpr_spill_count: 0
    .symbol:         _ZN9rocsolver6v33100L18getri_kernel_smallILi38EdPKPdEEvT1_iilPiilS6_bb.kd
    .uniform_work_group_size: 1
    .uses_dynamic_stack: false
    .vgpr_count:     123
    .vgpr_spill_count: 0
    .wavefront_size: 32
    .workgroup_processor_mode: 1
  - .args:
      - .address_space:  global
        .offset:         0
        .size:           8
        .value_kind:     global_buffer
      - .offset:         8
        .size:           4
        .value_kind:     by_value
      - .offset:         12
        .size:           4
        .value_kind:     by_value
      - .offset:         16
        .size:           8
        .value_kind:     by_value
      - .address_space:  global
        .offset:         24
        .size:           8
        .value_kind:     global_buffer
      - .offset:         32
        .size:           4
        .value_kind:     by_value
      - .offset:         40
        .size:           8
        .value_kind:     by_value
      - .address_space:  global
        .offset:         48
        .size:           8
        .value_kind:     global_buffer
      - .offset:         56
        .size:           1
        .value_kind:     by_value
      - .offset:         57
        .size:           1
        .value_kind:     by_value
    .group_segment_fixed_size: 632
    .kernarg_segment_align: 8
    .kernarg_segment_size: 60
    .language:       OpenCL C
    .language_version:
      - 2
      - 0
    .max_flat_workgroup_size: 64
    .name:           _ZN9rocsolver6v33100L18getri_kernel_smallILi39EdPKPdEEvT1_iilPiilS6_bb
    .private_segment_fixed_size: 320
    .sgpr_count:     22
    .sgpr_spill_count: 0
    .symbol:         _ZN9rocsolver6v33100L18getri_kernel_smallILi39EdPKPdEEvT1_iilPiilS6_bb.kd
    .uniform_work_group_size: 1
    .uses_dynamic_stack: false
    .vgpr_count:     126
    .vgpr_spill_count: 0
    .wavefront_size: 32
    .workgroup_processor_mode: 1
  - .args:
      - .address_space:  global
        .offset:         0
        .size:           8
        .value_kind:     global_buffer
      - .offset:         8
        .size:           4
        .value_kind:     by_value
      - .offset:         12
        .size:           4
        .value_kind:     by_value
      - .offset:         16
        .size:           8
        .value_kind:     by_value
      - .address_space:  global
        .offset:         24
        .size:           8
        .value_kind:     global_buffer
      - .offset:         32
        .size:           4
        .value_kind:     by_value
      - .offset:         40
        .size:           8
        .value_kind:     by_value
      - .address_space:  global
        .offset:         48
        .size:           8
        .value_kind:     global_buffer
      - .offset:         56
        .size:           1
        .value_kind:     by_value
      - .offset:         57
        .size:           1
        .value_kind:     by_value
    .group_segment_fixed_size: 648
    .kernarg_segment_align: 8
    .kernarg_segment_size: 60
    .language:       OpenCL C
    .language_version:
      - 2
      - 0
    .max_flat_workgroup_size: 64
    .name:           _ZN9rocsolver6v33100L18getri_kernel_smallILi40EdPKPdEEvT1_iilPiilS6_bb
    .private_segment_fixed_size: 336
    .sgpr_count:     22
    .sgpr_spill_count: 0
    .symbol:         _ZN9rocsolver6v33100L18getri_kernel_smallILi40EdPKPdEEvT1_iilPiilS6_bb.kd
    .uniform_work_group_size: 1
    .uses_dynamic_stack: false
    .vgpr_count:     127
    .vgpr_spill_count: 0
    .wavefront_size: 32
    .workgroup_processor_mode: 1
  - .args:
      - .address_space:  global
        .offset:         0
        .size:           8
        .value_kind:     global_buffer
      - .offset:         8
        .size:           4
        .value_kind:     by_value
      - .offset:         12
        .size:           4
        .value_kind:     by_value
      - .offset:         16
        .size:           8
        .value_kind:     by_value
      - .address_space:  global
        .offset:         24
        .size:           8
        .value_kind:     global_buffer
      - .offset:         32
        .size:           4
        .value_kind:     by_value
      - .offset:         40
        .size:           8
        .value_kind:     by_value
      - .address_space:  global
        .offset:         48
        .size:           8
        .value_kind:     global_buffer
      - .offset:         56
        .size:           1
        .value_kind:     by_value
      - .offset:         57
        .size:           1
        .value_kind:     by_value
    .group_segment_fixed_size: 664
    .kernarg_segment_align: 8
    .kernarg_segment_size: 60
    .language:       OpenCL C
    .language_version:
      - 2
      - 0
    .max_flat_workgroup_size: 64
    .name:           _ZN9rocsolver6v33100L18getri_kernel_smallILi41EdPKPdEEvT1_iilPiilS6_bb
    .private_segment_fixed_size: 336
    .sgpr_count:     22
    .sgpr_spill_count: 0
    .symbol:         _ZN9rocsolver6v33100L18getri_kernel_smallILi41EdPKPdEEvT1_iilPiilS6_bb.kd
    .uniform_work_group_size: 1
    .uses_dynamic_stack: false
    .vgpr_count:     130
    .vgpr_spill_count: 0
    .wavefront_size: 32
    .workgroup_processor_mode: 1
  - .args:
      - .address_space:  global
        .offset:         0
        .size:           8
        .value_kind:     global_buffer
      - .offset:         8
        .size:           4
        .value_kind:     by_value
      - .offset:         12
        .size:           4
        .value_kind:     by_value
      - .offset:         16
        .size:           8
        .value_kind:     by_value
      - .address_space:  global
        .offset:         24
        .size:           8
        .value_kind:     global_buffer
      - .offset:         32
        .size:           4
        .value_kind:     by_value
      - .offset:         40
        .size:           8
        .value_kind:     by_value
      - .address_space:  global
        .offset:         48
        .size:           8
        .value_kind:     global_buffer
      - .offset:         56
        .size:           1
        .value_kind:     by_value
      - .offset:         57
        .size:           1
        .value_kind:     by_value
    .group_segment_fixed_size: 680
    .kernarg_segment_align: 8
    .kernarg_segment_size: 60
    .language:       OpenCL C
    .language_version:
      - 2
      - 0
    .max_flat_workgroup_size: 64
    .name:           _ZN9rocsolver6v33100L18getri_kernel_smallILi42EdPKPdEEvT1_iilPiilS6_bb
    .private_segment_fixed_size: 352
    .sgpr_count:     22
    .sgpr_spill_count: 0
    .symbol:         _ZN9rocsolver6v33100L18getri_kernel_smallILi42EdPKPdEEvT1_iilPiilS6_bb.kd
    .uniform_work_group_size: 1
    .uses_dynamic_stack: false
    .vgpr_count:     131
    .vgpr_spill_count: 0
    .wavefront_size: 32
    .workgroup_processor_mode: 1
  - .args:
      - .address_space:  global
        .offset:         0
        .size:           8
        .value_kind:     global_buffer
      - .offset:         8
        .size:           4
        .value_kind:     by_value
      - .offset:         12
        .size:           4
        .value_kind:     by_value
      - .offset:         16
        .size:           8
        .value_kind:     by_value
      - .address_space:  global
        .offset:         24
        .size:           8
        .value_kind:     global_buffer
      - .offset:         32
        .size:           4
        .value_kind:     by_value
      - .offset:         40
        .size:           8
        .value_kind:     by_value
      - .address_space:  global
        .offset:         48
        .size:           8
        .value_kind:     global_buffer
      - .offset:         56
        .size:           1
        .value_kind:     by_value
      - .offset:         57
        .size:           1
        .value_kind:     by_value
    .group_segment_fixed_size: 696
    .kernarg_segment_align: 8
    .kernarg_segment_size: 60
    .language:       OpenCL C
    .language_version:
      - 2
      - 0
    .max_flat_workgroup_size: 64
    .name:           _ZN9rocsolver6v33100L18getri_kernel_smallILi43EdPKPdEEvT1_iilPiilS6_bb
    .private_segment_fixed_size: 352
    .sgpr_count:     22
    .sgpr_spill_count: 0
    .symbol:         _ZN9rocsolver6v33100L18getri_kernel_smallILi43EdPKPdEEvT1_iilPiilS6_bb.kd
    .uniform_work_group_size: 1
    .uses_dynamic_stack: false
    .vgpr_count:     126
    .vgpr_spill_count: 0
    .wavefront_size: 32
    .workgroup_processor_mode: 1
  - .args:
      - .address_space:  global
        .offset:         0
        .size:           8
        .value_kind:     global_buffer
      - .offset:         8
        .size:           4
        .value_kind:     by_value
      - .offset:         12
        .size:           4
        .value_kind:     by_value
      - .offset:         16
        .size:           8
        .value_kind:     by_value
      - .address_space:  global
        .offset:         24
        .size:           8
        .value_kind:     global_buffer
      - .offset:         32
        .size:           4
        .value_kind:     by_value
      - .offset:         40
        .size:           8
        .value_kind:     by_value
      - .address_space:  global
        .offset:         48
        .size:           8
        .value_kind:     global_buffer
      - .offset:         56
        .size:           1
        .value_kind:     by_value
      - .offset:         57
        .size:           1
        .value_kind:     by_value
    .group_segment_fixed_size: 712
    .kernarg_segment_align: 8
    .kernarg_segment_size: 60
    .language:       OpenCL C
    .language_version:
      - 2
      - 0
    .max_flat_workgroup_size: 64
    .name:           _ZN9rocsolver6v33100L18getri_kernel_smallILi44EdPKPdEEvT1_iilPiilS6_bb
    .private_segment_fixed_size: 368
    .sgpr_count:     22
    .sgpr_spill_count: 0
    .symbol:         _ZN9rocsolver6v33100L18getri_kernel_smallILi44EdPKPdEEvT1_iilPiilS6_bb.kd
    .uniform_work_group_size: 1
    .uses_dynamic_stack: false
    .vgpr_count:     135
    .vgpr_spill_count: 0
    .wavefront_size: 32
    .workgroup_processor_mode: 1
  - .args:
      - .address_space:  global
        .offset:         0
        .size:           8
        .value_kind:     global_buffer
      - .offset:         8
        .size:           4
        .value_kind:     by_value
      - .offset:         12
        .size:           4
        .value_kind:     by_value
      - .offset:         16
        .size:           8
        .value_kind:     by_value
      - .address_space:  global
        .offset:         24
        .size:           8
        .value_kind:     global_buffer
      - .offset:         32
        .size:           4
        .value_kind:     by_value
      - .offset:         40
        .size:           8
        .value_kind:     by_value
      - .address_space:  global
        .offset:         48
        .size:           8
        .value_kind:     global_buffer
      - .offset:         56
        .size:           1
        .value_kind:     by_value
      - .offset:         57
        .size:           1
        .value_kind:     by_value
    .group_segment_fixed_size: 728
    .kernarg_segment_align: 8
    .kernarg_segment_size: 60
    .language:       OpenCL C
    .language_version:
      - 2
      - 0
    .max_flat_workgroup_size: 64
    .name:           _ZN9rocsolver6v33100L18getri_kernel_smallILi45EdPKPdEEvT1_iilPiilS6_bb
    .private_segment_fixed_size: 368
    .sgpr_count:     22
    .sgpr_spill_count: 0
    .symbol:         _ZN9rocsolver6v33100L18getri_kernel_smallILi45EdPKPdEEvT1_iilPiilS6_bb.kd
    .uniform_work_group_size: 1
    .uses_dynamic_stack: false
    .vgpr_count:     138
    .vgpr_spill_count: 0
    .wavefront_size: 32
    .workgroup_processor_mode: 1
  - .args:
      - .address_space:  global
        .offset:         0
        .size:           8
        .value_kind:     global_buffer
      - .offset:         8
        .size:           4
        .value_kind:     by_value
      - .offset:         12
        .size:           4
        .value_kind:     by_value
      - .offset:         16
        .size:           8
        .value_kind:     by_value
      - .address_space:  global
        .offset:         24
        .size:           8
        .value_kind:     global_buffer
      - .offset:         32
        .size:           4
        .value_kind:     by_value
      - .offset:         40
        .size:           8
        .value_kind:     by_value
      - .address_space:  global
        .offset:         48
        .size:           8
        .value_kind:     global_buffer
      - .offset:         56
        .size:           1
        .value_kind:     by_value
      - .offset:         57
        .size:           1
        .value_kind:     by_value
    .group_segment_fixed_size: 744
    .kernarg_segment_align: 8
    .kernarg_segment_size: 60
    .language:       OpenCL C
    .language_version:
      - 2
      - 0
    .max_flat_workgroup_size: 64
    .name:           _ZN9rocsolver6v33100L18getri_kernel_smallILi46EdPKPdEEvT1_iilPiilS6_bb
    .private_segment_fixed_size: 384
    .sgpr_count:     22
    .sgpr_spill_count: 0
    .symbol:         _ZN9rocsolver6v33100L18getri_kernel_smallILi46EdPKPdEEvT1_iilPiilS6_bb.kd
    .uniform_work_group_size: 1
    .uses_dynamic_stack: false
    .vgpr_count:     139
    .vgpr_spill_count: 0
    .wavefront_size: 32
    .workgroup_processor_mode: 1
  - .args:
      - .address_space:  global
        .offset:         0
        .size:           8
        .value_kind:     global_buffer
      - .offset:         8
        .size:           4
        .value_kind:     by_value
      - .offset:         12
        .size:           4
        .value_kind:     by_value
      - .offset:         16
        .size:           8
        .value_kind:     by_value
      - .address_space:  global
        .offset:         24
        .size:           8
        .value_kind:     global_buffer
      - .offset:         32
        .size:           4
        .value_kind:     by_value
      - .offset:         40
        .size:           8
        .value_kind:     by_value
      - .address_space:  global
        .offset:         48
        .size:           8
        .value_kind:     global_buffer
      - .offset:         56
        .size:           1
        .value_kind:     by_value
      - .offset:         57
        .size:           1
        .value_kind:     by_value
    .group_segment_fixed_size: 760
    .kernarg_segment_align: 8
    .kernarg_segment_size: 60
    .language:       OpenCL C
    .language_version:
      - 2
      - 0
    .max_flat_workgroup_size: 64
    .name:           _ZN9rocsolver6v33100L18getri_kernel_smallILi47EdPKPdEEvT1_iilPiilS6_bb
    .private_segment_fixed_size: 384
    .sgpr_count:     22
    .sgpr_spill_count: 0
    .symbol:         _ZN9rocsolver6v33100L18getri_kernel_smallILi47EdPKPdEEvT1_iilPiilS6_bb.kd
    .uniform_work_group_size: 1
    .uses_dynamic_stack: false
    .vgpr_count:     142
    .vgpr_spill_count: 0
    .wavefront_size: 32
    .workgroup_processor_mode: 1
  - .args:
      - .address_space:  global
        .offset:         0
        .size:           8
        .value_kind:     global_buffer
      - .offset:         8
        .size:           4
        .value_kind:     by_value
      - .offset:         12
        .size:           4
        .value_kind:     by_value
      - .offset:         16
        .size:           8
        .value_kind:     by_value
      - .address_space:  global
        .offset:         24
        .size:           8
        .value_kind:     global_buffer
      - .offset:         32
        .size:           4
        .value_kind:     by_value
      - .offset:         40
        .size:           8
        .value_kind:     by_value
      - .address_space:  global
        .offset:         48
        .size:           8
        .value_kind:     global_buffer
      - .offset:         56
        .size:           1
        .value_kind:     by_value
      - .offset:         57
        .size:           1
        .value_kind:     by_value
    .group_segment_fixed_size: 776
    .kernarg_segment_align: 8
    .kernarg_segment_size: 60
    .language:       OpenCL C
    .language_version:
      - 2
      - 0
    .max_flat_workgroup_size: 64
    .name:           _ZN9rocsolver6v33100L18getri_kernel_smallILi48EdPKPdEEvT1_iilPiilS6_bb
    .private_segment_fixed_size: 400
    .sgpr_count:     22
    .sgpr_spill_count: 0
    .symbol:         _ZN9rocsolver6v33100L18getri_kernel_smallILi48EdPKPdEEvT1_iilPiilS6_bb.kd
    .uniform_work_group_size: 1
    .uses_dynamic_stack: false
    .vgpr_count:     143
    .vgpr_spill_count: 0
    .wavefront_size: 32
    .workgroup_processor_mode: 1
  - .args:
      - .address_space:  global
        .offset:         0
        .size:           8
        .value_kind:     global_buffer
      - .offset:         8
        .size:           4
        .value_kind:     by_value
      - .offset:         12
        .size:           4
        .value_kind:     by_value
      - .offset:         16
        .size:           8
        .value_kind:     by_value
      - .address_space:  global
        .offset:         24
        .size:           8
        .value_kind:     global_buffer
      - .offset:         32
        .size:           4
        .value_kind:     by_value
      - .offset:         40
        .size:           8
        .value_kind:     by_value
      - .address_space:  global
        .offset:         48
        .size:           8
        .value_kind:     global_buffer
      - .offset:         56
        .size:           1
        .value_kind:     by_value
      - .offset:         57
        .size:           1
        .value_kind:     by_value
    .group_segment_fixed_size: 792
    .kernarg_segment_align: 8
    .kernarg_segment_size: 60
    .language:       OpenCL C
    .language_version:
      - 2
      - 0
    .max_flat_workgroup_size: 64
    .name:           _ZN9rocsolver6v33100L18getri_kernel_smallILi49EdPKPdEEvT1_iilPiilS6_bb
    .private_segment_fixed_size: 400
    .sgpr_count:     22
    .sgpr_spill_count: 0
    .symbol:         _ZN9rocsolver6v33100L18getri_kernel_smallILi49EdPKPdEEvT1_iilPiilS6_bb.kd
    .uniform_work_group_size: 1
    .uses_dynamic_stack: false
    .vgpr_count:     146
    .vgpr_spill_count: 0
    .wavefront_size: 32
    .workgroup_processor_mode: 1
  - .args:
      - .address_space:  global
        .offset:         0
        .size:           8
        .value_kind:     global_buffer
      - .offset:         8
        .size:           4
        .value_kind:     by_value
      - .offset:         12
        .size:           4
        .value_kind:     by_value
      - .offset:         16
        .size:           8
        .value_kind:     by_value
      - .address_space:  global
        .offset:         24
        .size:           8
        .value_kind:     global_buffer
      - .offset:         32
        .size:           4
        .value_kind:     by_value
      - .offset:         40
        .size:           8
        .value_kind:     by_value
      - .address_space:  global
        .offset:         48
        .size:           8
        .value_kind:     global_buffer
      - .offset:         56
        .size:           1
        .value_kind:     by_value
      - .offset:         57
        .size:           1
        .value_kind:     by_value
    .group_segment_fixed_size: 808
    .kernarg_segment_align: 8
    .kernarg_segment_size: 60
    .language:       OpenCL C
    .language_version:
      - 2
      - 0
    .max_flat_workgroup_size: 64
    .name:           _ZN9rocsolver6v33100L18getri_kernel_smallILi50EdPKPdEEvT1_iilPiilS6_bb
    .private_segment_fixed_size: 416
    .sgpr_count:     22
    .sgpr_spill_count: 0
    .symbol:         _ZN9rocsolver6v33100L18getri_kernel_smallILi50EdPKPdEEvT1_iilPiilS6_bb.kd
    .uniform_work_group_size: 1
    .uses_dynamic_stack: false
    .vgpr_count:     145
    .vgpr_spill_count: 0
    .wavefront_size: 32
    .workgroup_processor_mode: 1
  - .args:
      - .address_space:  global
        .offset:         0
        .size:           8
        .value_kind:     global_buffer
      - .offset:         8
        .size:           4
        .value_kind:     by_value
      - .offset:         12
        .size:           4
        .value_kind:     by_value
      - .offset:         16
        .size:           8
        .value_kind:     by_value
      - .address_space:  global
        .offset:         24
        .size:           8
        .value_kind:     global_buffer
      - .offset:         32
        .size:           4
        .value_kind:     by_value
      - .offset:         40
        .size:           8
        .value_kind:     by_value
      - .address_space:  global
        .offset:         48
        .size:           8
        .value_kind:     global_buffer
      - .offset:         56
        .size:           1
        .value_kind:     by_value
      - .offset:         57
        .size:           1
        .value_kind:     by_value
    .group_segment_fixed_size: 824
    .kernarg_segment_align: 8
    .kernarg_segment_size: 60
    .language:       OpenCL C
    .language_version:
      - 2
      - 0
    .max_flat_workgroup_size: 64
    .name:           _ZN9rocsolver6v33100L18getri_kernel_smallILi51EdPKPdEEvT1_iilPiilS6_bb
    .private_segment_fixed_size: 416
    .sgpr_count:     22
    .sgpr_spill_count: 0
    .symbol:         _ZN9rocsolver6v33100L18getri_kernel_smallILi51EdPKPdEEvT1_iilPiilS6_bb.kd
    .uniform_work_group_size: 1
    .uses_dynamic_stack: false
    .vgpr_count:     142
    .vgpr_spill_count: 0
    .wavefront_size: 32
    .workgroup_processor_mode: 1
  - .args:
      - .address_space:  global
        .offset:         0
        .size:           8
        .value_kind:     global_buffer
      - .offset:         8
        .size:           4
        .value_kind:     by_value
      - .offset:         12
        .size:           4
        .value_kind:     by_value
      - .offset:         16
        .size:           8
        .value_kind:     by_value
      - .address_space:  global
        .offset:         24
        .size:           8
        .value_kind:     global_buffer
      - .offset:         32
        .size:           4
        .value_kind:     by_value
      - .offset:         40
        .size:           8
        .value_kind:     by_value
      - .address_space:  global
        .offset:         48
        .size:           8
        .value_kind:     global_buffer
      - .offset:         56
        .size:           1
        .value_kind:     by_value
      - .offset:         57
        .size:           1
        .value_kind:     by_value
    .group_segment_fixed_size: 840
    .kernarg_segment_align: 8
    .kernarg_segment_size: 60
    .language:       OpenCL C
    .language_version:
      - 2
      - 0
    .max_flat_workgroup_size: 64
    .name:           _ZN9rocsolver6v33100L18getri_kernel_smallILi52EdPKPdEEvT1_iilPiilS6_bb
    .private_segment_fixed_size: 432
    .sgpr_count:     22
    .sgpr_spill_count: 0
    .symbol:         _ZN9rocsolver6v33100L18getri_kernel_smallILi52EdPKPdEEvT1_iilPiilS6_bb.kd
    .uniform_work_group_size: 1
    .uses_dynamic_stack: false
    .vgpr_count:     151
    .vgpr_spill_count: 0
    .wavefront_size: 32
    .workgroup_processor_mode: 1
  - .args:
      - .address_space:  global
        .offset:         0
        .size:           8
        .value_kind:     global_buffer
      - .offset:         8
        .size:           4
        .value_kind:     by_value
      - .offset:         12
        .size:           4
        .value_kind:     by_value
      - .offset:         16
        .size:           8
        .value_kind:     by_value
      - .address_space:  global
        .offset:         24
        .size:           8
        .value_kind:     global_buffer
      - .offset:         32
        .size:           4
        .value_kind:     by_value
      - .offset:         40
        .size:           8
        .value_kind:     by_value
      - .address_space:  global
        .offset:         48
        .size:           8
        .value_kind:     global_buffer
      - .offset:         56
        .size:           1
        .value_kind:     by_value
      - .offset:         57
        .size:           1
        .value_kind:     by_value
    .group_segment_fixed_size: 856
    .kernarg_segment_align: 8
    .kernarg_segment_size: 60
    .language:       OpenCL C
    .language_version:
      - 2
      - 0
    .max_flat_workgroup_size: 64
    .name:           _ZN9rocsolver6v33100L18getri_kernel_smallILi53EdPKPdEEvT1_iilPiilS6_bb
    .private_segment_fixed_size: 432
    .sgpr_count:     22
    .sgpr_spill_count: 0
    .symbol:         _ZN9rocsolver6v33100L18getri_kernel_smallILi53EdPKPdEEvT1_iilPiilS6_bb.kd
    .uniform_work_group_size: 1
    .uses_dynamic_stack: false
    .vgpr_count:     154
    .vgpr_spill_count: 0
    .wavefront_size: 32
    .workgroup_processor_mode: 1
  - .args:
      - .address_space:  global
        .offset:         0
        .size:           8
        .value_kind:     global_buffer
      - .offset:         8
        .size:           4
        .value_kind:     by_value
      - .offset:         12
        .size:           4
        .value_kind:     by_value
      - .offset:         16
        .size:           8
        .value_kind:     by_value
      - .address_space:  global
        .offset:         24
        .size:           8
        .value_kind:     global_buffer
      - .offset:         32
        .size:           4
        .value_kind:     by_value
      - .offset:         40
        .size:           8
        .value_kind:     by_value
      - .address_space:  global
        .offset:         48
        .size:           8
        .value_kind:     global_buffer
      - .offset:         56
        .size:           1
        .value_kind:     by_value
      - .offset:         57
        .size:           1
        .value_kind:     by_value
    .group_segment_fixed_size: 872
    .kernarg_segment_align: 8
    .kernarg_segment_size: 60
    .language:       OpenCL C
    .language_version:
      - 2
      - 0
    .max_flat_workgroup_size: 64
    .name:           _ZN9rocsolver6v33100L18getri_kernel_smallILi54EdPKPdEEvT1_iilPiilS6_bb
    .private_segment_fixed_size: 448
    .sgpr_count:     22
    .sgpr_spill_count: 0
    .symbol:         _ZN9rocsolver6v33100L18getri_kernel_smallILi54EdPKPdEEvT1_iilPiilS6_bb.kd
    .uniform_work_group_size: 1
    .uses_dynamic_stack: false
    .vgpr_count:     155
    .vgpr_spill_count: 0
    .wavefront_size: 32
    .workgroup_processor_mode: 1
  - .args:
      - .address_space:  global
        .offset:         0
        .size:           8
        .value_kind:     global_buffer
      - .offset:         8
        .size:           4
        .value_kind:     by_value
      - .offset:         12
        .size:           4
        .value_kind:     by_value
      - .offset:         16
        .size:           8
        .value_kind:     by_value
      - .address_space:  global
        .offset:         24
        .size:           8
        .value_kind:     global_buffer
      - .offset:         32
        .size:           4
        .value_kind:     by_value
      - .offset:         40
        .size:           8
        .value_kind:     by_value
      - .address_space:  global
        .offset:         48
        .size:           8
        .value_kind:     global_buffer
      - .offset:         56
        .size:           1
        .value_kind:     by_value
      - .offset:         57
        .size:           1
        .value_kind:     by_value
    .group_segment_fixed_size: 888
    .kernarg_segment_align: 8
    .kernarg_segment_size: 60
    .language:       OpenCL C
    .language_version:
      - 2
      - 0
    .max_flat_workgroup_size: 64
    .name:           _ZN9rocsolver6v33100L18getri_kernel_smallILi55EdPKPdEEvT1_iilPiilS6_bb
    .private_segment_fixed_size: 448
    .sgpr_count:     22
    .sgpr_spill_count: 0
    .symbol:         _ZN9rocsolver6v33100L18getri_kernel_smallILi55EdPKPdEEvT1_iilPiilS6_bb.kd
    .uniform_work_group_size: 1
    .uses_dynamic_stack: false
    .vgpr_count:     158
    .vgpr_spill_count: 0
    .wavefront_size: 32
    .workgroup_processor_mode: 1
  - .args:
      - .address_space:  global
        .offset:         0
        .size:           8
        .value_kind:     global_buffer
      - .offset:         8
        .size:           4
        .value_kind:     by_value
      - .offset:         12
        .size:           4
        .value_kind:     by_value
      - .offset:         16
        .size:           8
        .value_kind:     by_value
      - .address_space:  global
        .offset:         24
        .size:           8
        .value_kind:     global_buffer
      - .offset:         32
        .size:           4
        .value_kind:     by_value
      - .offset:         40
        .size:           8
        .value_kind:     by_value
      - .address_space:  global
        .offset:         48
        .size:           8
        .value_kind:     global_buffer
      - .offset:         56
        .size:           1
        .value_kind:     by_value
      - .offset:         57
        .size:           1
        .value_kind:     by_value
    .group_segment_fixed_size: 904
    .kernarg_segment_align: 8
    .kernarg_segment_size: 60
    .language:       OpenCL C
    .language_version:
      - 2
      - 0
    .max_flat_workgroup_size: 64
    .name:           _ZN9rocsolver6v33100L18getri_kernel_smallILi56EdPKPdEEvT1_iilPiilS6_bb
    .private_segment_fixed_size: 464
    .sgpr_count:     22
    .sgpr_spill_count: 0
    .symbol:         _ZN9rocsolver6v33100L18getri_kernel_smallILi56EdPKPdEEvT1_iilPiilS6_bb.kd
    .uniform_work_group_size: 1
    .uses_dynamic_stack: false
    .vgpr_count:     159
    .vgpr_spill_count: 0
    .wavefront_size: 32
    .workgroup_processor_mode: 1
  - .args:
      - .address_space:  global
        .offset:         0
        .size:           8
        .value_kind:     global_buffer
      - .offset:         8
        .size:           4
        .value_kind:     by_value
      - .offset:         12
        .size:           4
        .value_kind:     by_value
      - .offset:         16
        .size:           8
        .value_kind:     by_value
      - .address_space:  global
        .offset:         24
        .size:           8
        .value_kind:     global_buffer
      - .offset:         32
        .size:           4
        .value_kind:     by_value
      - .offset:         40
        .size:           8
        .value_kind:     by_value
      - .address_space:  global
        .offset:         48
        .size:           8
        .value_kind:     global_buffer
      - .offset:         56
        .size:           1
        .value_kind:     by_value
      - .offset:         57
        .size:           1
        .value_kind:     by_value
    .group_segment_fixed_size: 920
    .kernarg_segment_align: 8
    .kernarg_segment_size: 60
    .language:       OpenCL C
    .language_version:
      - 2
      - 0
    .max_flat_workgroup_size: 64
    .name:           _ZN9rocsolver6v33100L18getri_kernel_smallILi57EdPKPdEEvT1_iilPiilS6_bb
    .private_segment_fixed_size: 464
    .sgpr_count:     22
    .sgpr_spill_count: 0
    .symbol:         _ZN9rocsolver6v33100L18getri_kernel_smallILi57EdPKPdEEvT1_iilPiilS6_bb.kd
    .uniform_work_group_size: 1
    .uses_dynamic_stack: false
    .vgpr_count:     162
    .vgpr_spill_count: 0
    .wavefront_size: 32
    .workgroup_processor_mode: 1
  - .args:
      - .address_space:  global
        .offset:         0
        .size:           8
        .value_kind:     global_buffer
      - .offset:         8
        .size:           4
        .value_kind:     by_value
      - .offset:         12
        .size:           4
        .value_kind:     by_value
      - .offset:         16
        .size:           8
        .value_kind:     by_value
      - .address_space:  global
        .offset:         24
        .size:           8
        .value_kind:     global_buffer
      - .offset:         32
        .size:           4
        .value_kind:     by_value
      - .offset:         40
        .size:           8
        .value_kind:     by_value
      - .address_space:  global
        .offset:         48
        .size:           8
        .value_kind:     global_buffer
      - .offset:         56
        .size:           1
        .value_kind:     by_value
      - .offset:         57
        .size:           1
        .value_kind:     by_value
    .group_segment_fixed_size: 936
    .kernarg_segment_align: 8
    .kernarg_segment_size: 60
    .language:       OpenCL C
    .language_version:
      - 2
      - 0
    .max_flat_workgroup_size: 64
    .name:           _ZN9rocsolver6v33100L18getri_kernel_smallILi58EdPKPdEEvT1_iilPiilS6_bb
    .private_segment_fixed_size: 480
    .sgpr_count:     22
    .sgpr_spill_count: 0
    .symbol:         _ZN9rocsolver6v33100L18getri_kernel_smallILi58EdPKPdEEvT1_iilPiilS6_bb.kd
    .uniform_work_group_size: 1
    .uses_dynamic_stack: false
    .vgpr_count:     163
    .vgpr_spill_count: 0
    .wavefront_size: 32
    .workgroup_processor_mode: 1
  - .args:
      - .address_space:  global
        .offset:         0
        .size:           8
        .value_kind:     global_buffer
      - .offset:         8
        .size:           4
        .value_kind:     by_value
      - .offset:         12
        .size:           4
        .value_kind:     by_value
      - .offset:         16
        .size:           8
        .value_kind:     by_value
      - .address_space:  global
        .offset:         24
        .size:           8
        .value_kind:     global_buffer
      - .offset:         32
        .size:           4
        .value_kind:     by_value
      - .offset:         40
        .size:           8
        .value_kind:     by_value
      - .address_space:  global
        .offset:         48
        .size:           8
        .value_kind:     global_buffer
      - .offset:         56
        .size:           1
        .value_kind:     by_value
      - .offset:         57
        .size:           1
        .value_kind:     by_value
    .group_segment_fixed_size: 952
    .kernarg_segment_align: 8
    .kernarg_segment_size: 60
    .language:       OpenCL C
    .language_version:
      - 2
      - 0
    .max_flat_workgroup_size: 64
    .name:           _ZN9rocsolver6v33100L18getri_kernel_smallILi59EdPKPdEEvT1_iilPiilS6_bb
    .private_segment_fixed_size: 480
    .sgpr_count:     22
    .sgpr_spill_count: 0
    .symbol:         _ZN9rocsolver6v33100L18getri_kernel_smallILi59EdPKPdEEvT1_iilPiilS6_bb.kd
    .uniform_work_group_size: 1
    .uses_dynamic_stack: false
    .vgpr_count:     158
    .vgpr_spill_count: 0
    .wavefront_size: 32
    .workgroup_processor_mode: 1
  - .args:
      - .address_space:  global
        .offset:         0
        .size:           8
        .value_kind:     global_buffer
      - .offset:         8
        .size:           4
        .value_kind:     by_value
      - .offset:         12
        .size:           4
        .value_kind:     by_value
      - .offset:         16
        .size:           8
        .value_kind:     by_value
      - .address_space:  global
        .offset:         24
        .size:           8
        .value_kind:     global_buffer
      - .offset:         32
        .size:           4
        .value_kind:     by_value
      - .offset:         40
        .size:           8
        .value_kind:     by_value
      - .address_space:  global
        .offset:         48
        .size:           8
        .value_kind:     global_buffer
      - .offset:         56
        .size:           1
        .value_kind:     by_value
      - .offset:         57
        .size:           1
        .value_kind:     by_value
    .group_segment_fixed_size: 968
    .kernarg_segment_align: 8
    .kernarg_segment_size: 60
    .language:       OpenCL C
    .language_version:
      - 2
      - 0
    .max_flat_workgroup_size: 64
    .name:           _ZN9rocsolver6v33100L18getri_kernel_smallILi60EdPKPdEEvT1_iilPiilS6_bb
    .private_segment_fixed_size: 496
    .sgpr_count:     22
    .sgpr_spill_count: 0
    .symbol:         _ZN9rocsolver6v33100L18getri_kernel_smallILi60EdPKPdEEvT1_iilPiilS6_bb.kd
    .uniform_work_group_size: 1
    .uses_dynamic_stack: false
    .vgpr_count:     167
    .vgpr_spill_count: 0
    .wavefront_size: 32
    .workgroup_processor_mode: 1
  - .args:
      - .address_space:  global
        .offset:         0
        .size:           8
        .value_kind:     global_buffer
      - .offset:         8
        .size:           4
        .value_kind:     by_value
      - .offset:         12
        .size:           4
        .value_kind:     by_value
      - .offset:         16
        .size:           8
        .value_kind:     by_value
      - .address_space:  global
        .offset:         24
        .size:           8
        .value_kind:     global_buffer
      - .offset:         32
        .size:           4
        .value_kind:     by_value
      - .offset:         40
        .size:           8
        .value_kind:     by_value
      - .address_space:  global
        .offset:         48
        .size:           8
        .value_kind:     global_buffer
      - .offset:         56
        .size:           1
        .value_kind:     by_value
      - .offset:         57
        .size:           1
        .value_kind:     by_value
    .group_segment_fixed_size: 984
    .kernarg_segment_align: 8
    .kernarg_segment_size: 60
    .language:       OpenCL C
    .language_version:
      - 2
      - 0
    .max_flat_workgroup_size: 64
    .name:           _ZN9rocsolver6v33100L18getri_kernel_smallILi61EdPKPdEEvT1_iilPiilS6_bb
    .private_segment_fixed_size: 496
    .sgpr_count:     22
    .sgpr_spill_count: 0
    .symbol:         _ZN9rocsolver6v33100L18getri_kernel_smallILi61EdPKPdEEvT1_iilPiilS6_bb.kd
    .uniform_work_group_size: 1
    .uses_dynamic_stack: false
    .vgpr_count:     170
    .vgpr_spill_count: 0
    .wavefront_size: 32
    .workgroup_processor_mode: 1
  - .args:
      - .address_space:  global
        .offset:         0
        .size:           8
        .value_kind:     global_buffer
      - .offset:         8
        .size:           4
        .value_kind:     by_value
      - .offset:         12
        .size:           4
        .value_kind:     by_value
      - .offset:         16
        .size:           8
        .value_kind:     by_value
      - .address_space:  global
        .offset:         24
        .size:           8
        .value_kind:     global_buffer
      - .offset:         32
        .size:           4
        .value_kind:     by_value
      - .offset:         40
        .size:           8
        .value_kind:     by_value
      - .address_space:  global
        .offset:         48
        .size:           8
        .value_kind:     global_buffer
      - .offset:         56
        .size:           1
        .value_kind:     by_value
      - .offset:         57
        .size:           1
        .value_kind:     by_value
    .group_segment_fixed_size: 1000
    .kernarg_segment_align: 8
    .kernarg_segment_size: 60
    .language:       OpenCL C
    .language_version:
      - 2
      - 0
    .max_flat_workgroup_size: 64
    .name:           _ZN9rocsolver6v33100L18getri_kernel_smallILi62EdPKPdEEvT1_iilPiilS6_bb
    .private_segment_fixed_size: 512
    .sgpr_count:     22
    .sgpr_spill_count: 0
    .symbol:         _ZN9rocsolver6v33100L18getri_kernel_smallILi62EdPKPdEEvT1_iilPiilS6_bb.kd
    .uniform_work_group_size: 1
    .uses_dynamic_stack: false
    .vgpr_count:     171
    .vgpr_spill_count: 0
    .wavefront_size: 32
    .workgroup_processor_mode: 1
  - .args:
      - .address_space:  global
        .offset:         0
        .size:           8
        .value_kind:     global_buffer
      - .offset:         8
        .size:           4
        .value_kind:     by_value
      - .offset:         12
        .size:           4
        .value_kind:     by_value
      - .offset:         16
        .size:           8
        .value_kind:     by_value
      - .address_space:  global
        .offset:         24
        .size:           8
        .value_kind:     global_buffer
      - .offset:         32
        .size:           4
        .value_kind:     by_value
      - .offset:         40
        .size:           8
        .value_kind:     by_value
      - .address_space:  global
        .offset:         48
        .size:           8
        .value_kind:     global_buffer
      - .offset:         56
        .size:           1
        .value_kind:     by_value
      - .offset:         57
        .size:           1
        .value_kind:     by_value
    .group_segment_fixed_size: 1016
    .kernarg_segment_align: 8
    .kernarg_segment_size: 60
    .language:       OpenCL C
    .language_version:
      - 2
      - 0
    .max_flat_workgroup_size: 64
    .name:           _ZN9rocsolver6v33100L18getri_kernel_smallILi63EdPKPdEEvT1_iilPiilS6_bb
    .private_segment_fixed_size: 512
    .sgpr_count:     22
    .sgpr_spill_count: 0
    .symbol:         _ZN9rocsolver6v33100L18getri_kernel_smallILi63EdPKPdEEvT1_iilPiilS6_bb.kd
    .uniform_work_group_size: 1
    .uses_dynamic_stack: false
    .vgpr_count:     174
    .vgpr_spill_count: 0
    .wavefront_size: 32
    .workgroup_processor_mode: 1
  - .args:
      - .address_space:  global
        .offset:         0
        .size:           8
        .value_kind:     global_buffer
      - .offset:         8
        .size:           4
        .value_kind:     by_value
      - .offset:         12
        .size:           4
        .value_kind:     by_value
      - .offset:         16
        .size:           8
        .value_kind:     by_value
      - .address_space:  global
        .offset:         24
        .size:           8
        .value_kind:     global_buffer
      - .offset:         32
        .size:           4
        .value_kind:     by_value
      - .offset:         40
        .size:           8
        .value_kind:     by_value
      - .address_space:  global
        .offset:         48
        .size:           8
        .value_kind:     global_buffer
      - .offset:         56
        .size:           1
        .value_kind:     by_value
      - .offset:         57
        .size:           1
        .value_kind:     by_value
    .group_segment_fixed_size: 1032
    .kernarg_segment_align: 8
    .kernarg_segment_size: 60
    .language:       OpenCL C
    .language_version:
      - 2
      - 0
    .max_flat_workgroup_size: 64
    .name:           _ZN9rocsolver6v33100L18getri_kernel_smallILi64EdPKPdEEvT1_iilPiilS6_bb
    .private_segment_fixed_size: 528
    .sgpr_count:     22
    .sgpr_spill_count: 0
    .symbol:         _ZN9rocsolver6v33100L18getri_kernel_smallILi64EdPKPdEEvT1_iilPiilS6_bb.kd
    .uniform_work_group_size: 1
    .uses_dynamic_stack: false
    .vgpr_count:     175
    .vgpr_spill_count: 0
    .wavefront_size: 32
    .workgroup_processor_mode: 1
amdhsa.target:   amdgcn-amd-amdhsa--gfx1030
amdhsa.version:
  - 1
  - 2
...

	.end_amdgpu_metadata
